;; amdgpu-corpus repo=pytorch/pytorch kind=compiled arch=gfx906 opt=O3
	.amdgcn_target "amdgcn-amd-amdhsa--gfx906"
	.amdhsa_code_object_version 6
	.section	.text._ZN2at6native12_GLOBAL__N_114gatherKthValueIhiLi1EEEvNS_4cuda6detail10TensorInfoIKT_T0_EES8_S8_S8_S8_NS5_IS6_S8_EENS5_IlS8_EE,"axG",@progbits,_ZN2at6native12_GLOBAL__N_114gatherKthValueIhiLi1EEEvNS_4cuda6detail10TensorInfoIKT_T0_EES8_S8_S8_S8_NS5_IS6_S8_EENS5_IlS8_EE,comdat
	.globl	_ZN2at6native12_GLOBAL__N_114gatherKthValueIhiLi1EEEvNS_4cuda6detail10TensorInfoIKT_T0_EES8_S8_S8_S8_NS5_IS6_S8_EENS5_IlS8_EE ; -- Begin function _ZN2at6native12_GLOBAL__N_114gatherKthValueIhiLi1EEEvNS_4cuda6detail10TensorInfoIKT_T0_EES8_S8_S8_S8_NS5_IS6_S8_EENS5_IlS8_EE
	.p2align	8
	.type	_ZN2at6native12_GLOBAL__N_114gatherKthValueIhiLi1EEEvNS_4cuda6detail10TensorInfoIKT_T0_EES8_S8_S8_S8_NS5_IS6_S8_EENS5_IlS8_EE,@function
_ZN2at6native12_GLOBAL__N_114gatherKthValueIhiLi1EEEvNS_4cuda6detail10TensorInfoIKT_T0_EES8_S8_S8_S8_NS5_IS6_S8_EENS5_IlS8_EE: ; @_ZN2at6native12_GLOBAL__N_114gatherKthValueIhiLi1EEEvNS_4cuda6detail10TensorInfoIKT_T0_EES8_S8_S8_S8_NS5_IS6_S8_EENS5_IlS8_EE
; %bb.0:
	s_load_dwordx2 s[12:13], s[4:5], 0x298
	s_load_dwordx4 s[60:63], s[4:5], 0xd8
	s_add_u32 s10, s4, 0x298
	s_addc_u32 s11, s5, 0
	s_waitcnt lgkmcnt(0)
	s_mul_i32 s0, s13, s8
	s_add_i32 s0, s0, s7
	s_mul_i32 s0, s0, s12
	s_add_i32 s13, s0, s6
	s_cmp_ge_i32 s13, s62
	s_cbranch_scc1 .LBB0_234
; %bb.1:
	s_load_dwordx2 s[0:1], s[4:5], 0x1c0
                                        ; implicit-def: $vgpr43 : SGPR spill to VGPR lane
	s_load_dword s7, s[4:5], 0x6c
	s_load_dwordx2 s[2:3], s[4:5], 0x0
	s_mov_b32 s78, 0
	s_waitcnt lgkmcnt(0)
	v_writelane_b32 v43, s0, 0
	v_writelane_b32 v43, s1, 1
	s_load_dwordx2 s[0:1], s[4:5], 0xe8
	s_waitcnt lgkmcnt(0)
	v_writelane_b32 v43, s0, 2
	v_writelane_b32 v43, s1, 3
	v_cmp_eq_u32_e64 s[0:1], 0, v0
	s_and_saveexec_b64 s[8:9], s[0:1]
; %bb.2:
	v_mov_b32_e32 v1, 0
	v_mov_b32_e32 v2, s60
	;; [unrolled: 1-line block ×3, first 2 shown]
	ds_write_b96 v1, v[1:3] offset:4096
; %bb.3:
	s_or_b64 exec, exec, s[8:9]
	s_load_dword s8, s[4:5], 0x22c
                                        ; kill: killed $sgpr4 killed $sgpr5
	s_waitcnt lgkmcnt(0)
	s_barrier
	s_mul_i32 s7, s7, s13
	v_writelane_b32 v43, s8, 4
	s_load_dword s8, s[4:5], 0x154
	v_mul_lo_u32 v9, s63, v0
	s_load_dword s4, s[10:11], 0xc
	s_ashr_i32 s5, s7, 31
	v_mbcnt_lo_u32_b32 v1, -1, 0
	s_add_u32 s68, s2, s7
	v_mbcnt_hi_u32_b32 v11, -1, v1
	s_addc_u32 s69, s3, s5
	s_waitcnt lgkmcnt(0)
	s_and_b32 s62, s4, 0xffff
	s_bfe_u32 s7, s4, 0xa0006
	v_cmp_gt_u32_e32 vcc, 64, v0
	v_cmp_gt_i32_e64 s[4:5], 4, v11
	s_and_b64 s[70:71], vcc, s[4:5]
	v_mov_b32_e32 v1, s69
	v_add_co_u32_e32 v5, vcc, s68, v9
	v_addc_co_u32_e32 v6, vcc, 0, v1, vcc
	v_lshlrev_b64 v[1:2], v11, -1
	v_writelane_b32 v43, s8, 5
	s_add_i32 s8, s62, -1
	v_writelane_b32 v43, s13, 6
	s_lshl_b32 s33, s62, 2
	s_add_i32 s81, s8, s60
	v_not_b32_e32 v15, v1
	v_lshrrev_b32_e32 v1, 2, v0
	v_writelane_b32 v43, s8, 7
	s_cmpk_gt_i32 s60, 0xc00
	v_cmp_gt_u32_e64 s[8:9], s60, v0
	v_and_b32_e32 v1, 0xf0, v1
	s_cselect_b64 s[72:73], -1, 0
	v_writelane_b32 v43, s8, 8
	s_cmp_gt_u32 s62, 63
	v_or_b32_e32 v16, 0xc00, v1
	v_cvt_f32_u32_e32 v1, s33
	v_writelane_b32 v43, s9, 9
	v_cmp_gt_i32_e64 s[8:9], s60, v0
	s_cselect_b64 s[74:75], -1, 0
	s_cmp_lt_u32 s6, s12
	v_writelane_b32 v43, s8, 10
	s_cselect_b32 s6, 12, 18
	v_writelane_b32 v43, s9, 11
	s_add_u32 s8, s10, s6
	s_addc_u32 s9, s11, 0
	v_rcp_iflag_f32_e32 v1, v1
	v_writelane_b32 v43, s8, 12
	s_add_i32 s6, s7, -1
	v_writelane_b32 v43, s9, 13
	s_bfe_u32 s9, s62, 0x30006
	s_and_b32 s6, s6, 0xffff
	s_cmp_gt_u32 s6, 6
	s_cselect_b64 s[10:11], -1, 0
	v_mul_f32_e32 v1, 0x4f7ffffe, v1
	v_writelane_b32 v43, s10, 14
	s_and_b32 s8, s7, 0x3f8
	v_cvt_u32_f32_e32 v1, v1
	v_writelane_b32 v43, s11, 15
	s_cmp_lg_u32 s9, 0
	v_writelane_b32 v43, s9, 16
	s_cselect_b64 s[6:7], -1, 0
	v_writelane_b32 v43, s6, 17
	v_writelane_b32 v43, s7, 18
	s_sub_i32 s6, 0, s33
	v_readfirstlane_b32 s7, v1
	s_mul_i32 s6, s6, s7
	s_mul_hi_u32 s6, s7, s6
	s_add_i32 s9, s7, s6
	s_mul_hi_u32 s6, s60, s9
	s_mul_i32 s6, s6, s33
	s_sub_i32 s6, s60, s6
	s_sub_i32 s7, s6, s33
	s_cmp_ge_u32 s6, s33
	s_cselect_b32 s6, s7, s6
	s_sub_i32 s7, s6, s33
	v_not_b32_e32 v14, v2
	s_cmp_ge_u32 s6, s33
	v_cvt_f32_u32_e32 v2, s62
	s_cselect_b32 s6, s7, s6
	s_sub_i32 s79, s60, s6
	v_add_u32_e32 v17, s79, v0
	v_mul_lo_u32 v1, v17, s63
	v_rcp_iflag_f32_e32 v2, v2
	s_sub_i32 s17, 0, s62
	s_abs_i32 s16, s81
	v_ashrrev_i32_e32 v4, 31, v1
	v_add_co_u32_e32 v7, vcc, s68, v1
	v_mul_f32_e32 v1, 0x4f7ffffe, v2
	v_cvt_u32_f32_e32 v1, v1
	s_ashr_i32 s7, s81, 31
	v_lshlrev_b32_e32 v10, 2, v0
	v_lshlrev_b32_e32 v3, 2, v11
	v_readfirstlane_b32 s18, v1
	s_mul_i32 s17, s17, s18
	s_mul_hi_u32 s17, s18, s17
	s_add_i32 s17, s18, s17
	v_writelane_b32 v43, s17, 19
	s_mul_hi_u32 s17, s16, s17
	s_mul_i32 s17, s17, s62
	s_sub_i32 s16, s16, s17
	s_sub_i32 s17, s16, s62
	s_cmp_ge_u32 s16, s62
	s_cselect_b32 s16, s17, s16
	s_sub_i32 s17, s16, s62
	v_mul_lo_u32 v1, s63, v10
	s_cmp_ge_u32 s16, s62
	s_cselect_b32 s16, s17, s16
	s_xor_b32 s16, s16, s7
	s_sub_i32 s7, s7, s16
	v_add_u32_e32 v18, s63, v1
	v_or_b32_e32 v1, 2, v10
	s_add_i32 s81, s81, s7
	v_mul_lo_u32 v20, s63, v1
	v_or_b32_e32 v1, 3, v10
	s_add_i32 s7, s62, s60
	v_mul_lo_u32 v21, s63, v1
	v_add_u32_e32 v1, s7, v0
	v_subrev_u32_e32 v1, s6, v1
	v_mul_lo_u32 v23, s63, v1
	v_mov_b32_e32 v8, s69
	v_cmp_gt_i32_e64 s[16:17], s81, v0
	s_mul_i32 s18, s63, s62
	v_cmp_eq_u32_e64 s[2:3], 0, v11
	v_cmp_gt_u32_e64 s[4:5], 2, v0
	v_mov_b32_e32 v12, 0
	v_and_b32_e32 v13, 0x100, v3
	v_cmp_gt_i32_e64 s[10:11], s79, v10
	v_cmp_gt_u32_e64 s[12:13], s60, v17
	v_addc_co_u32_e32 v8, vcc, v8, v4, vcc
	v_cmp_gt_i32_e64 s[14:15], s60, v17
	v_writelane_b32 v43, s16, 20
	s_lshl_b32 s76, s18, 2
	v_lshlrev_b32_e32 v22, 2, v9
	v_or_b32_e32 v24, 0xc00, v3
	s_mov_b64 s[82:83], 0
	v_mov_b32_e32 v26, 6
	v_mov_b32_e32 v29, s61
	;; [unrolled: 1-line block ×6, first 2 shown]
	v_writelane_b32 v43, s17, 21
                                        ; implicit-def: $sgpr84_sgpr85
                                        ; implicit-def: $sgpr88_sgpr89
                                        ; implicit-def: $sgpr86_sgpr87
                                        ; implicit-def: $sgpr92_sgpr93
                                        ; implicit-def: $sgpr94_sgpr95
                                        ; implicit-def: $sgpr90_sgpr91
	s_branch .LBB0_7
.LBB0_4:                                ;   in Loop: Header=BB0_7 Depth=1
	s_or_b64 exec, exec, s[30:31]
	s_and_b64 s[30:31], s[28:29], exec
	s_andn2_b64 s[26:27], s[26:27], exec
	s_andn2_b64 s[24:25], s[24:25], exec
	s_orn2_b64 s[20:21], s[20:21], exec
.LBB0_5:                                ;   in Loop: Header=BB0_7 Depth=1
	s_or_b64 exec, exec, s[22:23]
	s_andn2_b64 s[22:23], s[90:91], exec
	s_and_b64 s[28:29], s[30:31], exec
	s_or_b64 s[90:91], s[22:23], s[28:29]
	s_andn2_b64 s[22:23], s[94:95], exec
	s_and_b64 s[26:27], s[26:27], exec
	s_or_b64 s[94:95], s[22:23], s[26:27]
	;; [unrolled: 3-line block ×3, first 2 shown]
	s_orn2_b64 s[20:21], s[20:21], exec
.LBB0_6:                                ;   in Loop: Header=BB0_7 Depth=1
	s_or_b64 exec, exec, s[6:7]
	s_and_b64 s[6:7], exec, s[20:21]
	s_or_b64 s[82:83], s[6:7], s[82:83]
	s_andn2_b64 s[6:7], s[86:87], exec
	s_and_b64 s[20:21], s[90:91], exec
	s_or_b64 s[86:87], s[6:7], s[20:21]
	s_andn2_b64 s[6:7], s[88:89], exec
	s_and_b64 s[20:21], s[94:95], exec
	;; [unrolled: 3-line block ×3, first 2 shown]
	s_or_b64 s[84:85], s[6:7], s[20:21]
	s_mov_b32 s78, s16
	v_mov_b32_e32 v29, v4
	s_andn2_b64 exec, exec, s[82:83]
	s_cbranch_execz .LBB0_230
.LBB0_7:                                ; =>This Loop Header: Depth=1
                                        ;     Child Loop BB0_12 Depth 2
                                        ;     Child Loop BB0_27 Depth 2
	;; [unrolled: 1-line block ×16, first 2 shown]
	ds_read_b64 v[1:2], v12 offset:4096
	s_waitcnt lgkmcnt(0)
	v_readfirstlane_b32 s61, v1
	s_cmp_gt_i32 s61, 0
	s_cbranch_scc1 .LBB0_34
; %bb.8:                                ;   in Loop: Header=BB0_7 Depth=1
	s_and_b64 vcc, exec, s[72:73]
	s_cbranch_vccz .LBB0_20
; %bb.9:                                ;   in Loop: Header=BB0_7 Depth=1
	s_movk_i32 s16, 0xc01
	v_cmp_gt_i32_e32 vcc, s16, v2
	s_mov_b64 s[6:7], 0
	s_mov_b64 s[20:21], 0
	s_cbranch_vccz .LBB0_21
; %bb.10:                               ;   in Loop: Header=BB0_7 Depth=1
	v_readlane_b32 s16, v43, 12
	v_readlane_b32 s17, v43, 13
	s_nop 4
	global_load_ushort v1, v12, s[16:17]
	global_load_ubyte v4, v[5:6], off
	v_mov_b32_e32 v30, v0
	s_waitcnt vmcnt(1)
	v_add_u32_e32 v2, v0, v1
	v_mul_lo_u32 v2, s63, v2
	v_mul_lo_u32 v3, s63, v1
	s_branch .LBB0_12
.LBB0_11:                               ;   in Loop: Header=BB0_12 Depth=2
	s_or_b64 exec, exec, s[24:25]
	v_cmp_le_i32_e32 vcc, s60, v30
	v_add_u32_e32 v2, v2, v3
	s_or_b64 s[20:21], vcc, s[20:21]
	v_mov_b32_e32 v4, v31
	s_andn2_b64 exec, exec, s[20:21]
	s_cbranch_execz .LBB0_66
.LBB0_12:                               ;   Parent Loop BB0_7 Depth=1
                                        ; =>  This Inner Loop Header: Depth=2
	v_add_u32_e32 v30, v30, v1
	v_cmp_gt_u32_e32 vcc, s60, v30
	s_waitcnt lgkmcnt(0)
	v_mov_b32_e32 v32, 0
	v_mov_b32_e32 v31, 0
	s_and_saveexec_b64 s[22:23], vcc
	s_cbranch_execz .LBB0_14
; %bb.13:                               ;   in Loop: Header=BB0_12 Depth=2
	global_load_ubyte v31, v2, s[68:69]
.LBB0_14:                               ;   in Loop: Header=BB0_12 Depth=2
	s_or_b64 exec, exec, s[22:23]
	s_waitcnt vmcnt(0)
	v_and_b32_e32 v33, v4, v27
	v_cmp_eq_u32_sdwa s[22:23], v33, v19 src0_sel:BYTE_0 src1_sel:DWORD
	s_cmp_lg_u64 s[22:23], 0
	s_cselect_b64 s[16:17], -1, 0
	s_and_b64 s[16:17], s[2:3], s[16:17]
	s_and_saveexec_b64 s[24:25], s[16:17]
	s_cbranch_execz .LBB0_18
; %bb.15:                               ;   in Loop: Header=BB0_12 Depth=2
	s_mov_b64 s[28:29], exec
	v_mbcnt_lo_u32_b32 v32, s28, 0
	v_mbcnt_hi_u32_b32 v32, s29, v32
	s_bcnt1_i32_b64 s16, s[22:23]
	v_cmp_eq_u32_e32 vcc, 0, v32
                                        ; implicit-def: $vgpr33
	s_and_saveexec_b64 s[26:27], vcc
; %bb.16:                               ;   in Loop: Header=BB0_12 Depth=2
	s_bcnt1_i32_b64 s17, s[28:29]
	s_mul_i32 s17, s16, s17
	v_mov_b32_e32 v33, s17
	ds_add_rtn_u32 v33, v12, v33 offset:4104
; %bb.17:                               ;   in Loop: Header=BB0_12 Depth=2
	s_or_b64 exec, exec, s[26:27]
	s_waitcnt lgkmcnt(0)
	v_readfirstlane_b32 s17, v33
	v_mov_b32_e32 v33, s17
	v_mad_u32_u24 v32, s16, v32, v33
.LBB0_18:                               ;   in Loop: Header=BB0_12 Depth=2
	s_or_b64 exec, exec, s[24:25]
	ds_bpermute_b32 v32, v13, v32
	s_and_saveexec_b64 s[24:25], s[22:23]
	s_cbranch_execz .LBB0_11
; %bb.19:                               ;   in Loop: Header=BB0_12 Depth=2
	v_and_b32_e32 v34, s22, v15
	v_and_b32_e32 v33, s23, v14
	v_bcnt_u32_b32 v34, v34, 0
	v_bcnt_u32_b32 v33, v33, v34
	s_waitcnt lgkmcnt(0)
	v_add_u32_e32 v32, v32, v33
	ds_write_b8 v32, v4
	s_branch .LBB0_11
.LBB0_20:                               ;   in Loop: Header=BB0_7 Depth=1
	s_mov_b64 s[6:7], -1
	s_mov_b64 s[20:21], 0
.LBB0_21:                               ;   in Loop: Header=BB0_7 Depth=1
	s_and_b64 vcc, exec, s[6:7]
	s_cbranch_vccz .LBB0_32
.LBB0_22:                               ;   in Loop: Header=BB0_7 Depth=1
	v_mov_b32_e32 v1, 0
	s_mov_b64 s[6:7], exec
	v_readlane_b32 s16, v43, 8
	v_readlane_b32 s17, v43, 9
	s_and_b64 s[16:17], s[6:7], s[16:17]
	s_mov_b64 exec, s[16:17]
	s_cbranch_execz .LBB0_24
; %bb.23:                               ;   in Loop: Header=BB0_7 Depth=1
	global_load_ubyte v1, v[5:6], off
.LBB0_24:                               ;   in Loop: Header=BB0_7 Depth=1
	s_or_b64 exec, exec, s[6:7]
	s_mov_b64 s[6:7], exec
	v_readlane_b32 s16, v43, 10
	v_readlane_b32 s17, v43, 11
	s_and_b64 s[16:17], s[6:7], s[16:17]
	s_mov_b64 exec, s[16:17]
	s_cbranch_execz .LBB0_29
; %bb.25:                               ;   in Loop: Header=BB0_7 Depth=1
	v_readlane_b32 s16, v43, 12
	v_readlane_b32 s17, v43, 13
	s_mov_b64 s[20:21], 0
	v_mov_b32_e32 v30, v0
	s_nop 2
	global_load_ushort v2, v12, s[16:17]
	s_waitcnt vmcnt(0)
	v_add_u32_e32 v3, v0, v2
	v_mul_lo_u32 v3, s63, v3
	v_mul_lo_u32 v4, s63, v2
	s_branch .LBB0_27
.LBB0_26:                               ;   in Loop: Header=BB0_27 Depth=2
	s_or_b64 exec, exec, s[22:23]
	v_cmp_le_i32_e32 vcc, s60, v31
	ds_write_b8 v30, v1
	v_add_u32_e32 v3, v3, v4
	s_or_b64 s[20:21], vcc, s[20:21]
	s_waitcnt vmcnt(0)
	v_mov_b32_e32 v1, v32
	v_mov_b32_e32 v30, v31
	s_andn2_b64 exec, exec, s[20:21]
	s_cbranch_execz .LBB0_29
.LBB0_27:                               ;   Parent Loop BB0_7 Depth=1
                                        ; =>  This Inner Loop Header: Depth=2
	v_add_u32_e32 v31, v30, v2
	v_cmp_gt_u32_e32 vcc, s60, v31
	v_mov_b32_e32 v32, 0
	s_and_saveexec_b64 s[22:23], vcc
	s_cbranch_execz .LBB0_26
; %bb.28:                               ;   in Loop: Header=BB0_27 Depth=2
	global_load_ubyte v32, v3, s[68:69]
	s_branch .LBB0_26
.LBB0_29:                               ;   in Loop: Header=BB0_7 Depth=1
	s_or_b64 exec, exec, s[6:7]
	s_waitcnt vmcnt(0) lgkmcnt(0)
	s_barrier
	s_and_saveexec_b64 s[6:7], s[0:1]
; %bb.30:                               ;   in Loop: Header=BB0_7 Depth=1
	v_mov_b32_e32 v1, s60
	ds_write_b32 v12, v1 offset:4096
; %bb.31:                               ;   in Loop: Header=BB0_7 Depth=1
	s_or_b64 exec, exec, s[6:7]
	s_mov_b64 s[20:21], -1
	s_waitcnt lgkmcnt(0)
	s_barrier
.LBB0_32:                               ;   in Loop: Header=BB0_7 Depth=1
	s_and_b64 vcc, exec, s[20:21]
	s_cbranch_vccz .LBB0_34
; %bb.33:                               ;   in Loop: Header=BB0_7 Depth=1
	ds_read_b32 v1, v12 offset:4096
	s_waitcnt lgkmcnt(0)
	v_readfirstlane_b32 s61, v1
.LBB0_34:                               ;   in Loop: Header=BB0_7 Depth=1
	s_cmp_lt_i32 s61, 1
	s_mov_b64 s[6:7], -1
                                        ; implicit-def: $vgpr4
	s_cbranch_scc1 .LBB0_44
; %bb.35:                               ;   in Loop: Header=BB0_7 Depth=1
	s_and_b64 vcc, exec, s[6:7]
	s_cbranch_vccnz .LBB0_57
.LBB0_36:                               ;   in Loop: Header=BB0_7 Depth=1
	s_lshl_b32 s16, s78, 6
	s_and_saveexec_b64 s[6:7], s[2:3]
.LBB0_37:                               ;   in Loop: Header=BB0_7 Depth=1
	v_lshl_add_u32 v30, s16, 2, v16
	ds_write_b128 v30, v[1:4]
.LBB0_38:                               ;   in Loop: Header=BB0_7 Depth=1
	s_or_b64 exec, exec, s[6:7]
	s_waitcnt vmcnt(0) lgkmcnt(0)
	s_barrier
	s_and_saveexec_b64 s[6:7], s[70:71]
	s_cbranch_execz .LBB0_74
; %bb.39:                               ;   in Loop: Header=BB0_7 Depth=1
	s_andn2_b64 vcc, exec, s[74:75]
	v_mov_b32_e32 v1, 0
	s_cbranch_vccnz .LBB0_73
; %bb.40:                               ;   in Loop: Header=BB0_7 Depth=1
	v_readlane_b32 s20, v43, 14
	v_readlane_b32 s21, v43, 15
	s_andn2_b64 vcc, exec, s[20:21]
	s_cbranch_vccnz .LBB0_69
; %bb.41:                               ;   in Loop: Header=BB0_7 Depth=1
	v_lshl_add_u32 v2, s78, 8, v24
	s_mov_b32 s17, 0
	v_mov_b32_e32 v1, 0
.LBB0_42:                               ;   Parent Loop BB0_7 Depth=1
                                        ; =>  This Inner Loop Header: Depth=2
	ds_read2_b32 v[3:4], v2 offset1:4
	ds_read2_b32 v[30:31], v2 offset0:8 offset1:12
	ds_read2_b32 v[32:33], v2 offset0:16 offset1:20
	;; [unrolled: 1-line block ×3, first 2 shown]
	s_add_i32 s17, s17, 8
	s_waitcnt lgkmcnt(3)
	v_add3_u32 v1, v3, v1, v4
	s_waitcnt lgkmcnt(2)
	v_add3_u32 v1, v30, v1, v31
	;; [unrolled: 2-line block ×3, first 2 shown]
	v_add_u32_e32 v2, 0x80, v2
	s_cmp_eq_u32 s8, s17
	s_waitcnt lgkmcnt(0)
	v_add3_u32 v1, v34, v1, v35
	s_cbranch_scc0 .LBB0_42
; %bb.43:                               ;   in Loop: Header=BB0_7 Depth=1
	s_mov_b32 s17, s8
	s_branch .LBB0_70
.LBB0_44:                               ;   in Loop: Header=BB0_7 Depth=1
	v_mov_b32_e32 v1, 0
	v_mov_b32_e32 v2, 0
	;; [unrolled: 1-line block ×4, first 2 shown]
	s_and_saveexec_b64 s[64:65], s[10:11]
	s_cbranch_execnz .LBB0_47
; %bb.45:                               ;   in Loop: Header=BB0_7 Depth=1
	s_or_b64 exec, exec, s[64:65]
	v_mov_b32_e32 v32, 0
	s_and_saveexec_b64 s[6:7], s[12:13]
	s_cbranch_execnz .LBB0_50
.LBB0_46:                               ;   in Loop: Header=BB0_7 Depth=1
	s_or_b64 exec, exec, s[6:7]
	s_and_saveexec_b64 s[20:21], s[14:15]
	s_cbranch_execnz .LBB0_51
	s_branch .LBB0_56
.LBB0_47:                               ;   in Loop: Header=BB0_7 Depth=1
	s_mov_b32 s77, 0
	s_mov_b64 s[66:67], 0
	s_mov_b32 s16, 0
	s_mov_b32 s17, 0
	;; [unrolled: 1-line block ×4, first 2 shown]
	v_mov_b32_e32 v30, v10
.LBB0_48:                               ;   Parent Loop BB0_7 Depth=1
                                        ; =>  This Inner Loop Header: Depth=2
	v_add_u32_e32 v2, s77, v22
	v_add_u32_e32 v3, s77, v18
	v_mov_b32_e32 v1, s69
	v_add_u32_e32 v4, s77, v20
	v_add_u32_e32 v32, s77, v21
	v_ashrrev_i32_e32 v34, 31, v2
	v_ashrrev_i32_e32 v37, 31, v3
	v_add_co_u32_e64 v3, s[6:7], s68, v3
	v_add_co_u32_e64 v35, s[24:25], s68, v2
	v_ashrrev_i32_e32 v38, 31, v4
	v_add_co_u32_e64 v31, s[20:21], s68, v4
	v_ashrrev_i32_e32 v39, 31, v32
	v_add_co_u32_e64 v33, s[22:23], s68, v32
	v_addc_co_u32_e64 v36, s[24:25], v1, v34, s[24:25]
	v_addc_co_u32_e64 v4, s[6:7], v1, v37, s[6:7]
	;; [unrolled: 1-line block ×4, first 2 shown]
	global_load_ubyte v1, v[35:36], off
	global_load_ubyte v2, v[3:4], off
	s_nop 0
	global_load_ubyte v3, v[31:32], off
	global_load_ubyte v4, v[33:34], off
	v_add_u32_e32 v30, s33, v30
	s_add_i32 s77, s77, s76
	v_cmp_le_i32_e32 vcc, s79, v30
	s_waitcnt vmcnt(3)
	v_and_b32_e32 v31, v27, v1
	v_bfe_u32 v1, v1, v26, 2
	s_waitcnt vmcnt(2)
	v_and_b32_e32 v32, v27, v2
	v_bfe_u32 v2, v2, v26, 2
	v_cmp_eq_u32_e64 s[6:7], v31, v19
	v_cmp_eq_u32_e64 s[26:27], 0, v1
	s_waitcnt vmcnt(1)
	v_and_b32_e32 v33, v27, v3
	v_bfe_u32 v3, v3, v26, 2
	v_cmp_eq_u32_e64 s[20:21], v32, v19
	v_cmp_eq_u32_e64 s[28:29], 0, v2
	s_and_b64 s[26:27], s[6:7], s[26:27]
	s_waitcnt vmcnt(0)
	v_and_b32_e32 v34, v27, v4
	v_bfe_u32 v4, v4, v26, 2
	v_cmp_eq_u32_e64 s[22:23], v33, v19
	v_cmp_eq_u32_e64 s[30:31], 0, v3
	;; [unrolled: 1-line block ×5, first 2 shown]
	v_cndmask_b32_e64 v1, 0, 1, s[26:27]
	s_and_b64 s[26:27], s[20:21], s[28:29]
	v_cmp_eq_u32_e64 s[24:25], v34, v19
	v_cmp_eq_u32_e64 s[34:35], 0, v4
	v_cmp_eq_u32_e64 s[38:39], 1, v2
	v_cmp_eq_u32_e64 s[46:47], 2, v2
	v_cmp_eq_u32_e64 s[54:55], 3, v2
	v_cndmask_b32_e64 v2, 0, 1, s[26:27]
	s_and_b64 s[26:27], s[22:23], s[30:31]
	v_cmp_eq_u32_e64 s[40:41], 1, v3
	v_cmp_eq_u32_e64 s[48:49], 2, v3
	;; [unrolled: 1-line block ×3, first 2 shown]
	v_cndmask_b32_e64 v3, 0, 1, s[26:27]
	s_and_b64 s[26:27], s[24:25], s[34:35]
	v_cmp_eq_u32_e64 s[42:43], 1, v4
	v_cmp_eq_u32_e64 s[50:51], 2, v4
	;; [unrolled: 1-line block ×3, first 2 shown]
	v_cndmask_b32_e64 v4, 0, 1, s[26:27]
	s_and_b64 s[26:27], s[6:7], s[36:37]
	v_cndmask_b32_e64 v31, 0, 1, s[26:27]
	s_and_b64 s[26:27], s[20:21], s[38:39]
	;; [unrolled: 2-line block ×5, first 2 shown]
	s_and_b64 s[6:7], s[6:7], s[52:53]
	v_cndmask_b32_e64 v35, 0, 1, s[26:27]
	s_and_b64 s[26:27], s[20:21], s[46:47]
	v_cndmask_b32_e64 v39, 0, 1, s[6:7]
	s_and_b64 s[6:7], s[20:21], s[54:55]
	v_cndmask_b32_e64 v36, 0, 1, s[26:27]
	s_and_b64 s[26:27], s[22:23], s[48:49]
	v_cndmask_b32_e64 v40, 0, 1, s[6:7]
	s_and_b64 s[6:7], s[22:23], s[56:57]
	v_cndmask_b32_e64 v37, 0, 1, s[26:27]
	s_and_b64 s[26:27], s[24:25], s[50:51]
	v_cndmask_b32_e64 v41, 0, 1, s[6:7]
	s_and_b64 s[6:7], s[24:25], s[58:59]
	v_cndmask_b32_e64 v38, 0, 1, s[26:27]
	v_cndmask_b32_e64 v42, 0, 1, s[6:7]
	v_cmp_ne_u32_e64 s[6:7], 0, v1
	v_cmp_ne_u32_e64 s[20:21], 0, v2
	;; [unrolled: 1-line block ×11, first 2 shown]
	s_bcnt1_i32_b64 s6, s[6:7]
	s_bcnt1_i32_b64 s7, s[20:21]
	;; [unrolled: 1-line block ×8, first 2 shown]
	v_cmp_ne_u32_e64 s[34:35], 0, v34
	v_cmp_ne_u32_e64 s[40:41], 0, v37
	;; [unrolled: 1-line block ×3, first 2 shown]
	s_bcnt1_i32_b64 s23, s[28:29]
	s_bcnt1_i32_b64 s27, s[38:39]
	;; [unrolled: 1-line block ×3, first 2 shown]
	s_add_i32 s6, s80, s6
	s_add_i32 s19, s19, s22
	;; [unrolled: 1-line block ×4, first 2 shown]
	v_cmp_ne_u32_e64 s[42:43], 0, v38
	v_cmp_ne_u32_e64 s[50:51], 0, v42
	s_bcnt1_i32_b64 s25, s[34:35]
	s_bcnt1_i32_b64 s28, s[40:41]
	;; [unrolled: 1-line block ×3, first 2 shown]
	s_add_i32 s6, s6, s7
	s_add_i32 s7, s19, s23
	;; [unrolled: 1-line block ×4, first 2 shown]
	s_bcnt1_i32_b64 s29, s[42:43]
	s_bcnt1_i32_b64 s35, s[50:51]
	s_add_i32 s6, s6, s20
	s_add_i32 s7, s7, s24
	;; [unrolled: 1-line block ×8, first 2 shown]
	s_or_b64 s[66:67], vcc, s[66:67]
	v_mov_b32_e32 v1, s80
	v_mov_b32_e32 v2, s19
	v_mov_b32_e32 v3, s17
	v_mov_b32_e32 v4, s16
	s_andn2_b64 exec, exec, s[66:67]
	s_cbranch_execnz .LBB0_48
; %bb.49:                               ;   in Loop: Header=BB0_7 Depth=1
	s_or_b64 exec, exec, s[66:67]
	s_or_b64 exec, exec, s[64:65]
	v_mov_b32_e32 v32, 0
	s_and_saveexec_b64 s[6:7], s[12:13]
	s_cbranch_execz .LBB0_46
.LBB0_50:                               ;   in Loop: Header=BB0_7 Depth=1
	global_load_ubyte v32, v[7:8], off
	s_or_b64 exec, exec, s[6:7]
	s_and_saveexec_b64 s[20:21], s[14:15]
	s_cbranch_execz .LBB0_56
.LBB0_51:                               ;   in Loop: Header=BB0_7 Depth=1
	s_mov_b64 s[22:23], 0
	v_mov_b32_e32 v30, v23
	v_mov_b32_e32 v31, v17
	s_branch .LBB0_53
.LBB0_52:                               ;   in Loop: Header=BB0_53 Depth=2
	s_or_b64 exec, exec, s[6:7]
	s_waitcnt vmcnt(0)
	v_and_b32_e32 v32, 0xff, v32
	v_and_b32_e32 v34, v27, v32
	v_bfe_u32 v32, v32, v26, 2
	v_cmp_eq_u32_e32 vcc, v34, v19
	v_cmp_eq_u32_e64 s[6:7], 0, v32
	s_and_b64 s[6:7], vcc, s[6:7]
	v_cndmask_b32_e64 v34, 0, 1, s[6:7]
	v_cmp_ne_u32_e64 s[6:7], 0, v34
	s_bcnt1_i32_b64 s6, s[6:7]
	v_add_u32_e32 v1, s6, v1
	v_cmp_eq_u32_e64 s[6:7], 1, v32
	s_and_b64 s[6:7], vcc, s[6:7]
	v_cndmask_b32_e64 v34, 0, 1, s[6:7]
	v_cmp_ne_u32_e64 s[6:7], 0, v34
	s_bcnt1_i32_b64 s6, s[6:7]
	v_add_u32_e32 v2, s6, v2
	;; [unrolled: 6-line block ×3, first 2 shown]
	v_cmp_eq_u32_e64 s[6:7], 3, v32
	s_and_b64 s[6:7], vcc, s[6:7]
	v_cndmask_b32_e64 v32, 0, 1, s[6:7]
	v_cmp_ne_u32_e32 vcc, 0, v32
	s_bcnt1_i32_b64 s6, vcc
	v_cmp_le_i32_e32 vcc, s60, v31
	v_add_u32_e32 v4, s6, v4
	v_add_u32_e32 v30, s18, v30
	s_or_b64 s[22:23], vcc, s[22:23]
	v_mov_b32_e32 v32, v33
	s_andn2_b64 exec, exec, s[22:23]
	s_cbranch_execz .LBB0_55
.LBB0_53:                               ;   Parent Loop BB0_7 Depth=1
                                        ; =>  This Inner Loop Header: Depth=2
	v_add_u32_e32 v31, s62, v31
	v_cmp_gt_u32_e32 vcc, s60, v31
	v_mov_b32_e32 v33, 0
	s_and_saveexec_b64 s[6:7], vcc
	s_cbranch_execz .LBB0_52
; %bb.54:                               ;   in Loop: Header=BB0_53 Depth=2
	v_ashrrev_i32_e32 v34, 31, v30
	v_mov_b32_e32 v35, s69
	v_add_co_u32_e32 v33, vcc, s68, v30
	v_addc_co_u32_e32 v34, vcc, v35, v34, vcc
	global_load_ubyte v33, v[33:34], off
	s_branch .LBB0_52
.LBB0_55:                               ;   in Loop: Header=BB0_7 Depth=1
	s_or_b64 exec, exec, s[22:23]
.LBB0_56:                               ;   in Loop: Header=BB0_7 Depth=1
	s_or_b64 exec, exec, s[20:21]
	s_branch .LBB0_36
.LBB0_57:                               ;   in Loop: Header=BB0_7 Depth=1
	s_mul_hi_u32 s6, s61, s9
	s_mul_i32 s6, s6, s33
	s_sub_i32 s6, s61, s6
	s_sub_i32 s7, s6, s33
	s_cmp_ge_u32 s6, s33
	s_cselect_b32 s6, s7, s6
	s_sub_i32 s7, s6, s33
	s_cmp_ge_u32 s6, s33
	s_cselect_b32 s6, s7, s6
	s_sub_i32 s77, s61, s6
	v_cmp_gt_u32_e32 vcc, s77, v10
	v_mov_b32_e32 v1, 0
	v_mov_b32_e32 v2, 0
	;; [unrolled: 1-line block ×4, first 2 shown]
	s_and_saveexec_b64 s[64:65], vcc
	s_cbranch_execz .LBB0_61
; %bb.58:                               ;   in Loop: Header=BB0_7 Depth=1
	s_mov_b32 s16, 0
	s_mov_b64 s[66:67], 0
	s_mov_b32 s17, 0
	s_mov_b32 s19, 0
	;; [unrolled: 1-line block ×3, first 2 shown]
	v_mov_b32_e32 v30, v10
.LBB0_59:                               ;   Parent Loop BB0_7 Depth=1
                                        ; =>  This Inner Loop Header: Depth=2
	ds_read_b32 v1, v30
	v_add_u32_e32 v30, s33, v30
	v_cmp_le_i32_e32 vcc, s77, v30
	s_waitcnt lgkmcnt(0)
	v_and_b32_e32 v3, 0xff, v1
	v_bfe_u32 v4, v1, 8, 8
	v_and_b32_e32 v31, v27, v3
	v_bfe_u32 v3, v3, v26, 2
	v_lshrrev_b32_e32 v2, 24, v1
	v_bfe_u32 v1, v1, 16, 8
	s_waitcnt vmcnt(0)
	v_and_b32_e32 v32, v27, v4
	v_bfe_u32 v4, v4, v26, 2
	v_cmp_eq_u32_e64 s[6:7], v31, v19
	v_cmp_eq_u32_e64 s[26:27], 0, v3
	v_and_b32_e32 v33, v27, v1
	v_bfe_u32 v1, v1, v26, 2
	v_cmp_eq_u32_e64 s[20:21], v32, v19
	v_cmp_eq_u32_e64 s[28:29], 0, v4
	s_and_b64 s[26:27], s[6:7], s[26:27]
	v_and_b32_e32 v34, v27, v2
	v_bfe_u32 v2, v2, v26, 2
	v_cmp_eq_u32_e64 s[22:23], v33, v19
	v_cmp_eq_u32_e64 s[30:31], 0, v1
	;; [unrolled: 1-line block ×5, first 2 shown]
	v_cndmask_b32_e64 v1, 0, 1, s[26:27]
	s_and_b64 s[26:27], s[20:21], s[28:29]
	v_cmp_eq_u32_e64 s[24:25], v34, v19
	v_cmp_eq_u32_e64 s[34:35], 0, v2
	;; [unrolled: 1-line block ×5, first 2 shown]
	v_cndmask_b32_e64 v2, 0, 1, s[26:27]
	s_and_b64 s[26:27], s[22:23], s[30:31]
	v_cmp_eq_u32_e64 s[36:37], 1, v3
	v_cmp_eq_u32_e64 s[44:45], 2, v3
	;; [unrolled: 1-line block ×3, first 2 shown]
	v_cndmask_b32_e64 v3, 0, 1, s[26:27]
	s_and_b64 s[26:27], s[24:25], s[34:35]
	v_cmp_eq_u32_e64 s[38:39], 1, v4
	v_cmp_eq_u32_e64 s[46:47], 2, v4
	v_cmp_eq_u32_e64 s[54:55], 3, v4
	v_cndmask_b32_e64 v4, 0, 1, s[26:27]
	s_and_b64 s[26:27], s[6:7], s[36:37]
	v_cndmask_b32_e64 v31, 0, 1, s[26:27]
	s_and_b64 s[26:27], s[20:21], s[38:39]
	;; [unrolled: 2-line block ×5, first 2 shown]
	s_and_b64 s[6:7], s[6:7], s[52:53]
	v_cndmask_b32_e64 v35, 0, 1, s[26:27]
	s_and_b64 s[26:27], s[20:21], s[46:47]
	v_cndmask_b32_e64 v39, 0, 1, s[6:7]
	;; [unrolled: 2-line block ×7, first 2 shown]
	v_cndmask_b32_e64 v42, 0, 1, s[6:7]
	v_cmp_ne_u32_e64 s[6:7], 0, v1
	v_cmp_ne_u32_e64 s[20:21], 0, v2
	;; [unrolled: 1-line block ×11, first 2 shown]
	s_bcnt1_i32_b64 s6, s[6:7]
	s_bcnt1_i32_b64 s7, s[20:21]
	;; [unrolled: 1-line block ×8, first 2 shown]
	v_cmp_ne_u32_e64 s[34:35], 0, v34
	v_cmp_ne_u32_e64 s[40:41], 0, v37
	;; [unrolled: 1-line block ×3, first 2 shown]
	s_bcnt1_i32_b64 s23, s[28:29]
	s_bcnt1_i32_b64 s27, s[38:39]
	;; [unrolled: 1-line block ×3, first 2 shown]
	s_add_i32 s6, s80, s6
	s_add_i32 s19, s19, s22
	;; [unrolled: 1-line block ×4, first 2 shown]
	v_cmp_ne_u32_e64 s[42:43], 0, v38
	v_cmp_ne_u32_e64 s[50:51], 0, v42
	s_bcnt1_i32_b64 s25, s[34:35]
	s_bcnt1_i32_b64 s28, s[40:41]
	;; [unrolled: 1-line block ×3, first 2 shown]
	s_add_i32 s6, s6, s7
	s_add_i32 s7, s19, s23
	;; [unrolled: 1-line block ×4, first 2 shown]
	s_bcnt1_i32_b64 s29, s[42:43]
	s_bcnt1_i32_b64 s35, s[50:51]
	s_add_i32 s6, s6, s20
	s_add_i32 s7, s7, s24
	;; [unrolled: 1-line block ×8, first 2 shown]
	s_or_b64 s[66:67], vcc, s[66:67]
	v_mov_b32_e32 v1, s80
	v_mov_b32_e32 v2, s19
	;; [unrolled: 1-line block ×4, first 2 shown]
	s_andn2_b64 exec, exec, s[66:67]
	s_cbranch_execnz .LBB0_59
; %bb.60:                               ;   in Loop: Header=BB0_7 Depth=1
	s_or_b64 exec, exec, s[66:67]
.LBB0_61:                               ;   in Loop: Header=BB0_7 Depth=1
	s_or_b64 exec, exec, s[64:65]
	v_add_u32_e32 v30, s77, v0
	v_cmp_gt_i32_e32 vcc, s61, v30
	s_and_saveexec_b64 s[28:29], vcc
	s_cbranch_execz .LBB0_65
; %bb.62:                               ;   in Loop: Header=BB0_7 Depth=1
	s_mov_b64 s[30:31], 0
.LBB0_63:                               ;   Parent Loop BB0_7 Depth=1
                                        ; =>  This Inner Loop Header: Depth=2
	ds_read_u8 v31, v30
	v_add_u32_e32 v30, s62, v30
	v_cmp_le_i32_e32 vcc, s61, v30
	s_waitcnt vmcnt(0) lgkmcnt(0)
	v_and_b32_e32 v32, v27, v31
	v_bfe_u32 v31, v31, v26, 2
	v_cmp_eq_u32_e64 s[6:7], v32, v19
	v_cmp_eq_u32_e64 s[20:21], 0, v31
	;; [unrolled: 1-line block ×3, first 2 shown]
	s_and_b64 s[16:17], s[6:7], s[20:21]
	v_cmp_eq_u32_e64 s[24:25], 2, v31
	v_cmp_eq_u32_e64 s[26:27], 3, v31
	v_cndmask_b32_e64 v31, 0, 1, s[16:17]
	s_and_b64 s[16:17], s[6:7], s[22:23]
	v_cndmask_b32_e64 v32, 0, 1, s[16:17]
	s_and_b64 s[16:17], s[6:7], s[24:25]
	s_and_b64 s[6:7], s[6:7], s[26:27]
	v_cndmask_b32_e64 v33, 0, 1, s[16:17]
	v_cndmask_b32_e64 v34, 0, 1, s[6:7]
	v_cmp_ne_u32_e64 s[6:7], 0, v31
	v_cmp_ne_u32_e64 s[20:21], 0, v32
	;; [unrolled: 1-line block ×4, first 2 shown]
	s_bcnt1_i32_b64 s6, s[6:7]
	s_bcnt1_i32_b64 s7, s[20:21]
	;; [unrolled: 1-line block ×4, first 2 shown]
	v_add_u32_e32 v1, s6, v1
	v_add_u32_e32 v2, s7, v2
	;; [unrolled: 1-line block ×3, first 2 shown]
	s_or_b64 s[30:31], vcc, s[30:31]
	v_add_u32_e32 v4, s17, v4
	s_andn2_b64 exec, exec, s[30:31]
	s_cbranch_execnz .LBB0_63
; %bb.64:                               ;   in Loop: Header=BB0_7 Depth=1
	s_or_b64 exec, exec, s[30:31]
.LBB0_65:                               ;   in Loop: Header=BB0_7 Depth=1
	s_or_b64 exec, exec, s[28:29]
	s_lshl_b32 s16, s78, 6
	s_and_saveexec_b64 s[6:7], s[2:3]
	s_cbranch_execnz .LBB0_37
	s_branch .LBB0_38
.LBB0_66:                               ;   in Loop: Header=BB0_7 Depth=1
	s_or_b64 exec, exec, s[20:21]
	s_waitcnt lgkmcnt(0)
	s_barrier
	s_and_saveexec_b64 s[20:21], s[0:1]
	s_cbranch_execz .LBB0_68
; %bb.67:                               ;   in Loop: Header=BB0_7 Depth=1
	ds_read_b32 v1, v12 offset:4104
	s_waitcnt lgkmcnt(0)
	ds_write_b32 v12, v1 offset:4096
.LBB0_68:                               ;   in Loop: Header=BB0_7 Depth=1
	s_or_b64 exec, exec, s[20:21]
	s_waitcnt lgkmcnt(0)
	s_barrier
	s_mov_b64 s[20:21], -1
	s_and_b64 vcc, exec, s[6:7]
	s_cbranch_vccnz .LBB0_22
	s_branch .LBB0_32
.LBB0_69:                               ;   in Loop: Header=BB0_7 Depth=1
	v_mov_b32_e32 v1, 0
	s_mov_b32 s17, 0
.LBB0_70:                               ;   in Loop: Header=BB0_7 Depth=1
	v_readlane_b32 s20, v43, 17
	v_readlane_b32 s21, v43, 18
	s_andn2_b64 vcc, exec, s[20:21]
	s_cbranch_vccnz .LBB0_73
; %bb.71:                               ;   in Loop: Header=BB0_7 Depth=1
	s_lshl_b32 s19, s78, 8
	s_lshl_b32 s17, s17, 4
	s_add_i32 s19, s19, s17
	v_add_u32_e32 v2, s19, v24
	v_readlane_b32 s17, v43, 16
.LBB0_72:                               ;   Parent Loop BB0_7 Depth=1
                                        ; =>  This Inner Loop Header: Depth=2
	ds_read_b32 v3, v2
	s_add_i32 s17, s17, -1
	v_add_u32_e32 v2, 16, v2
	s_cmp_lg_u32 s17, 0
	s_waitcnt lgkmcnt(0)
	v_add_u32_e32 v1, v3, v1
	s_cbranch_scc1 .LBB0_72
.LBB0_73:                               ;   in Loop: Header=BB0_7 Depth=1
	v_add_lshl_u32 v2, s16, v11, 2
	ds_write_b32 v2, v1 offset:3072
.LBB0_74:                               ;   in Loop: Header=BB0_7 Depth=1
	s_or_b64 exec, exec, s[6:7]
	s_lshl_b32 s6, s16, 2
	v_mov_b32_e32 v1, s6
	s_waitcnt lgkmcnt(0)
	s_barrier
	ds_read_b128 v[1:4], v1 offset:3072
	v_cmp_eq_u32_e32 vcc, 1, v29
	s_mov_b64 s[20:21], -1
	s_mov_b64 s[28:29], -1
                                        ; implicit-def: $sgpr26_sgpr27
                                        ; implicit-def: $sgpr24_sgpr25
	s_waitcnt lgkmcnt(0)
	v_readfirstlane_b32 s42, v1
	s_cmp_eq_u32 s42, 1
	v_lshlrev_b32_e64 v1, v26, 3
	s_cselect_b64 s[6:7], -1, 0
	v_readfirstlane_b32 s46, v2
	v_readfirstlane_b32 s54, v3
	;; [unrolled: 1-line block ×3, first 2 shown]
	v_not_b32_e32 v3, v1
	s_and_b64 s[22:23], s[6:7], vcc
	s_and_saveexec_b64 s[6:7], s[22:23]
	s_cbranch_execz .LBB0_100
; %bb.75:                               ;   in Loop: Header=BB0_7 Depth=1
	ds_read_b32 v2, v12 offset:4096
	s_waitcnt lgkmcnt(0)
	s_barrier
	v_readfirstlane_b32 s16, v2
	s_and_saveexec_b64 s[24:25], s[4:5]
; %bb.76:                               ;   in Loop: Header=BB0_7 Depth=1
	ds_write_b8 v0, v12 offset:3072
; %bb.77:                               ;   in Loop: Header=BB0_7 Depth=1
	s_or_b64 exec, exec, s[24:25]
	v_and_b32_e32 v19, v19, v3
	v_or_b32_e32 v27, v27, v1
	s_mov_b64 s[24:25], -1
	s_mov_b64 s[26:27], 0
	s_cmp_lt_i32 s16, 1
	s_mov_b64 s[28:29], 0
	s_mov_b64 s[30:31], -1
	s_waitcnt lgkmcnt(0)
	s_barrier
                                        ; implicit-def: $vgpr28
	s_cbranch_scc0 .LBB0_88
; %bb.78:                               ;   in Loop: Header=BB0_7 Depth=1
	s_mov_b64 s[30:31], 0
                                        ; implicit-def: $vgpr28
	s_mov_b64 s[34:35], exec
	v_readlane_b32 s36, v43, 20
	v_readlane_b32 s37, v43, 21
	s_and_b64 s[36:37], s[34:35], s[36:37]
	s_mov_b64 exec, s[36:37]
	s_cbranch_execz .LBB0_87
; %bb.79:                               ;   in Loop: Header=BB0_7 Depth=1
	v_mov_b32_e32 v2, v9
	v_mov_b32_e32 v4, v0
                                        ; implicit-def: $sgpr36_sgpr37
	s_branch .LBB0_82
.LBB0_80:                               ;   in Loop: Header=BB0_82 Depth=2
	s_or_b64 exec, exec, s[38:39]
	s_waitcnt lgkmcnt(0)
	s_barrier
	ds_read_u16 v28, v12 offset:3072
	s_mov_b64 s[38:39], -1
	s_waitcnt lgkmcnt(0)
	s_barrier
	v_cmp_ne_u32_sdwa s[40:41], v28, v12 src0_sel:BYTE_0 src1_sel:DWORD
	s_and_b64 vcc, exec, s[40:41]
	s_mov_b64 s[40:41], -1
	s_cbranch_vccz .LBB0_85
.LBB0_81:                               ;   in Loop: Header=BB0_82 Depth=2
	s_and_b64 s[38:39], exec, s[38:39]
	s_or_b64 s[28:29], s[38:39], s[28:29]
	s_andn2_b64 s[36:37], s[36:37], exec
	s_and_b64 s[38:39], s[40:41], exec
	s_or_b64 s[36:37], s[36:37], s[38:39]
	s_andn2_b64 exec, exec, s[28:29]
	s_cbranch_execz .LBB0_86
.LBB0_82:                               ;   Parent Loop BB0_7 Depth=1
                                        ; =>  This Inner Loop Header: Depth=2
	v_cmp_gt_i32_e32 vcc, s60, v4
	s_and_saveexec_b64 s[38:39], vcc
	s_cbranch_execz .LBB0_80
; %bb.83:                               ;   in Loop: Header=BB0_82 Depth=2
	v_ashrrev_i32_e32 v28, 31, v2
	v_mov_b32_e32 v31, s69
	v_add_co_u32_e32 v30, vcc, s68, v2
	v_addc_co_u32_e32 v31, vcc, v31, v28, vcc
	global_load_ubyte v28, v[30:31], off
	s_waitcnt vmcnt(0)
	v_and_b32_e32 v30, v28, v27
	v_cmp_eq_u32_sdwa s[40:41], v30, v19 src0_sel:BYTE_0 src1_sel:DWORD
	s_and_b64 exec, exec, s[40:41]
	s_cbranch_execz .LBB0_80
; %bb.84:                               ;   in Loop: Header=BB0_82 Depth=2
	v_lshlrev_b16_e32 v28, 8, v28
	v_or_b32_e32 v28, 1, v28
	ds_write_b16 v12, v28 offset:3072
	s_branch .LBB0_80
.LBB0_85:                               ;   in Loop: Header=BB0_82 Depth=2
	v_add_u32_e32 v4, s62, v4
	v_cmp_le_i32_e32 vcc, s81, v4
	v_add_u32_e32 v2, s18, v2
	s_mov_b64 s[40:41], 0
	s_orn2_b64 s[38:39], vcc, exec
	s_branch .LBB0_81
.LBB0_86:                               ;   in Loop: Header=BB0_7 Depth=1
	s_or_b64 exec, exec, s[28:29]
	v_lshrrev_b32_sdwa v28, v25, v28 dst_sel:DWORD dst_unused:UNUSED_PAD src0_sel:DWORD src1_sel:WORD_0
	s_and_b64 s[28:29], s[36:37], exec
.LBB0_87:                               ;   in Loop: Header=BB0_7 Depth=1
	s_or_b64 exec, exec, s[34:35]
.LBB0_88:                               ;   in Loop: Header=BB0_7 Depth=1
	s_and_b64 vcc, exec, s[30:31]
	s_cbranch_vccz .LBB0_99
; %bb.89:                               ;   in Loop: Header=BB0_7 Depth=1
	v_readlane_b32 s17, v43, 7
	s_add_i32 s17, s16, s17
	s_abs_i32 s24, s17
	v_readlane_b32 s25, v43, 19
	s_mul_hi_u32 s25, s24, s25
	s_mul_i32 s25, s25, s62
	s_sub_i32 s24, s24, s25
	s_ashr_i32 s19, s17, 31
	s_sub_i32 s25, s24, s62
	s_cmp_ge_u32 s24, s62
	s_cselect_b32 s24, s25, s24
	s_sub_i32 s25, s24, s62
	s_cmp_ge_u32 s24, s62
	s_cselect_b32 s24, s25, s24
	s_xor_b32 s24, s24, s19
	s_sub_i32 s19, s19, s24
	s_add_i32 s17, s17, s19
	v_cmp_gt_i32_e32 vcc, s17, v0
                                        ; implicit-def: $vgpr28
	s_and_saveexec_b64 s[24:25], vcc
	s_cbranch_execz .LBB0_98
; %bb.90:                               ;   in Loop: Header=BB0_7 Depth=1
	s_mov_b64 s[26:27], 0
	v_mov_b32_e32 v2, v0
                                        ; implicit-def: $sgpr30_sgpr31
	s_branch .LBB0_93
.LBB0_91:                               ;   in Loop: Header=BB0_93 Depth=2
	s_or_b64 exec, exec, s[34:35]
	s_waitcnt lgkmcnt(0)
	s_barrier
	ds_read_u16 v4, v12 offset:3072
	s_mov_b64 s[34:35], -1
	s_waitcnt lgkmcnt(0)
	s_barrier
	v_cmp_ne_u32_sdwa s[36:37], v4, v12 src0_sel:BYTE_0 src1_sel:DWORD
	s_and_b64 vcc, exec, s[36:37]
	s_mov_b64 s[36:37], -1
	s_cbranch_vccz .LBB0_96
.LBB0_92:                               ;   in Loop: Header=BB0_93 Depth=2
	s_and_b64 s[34:35], exec, s[34:35]
	s_or_b64 s[26:27], s[34:35], s[26:27]
	s_andn2_b64 s[30:31], s[30:31], exec
	s_and_b64 s[34:35], s[36:37], exec
	s_or_b64 s[30:31], s[30:31], s[34:35]
	s_andn2_b64 exec, exec, s[26:27]
	s_cbranch_execz .LBB0_97
.LBB0_93:                               ;   Parent Loop BB0_7 Depth=1
                                        ; =>  This Inner Loop Header: Depth=2
	v_cmp_gt_i32_e32 vcc, s16, v2
	s_and_saveexec_b64 s[34:35], vcc
	s_cbranch_execz .LBB0_91
; %bb.94:                               ;   in Loop: Header=BB0_93 Depth=2
	ds_read_u8 v4, v2
	s_waitcnt lgkmcnt(0)
	v_and_b32_e32 v28, v4, v27
	v_cmp_eq_u32_sdwa s[36:37], v28, v19 src0_sel:BYTE_0 src1_sel:DWORD
	s_and_b64 exec, exec, s[36:37]
	s_cbranch_execz .LBB0_91
; %bb.95:                               ;   in Loop: Header=BB0_93 Depth=2
	v_lshlrev_b16_e32 v4, 8, v4
	v_or_b32_e32 v4, 1, v4
	ds_write_b16 v12, v4 offset:3072
	s_branch .LBB0_91
.LBB0_96:                               ;   in Loop: Header=BB0_93 Depth=2
	v_add_u32_e32 v2, s62, v2
	v_cmp_le_i32_e32 vcc, s17, v2
	s_mov_b64 s[36:37], 0
	s_orn2_b64 s[34:35], vcc, exec
	s_branch .LBB0_92
.LBB0_97:                               ;   in Loop: Header=BB0_7 Depth=1
	s_or_b64 exec, exec, s[26:27]
	s_andn2_b64 s[16:17], s[28:29], exec
	s_and_b64 s[26:27], s[30:31], exec
	v_lshrrev_b32_sdwa v28, v25, v4 dst_sel:DWORD dst_unused:UNUSED_PAD src0_sel:DWORD src1_sel:WORD_0
	s_or_b64 s[28:29], s[16:17], s[26:27]
.LBB0_98:                               ;   in Loop: Header=BB0_7 Depth=1
	s_or_b64 exec, exec, s[24:25]
	s_mov_b64 s[24:25], 0
	s_mov_b64 s[26:27], -1
.LBB0_99:                               ;   in Loop: Header=BB0_7 Depth=1
	s_orn2_b64 s[28:29], s[28:29], exec
.LBB0_100:                              ;   in Loop: Header=BB0_7 Depth=1
	s_or_b64 exec, exec, s[6:7]
	s_andn2_b64 s[6:7], s[94:95], exec
	s_and_b64 s[26:27], s[26:27], exec
	s_or_b64 s[94:95], s[6:7], s[26:27]
	s_andn2_b64 s[6:7], s[92:93], exec
	s_and_b64 s[24:25], s[24:25], exec
	v_readfirstlane_b32 s16, v0
	s_andn2_b64 s[90:91], s[90:91], exec
	s_or_b64 s[92:93], s[6:7], s[24:25]
                                        ; implicit-def: $vgpr4
	s_and_saveexec_b64 s[6:7], s[28:29]
	s_cbranch_execz .LBB0_6
; %bb.101:                              ;   in Loop: Header=BB0_7 Depth=1
	s_xor_b64 s[16:17], s[22:23], -1
	s_mov_b64 s[22:23], 0
	v_mov_b32_e32 v4, 1
	v_mov_b32_e32 v2, 1
	s_and_saveexec_b64 s[20:21], s[16:17]
	s_cbranch_execz .LBB0_110
; %bb.102:                              ;   in Loop: Header=BB0_7 Depth=1
	v_cmp_ge_i32_e32 vcc, s42, v29
	s_and_saveexec_b64 s[16:17], vcc
	s_xor_b64 s[22:23], exec, s[16:17]
	s_cbranch_execz .LBB0_107
; %bb.103:                              ;   in Loop: Header=BB0_7 Depth=1
	ds_read_b32 v2, v12 offset:4096
	v_and_b32_e32 v19, v19, v3
	v_or_b32_e32 v27, v27, v1
	s_waitcnt lgkmcnt(0)
	v_cmp_ne_u32_e32 vcc, 0, v2
	s_cbranch_vccnz .LBB0_107
; %bb.104:                              ;   in Loop: Header=BB0_7 Depth=1
	s_and_saveexec_b64 s[24:25], s[0:1]
; %bb.105:                              ;   in Loop: Header=BB0_7 Depth=1
	v_mov_b32_e32 v2, s42
	ds_write_b32 v12, v2 offset:4100
; %bb.106:                              ;   in Loop: Header=BB0_7 Depth=1
	s_or_b64 exec, exec, s[24:25]
	s_waitcnt lgkmcnt(0)
	s_barrier
.LBB0_107:                              ;   in Loop: Header=BB0_7 Depth=1
	s_or_saveexec_b64 s[22:23], s[22:23]
	s_mov_b64 s[24:25], 0
	v_mov_b32_e32 v2, 8
	s_xor_b64 exec, exec, s[22:23]
; %bb.108:                              ;   in Loop: Header=BB0_7 Depth=1
	s_mov_b64 s[24:25], exec
	v_subrev_u32_e32 v29, s42, v29
	v_mov_b32_e32 v2, 0
; %bb.109:                              ;   in Loop: Header=BB0_7 Depth=1
	s_or_b64 exec, exec, s[22:23]
	s_and_b64 s[22:23], s[24:25], exec
	v_mov_b32_e32 v4, v29
.LBB0_110:                              ;   in Loop: Header=BB0_7 Depth=1
	s_or_b64 exec, exec, s[20:21]
	s_mov_b64 s[20:21], -1
	s_mov_b64 s[28:29], -1
                                        ; implicit-def: $sgpr24_sgpr25
                                        ; implicit-def: $sgpr26_sgpr27
	s_and_saveexec_b64 s[16:17], s[22:23]
	s_xor_b64 s[22:23], exec, s[16:17]
	s_cbranch_execz .LBB0_227
; %bb.111:                              ;   in Loop: Header=BB0_7 Depth=1
	s_cmp_eq_u32 s46, 1
	s_cselect_b64 s[16:17], -1, 0
	v_cmp_eq_u32_e32 vcc, 1, v4
	s_and_b64 s[30:31], s[16:17], vcc
	s_mov_b64 s[34:35], -1
                                        ; implicit-def: $sgpr26_sgpr27
                                        ; implicit-def: $sgpr24_sgpr25
	s_and_saveexec_b64 s[28:29], s[30:31]
	s_cbranch_execz .LBB0_137
; %bb.112:                              ;   in Loop: Header=BB0_7 Depth=1
	ds_read_b32 v28, v12 offset:4096
	s_waitcnt lgkmcnt(0)
	s_barrier
	v_readfirstlane_b32 s16, v28
	s_and_saveexec_b64 s[24:25], s[4:5]
; %bb.113:                              ;   in Loop: Header=BB0_7 Depth=1
	ds_write_b8 v0, v12 offset:3072
; %bb.114:                              ;   in Loop: Header=BB0_7 Depth=1
	s_or_b64 exec, exec, s[24:25]
	v_and_b32_e32 v19, v19, v3
	v_lshl_or_b32 v19, 1, v26, v19
	v_or_b32_e32 v27, v27, v1
	s_mov_b64 s[24:25], -1
	s_mov_b64 s[26:27], 0
	s_cmp_gt_i32 s16, 0
	s_mov_b64 s[34:35], 0
	s_mov_b64 s[36:37], -1
	s_waitcnt lgkmcnt(0)
	s_barrier
                                        ; implicit-def: $vgpr28
	s_cbranch_scc1 .LBB0_125
; %bb.115:                              ;   in Loop: Header=BB0_7 Depth=1
	s_mov_b64 s[36:37], 0
                                        ; implicit-def: $vgpr28
	s_mov_b64 s[38:39], exec
	v_readlane_b32 s40, v43, 20
	v_readlane_b32 s41, v43, 21
	s_and_b64 s[40:41], s[38:39], s[40:41]
	s_mov_b64 exec, s[40:41]
	s_cbranch_execz .LBB0_124
; %bb.116:                              ;   in Loop: Header=BB0_7 Depth=1
	v_mov_b32_e32 v28, v9
	v_mov_b32_e32 v29, v0
                                        ; implicit-def: $sgpr40_sgpr41
	s_branch .LBB0_119
.LBB0_117:                              ;   in Loop: Header=BB0_119 Depth=2
	s_or_b64 exec, exec, s[42:43]
	s_waitcnt lgkmcnt(0)
	s_barrier
	ds_read_u16 v30, v12 offset:3072
	s_mov_b64 s[42:43], -1
	s_waitcnt lgkmcnt(0)
	s_barrier
	v_cmp_ne_u32_sdwa s[44:45], v30, v12 src0_sel:BYTE_0 src1_sel:DWORD
	s_and_b64 vcc, exec, s[44:45]
	s_mov_b64 s[44:45], -1
	s_cbranch_vccz .LBB0_122
.LBB0_118:                              ;   in Loop: Header=BB0_119 Depth=2
	s_and_b64 s[42:43], exec, s[42:43]
	s_or_b64 s[34:35], s[42:43], s[34:35]
	s_andn2_b64 s[40:41], s[40:41], exec
	s_and_b64 s[42:43], s[44:45], exec
	s_or_b64 s[40:41], s[40:41], s[42:43]
	s_andn2_b64 exec, exec, s[34:35]
	s_cbranch_execz .LBB0_123
.LBB0_119:                              ;   Parent Loop BB0_7 Depth=1
                                        ; =>  This Inner Loop Header: Depth=2
	v_cmp_gt_i32_e32 vcc, s60, v29
	s_and_saveexec_b64 s[42:43], vcc
	s_cbranch_execz .LBB0_117
; %bb.120:                              ;   in Loop: Header=BB0_119 Depth=2
	v_ashrrev_i32_e32 v31, 31, v28
	v_mov_b32_e32 v32, s69
	v_add_co_u32_e32 v30, vcc, s68, v28
	v_addc_co_u32_e32 v31, vcc, v32, v31, vcc
	global_load_ubyte v30, v[30:31], off
	s_waitcnt vmcnt(0)
	v_and_b32_e32 v31, v30, v27
	v_cmp_eq_u32_sdwa s[44:45], v31, v19 src0_sel:BYTE_0 src1_sel:DWORD
	s_and_b64 exec, exec, s[44:45]
	s_cbranch_execz .LBB0_117
; %bb.121:                              ;   in Loop: Header=BB0_119 Depth=2
	v_lshlrev_b16_e32 v30, 8, v30
	v_or_b32_e32 v30, 1, v30
	ds_write_b16 v12, v30 offset:3072
	s_branch .LBB0_117
.LBB0_122:                              ;   in Loop: Header=BB0_119 Depth=2
	v_add_u32_e32 v29, s62, v29
	v_cmp_le_i32_e32 vcc, s81, v29
	v_add_u32_e32 v28, s18, v28
	s_mov_b64 s[44:45], 0
	s_orn2_b64 s[42:43], vcc, exec
	s_branch .LBB0_118
.LBB0_123:                              ;   in Loop: Header=BB0_7 Depth=1
	s_or_b64 exec, exec, s[34:35]
	v_lshrrev_b32_sdwa v28, v25, v30 dst_sel:DWORD dst_unused:UNUSED_PAD src0_sel:DWORD src1_sel:WORD_0
	s_and_b64 s[34:35], s[40:41], exec
.LBB0_124:                              ;   in Loop: Header=BB0_7 Depth=1
	s_or_b64 exec, exec, s[38:39]
.LBB0_125:                              ;   in Loop: Header=BB0_7 Depth=1
	s_and_b64 vcc, exec, s[36:37]
	s_cbranch_vccz .LBB0_136
; %bb.126:                              ;   in Loop: Header=BB0_7 Depth=1
	v_readlane_b32 s17, v43, 7
	s_add_i32 s17, s16, s17
	s_abs_i32 s24, s17
	v_readlane_b32 s25, v43, 19
	s_mul_hi_u32 s25, s24, s25
	s_mul_i32 s25, s25, s62
	s_sub_i32 s24, s24, s25
	s_ashr_i32 s19, s17, 31
	s_sub_i32 s25, s24, s62
	s_cmp_ge_u32 s24, s62
	s_cselect_b32 s24, s25, s24
	s_sub_i32 s25, s24, s62
	s_cmp_ge_u32 s24, s62
	s_cselect_b32 s24, s25, s24
	s_xor_b32 s24, s24, s19
	s_sub_i32 s19, s19, s24
	s_add_i32 s17, s17, s19
	v_cmp_gt_i32_e32 vcc, s17, v0
                                        ; implicit-def: $vgpr28
	s_and_saveexec_b64 s[24:25], vcc
	s_cbranch_execz .LBB0_135
; %bb.127:                              ;   in Loop: Header=BB0_7 Depth=1
	s_mov_b64 s[26:27], 0
	v_mov_b32_e32 v28, v0
                                        ; implicit-def: $sgpr36_sgpr37
	s_branch .LBB0_130
.LBB0_128:                              ;   in Loop: Header=BB0_130 Depth=2
	s_or_b64 exec, exec, s[38:39]
	s_waitcnt lgkmcnt(0)
	s_barrier
	ds_read_u16 v29, v12 offset:3072
	s_mov_b64 s[38:39], -1
	s_waitcnt lgkmcnt(0)
	s_barrier
	v_cmp_eq_u32_sdwa s[40:41], v29, v12 src0_sel:BYTE_0 src1_sel:DWORD
	s_and_b64 vcc, exec, s[40:41]
	s_mov_b64 s[40:41], -1
	s_cbranch_vccnz .LBB0_133
.LBB0_129:                              ;   in Loop: Header=BB0_130 Depth=2
	s_and_b64 s[38:39], exec, s[38:39]
	s_or_b64 s[26:27], s[38:39], s[26:27]
	s_andn2_b64 s[36:37], s[36:37], exec
	s_and_b64 s[38:39], s[40:41], exec
	s_or_b64 s[36:37], s[36:37], s[38:39]
	s_andn2_b64 exec, exec, s[26:27]
	s_cbranch_execz .LBB0_134
.LBB0_130:                              ;   Parent Loop BB0_7 Depth=1
                                        ; =>  This Inner Loop Header: Depth=2
	v_cmp_gt_i32_e32 vcc, s16, v28
	s_and_saveexec_b64 s[38:39], vcc
	s_cbranch_execz .LBB0_128
; %bb.131:                              ;   in Loop: Header=BB0_130 Depth=2
	ds_read_u8 v29, v28
	s_waitcnt lgkmcnt(0)
	v_and_b32_e32 v30, v29, v27
	v_cmp_eq_u32_sdwa s[40:41], v30, v19 src0_sel:BYTE_0 src1_sel:DWORD
	s_and_b64 exec, exec, s[40:41]
	s_cbranch_execz .LBB0_128
; %bb.132:                              ;   in Loop: Header=BB0_130 Depth=2
	v_lshlrev_b16_e32 v29, 8, v29
	v_or_b32_e32 v29, 1, v29
	ds_write_b16 v12, v29 offset:3072
	s_branch .LBB0_128
.LBB0_133:                              ;   in Loop: Header=BB0_130 Depth=2
	v_add_u32_e32 v28, s62, v28
	v_cmp_le_i32_e32 vcc, s17, v28
	s_mov_b64 s[40:41], 0
	s_orn2_b64 s[38:39], vcc, exec
	s_branch .LBB0_129
.LBB0_134:                              ;   in Loop: Header=BB0_7 Depth=1
	s_or_b64 exec, exec, s[26:27]
	s_andn2_b64 s[16:17], s[34:35], exec
	s_and_b64 s[26:27], s[36:37], exec
	v_lshrrev_b32_sdwa v28, v25, v29 dst_sel:DWORD dst_unused:UNUSED_PAD src0_sel:DWORD src1_sel:WORD_0
	s_or_b64 s[34:35], s[16:17], s[26:27]
.LBB0_135:                              ;   in Loop: Header=BB0_7 Depth=1
	s_or_b64 exec, exec, s[24:25]
	s_mov_b64 s[24:25], 0
	s_mov_b64 s[26:27], -1
.LBB0_136:                              ;   in Loop: Header=BB0_7 Depth=1
	s_orn2_b64 s[34:35], s[34:35], exec
.LBB0_137:                              ;   in Loop: Header=BB0_7 Depth=1
	s_or_b64 exec, exec, s[28:29]
	s_mov_b64 s[36:37], 0
	s_and_saveexec_b64 s[28:29], s[34:35]
	s_cbranch_execz .LBB0_226
; %bb.138:                              ;   in Loop: Header=BB0_7 Depth=1
	s_xor_b64 s[16:17], s[30:31], -1
	s_mov_b64 s[40:41], 0
	v_mov_b32_e32 v29, 1
	v_mov_b32_e32 v2, 1
	s_and_saveexec_b64 s[30:31], s[16:17]
	s_cbranch_execz .LBB0_147
; %bb.139:                              ;   in Loop: Header=BB0_7 Depth=1
	v_cmp_ge_i32_e32 vcc, s46, v4
	s_and_saveexec_b64 s[16:17], vcc
	s_xor_b64 s[34:35], exec, s[16:17]
	s_cbranch_execz .LBB0_144
; %bb.140:                              ;   in Loop: Header=BB0_7 Depth=1
	ds_read_b32 v2, v12 offset:4096
	v_and_b32_e32 v19, v19, v3
	v_lshl_or_b32 v19, 1, v26, v19
	v_or_b32_e32 v27, v27, v1
	s_waitcnt lgkmcnt(0)
	v_cmp_ne_u32_e32 vcc, 0, v2
	s_cbranch_vccnz .LBB0_144
; %bb.141:                              ;   in Loop: Header=BB0_7 Depth=1
	s_and_saveexec_b64 s[36:37], s[0:1]
; %bb.142:                              ;   in Loop: Header=BB0_7 Depth=1
	v_mov_b32_e32 v2, s46
	ds_write_b32 v12, v2 offset:4100
; %bb.143:                              ;   in Loop: Header=BB0_7 Depth=1
	s_or_b64 exec, exec, s[36:37]
	s_waitcnt lgkmcnt(0)
	s_barrier
.LBB0_144:                              ;   in Loop: Header=BB0_7 Depth=1
	s_or_saveexec_b64 s[34:35], s[34:35]
	s_mov_b64 s[36:37], 0
	v_mov_b32_e32 v2, 8
	s_xor_b64 exec, exec, s[34:35]
; %bb.145:                              ;   in Loop: Header=BB0_7 Depth=1
	s_mov_b64 s[36:37], exec
	v_subrev_u32_e32 v4, s46, v4
	v_mov_b32_e32 v2, 0
; %bb.146:                              ;   in Loop: Header=BB0_7 Depth=1
	s_or_b64 exec, exec, s[34:35]
	s_and_b64 s[40:41], s[36:37], exec
	v_mov_b32_e32 v29, v4
.LBB0_147:                              ;   in Loop: Header=BB0_7 Depth=1
	s_or_b64 exec, exec, s[30:31]
	s_mov_b64 s[38:39], -1
                                        ; implicit-def: $sgpr34_sgpr35
                                        ; implicit-def: $sgpr36_sgpr37
	s_and_saveexec_b64 s[30:31], s[40:41]
	s_cbranch_execz .LBB0_225
; %bb.148:                              ;   in Loop: Header=BB0_7 Depth=1
	s_cmp_eq_u32 s54, 1
	s_cselect_b64 s[16:17], -1, 0
	v_cmp_eq_u32_e32 vcc, 1, v29
	s_and_b64 s[40:41], s[16:17], vcc
	s_mov_b64 s[42:43], -1
                                        ; implicit-def: $sgpr36_sgpr37
                                        ; implicit-def: $sgpr34_sgpr35
	s_and_saveexec_b64 s[38:39], s[40:41]
	s_cbranch_execz .LBB0_174
; %bb.149:                              ;   in Loop: Header=BB0_7 Depth=1
	ds_read_b32 v4, v12 offset:4096
	s_waitcnt lgkmcnt(0)
	s_barrier
	v_readfirstlane_b32 s16, v4
	s_and_saveexec_b64 s[34:35], s[4:5]
; %bb.150:                              ;   in Loop: Header=BB0_7 Depth=1
	ds_write_b8 v0, v12 offset:3072
; %bb.151:                              ;   in Loop: Header=BB0_7 Depth=1
	s_or_b64 exec, exec, s[34:35]
	v_and_b32_e32 v4, v19, v3
	v_lshl_or_b32 v19, 2, v26, v4
	v_or_b32_e32 v27, v27, v1
	s_mov_b64 s[34:35], -1
	s_mov_b64 s[36:37], 0
	s_cmp_gt_i32 s16, 0
	s_mov_b64 s[42:43], 0
	s_mov_b64 s[44:45], -1
	s_waitcnt lgkmcnt(0)
	s_barrier
                                        ; implicit-def: $vgpr28
	s_cbranch_scc1 .LBB0_162
; %bb.152:                              ;   in Loop: Header=BB0_7 Depth=1
	s_mov_b64 s[44:45], 0
                                        ; implicit-def: $vgpr28
	s_mov_b64 s[46:47], exec
	v_readlane_b32 s48, v43, 20
	v_readlane_b32 s49, v43, 21
	s_and_b64 s[48:49], s[46:47], s[48:49]
	s_mov_b64 exec, s[48:49]
	s_cbranch_execz .LBB0_161
; %bb.153:                              ;   in Loop: Header=BB0_7 Depth=1
	v_mov_b32_e32 v4, v9
	v_mov_b32_e32 v28, v0
                                        ; implicit-def: $sgpr48_sgpr49
	s_branch .LBB0_156
.LBB0_154:                              ;   in Loop: Header=BB0_156 Depth=2
	s_or_b64 exec, exec, s[50:51]
	s_waitcnt lgkmcnt(0)
	s_barrier
	ds_read_u16 v30, v12 offset:3072
	s_mov_b64 s[50:51], -1
	s_waitcnt lgkmcnt(0)
	s_barrier
	v_cmp_ne_u32_sdwa s[52:53], v30, v12 src0_sel:BYTE_0 src1_sel:DWORD
	s_and_b64 vcc, exec, s[52:53]
	s_mov_b64 s[52:53], -1
	s_cbranch_vccz .LBB0_159
.LBB0_155:                              ;   in Loop: Header=BB0_156 Depth=2
	s_and_b64 s[50:51], exec, s[50:51]
	s_or_b64 s[42:43], s[50:51], s[42:43]
	s_andn2_b64 s[48:49], s[48:49], exec
	s_and_b64 s[50:51], s[52:53], exec
	s_or_b64 s[48:49], s[48:49], s[50:51]
	s_andn2_b64 exec, exec, s[42:43]
	s_cbranch_execz .LBB0_160
.LBB0_156:                              ;   Parent Loop BB0_7 Depth=1
                                        ; =>  This Inner Loop Header: Depth=2
	v_cmp_gt_i32_e32 vcc, s60, v28
	s_and_saveexec_b64 s[50:51], vcc
	s_cbranch_execz .LBB0_154
; %bb.157:                              ;   in Loop: Header=BB0_156 Depth=2
	v_ashrrev_i32_e32 v31, 31, v4
	v_mov_b32_e32 v32, s69
	v_add_co_u32_e32 v30, vcc, s68, v4
	v_addc_co_u32_e32 v31, vcc, v32, v31, vcc
	global_load_ubyte v30, v[30:31], off
	s_waitcnt vmcnt(0)
	v_and_b32_e32 v31, v30, v27
	v_cmp_eq_u32_sdwa s[52:53], v31, v19 src0_sel:BYTE_0 src1_sel:DWORD
	s_and_b64 exec, exec, s[52:53]
	s_cbranch_execz .LBB0_154
; %bb.158:                              ;   in Loop: Header=BB0_156 Depth=2
	v_lshlrev_b16_e32 v30, 8, v30
	v_or_b32_e32 v30, 1, v30
	ds_write_b16 v12, v30 offset:3072
	s_branch .LBB0_154
.LBB0_159:                              ;   in Loop: Header=BB0_156 Depth=2
	v_add_u32_e32 v28, s62, v28
	v_cmp_le_i32_e32 vcc, s81, v28
	v_add_u32_e32 v4, s18, v4
	s_mov_b64 s[52:53], 0
	s_orn2_b64 s[50:51], vcc, exec
	s_branch .LBB0_155
.LBB0_160:                              ;   in Loop: Header=BB0_7 Depth=1
	s_or_b64 exec, exec, s[42:43]
	v_lshrrev_b32_sdwa v28, v25, v30 dst_sel:DWORD dst_unused:UNUSED_PAD src0_sel:DWORD src1_sel:WORD_0
	s_and_b64 s[42:43], s[48:49], exec
.LBB0_161:                              ;   in Loop: Header=BB0_7 Depth=1
	s_or_b64 exec, exec, s[46:47]
.LBB0_162:                              ;   in Loop: Header=BB0_7 Depth=1
	s_and_b64 vcc, exec, s[44:45]
	s_cbranch_vccz .LBB0_173
; %bb.163:                              ;   in Loop: Header=BB0_7 Depth=1
	v_readlane_b32 s17, v43, 7
	s_add_i32 s17, s16, s17
	s_abs_i32 s34, s17
	v_readlane_b32 s35, v43, 19
	s_mul_hi_u32 s35, s34, s35
	s_mul_i32 s35, s35, s62
	s_sub_i32 s34, s34, s35
	s_ashr_i32 s19, s17, 31
	s_sub_i32 s35, s34, s62
	s_cmp_ge_u32 s34, s62
	s_cselect_b32 s34, s35, s34
	s_sub_i32 s35, s34, s62
	s_cmp_ge_u32 s34, s62
	s_cselect_b32 s34, s35, s34
	s_xor_b32 s34, s34, s19
	s_sub_i32 s19, s19, s34
	s_add_i32 s17, s17, s19
	v_cmp_gt_i32_e32 vcc, s17, v0
                                        ; implicit-def: $vgpr28
	s_and_saveexec_b64 s[34:35], vcc
	s_cbranch_execz .LBB0_172
; %bb.164:                              ;   in Loop: Header=BB0_7 Depth=1
	s_mov_b64 s[36:37], 0
	v_mov_b32_e32 v4, v0
                                        ; implicit-def: $sgpr44_sgpr45
	s_branch .LBB0_167
.LBB0_165:                              ;   in Loop: Header=BB0_167 Depth=2
	s_or_b64 exec, exec, s[46:47]
	s_waitcnt lgkmcnt(0)
	s_barrier
	ds_read_u16 v28, v12 offset:3072
	s_mov_b64 s[46:47], -1
	s_waitcnt lgkmcnt(0)
	s_barrier
	v_cmp_eq_u32_sdwa s[48:49], v28, v12 src0_sel:BYTE_0 src1_sel:DWORD
	s_and_b64 vcc, exec, s[48:49]
	s_mov_b64 s[48:49], -1
	s_cbranch_vccnz .LBB0_170
.LBB0_166:                              ;   in Loop: Header=BB0_167 Depth=2
	s_and_b64 s[46:47], exec, s[46:47]
	s_or_b64 s[36:37], s[46:47], s[36:37]
	s_andn2_b64 s[44:45], s[44:45], exec
	s_and_b64 s[46:47], s[48:49], exec
	s_or_b64 s[44:45], s[44:45], s[46:47]
	s_andn2_b64 exec, exec, s[36:37]
	s_cbranch_execz .LBB0_171
.LBB0_167:                              ;   Parent Loop BB0_7 Depth=1
                                        ; =>  This Inner Loop Header: Depth=2
	v_cmp_gt_i32_e32 vcc, s16, v4
	s_and_saveexec_b64 s[46:47], vcc
	s_cbranch_execz .LBB0_165
; %bb.168:                              ;   in Loop: Header=BB0_167 Depth=2
	ds_read_u8 v28, v4
	s_waitcnt lgkmcnt(0)
	v_and_b32_e32 v30, v28, v27
	v_cmp_eq_u32_sdwa s[48:49], v30, v19 src0_sel:BYTE_0 src1_sel:DWORD
	s_and_b64 exec, exec, s[48:49]
	s_cbranch_execz .LBB0_165
; %bb.169:                              ;   in Loop: Header=BB0_167 Depth=2
	v_lshlrev_b16_e32 v28, 8, v28
	v_or_b32_e32 v28, 1, v28
	ds_write_b16 v12, v28 offset:3072
	s_branch .LBB0_165
.LBB0_170:                              ;   in Loop: Header=BB0_167 Depth=2
	v_add_u32_e32 v4, s62, v4
	v_cmp_le_i32_e32 vcc, s17, v4
	s_mov_b64 s[48:49], 0
	s_orn2_b64 s[46:47], vcc, exec
	s_branch .LBB0_166
.LBB0_171:                              ;   in Loop: Header=BB0_7 Depth=1
	s_or_b64 exec, exec, s[36:37]
	s_andn2_b64 s[16:17], s[42:43], exec
	s_and_b64 s[36:37], s[44:45], exec
	v_lshrrev_b32_sdwa v28, v25, v28 dst_sel:DWORD dst_unused:UNUSED_PAD src0_sel:DWORD src1_sel:WORD_0
	s_or_b64 s[42:43], s[16:17], s[36:37]
.LBB0_172:                              ;   in Loop: Header=BB0_7 Depth=1
	s_or_b64 exec, exec, s[34:35]
	s_mov_b64 s[34:35], 0
	s_mov_b64 s[36:37], -1
.LBB0_173:                              ;   in Loop: Header=BB0_7 Depth=1
	s_orn2_b64 s[42:43], s[42:43], exec
.LBB0_174:                              ;   in Loop: Header=BB0_7 Depth=1
	s_or_b64 exec, exec, s[38:39]
	s_mov_b64 s[44:45], 0
	s_and_saveexec_b64 s[38:39], s[42:43]
	s_cbranch_execz .LBB0_224
; %bb.175:                              ;   in Loop: Header=BB0_7 Depth=1
	s_xor_b64 s[16:17], s[40:41], -1
	s_mov_b64 s[48:49], 0
	v_mov_b32_e32 v4, 1
	v_mov_b32_e32 v2, 1
	s_and_saveexec_b64 s[40:41], s[16:17]
	s_cbranch_execz .LBB0_184
; %bb.176:                              ;   in Loop: Header=BB0_7 Depth=1
	v_cmp_ge_i32_e32 vcc, s54, v29
	s_and_saveexec_b64 s[16:17], vcc
	s_xor_b64 s[42:43], exec, s[16:17]
	s_cbranch_execz .LBB0_181
; %bb.177:                              ;   in Loop: Header=BB0_7 Depth=1
	ds_read_b32 v2, v12 offset:4096
	v_and_b32_e32 v3, v19, v3
	v_lshl_or_b32 v19, 2, v26, v3
	v_or_b32_e32 v27, v27, v1
	s_waitcnt lgkmcnt(0)
	v_cmp_ne_u32_e32 vcc, 0, v2
	s_cbranch_vccnz .LBB0_181
; %bb.178:                              ;   in Loop: Header=BB0_7 Depth=1
	s_and_saveexec_b64 s[44:45], s[0:1]
; %bb.179:                              ;   in Loop: Header=BB0_7 Depth=1
	v_mov_b32_e32 v2, s54
	ds_write_b32 v12, v2 offset:4100
; %bb.180:                              ;   in Loop: Header=BB0_7 Depth=1
	s_or_b64 exec, exec, s[44:45]
	s_waitcnt lgkmcnt(0)
	s_barrier
.LBB0_181:                              ;   in Loop: Header=BB0_7 Depth=1
	s_or_saveexec_b64 s[42:43], s[42:43]
	s_mov_b64 s[44:45], 0
	v_mov_b32_e32 v2, 8
	s_xor_b64 exec, exec, s[42:43]
; %bb.182:                              ;   in Loop: Header=BB0_7 Depth=1
	s_mov_b64 s[44:45], exec
	v_subrev_u32_e32 v29, s54, v29
	v_mov_b32_e32 v2, 0
; %bb.183:                              ;   in Loop: Header=BB0_7 Depth=1
	s_or_b64 exec, exec, s[42:43]
	s_and_b64 s[48:49], s[44:45], exec
	v_mov_b32_e32 v4, v29
.LBB0_184:                              ;   in Loop: Header=BB0_7 Depth=1
	s_or_b64 exec, exec, s[40:41]
	s_mov_b64 s[46:47], -1
                                        ; implicit-def: $sgpr44_sgpr45
                                        ; implicit-def: $sgpr42_sgpr43
	s_and_saveexec_b64 s[40:41], s[48:49]
	s_cbranch_execz .LBB0_223
; %bb.185:                              ;   in Loop: Header=BB0_7 Depth=1
	s_cmp_eq_u32 s61, 1
	s_cselect_b64 s[16:17], -1, 0
	v_cmp_eq_u32_e32 vcc, 1, v4
	s_and_b64 s[46:47], s[16:17], vcc
	s_mov_b64 s[50:51], -1
                                        ; implicit-def: $sgpr44_sgpr45
                                        ; implicit-def: $sgpr42_sgpr43
	s_and_saveexec_b64 s[48:49], s[46:47]
	s_cbranch_execz .LBB0_211
; %bb.186:                              ;   in Loop: Header=BB0_7 Depth=1
	ds_read_b32 v3, v12 offset:4096
	s_waitcnt lgkmcnt(0)
	s_barrier
	v_readfirstlane_b32 s16, v3
	s_and_saveexec_b64 s[42:43], s[4:5]
; %bb.187:                              ;   in Loop: Header=BB0_7 Depth=1
	ds_write_b8 v0, v12 offset:3072
; %bb.188:                              ;   in Loop: Header=BB0_7 Depth=1
	s_or_b64 exec, exec, s[42:43]
	v_or_b32_e32 v19, v19, v1
	v_or_b32_e32 v27, v27, v1
	s_mov_b64 s[42:43], -1
	s_mov_b64 s[44:45], 0
	s_cmp_gt_i32 s16, 0
	s_mov_b64 s[50:51], 0
	s_mov_b64 s[52:53], -1
	s_waitcnt lgkmcnt(0)
	s_barrier
                                        ; implicit-def: $vgpr28
	s_cbranch_scc1 .LBB0_199
; %bb.189:                              ;   in Loop: Header=BB0_7 Depth=1
	s_mov_b64 s[52:53], 0
                                        ; implicit-def: $vgpr28
	s_mov_b64 s[54:55], exec
	v_readlane_b32 s56, v43, 20
	v_readlane_b32 s57, v43, 21
	s_and_b64 s[56:57], s[54:55], s[56:57]
	s_mov_b64 exec, s[56:57]
	s_cbranch_execz .LBB0_198
; %bb.190:                              ;   in Loop: Header=BB0_7 Depth=1
	v_mov_b32_e32 v3, v9
	v_mov_b32_e32 v28, v0
                                        ; implicit-def: $sgpr56_sgpr57
	s_branch .LBB0_193
.LBB0_191:                              ;   in Loop: Header=BB0_193 Depth=2
	s_or_b64 exec, exec, s[58:59]
	s_waitcnt lgkmcnt(0)
	s_barrier
	ds_read_u16 v29, v12 offset:3072
	s_mov_b64 s[58:59], -1
	s_waitcnt lgkmcnt(0)
	s_barrier
	v_cmp_ne_u32_sdwa s[64:65], v29, v12 src0_sel:BYTE_0 src1_sel:DWORD
	s_and_b64 vcc, exec, s[64:65]
	s_mov_b64 s[64:65], -1
	s_cbranch_vccz .LBB0_196
.LBB0_192:                              ;   in Loop: Header=BB0_193 Depth=2
	s_and_b64 s[58:59], exec, s[58:59]
	s_or_b64 s[50:51], s[58:59], s[50:51]
	s_andn2_b64 s[56:57], s[56:57], exec
	s_and_b64 s[58:59], s[64:65], exec
	s_or_b64 s[56:57], s[56:57], s[58:59]
	s_andn2_b64 exec, exec, s[50:51]
	s_cbranch_execz .LBB0_197
.LBB0_193:                              ;   Parent Loop BB0_7 Depth=1
                                        ; =>  This Inner Loop Header: Depth=2
	v_cmp_gt_i32_e32 vcc, s60, v28
	s_and_saveexec_b64 s[58:59], vcc
	s_cbranch_execz .LBB0_191
; %bb.194:                              ;   in Loop: Header=BB0_193 Depth=2
	v_ashrrev_i32_e32 v30, 31, v3
	v_mov_b32_e32 v31, s69
	v_add_co_u32_e32 v29, vcc, s68, v3
	v_addc_co_u32_e32 v30, vcc, v31, v30, vcc
	global_load_ubyte v29, v[29:30], off
	s_waitcnt vmcnt(0)
	v_and_b32_e32 v30, v29, v27
	v_cmp_eq_u32_sdwa s[64:65], v30, v19 src0_sel:BYTE_0 src1_sel:DWORD
	s_and_b64 exec, exec, s[64:65]
	s_cbranch_execz .LBB0_191
; %bb.195:                              ;   in Loop: Header=BB0_193 Depth=2
	v_lshlrev_b16_e32 v29, 8, v29
	v_or_b32_e32 v29, 1, v29
	ds_write_b16 v12, v29 offset:3072
	s_branch .LBB0_191
.LBB0_196:                              ;   in Loop: Header=BB0_193 Depth=2
	v_add_u32_e32 v28, s62, v28
	v_cmp_le_i32_e32 vcc, s81, v28
	v_add_u32_e32 v3, s18, v3
	s_mov_b64 s[64:65], 0
	s_orn2_b64 s[58:59], vcc, exec
	s_branch .LBB0_192
.LBB0_197:                              ;   in Loop: Header=BB0_7 Depth=1
	s_or_b64 exec, exec, s[50:51]
	v_lshrrev_b32_sdwa v28, v25, v29 dst_sel:DWORD dst_unused:UNUSED_PAD src0_sel:DWORD src1_sel:WORD_0
	s_and_b64 s[50:51], s[56:57], exec
.LBB0_198:                              ;   in Loop: Header=BB0_7 Depth=1
	s_or_b64 exec, exec, s[54:55]
.LBB0_199:                              ;   in Loop: Header=BB0_7 Depth=1
	s_and_b64 vcc, exec, s[52:53]
	s_cbranch_vccz .LBB0_210
; %bb.200:                              ;   in Loop: Header=BB0_7 Depth=1
	v_readlane_b32 s17, v43, 7
	s_add_i32 s17, s16, s17
	s_abs_i32 s42, s17
	v_readlane_b32 s43, v43, 19
	s_mul_hi_u32 s43, s42, s43
	s_mul_i32 s43, s43, s62
	s_sub_i32 s42, s42, s43
	s_ashr_i32 s19, s17, 31
	s_sub_i32 s43, s42, s62
	s_cmp_ge_u32 s42, s62
	s_cselect_b32 s42, s43, s42
	s_sub_i32 s43, s42, s62
	s_cmp_ge_u32 s42, s62
	s_cselect_b32 s42, s43, s42
	s_xor_b32 s42, s42, s19
	s_sub_i32 s19, s19, s42
	s_add_i32 s17, s17, s19
	v_cmp_gt_i32_e32 vcc, s17, v0
                                        ; implicit-def: $vgpr28
	s_and_saveexec_b64 s[42:43], vcc
	s_cbranch_execz .LBB0_209
; %bb.201:                              ;   in Loop: Header=BB0_7 Depth=1
	s_mov_b64 s[44:45], 0
	v_mov_b32_e32 v3, v0
                                        ; implicit-def: $sgpr52_sgpr53
	s_branch .LBB0_204
.LBB0_202:                              ;   in Loop: Header=BB0_204 Depth=2
	s_or_b64 exec, exec, s[54:55]
	s_waitcnt lgkmcnt(0)
	s_barrier
	ds_read_u16 v28, v12 offset:3072
	s_mov_b64 s[54:55], -1
	s_waitcnt lgkmcnt(0)
	s_barrier
	v_cmp_eq_u32_sdwa s[56:57], v28, v12 src0_sel:BYTE_0 src1_sel:DWORD
	s_and_b64 vcc, exec, s[56:57]
	s_mov_b64 s[56:57], -1
	s_cbranch_vccnz .LBB0_207
.LBB0_203:                              ;   in Loop: Header=BB0_204 Depth=2
	s_and_b64 s[54:55], exec, s[54:55]
	s_or_b64 s[44:45], s[54:55], s[44:45]
	s_andn2_b64 s[52:53], s[52:53], exec
	s_and_b64 s[54:55], s[56:57], exec
	s_or_b64 s[52:53], s[52:53], s[54:55]
	s_andn2_b64 exec, exec, s[44:45]
	s_cbranch_execz .LBB0_208
.LBB0_204:                              ;   Parent Loop BB0_7 Depth=1
                                        ; =>  This Inner Loop Header: Depth=2
	v_cmp_gt_i32_e32 vcc, s16, v3
	s_and_saveexec_b64 s[54:55], vcc
	s_cbranch_execz .LBB0_202
; %bb.205:                              ;   in Loop: Header=BB0_204 Depth=2
	ds_read_u8 v28, v3
	s_waitcnt lgkmcnt(0)
	v_and_b32_e32 v29, v28, v27
	v_cmp_eq_u32_sdwa s[56:57], v29, v19 src0_sel:BYTE_0 src1_sel:DWORD
	s_and_b64 exec, exec, s[56:57]
	s_cbranch_execz .LBB0_202
; %bb.206:                              ;   in Loop: Header=BB0_204 Depth=2
	v_lshlrev_b16_e32 v28, 8, v28
	v_or_b32_e32 v28, 1, v28
	ds_write_b16 v12, v28 offset:3072
	s_branch .LBB0_202
.LBB0_207:                              ;   in Loop: Header=BB0_204 Depth=2
	v_add_u32_e32 v3, s62, v3
	v_cmp_le_i32_e32 vcc, s17, v3
	s_mov_b64 s[56:57], 0
	s_orn2_b64 s[54:55], vcc, exec
	s_branch .LBB0_203
.LBB0_208:                              ;   in Loop: Header=BB0_7 Depth=1
	s_or_b64 exec, exec, s[44:45]
	s_andn2_b64 s[16:17], s[50:51], exec
	s_and_b64 s[44:45], s[52:53], exec
	v_lshrrev_b32_sdwa v28, v25, v28 dst_sel:DWORD dst_unused:UNUSED_PAD src0_sel:DWORD src1_sel:WORD_0
	s_or_b64 s[50:51], s[16:17], s[44:45]
.LBB0_209:                              ;   in Loop: Header=BB0_7 Depth=1
	s_or_b64 exec, exec, s[42:43]
	s_mov_b64 s[42:43], 0
	s_mov_b64 s[44:45], -1
.LBB0_210:                              ;   in Loop: Header=BB0_7 Depth=1
	s_orn2_b64 s[50:51], s[50:51], exec
.LBB0_211:                              ;   in Loop: Header=BB0_7 Depth=1
	s_or_b64 exec, exec, s[48:49]
	s_mov_b64 s[52:53], 0
	s_and_saveexec_b64 s[48:49], s[50:51]
	s_cbranch_execz .LBB0_222
; %bb.212:                              ;   in Loop: Header=BB0_7 Depth=1
	s_xor_b64 s[16:17], s[46:47], -1
	v_mov_b32_e32 v2, 1
	v_mov_b32_e32 v3, 1
	s_and_saveexec_b64 s[46:47], s[16:17]
	s_cbranch_execz .LBB0_221
; %bb.213:                              ;   in Loop: Header=BB0_7 Depth=1
	v_cmp_ge_i32_e32 vcc, s61, v4
	s_and_saveexec_b64 s[16:17], vcc
	s_xor_b64 s[50:51], exec, s[16:17]
	s_cbranch_execz .LBB0_218
; %bb.214:                              ;   in Loop: Header=BB0_7 Depth=1
	ds_read_b32 v2, v12 offset:4096
	v_or_b32_e32 v19, v19, v1
	v_or_b32_e32 v27, v27, v1
	s_waitcnt lgkmcnt(0)
	v_cmp_ne_u32_e32 vcc, 0, v2
	s_cbranch_vccnz .LBB0_218
; %bb.215:                              ;   in Loop: Header=BB0_7 Depth=1
	s_and_saveexec_b64 s[52:53], s[0:1]
; %bb.216:                              ;   in Loop: Header=BB0_7 Depth=1
	v_mov_b32_e32 v1, s61
	ds_write_b32 v12, v1 offset:4100
; %bb.217:                              ;   in Loop: Header=BB0_7 Depth=1
	s_or_b64 exec, exec, s[52:53]
	s_waitcnt lgkmcnt(0)
	s_barrier
.LBB0_218:                              ;   in Loop: Header=BB0_7 Depth=1
	s_andn2_saveexec_b64 s[50:51], s[50:51]
; %bb.219:                              ;   in Loop: Header=BB0_7 Depth=1
	v_subrev_u32_e32 v4, s61, v4
; %bb.220:                              ;   in Loop: Header=BB0_7 Depth=1
	s_or_b64 exec, exec, s[50:51]
	v_mov_b32_e32 v2, 8
	v_mov_b32_e32 v3, v4
.LBB0_221:                              ;   in Loop: Header=BB0_7 Depth=1
	s_or_b64 exec, exec, s[46:47]
	s_mov_b64 s[52:53], exec
	v_mov_b32_e32 v4, v3
.LBB0_222:                              ;   in Loop: Header=BB0_7 Depth=1
	s_or_b64 exec, exec, s[48:49]
	s_orn2_b64 s[46:47], s[52:53], exec
.LBB0_223:                              ;   in Loop: Header=BB0_7 Depth=1
	s_or_b64 exec, exec, s[40:41]
	s_andn2_b64 s[16:17], s[36:37], exec
	s_and_b64 s[36:37], s[44:45], exec
	s_or_b64 s[36:37], s[16:17], s[36:37]
	s_andn2_b64 s[16:17], s[34:35], exec
	s_and_b64 s[34:35], s[42:43], exec
	s_or_b64 s[34:35], s[16:17], s[34:35]
	s_and_b64 s[44:45], s[46:47], exec
	v_mov_b32_e32 v29, v4
.LBB0_224:                              ;   in Loop: Header=BB0_7 Depth=1
	s_or_b64 exec, exec, s[38:39]
	s_orn2_b64 s[38:39], s[44:45], exec
.LBB0_225:                              ;   in Loop: Header=BB0_7 Depth=1
	s_or_b64 exec, exec, s[30:31]
	s_andn2_b64 s[16:17], s[26:27], exec
	s_and_b64 s[26:27], s[36:37], exec
	s_or_b64 s[26:27], s[16:17], s[26:27]
	s_andn2_b64 s[16:17], s[24:25], exec
	s_and_b64 s[24:25], s[34:35], exec
	s_or_b64 s[24:25], s[16:17], s[24:25]
	s_and_b64 s[36:37], s[38:39], exec
	v_mov_b32_e32 v4, v29
.LBB0_226:                              ;   in Loop: Header=BB0_7 Depth=1
	s_or_b64 exec, exec, s[28:29]
	s_orn2_b64 s[28:29], s[36:37], exec
.LBB0_227:                              ;   in Loop: Header=BB0_7 Depth=1
	s_or_b64 exec, exec, s[22:23]
	s_mov_b64 s[30:31], 0
                                        ; implicit-def: $sgpr16
	s_and_saveexec_b64 s[22:23], s[28:29]
	s_xor_b64 s[22:23], exec, s[22:23]
	s_cbranch_execz .LBB0_5
; %bb.228:                              ;   in Loop: Header=BB0_7 Depth=1
	v_and_b32_e32 v1, 7, v2
	v_cmp_eq_u32_e32 vcc, 0, v1
	s_mov_b64 s[20:21], -1
	s_mov_b64 s[28:29], -1
                                        ; implicit-def: $sgpr16
	s_and_saveexec_b64 s[30:31], vcc
	s_cbranch_execz .LBB0_4
; %bb.229:                              ;   in Loop: Header=BB0_7 Depth=1
	v_add_u32_e32 v1, -2, v26
	v_cmp_eq_u32_e32 vcc, 0, v26
	s_xor_b32 s16, s78, 1
	s_xor_b64 s[28:29], exec, -1
	s_orn2_b64 s[20:21], vcc, exec
	v_mov_b32_e32 v26, v1
	s_branch .LBB0_4
.LBB0_230:
	s_or_b64 exec, exec, s[82:83]
	s_xor_b64 s[8:9], s[88:89], -1
	s_xor_b64 s[2:3], s[84:85], -1
	;; [unrolled: 1-line block ×3, first 2 shown]
	s_mov_b64 s[4:5], 0
	s_and_saveexec_b64 s[10:11], s[2:3]
	s_xor_b64 s[2:3], exec, s[10:11]
	s_cbranch_execnz .LBB0_235
; %bb.231:
	s_andn2_saveexec_b64 s[0:1], s[2:3]
	s_cbranch_execnz .LBB0_255
.LBB0_232:
	s_or_b64 exec, exec, s[0:1]
	s_and_saveexec_b64 s[0:1], s[4:5]
.LBB0_233:
	; divergent unreachable
.LBB0_234:
	s_endpgm
.LBB0_235:
	s_and_saveexec_b64 s[4:5], s[8:9]
	s_xor_b64 s[4:5], exec, s[4:5]
	s_cbranch_execz .LBB0_253
; %bb.236:
	s_and_saveexec_b64 s[8:9], s[6:7]
	s_xor_b64 s[6:7], exec, s[8:9]
; %bb.237:
	v_mov_b32_e32 v28, v19
; %bb.238:
	s_or_b64 exec, exec, s[6:7]
	s_and_saveexec_b64 s[6:7], s[0:1]
; %bb.239:
	v_mov_b32_e32 v1, 0
	v_mov_b32_e32 v2, s60
	ds_write_b32 v1, v2 offset:4108
; %bb.240:
	s_or_b64 exec, exec, s[6:7]
	v_mov_b32_e32 v1, 0
	s_waitcnt lgkmcnt(0)
	s_barrier
	ds_read_b32 v1, v1 offset:4108
	s_waitcnt lgkmcnt(0)
	v_min_i32_e32 v2, s60, v1
	v_cmp_lt_i32_e32 vcc, v0, v2
	s_and_saveexec_b64 s[6:7], vcc
	s_cbranch_execz .LBB0_250
; %bb.241:
	s_mov_b64 s[8:9], 0
	v_mov_b32_e32 v3, s69
                                        ; implicit-def: $sgpr10_sgpr11
                                        ; implicit-def: $sgpr14_sgpr15
                                        ; implicit-def: $sgpr12_sgpr13
	s_branch .LBB0_243
.LBB0_242:                              ;   in Loop: Header=BB0_243 Depth=1
	s_or_b64 exec, exec, s[16:17]
	s_and_b64 s[16:17], exec, s[14:15]
	s_or_b64 s[8:9], s[16:17], s[8:9]
	s_andn2_b64 s[10:11], s[10:11], exec
	s_and_b64 s[16:17], s[12:13], exec
	s_or_b64 s[10:11], s[10:11], s[16:17]
	s_andn2_b64 exec, exec, s[8:9]
	s_cbranch_execz .LBB0_245
.LBB0_243:                              ; =>This Inner Loop Header: Depth=1
	v_ashrrev_i32_e32 v1, 31, v9
	v_add_co_u32_e32 v4, vcc, s68, v9
	v_addc_co_u32_e32 v5, vcc, v3, v1, vcc
	global_load_ubyte v4, v[4:5], off
	v_mov_b32_e32 v1, v0
	s_or_b64 s[12:13], s[12:13], exec
	s_or_b64 s[14:15], s[14:15], exec
                                        ; implicit-def: $vgpr0
	s_waitcnt vmcnt(0)
	v_cmp_ne_u16_sdwa s[20:21], v4, v28 src0_sel:DWORD src1_sel:BYTE_0
	s_and_saveexec_b64 s[16:17], s[20:21]
	s_cbranch_execz .LBB0_242
; %bb.244:                              ;   in Loop: Header=BB0_243 Depth=1
	v_add_u32_e32 v0, s62, v1
	v_cmp_ge_i32_e32 vcc, v0, v2
	s_andn2_b64 s[14:15], s[14:15], exec
	s_and_b64 s[20:21], vcc, exec
	v_add_u32_e32 v9, s18, v9
	s_andn2_b64 s[12:13], s[12:13], exec
	s_or_b64 s[14:15], s[14:15], s[20:21]
	s_branch .LBB0_242
.LBB0_245:
	s_or_b64 exec, exec, s[8:9]
	s_and_saveexec_b64 s[8:9], s[10:11]
	s_xor_b64 s[8:9], exec, s[8:9]
	s_cbranch_execz .LBB0_250
; %bb.246:
	s_mov_b64 s[8:9], exec
	s_brev_b32 s10, -2
.LBB0_247:                              ; =>This Inner Loop Header: Depth=1
	s_ff1_i32_b64 s11, s[8:9]
	v_readlane_b32 s14, v1, s11
	s_lshl_b64 s[12:13], 1, s11
	s_min_i32 s10, s10, s14
	s_andn2_b64 s[8:9], s[8:9], s[12:13]
	s_cmp_lg_u64 s[8:9], 0
	s_cbranch_scc1 .LBB0_247
; %bb.248:
	v_mbcnt_lo_u32_b32 v0, exec_lo, 0
	v_mbcnt_hi_u32_b32 v0, exec_hi, v0
	v_cmp_eq_u32_e32 vcc, 0, v0
	s_and_saveexec_b64 s[8:9], vcc
	s_xor_b64 s[8:9], exec, s[8:9]
; %bb.249:
	v_mov_b32_e32 v0, 0
	v_mov_b32_e32 v1, s10
	ds_min_i32 v0, v1 offset:4108
.LBB0_250:
	s_or_b64 exec, exec, s[6:7]
	s_waitcnt lgkmcnt(0)
	s_barrier
	s_and_saveexec_b64 s[6:7], s[0:1]
	v_readlane_b32 s8, v43, 6
	s_cbranch_execz .LBB0_252
; %bb.251:
	v_readlane_b32 s0, v43, 5
	s_mul_i32 s1, s0, s8
	v_mov_b32_e32 v2, 0
	v_readlane_b32 s0, v43, 4
	s_ashr_i32 s9, s1, 31
	v_readlane_b32 s10, v43, 2
	ds_read_b32 v0, v2 offset:4108
	s_mul_i32 s0, s0, s8
	v_readlane_b32 s11, v43, 3
	s_add_u32 s8, s10, s1
	s_addc_u32 s9, s11, s9
	s_ashr_i32 s1, s0, 31
	s_lshl_b64 s[0:1], s[0:1], 3
	v_readlane_b32 s10, v43, 0
	v_readlane_b32 s11, v43, 1
	s_add_u32 s0, s10, s0
	s_addc_u32 s1, s11, s1
	s_waitcnt lgkmcnt(0)
	v_ashrrev_i32_e32 v1, 31, v0
	global_store_dwordx2 v2, v[0:1], s[0:1]
	global_store_byte v2, v28, s[8:9]
.LBB0_252:
	s_or_b64 exec, exec, s[6:7]
.LBB0_253:
	s_or_saveexec_b64 s[0:1], s[4:5]
	s_mov_b64 s[4:5], 0
	s_xor_b64 exec, exec, s[0:1]
	s_cbranch_execnz .LBB0_256
.LBB0_254:
	s_or_b64 exec, exec, s[0:1]
	s_and_b64 s[4:5], s[4:5], exec
	s_andn2_saveexec_b64 s[0:1], s[2:3]
	s_cbranch_execz .LBB0_232
.LBB0_255:
	s_or_b64 s[4:5], s[4:5], exec
	s_trap 2
	s_or_b64 exec, exec, s[0:1]
	s_and_saveexec_b64 s[0:1], s[4:5]
	s_cbranch_execnz .LBB0_233
	s_branch .LBB0_234
.LBB0_256:
	s_mov_b64 s[4:5], exec
	s_trap 2
	s_branch .LBB0_254
	.section	.rodata,"a",@progbits
	.p2align	6, 0x0
	.amdhsa_kernel _ZN2at6native12_GLOBAL__N_114gatherKthValueIhiLi1EEEvNS_4cuda6detail10TensorInfoIKT_T0_EES8_S8_S8_S8_NS5_IS6_S8_EENS5_IlS8_EE
		.amdhsa_group_segment_fixed_size 4112
		.amdhsa_private_segment_fixed_size 0
		.amdhsa_kernarg_size 920
		.amdhsa_user_sgpr_count 6
		.amdhsa_user_sgpr_private_segment_buffer 1
		.amdhsa_user_sgpr_dispatch_ptr 0
		.amdhsa_user_sgpr_queue_ptr 0
		.amdhsa_user_sgpr_kernarg_segment_ptr 1
		.amdhsa_user_sgpr_dispatch_id 0
		.amdhsa_user_sgpr_flat_scratch_init 0
		.amdhsa_user_sgpr_private_segment_size 0
		.amdhsa_uses_dynamic_stack 0
		.amdhsa_system_sgpr_private_segment_wavefront_offset 0
		.amdhsa_system_sgpr_workgroup_id_x 1
		.amdhsa_system_sgpr_workgroup_id_y 1
		.amdhsa_system_sgpr_workgroup_id_z 1
		.amdhsa_system_sgpr_workgroup_info 0
		.amdhsa_system_vgpr_workitem_id 0
		.amdhsa_next_free_vgpr 44
		.amdhsa_next_free_sgpr 96
		.amdhsa_reserve_vcc 1
		.amdhsa_reserve_flat_scratch 0
		.amdhsa_float_round_mode_32 0
		.amdhsa_float_round_mode_16_64 0
		.amdhsa_float_denorm_mode_32 3
		.amdhsa_float_denorm_mode_16_64 3
		.amdhsa_dx10_clamp 1
		.amdhsa_ieee_mode 1
		.amdhsa_fp16_overflow 0
		.amdhsa_exception_fp_ieee_invalid_op 0
		.amdhsa_exception_fp_denorm_src 0
		.amdhsa_exception_fp_ieee_div_zero 0
		.amdhsa_exception_fp_ieee_overflow 0
		.amdhsa_exception_fp_ieee_underflow 0
		.amdhsa_exception_fp_ieee_inexact 0
		.amdhsa_exception_int_div_zero 0
	.end_amdhsa_kernel
	.section	.text._ZN2at6native12_GLOBAL__N_114gatherKthValueIhiLi1EEEvNS_4cuda6detail10TensorInfoIKT_T0_EES8_S8_S8_S8_NS5_IS6_S8_EENS5_IlS8_EE,"axG",@progbits,_ZN2at6native12_GLOBAL__N_114gatherKthValueIhiLi1EEEvNS_4cuda6detail10TensorInfoIKT_T0_EES8_S8_S8_S8_NS5_IS6_S8_EENS5_IlS8_EE,comdat
.Lfunc_end0:
	.size	_ZN2at6native12_GLOBAL__N_114gatherKthValueIhiLi1EEEvNS_4cuda6detail10TensorInfoIKT_T0_EES8_S8_S8_S8_NS5_IS6_S8_EENS5_IlS8_EE, .Lfunc_end0-_ZN2at6native12_GLOBAL__N_114gatherKthValueIhiLi1EEEvNS_4cuda6detail10TensorInfoIKT_T0_EES8_S8_S8_S8_NS5_IS6_S8_EENS5_IlS8_EE
                                        ; -- End function
	.set _ZN2at6native12_GLOBAL__N_114gatherKthValueIhiLi1EEEvNS_4cuda6detail10TensorInfoIKT_T0_EES8_S8_S8_S8_NS5_IS6_S8_EENS5_IlS8_EE.num_vgpr, 44
	.set _ZN2at6native12_GLOBAL__N_114gatherKthValueIhiLi1EEEvNS_4cuda6detail10TensorInfoIKT_T0_EES8_S8_S8_S8_NS5_IS6_S8_EENS5_IlS8_EE.num_agpr, 0
	.set _ZN2at6native12_GLOBAL__N_114gatherKthValueIhiLi1EEEvNS_4cuda6detail10TensorInfoIKT_T0_EES8_S8_S8_S8_NS5_IS6_S8_EENS5_IlS8_EE.numbered_sgpr, 96
	.set _ZN2at6native12_GLOBAL__N_114gatherKthValueIhiLi1EEEvNS_4cuda6detail10TensorInfoIKT_T0_EES8_S8_S8_S8_NS5_IS6_S8_EENS5_IlS8_EE.num_named_barrier, 0
	.set _ZN2at6native12_GLOBAL__N_114gatherKthValueIhiLi1EEEvNS_4cuda6detail10TensorInfoIKT_T0_EES8_S8_S8_S8_NS5_IS6_S8_EENS5_IlS8_EE.private_seg_size, 0
	.set _ZN2at6native12_GLOBAL__N_114gatherKthValueIhiLi1EEEvNS_4cuda6detail10TensorInfoIKT_T0_EES8_S8_S8_S8_NS5_IS6_S8_EENS5_IlS8_EE.uses_vcc, 1
	.set _ZN2at6native12_GLOBAL__N_114gatherKthValueIhiLi1EEEvNS_4cuda6detail10TensorInfoIKT_T0_EES8_S8_S8_S8_NS5_IS6_S8_EENS5_IlS8_EE.uses_flat_scratch, 0
	.set _ZN2at6native12_GLOBAL__N_114gatherKthValueIhiLi1EEEvNS_4cuda6detail10TensorInfoIKT_T0_EES8_S8_S8_S8_NS5_IS6_S8_EENS5_IlS8_EE.has_dyn_sized_stack, 0
	.set _ZN2at6native12_GLOBAL__N_114gatherKthValueIhiLi1EEEvNS_4cuda6detail10TensorInfoIKT_T0_EES8_S8_S8_S8_NS5_IS6_S8_EENS5_IlS8_EE.has_recursion, 0
	.set _ZN2at6native12_GLOBAL__N_114gatherKthValueIhiLi1EEEvNS_4cuda6detail10TensorInfoIKT_T0_EES8_S8_S8_S8_NS5_IS6_S8_EENS5_IlS8_EE.has_indirect_call, 0
	.section	.AMDGPU.csdata,"",@progbits
; Kernel info:
; codeLenInByte = 8672
; TotalNumSgprs: 100
; NumVgprs: 44
; ScratchSize: 0
; MemoryBound: 0
; FloatMode: 240
; IeeeMode: 1
; LDSByteSize: 4112 bytes/workgroup (compile time only)
; SGPRBlocks: 12
; VGPRBlocks: 10
; NumSGPRsForWavesPerEU: 100
; NumVGPRsForWavesPerEU: 44
; Occupancy: 5
; WaveLimiterHint : 1
; COMPUTE_PGM_RSRC2:SCRATCH_EN: 0
; COMPUTE_PGM_RSRC2:USER_SGPR: 6
; COMPUTE_PGM_RSRC2:TRAP_HANDLER: 0
; COMPUTE_PGM_RSRC2:TGID_X_EN: 1
; COMPUTE_PGM_RSRC2:TGID_Y_EN: 1
; COMPUTE_PGM_RSRC2:TGID_Z_EN: 1
; COMPUTE_PGM_RSRC2:TIDIG_COMP_CNT: 0
	.section	.text._ZN2at6native12_GLOBAL__N_114gatherKthValueIhiLi2EEEvNS_4cuda6detail10TensorInfoIKT_T0_EES8_S8_S8_S8_NS5_IS6_S8_EENS5_IlS8_EE,"axG",@progbits,_ZN2at6native12_GLOBAL__N_114gatherKthValueIhiLi2EEEvNS_4cuda6detail10TensorInfoIKT_T0_EES8_S8_S8_S8_NS5_IS6_S8_EENS5_IlS8_EE,comdat
	.globl	_ZN2at6native12_GLOBAL__N_114gatherKthValueIhiLi2EEEvNS_4cuda6detail10TensorInfoIKT_T0_EES8_S8_S8_S8_NS5_IS6_S8_EENS5_IlS8_EE ; -- Begin function _ZN2at6native12_GLOBAL__N_114gatherKthValueIhiLi2EEEvNS_4cuda6detail10TensorInfoIKT_T0_EES8_S8_S8_S8_NS5_IS6_S8_EENS5_IlS8_EE
	.p2align	8
	.type	_ZN2at6native12_GLOBAL__N_114gatherKthValueIhiLi2EEEvNS_4cuda6detail10TensorInfoIKT_T0_EES8_S8_S8_S8_NS5_IS6_S8_EENS5_IlS8_EE,@function
_ZN2at6native12_GLOBAL__N_114gatherKthValueIhiLi2EEEvNS_4cuda6detail10TensorInfoIKT_T0_EES8_S8_S8_S8_NS5_IS6_S8_EENS5_IlS8_EE: ; @_ZN2at6native12_GLOBAL__N_114gatherKthValueIhiLi2EEEvNS_4cuda6detail10TensorInfoIKT_T0_EES8_S8_S8_S8_NS5_IS6_S8_EENS5_IlS8_EE
; %bb.0:
	s_load_dwordx2 s[12:13], s[4:5], 0x298
	s_load_dwordx4 s[60:63], s[4:5], 0xd8
	s_add_u32 s10, s4, 0x298
	s_addc_u32 s11, s5, 0
	s_waitcnt lgkmcnt(0)
	s_mul_i32 s0, s13, s8
	s_add_i32 s0, s0, s7
	s_mul_i32 s0, s0, s12
	s_add_i32 s18, s0, s6
	s_cmp_ge_i32 s18, s62
	s_cbranch_scc1 .LBB1_234
; %bb.1:
	s_load_dword s7, s[4:5], 0xc
	s_load_dwordx2 s[0:1], s[4:5], 0xe8
                                        ; implicit-def: $vgpr43 : SGPR spill to VGPR lane
                                        ; kill: killed $sgpr4 killed $sgpr5
	s_abs_i32 s21, s18
	s_ashr_i32 s20, s18, 31
	s_mov_b32 s82, 0
	s_waitcnt lgkmcnt(0)
	s_abs_i32 s13, s7
	v_writelane_b32 v43, s0, 0
	v_writelane_b32 v43, s1, 1
	s_load_dwordx2 s[8:9], s[4:5], 0x6c
	s_load_dwordx2 s[2:3], s[4:5], 0x0
	;; [unrolled: 1-line block ×3, first 2 shown]
	v_cvt_f32_u32_e32 v1, s13
	s_ashr_i32 s14, s7, 31
	s_load_dword s22, s[4:5], 0xf4
	s_waitcnt lgkmcnt(0)
	v_writelane_b32 v43, s0, 2
	v_writelane_b32 v43, s1, 3
	s_load_dword s19, s[4:5], 0x1cc
	s_load_dwordx2 s[0:1], s[4:5], 0x1c0
	v_rcp_iflag_f32_e32 v1, v1
	s_waitcnt lgkmcnt(0)
	v_writelane_b32 v43, s0, 4
	v_writelane_b32 v43, s1, 5
	s_load_dwordx2 s[0:1], s[4:5], 0x154
	v_mul_f32_e32 v1, 0x4f7ffffe, v1
	s_abs_i32 s5, s22
	v_cvt_u32_f32_e32 v1, v1
	v_cvt_f32_u32_e32 v2, s5
	s_waitcnt lgkmcnt(0)
	v_writelane_b32 v43, s0, 6
	v_writelane_b32 v43, s1, 7
	v_readfirstlane_b32 s1, v1
	v_rcp_iflag_f32_e32 v1, v2
	s_abs_i32 s4, s19
	v_cvt_f32_u32_e32 v2, s4
	s_sub_i32 s0, 0, s13
	v_mul_f32_e32 v1, 0x4f7ffffe, v1
	v_cvt_u32_f32_e32 v1, v1
	v_rcp_iflag_f32_e32 v2, v2
	s_mul_i32 s0, s0, s1
	s_mul_hi_u32 s0, s1, s0
	s_add_i32 s1, s1, s0
	s_mul_hi_u32 s15, s21, s1
	s_sub_i32 s0, 0, s5
	v_readfirstlane_b32 s1, v1
	v_mul_f32_e32 v1, 0x4f7ffffe, v2
	s_mul_i32 s0, s0, s1
	v_cvt_u32_f32_e32 v1, v1
	s_mul_hi_u32 s0, s1, s0
	s_add_i32 s1, s1, s0
	v_writelane_b32 v43, s5, 8
	s_mul_hi_u32 s0, s21, s1
	v_writelane_b32 v43, s0, 9
	s_sub_i32 s0, 0, s4
	v_readfirstlane_b32 s1, v1
	s_mul_i32 s0, s0, s1
	s_mul_hi_u32 s0, s1, s0
	s_add_i32 s1, s1, s0
	v_writelane_b32 v43, s4, 10
	s_mul_hi_u32 s0, s21, s1
	v_writelane_b32 v43, s0, 11
	v_cmp_eq_u32_e64 s[0:1], 0, v0
	s_and_saveexec_b64 s[4:5], s[0:1]
; %bb.2:
	v_mov_b32_e32 v1, 0
	v_mov_b32_e32 v2, s60
	;; [unrolled: 1-line block ×3, first 2 shown]
	ds_write_b96 v1, v[1:3] offset:4096
; %bb.3:
	s_or_b64 exec, exec, s[4:5]
	v_writelane_b32 v43, s22, 12
	s_ashr_i32 s4, s22, 31
	v_writelane_b32 v43, s4, 13
	s_mul_i32 s5, s15, s13
	v_writelane_b32 v43, s19, 14
	s_ashr_i32 s4, s19, 31
	s_sub_i32 s5, s21, s5
	v_writelane_b32 v43, s4, 15
	s_xor_b32 s4, s20, s14
	s_add_i32 s14, s15, 1
	s_sub_i32 s16, s5, s13
	s_cmp_ge_u32 s5, s13
	s_cselect_b32 s14, s14, s15
	s_cselect_b32 s5, s16, s5
	s_add_i32 s15, s14, 1
	s_cmp_ge_u32 s5, s13
	s_cselect_b32 s5, s15, s14
	s_xor_b32 s5, s5, s4
	s_sub_i32 s4, s5, s4
	s_mul_i32 s5, s4, s7
	s_sub_i32 s5, s18, s5
	s_mul_i32 s5, s5, s9
	s_mul_i32 s4, s4, s8
	s_waitcnt lgkmcnt(0)
	s_barrier
	s_load_dword s7, s[10:11], 0xc
	s_add_i32 s4, s4, s5
	v_mul_lo_u32 v9, s63, v0
	s_ashr_i32 s5, s4, 31
	v_mbcnt_lo_u32_b32 v1, -1, 0
	s_add_u32 s72, s2, s4
	v_mbcnt_hi_u32_b32 v11, -1, v1
	s_addc_u32 s73, s3, s5
	v_cmp_gt_u32_e32 vcc, 64, v0
	v_cmp_gt_i32_e64 s[4:5], 4, v11
	s_and_b64 s[74:75], vcc, s[4:5]
	v_mov_b32_e32 v1, s73
	v_add_co_u32_e32 v5, vcc, s72, v9
	v_writelane_b32 v43, s20, 16
	s_waitcnt lgkmcnt(0)
	s_and_b32 s62, s7, 0xffff
	v_addc_co_u32_e32 v6, vcc, 0, v1, vcc
	v_lshlrev_b64 v[1:2], v11, -1
	v_writelane_b32 v43, s21, 17
	s_add_i32 s8, s62, -1
	v_writelane_b32 v43, s18, 18
	s_lshl_b32 s33, s62, 2
	s_bfe_u32 s7, s7, 0xa0006
	s_add_i32 s85, s8, s60
	v_not_b32_e32 v15, v1
	v_lshrrev_b32_e32 v1, 2, v0
	v_writelane_b32 v43, s8, 19
	s_cmpk_gt_i32 s60, 0xc00
	v_cmp_gt_u32_e64 s[8:9], s60, v0
	v_and_b32_e32 v1, 0xf0, v1
	s_cselect_b64 s[76:77], -1, 0
	v_writelane_b32 v43, s8, 20
	s_cmp_gt_u32 s62, 63
	v_or_b32_e32 v16, 0xc00, v1
	v_cvt_f32_u32_e32 v1, s33
	v_writelane_b32 v43, s9, 21
	v_cmp_gt_i32_e64 s[8:9], s60, v0
	s_cselect_b64 s[78:79], -1, 0
	s_cmp_lt_u32 s6, s12
	v_writelane_b32 v43, s8, 22
	s_cselect_b32 s6, 12, 18
	v_writelane_b32 v43, s9, 23
	s_add_u32 s8, s10, s6
	s_addc_u32 s9, s11, 0
	v_rcp_iflag_f32_e32 v1, v1
	v_writelane_b32 v43, s8, 24
	s_add_i32 s6, s7, -1
	v_writelane_b32 v43, s9, 25
	s_bfe_u32 s8, s62, 0x30006
	s_and_b32 s6, s6, 0xffff
	s_cmp_gt_u32 s6, 6
	s_cselect_b64 s[10:11], -1, 0
	v_mul_f32_e32 v1, 0x4f7ffffe, v1
	v_writelane_b32 v43, s10, 26
	s_and_b32 s83, s7, 0x3f8
	v_cvt_u32_f32_e32 v1, v1
	v_writelane_b32 v43, s11, 27
	s_cmp_lg_u32 s8, 0
	v_writelane_b32 v43, s8, 28
	s_cselect_b64 s[6:7], -1, 0
	v_writelane_b32 v43, s6, 29
	v_writelane_b32 v43, s7, 30
	s_sub_i32 s6, 0, s33
	v_readfirstlane_b32 s7, v1
	s_mul_i32 s6, s6, s7
	s_mul_hi_u32 s6, s7, s6
	s_add_i32 s8, s7, s6
	s_mul_hi_u32 s6, s60, s8
	s_mul_i32 s6, s6, s33
	s_sub_i32 s6, s60, s6
	s_sub_i32 s7, s6, s33
	s_cmp_ge_u32 s6, s33
	s_cselect_b32 s6, s7, s6
	s_sub_i32 s7, s6, s33
	v_not_b32_e32 v14, v2
	s_cmp_ge_u32 s6, s33
	v_cvt_f32_u32_e32 v2, s62
	s_cselect_b32 s6, s7, s6
	s_sub_i32 s9, s60, s6
	v_add_u32_e32 v17, s9, v0
	v_mul_lo_u32 v1, v17, s63
	v_rcp_iflag_f32_e32 v2, v2
	s_sub_i32 s17, 0, s62
	s_abs_i32 s16, s85
	v_ashrrev_i32_e32 v4, 31, v1
	v_add_co_u32_e32 v7, vcc, s72, v1
	v_mul_f32_e32 v1, 0x4f7ffffe, v2
	v_cvt_u32_f32_e32 v1, v1
	s_ashr_i32 s7, s85, 31
	v_lshlrev_b32_e32 v10, 2, v0
	v_lshlrev_b32_e32 v3, 2, v11
	v_readfirstlane_b32 s18, v1
	s_mul_i32 s17, s17, s18
	s_mul_hi_u32 s17, s18, s17
	s_add_i32 s17, s18, s17
	v_writelane_b32 v43, s17, 31
	s_mul_hi_u32 s17, s16, s17
	s_mul_i32 s17, s17, s62
	s_sub_i32 s16, s16, s17
	s_sub_i32 s17, s16, s62
	s_cmp_ge_u32 s16, s62
	s_cselect_b32 s16, s17, s16
	s_sub_i32 s17, s16, s62
	v_mul_lo_u32 v1, s63, v10
	s_cmp_ge_u32 s16, s62
	s_cselect_b32 s16, s17, s16
	s_xor_b32 s16, s16, s7
	s_sub_i32 s7, s7, s16
	v_add_u32_e32 v18, s63, v1
	v_or_b32_e32 v1, 2, v10
	s_add_i32 s85, s85, s7
	v_mul_lo_u32 v20, s63, v1
	v_or_b32_e32 v1, 3, v10
	s_add_i32 s7, s62, s60
	v_mul_lo_u32 v21, s63, v1
	v_add_u32_e32 v1, s7, v0
	v_subrev_u32_e32 v1, s6, v1
	v_mul_lo_u32 v23, s63, v1
	v_mov_b32_e32 v8, s73
	v_cmp_gt_i32_e64 s[16:17], s85, v0
	s_mul_i32 s18, s63, s62
	v_cmp_eq_u32_e64 s[2:3], 0, v11
	v_cmp_gt_u32_e64 s[4:5], 2, v0
	v_mov_b32_e32 v12, 0
	v_and_b32_e32 v13, 0x100, v3
	v_cmp_gt_i32_e64 s[10:11], s9, v10
	v_cmp_gt_u32_e64 s[12:13], s60, v17
	v_addc_co_u32_e32 v8, vcc, v8, v4, vcc
	v_cmp_gt_i32_e64 s[14:15], s60, v17
	v_writelane_b32 v43, s16, 32
	s_lshl_b32 s80, s18, 2
	v_lshlrev_b32_e32 v22, 2, v9
	v_or_b32_e32 v24, 0xc00, v3
	s_mov_b64 s[86:87], 0
	v_mov_b32_e32 v26, 6
	v_mov_b32_e32 v29, s61
	;; [unrolled: 1-line block ×6, first 2 shown]
	v_writelane_b32 v43, s17, 33
                                        ; implicit-def: $sgpr88_sgpr89
                                        ; implicit-def: $sgpr92_sgpr93
                                        ; implicit-def: $sgpr90_sgpr91
                                        ; implicit-def: $sgpr64_sgpr65
                                        ; implicit-def: $sgpr66_sgpr67
                                        ; implicit-def: $sgpr94_sgpr95
	s_branch .LBB1_7
.LBB1_4:                                ;   in Loop: Header=BB1_7 Depth=1
	s_or_b64 exec, exec, s[30:31]
	s_and_b64 s[30:31], s[28:29], exec
	s_andn2_b64 s[26:27], s[26:27], exec
	s_andn2_b64 s[24:25], s[24:25], exec
	s_orn2_b64 s[20:21], s[20:21], exec
.LBB1_5:                                ;   in Loop: Header=BB1_7 Depth=1
	s_or_b64 exec, exec, s[22:23]
	s_andn2_b64 s[22:23], s[94:95], exec
	s_and_b64 s[28:29], s[30:31], exec
	s_or_b64 s[94:95], s[22:23], s[28:29]
	s_andn2_b64 s[22:23], s[66:67], exec
	s_and_b64 s[26:27], s[26:27], exec
	s_or_b64 s[66:67], s[22:23], s[26:27]
	;; [unrolled: 3-line block ×3, first 2 shown]
	s_orn2_b64 s[20:21], s[20:21], exec
.LBB1_6:                                ;   in Loop: Header=BB1_7 Depth=1
	s_or_b64 exec, exec, s[6:7]
	s_and_b64 s[6:7], exec, s[20:21]
	s_or_b64 s[86:87], s[6:7], s[86:87]
	s_andn2_b64 s[6:7], s[90:91], exec
	s_and_b64 s[20:21], s[94:95], exec
	s_or_b64 s[90:91], s[6:7], s[20:21]
	s_andn2_b64 s[6:7], s[92:93], exec
	s_and_b64 s[20:21], s[66:67], exec
	;; [unrolled: 3-line block ×3, first 2 shown]
	s_or_b64 s[88:89], s[6:7], s[20:21]
	s_mov_b32 s82, s16
	v_mov_b32_e32 v29, v4
	s_andn2_b64 exec, exec, s[86:87]
	s_cbranch_execz .LBB1_230
.LBB1_7:                                ; =>This Loop Header: Depth=1
                                        ;     Child Loop BB1_12 Depth 2
                                        ;     Child Loop BB1_27 Depth 2
	;; [unrolled: 1-line block ×16, first 2 shown]
	ds_read_b64 v[1:2], v12 offset:4096
	s_waitcnt lgkmcnt(0)
	v_readfirstlane_b32 s61, v1
	s_cmp_gt_i32 s61, 0
	s_cbranch_scc1 .LBB1_34
; %bb.8:                                ;   in Loop: Header=BB1_7 Depth=1
	s_and_b64 vcc, exec, s[76:77]
	s_cbranch_vccz .LBB1_20
; %bb.9:                                ;   in Loop: Header=BB1_7 Depth=1
	s_movk_i32 s16, 0xc01
	v_cmp_gt_i32_e32 vcc, s16, v2
	s_mov_b64 s[6:7], 0
	s_mov_b64 s[20:21], 0
	s_cbranch_vccz .LBB1_21
; %bb.10:                               ;   in Loop: Header=BB1_7 Depth=1
	v_readlane_b32 s16, v43, 24
	v_readlane_b32 s17, v43, 25
	s_nop 4
	global_load_ushort v1, v12, s[16:17]
	global_load_ubyte v4, v[5:6], off
	v_mov_b32_e32 v30, v0
	s_waitcnt vmcnt(1)
	v_add_u32_e32 v2, v0, v1
	v_mul_lo_u32 v2, s63, v2
	v_mul_lo_u32 v3, s63, v1
	s_branch .LBB1_12
.LBB1_11:                               ;   in Loop: Header=BB1_12 Depth=2
	s_or_b64 exec, exec, s[24:25]
	v_cmp_le_i32_e32 vcc, s60, v30
	v_add_u32_e32 v2, v2, v3
	s_or_b64 s[20:21], vcc, s[20:21]
	v_mov_b32_e32 v4, v31
	s_andn2_b64 exec, exec, s[20:21]
	s_cbranch_execz .LBB1_66
.LBB1_12:                               ;   Parent Loop BB1_7 Depth=1
                                        ; =>  This Inner Loop Header: Depth=2
	v_add_u32_e32 v30, v30, v1
	v_cmp_gt_u32_e32 vcc, s60, v30
	s_waitcnt lgkmcnt(0)
	v_mov_b32_e32 v32, 0
	v_mov_b32_e32 v31, 0
	s_and_saveexec_b64 s[22:23], vcc
	s_cbranch_execz .LBB1_14
; %bb.13:                               ;   in Loop: Header=BB1_12 Depth=2
	global_load_ubyte v31, v2, s[72:73]
.LBB1_14:                               ;   in Loop: Header=BB1_12 Depth=2
	s_or_b64 exec, exec, s[22:23]
	s_waitcnt vmcnt(0)
	v_and_b32_e32 v33, v4, v27
	v_cmp_eq_u32_sdwa s[22:23], v33, v19 src0_sel:BYTE_0 src1_sel:DWORD
	s_cmp_lg_u64 s[22:23], 0
	s_cselect_b64 s[16:17], -1, 0
	s_and_b64 s[16:17], s[2:3], s[16:17]
	s_and_saveexec_b64 s[24:25], s[16:17]
	s_cbranch_execz .LBB1_18
; %bb.15:                               ;   in Loop: Header=BB1_12 Depth=2
	s_mov_b64 s[28:29], exec
	v_mbcnt_lo_u32_b32 v32, s28, 0
	v_mbcnt_hi_u32_b32 v32, s29, v32
	s_bcnt1_i32_b64 s16, s[22:23]
	v_cmp_eq_u32_e32 vcc, 0, v32
                                        ; implicit-def: $vgpr33
	s_and_saveexec_b64 s[26:27], vcc
; %bb.16:                               ;   in Loop: Header=BB1_12 Depth=2
	s_bcnt1_i32_b64 s17, s[28:29]
	s_mul_i32 s17, s16, s17
	v_mov_b32_e32 v33, s17
	ds_add_rtn_u32 v33, v12, v33 offset:4104
; %bb.17:                               ;   in Loop: Header=BB1_12 Depth=2
	s_or_b64 exec, exec, s[26:27]
	s_waitcnt lgkmcnt(0)
	v_readfirstlane_b32 s17, v33
	v_mov_b32_e32 v33, s17
	v_mad_u32_u24 v32, s16, v32, v33
.LBB1_18:                               ;   in Loop: Header=BB1_12 Depth=2
	s_or_b64 exec, exec, s[24:25]
	ds_bpermute_b32 v32, v13, v32
	s_and_saveexec_b64 s[24:25], s[22:23]
	s_cbranch_execz .LBB1_11
; %bb.19:                               ;   in Loop: Header=BB1_12 Depth=2
	v_and_b32_e32 v34, s22, v15
	v_and_b32_e32 v33, s23, v14
	v_bcnt_u32_b32 v34, v34, 0
	v_bcnt_u32_b32 v33, v33, v34
	s_waitcnt lgkmcnt(0)
	v_add_u32_e32 v32, v32, v33
	ds_write_b8 v32, v4
	s_branch .LBB1_11
.LBB1_20:                               ;   in Loop: Header=BB1_7 Depth=1
	s_mov_b64 s[6:7], -1
	s_mov_b64 s[20:21], 0
.LBB1_21:                               ;   in Loop: Header=BB1_7 Depth=1
	s_and_b64 vcc, exec, s[6:7]
	s_cbranch_vccz .LBB1_32
.LBB1_22:                               ;   in Loop: Header=BB1_7 Depth=1
	v_mov_b32_e32 v1, 0
	s_mov_b64 s[6:7], exec
	v_readlane_b32 s16, v43, 20
	v_readlane_b32 s17, v43, 21
	s_and_b64 s[16:17], s[6:7], s[16:17]
	s_mov_b64 exec, s[16:17]
	s_cbranch_execz .LBB1_24
; %bb.23:                               ;   in Loop: Header=BB1_7 Depth=1
	global_load_ubyte v1, v[5:6], off
.LBB1_24:                               ;   in Loop: Header=BB1_7 Depth=1
	s_or_b64 exec, exec, s[6:7]
	s_mov_b64 s[6:7], exec
	v_readlane_b32 s16, v43, 22
	v_readlane_b32 s17, v43, 23
	s_and_b64 s[16:17], s[6:7], s[16:17]
	s_mov_b64 exec, s[16:17]
	s_cbranch_execz .LBB1_29
; %bb.25:                               ;   in Loop: Header=BB1_7 Depth=1
	v_readlane_b32 s16, v43, 24
	v_readlane_b32 s17, v43, 25
	s_mov_b64 s[20:21], 0
	v_mov_b32_e32 v30, v0
	s_nop 2
	global_load_ushort v2, v12, s[16:17]
	s_waitcnt vmcnt(0)
	v_add_u32_e32 v3, v0, v2
	v_mul_lo_u32 v3, s63, v3
	v_mul_lo_u32 v4, s63, v2
	s_branch .LBB1_27
.LBB1_26:                               ;   in Loop: Header=BB1_27 Depth=2
	s_or_b64 exec, exec, s[22:23]
	v_cmp_le_i32_e32 vcc, s60, v31
	ds_write_b8 v30, v1
	v_add_u32_e32 v3, v3, v4
	s_or_b64 s[20:21], vcc, s[20:21]
	s_waitcnt vmcnt(0)
	v_mov_b32_e32 v1, v32
	v_mov_b32_e32 v30, v31
	s_andn2_b64 exec, exec, s[20:21]
	s_cbranch_execz .LBB1_29
.LBB1_27:                               ;   Parent Loop BB1_7 Depth=1
                                        ; =>  This Inner Loop Header: Depth=2
	v_add_u32_e32 v31, v30, v2
	v_cmp_gt_u32_e32 vcc, s60, v31
	v_mov_b32_e32 v32, 0
	s_and_saveexec_b64 s[22:23], vcc
	s_cbranch_execz .LBB1_26
; %bb.28:                               ;   in Loop: Header=BB1_27 Depth=2
	global_load_ubyte v32, v3, s[72:73]
	s_branch .LBB1_26
.LBB1_29:                               ;   in Loop: Header=BB1_7 Depth=1
	s_or_b64 exec, exec, s[6:7]
	s_waitcnt vmcnt(0) lgkmcnt(0)
	s_barrier
	s_and_saveexec_b64 s[6:7], s[0:1]
; %bb.30:                               ;   in Loop: Header=BB1_7 Depth=1
	v_mov_b32_e32 v1, s60
	ds_write_b32 v12, v1 offset:4096
; %bb.31:                               ;   in Loop: Header=BB1_7 Depth=1
	s_or_b64 exec, exec, s[6:7]
	s_mov_b64 s[20:21], -1
	s_waitcnt lgkmcnt(0)
	s_barrier
.LBB1_32:                               ;   in Loop: Header=BB1_7 Depth=1
	s_and_b64 vcc, exec, s[20:21]
	s_cbranch_vccz .LBB1_34
; %bb.33:                               ;   in Loop: Header=BB1_7 Depth=1
	ds_read_b32 v1, v12 offset:4096
	s_waitcnt lgkmcnt(0)
	v_readfirstlane_b32 s61, v1
.LBB1_34:                               ;   in Loop: Header=BB1_7 Depth=1
	s_cmp_lt_i32 s61, 1
	s_mov_b64 s[6:7], -1
                                        ; implicit-def: $vgpr4
	s_cbranch_scc1 .LBB1_44
; %bb.35:                               ;   in Loop: Header=BB1_7 Depth=1
	s_and_b64 vcc, exec, s[6:7]
	s_cbranch_vccnz .LBB1_57
.LBB1_36:                               ;   in Loop: Header=BB1_7 Depth=1
	s_lshl_b32 s16, s82, 6
	s_and_saveexec_b64 s[6:7], s[2:3]
.LBB1_37:                               ;   in Loop: Header=BB1_7 Depth=1
	v_lshl_add_u32 v30, s16, 2, v16
	ds_write_b128 v30, v[1:4]
.LBB1_38:                               ;   in Loop: Header=BB1_7 Depth=1
	s_or_b64 exec, exec, s[6:7]
	s_waitcnt vmcnt(0) lgkmcnt(0)
	s_barrier
	s_and_saveexec_b64 s[6:7], s[74:75]
	s_cbranch_execz .LBB1_74
; %bb.39:                               ;   in Loop: Header=BB1_7 Depth=1
	s_andn2_b64 vcc, exec, s[78:79]
	v_mov_b32_e32 v1, 0
	s_cbranch_vccnz .LBB1_73
; %bb.40:                               ;   in Loop: Header=BB1_7 Depth=1
	v_readlane_b32 s20, v43, 26
	v_readlane_b32 s21, v43, 27
	s_andn2_b64 vcc, exec, s[20:21]
	s_cbranch_vccnz .LBB1_69
; %bb.41:                               ;   in Loop: Header=BB1_7 Depth=1
	v_lshl_add_u32 v2, s82, 8, v24
	s_mov_b32 s17, 0
	v_mov_b32_e32 v1, 0
.LBB1_42:                               ;   Parent Loop BB1_7 Depth=1
                                        ; =>  This Inner Loop Header: Depth=2
	ds_read2_b32 v[3:4], v2 offset1:4
	ds_read2_b32 v[30:31], v2 offset0:8 offset1:12
	ds_read2_b32 v[32:33], v2 offset0:16 offset1:20
	;; [unrolled: 1-line block ×3, first 2 shown]
	s_add_i32 s17, s17, 8
	s_waitcnt lgkmcnt(3)
	v_add3_u32 v1, v3, v1, v4
	s_waitcnt lgkmcnt(2)
	v_add3_u32 v1, v30, v1, v31
	;; [unrolled: 2-line block ×3, first 2 shown]
	v_add_u32_e32 v2, 0x80, v2
	s_cmp_eq_u32 s83, s17
	s_waitcnt lgkmcnt(0)
	v_add3_u32 v1, v34, v1, v35
	s_cbranch_scc0 .LBB1_42
; %bb.43:                               ;   in Loop: Header=BB1_7 Depth=1
	s_mov_b32 s17, s83
	s_branch .LBB1_70
.LBB1_44:                               ;   in Loop: Header=BB1_7 Depth=1
	v_mov_b32_e32 v1, 0
	v_mov_b32_e32 v2, 0
	;; [unrolled: 1-line block ×4, first 2 shown]
	s_and_saveexec_b64 s[68:69], s[10:11]
	s_cbranch_execnz .LBB1_47
; %bb.45:                               ;   in Loop: Header=BB1_7 Depth=1
	s_or_b64 exec, exec, s[68:69]
	v_mov_b32_e32 v32, 0
	s_and_saveexec_b64 s[6:7], s[12:13]
	s_cbranch_execnz .LBB1_50
.LBB1_46:                               ;   in Loop: Header=BB1_7 Depth=1
	s_or_b64 exec, exec, s[6:7]
	s_and_saveexec_b64 s[20:21], s[14:15]
	s_cbranch_execnz .LBB1_51
	s_branch .LBB1_56
.LBB1_47:                               ;   in Loop: Header=BB1_7 Depth=1
	s_mov_b32 s81, 0
	s_mov_b64 s[70:71], 0
	s_mov_b32 s16, 0
	s_mov_b32 s17, 0
	;; [unrolled: 1-line block ×4, first 2 shown]
	v_mov_b32_e32 v30, v10
.LBB1_48:                               ;   Parent Loop BB1_7 Depth=1
                                        ; =>  This Inner Loop Header: Depth=2
	v_add_u32_e32 v2, s81, v22
	v_add_u32_e32 v3, s81, v18
	v_mov_b32_e32 v1, s73
	v_add_u32_e32 v4, s81, v20
	v_add_u32_e32 v32, s81, v21
	v_ashrrev_i32_e32 v34, 31, v2
	v_ashrrev_i32_e32 v37, 31, v3
	v_add_co_u32_e64 v3, s[6:7], s72, v3
	v_add_co_u32_e64 v35, s[24:25], s72, v2
	v_ashrrev_i32_e32 v38, 31, v4
	v_add_co_u32_e64 v31, s[20:21], s72, v4
	v_ashrrev_i32_e32 v39, 31, v32
	v_add_co_u32_e64 v33, s[22:23], s72, v32
	v_addc_co_u32_e64 v36, s[24:25], v1, v34, s[24:25]
	v_addc_co_u32_e64 v4, s[6:7], v1, v37, s[6:7]
	v_addc_co_u32_e64 v32, s[6:7], v1, v38, s[20:21]
	v_addc_co_u32_e64 v34, s[6:7], v1, v39, s[22:23]
	global_load_ubyte v1, v[35:36], off
	global_load_ubyte v2, v[3:4], off
	s_nop 0
	global_load_ubyte v3, v[31:32], off
	global_load_ubyte v4, v[33:34], off
	v_add_u32_e32 v30, s33, v30
	s_add_i32 s81, s81, s80
	v_cmp_le_i32_e32 vcc, s9, v30
	s_waitcnt vmcnt(3)
	v_and_b32_e32 v31, v27, v1
	v_bfe_u32 v1, v1, v26, 2
	s_waitcnt vmcnt(2)
	v_and_b32_e32 v32, v27, v2
	v_bfe_u32 v2, v2, v26, 2
	v_cmp_eq_u32_e64 s[6:7], v31, v19
	v_cmp_eq_u32_e64 s[26:27], 0, v1
	s_waitcnt vmcnt(1)
	v_and_b32_e32 v33, v27, v3
	v_bfe_u32 v3, v3, v26, 2
	v_cmp_eq_u32_e64 s[20:21], v32, v19
	v_cmp_eq_u32_e64 s[28:29], 0, v2
	s_and_b64 s[26:27], s[6:7], s[26:27]
	s_waitcnt vmcnt(0)
	v_and_b32_e32 v34, v27, v4
	v_bfe_u32 v4, v4, v26, 2
	v_cmp_eq_u32_e64 s[22:23], v33, v19
	v_cmp_eq_u32_e64 s[30:31], 0, v3
	;; [unrolled: 1-line block ×5, first 2 shown]
	v_cndmask_b32_e64 v1, 0, 1, s[26:27]
	s_and_b64 s[26:27], s[20:21], s[28:29]
	v_cmp_eq_u32_e64 s[24:25], v34, v19
	v_cmp_eq_u32_e64 s[34:35], 0, v4
	;; [unrolled: 1-line block ×5, first 2 shown]
	v_cndmask_b32_e64 v2, 0, 1, s[26:27]
	s_and_b64 s[26:27], s[22:23], s[30:31]
	v_cmp_eq_u32_e64 s[40:41], 1, v3
	v_cmp_eq_u32_e64 s[48:49], 2, v3
	;; [unrolled: 1-line block ×3, first 2 shown]
	v_cndmask_b32_e64 v3, 0, 1, s[26:27]
	s_and_b64 s[26:27], s[24:25], s[34:35]
	v_cmp_eq_u32_e64 s[42:43], 1, v4
	v_cmp_eq_u32_e64 s[50:51], 2, v4
	;; [unrolled: 1-line block ×3, first 2 shown]
	v_cndmask_b32_e64 v4, 0, 1, s[26:27]
	s_and_b64 s[26:27], s[6:7], s[36:37]
	v_cndmask_b32_e64 v31, 0, 1, s[26:27]
	s_and_b64 s[26:27], s[20:21], s[38:39]
	;; [unrolled: 2-line block ×5, first 2 shown]
	s_and_b64 s[6:7], s[6:7], s[52:53]
	v_cndmask_b32_e64 v35, 0, 1, s[26:27]
	s_and_b64 s[26:27], s[20:21], s[46:47]
	v_cndmask_b32_e64 v39, 0, 1, s[6:7]
	;; [unrolled: 2-line block ×7, first 2 shown]
	v_cndmask_b32_e64 v42, 0, 1, s[6:7]
	v_cmp_ne_u32_e64 s[6:7], 0, v1
	v_cmp_ne_u32_e64 s[20:21], 0, v2
	;; [unrolled: 1-line block ×11, first 2 shown]
	s_bcnt1_i32_b64 s6, s[6:7]
	s_bcnt1_i32_b64 s7, s[20:21]
	;; [unrolled: 1-line block ×8, first 2 shown]
	v_cmp_ne_u32_e64 s[34:35], 0, v34
	v_cmp_ne_u32_e64 s[40:41], 0, v37
	v_cmp_ne_u32_e64 s[48:49], 0, v41
	s_bcnt1_i32_b64 s23, s[28:29]
	s_bcnt1_i32_b64 s27, s[38:39]
	;; [unrolled: 1-line block ×3, first 2 shown]
	s_add_i32 s6, s84, s6
	s_add_i32 s19, s19, s22
	;; [unrolled: 1-line block ×4, first 2 shown]
	v_cmp_ne_u32_e64 s[42:43], 0, v38
	v_cmp_ne_u32_e64 s[50:51], 0, v42
	s_bcnt1_i32_b64 s25, s[34:35]
	s_bcnt1_i32_b64 s28, s[40:41]
	s_bcnt1_i32_b64 s34, s[48:49]
	s_add_i32 s6, s6, s7
	s_add_i32 s7, s19, s23
	;; [unrolled: 1-line block ×4, first 2 shown]
	s_bcnt1_i32_b64 s29, s[42:43]
	s_bcnt1_i32_b64 s35, s[50:51]
	s_add_i32 s6, s6, s20
	s_add_i32 s7, s7, s24
	;; [unrolled: 1-line block ×8, first 2 shown]
	s_or_b64 s[70:71], vcc, s[70:71]
	v_mov_b32_e32 v1, s84
	v_mov_b32_e32 v2, s19
	;; [unrolled: 1-line block ×4, first 2 shown]
	s_andn2_b64 exec, exec, s[70:71]
	s_cbranch_execnz .LBB1_48
; %bb.49:                               ;   in Loop: Header=BB1_7 Depth=1
	s_or_b64 exec, exec, s[70:71]
	s_or_b64 exec, exec, s[68:69]
	v_mov_b32_e32 v32, 0
	s_and_saveexec_b64 s[6:7], s[12:13]
	s_cbranch_execz .LBB1_46
.LBB1_50:                               ;   in Loop: Header=BB1_7 Depth=1
	global_load_ubyte v32, v[7:8], off
	s_or_b64 exec, exec, s[6:7]
	s_and_saveexec_b64 s[20:21], s[14:15]
	s_cbranch_execz .LBB1_56
.LBB1_51:                               ;   in Loop: Header=BB1_7 Depth=1
	s_mov_b64 s[22:23], 0
	v_mov_b32_e32 v30, v23
	v_mov_b32_e32 v31, v17
	s_branch .LBB1_53
.LBB1_52:                               ;   in Loop: Header=BB1_53 Depth=2
	s_or_b64 exec, exec, s[6:7]
	s_waitcnt vmcnt(0)
	v_and_b32_e32 v32, 0xff, v32
	v_and_b32_e32 v34, v27, v32
	v_bfe_u32 v32, v32, v26, 2
	v_cmp_eq_u32_e32 vcc, v34, v19
	v_cmp_eq_u32_e64 s[6:7], 0, v32
	s_and_b64 s[6:7], vcc, s[6:7]
	v_cndmask_b32_e64 v34, 0, 1, s[6:7]
	v_cmp_ne_u32_e64 s[6:7], 0, v34
	s_bcnt1_i32_b64 s6, s[6:7]
	v_add_u32_e32 v1, s6, v1
	v_cmp_eq_u32_e64 s[6:7], 1, v32
	s_and_b64 s[6:7], vcc, s[6:7]
	v_cndmask_b32_e64 v34, 0, 1, s[6:7]
	v_cmp_ne_u32_e64 s[6:7], 0, v34
	s_bcnt1_i32_b64 s6, s[6:7]
	v_add_u32_e32 v2, s6, v2
	;; [unrolled: 6-line block ×3, first 2 shown]
	v_cmp_eq_u32_e64 s[6:7], 3, v32
	s_and_b64 s[6:7], vcc, s[6:7]
	v_cndmask_b32_e64 v32, 0, 1, s[6:7]
	v_cmp_ne_u32_e32 vcc, 0, v32
	s_bcnt1_i32_b64 s6, vcc
	v_cmp_le_i32_e32 vcc, s60, v31
	v_add_u32_e32 v4, s6, v4
	v_add_u32_e32 v30, s18, v30
	s_or_b64 s[22:23], vcc, s[22:23]
	v_mov_b32_e32 v32, v33
	s_andn2_b64 exec, exec, s[22:23]
	s_cbranch_execz .LBB1_55
.LBB1_53:                               ;   Parent Loop BB1_7 Depth=1
                                        ; =>  This Inner Loop Header: Depth=2
	v_add_u32_e32 v31, s62, v31
	v_cmp_gt_u32_e32 vcc, s60, v31
	v_mov_b32_e32 v33, 0
	s_and_saveexec_b64 s[6:7], vcc
	s_cbranch_execz .LBB1_52
; %bb.54:                               ;   in Loop: Header=BB1_53 Depth=2
	v_ashrrev_i32_e32 v34, 31, v30
	v_mov_b32_e32 v35, s73
	v_add_co_u32_e32 v33, vcc, s72, v30
	v_addc_co_u32_e32 v34, vcc, v35, v34, vcc
	global_load_ubyte v33, v[33:34], off
	s_branch .LBB1_52
.LBB1_55:                               ;   in Loop: Header=BB1_7 Depth=1
	s_or_b64 exec, exec, s[22:23]
.LBB1_56:                               ;   in Loop: Header=BB1_7 Depth=1
	s_or_b64 exec, exec, s[20:21]
	s_branch .LBB1_36
.LBB1_57:                               ;   in Loop: Header=BB1_7 Depth=1
	s_mul_hi_u32 s6, s61, s8
	s_mul_i32 s6, s6, s33
	s_sub_i32 s6, s61, s6
	s_sub_i32 s7, s6, s33
	s_cmp_ge_u32 s6, s33
	s_cselect_b32 s6, s7, s6
	s_sub_i32 s7, s6, s33
	s_cmp_ge_u32 s6, s33
	s_cselect_b32 s6, s7, s6
	s_sub_i32 s81, s61, s6
	v_cmp_gt_u32_e32 vcc, s81, v10
	v_mov_b32_e32 v1, 0
	v_mov_b32_e32 v2, 0
	;; [unrolled: 1-line block ×4, first 2 shown]
	s_and_saveexec_b64 s[68:69], vcc
	s_cbranch_execz .LBB1_61
; %bb.58:                               ;   in Loop: Header=BB1_7 Depth=1
	s_mov_b32 s16, 0
	s_mov_b64 s[70:71], 0
	s_mov_b32 s17, 0
	s_mov_b32 s19, 0
	s_mov_b32 s84, 0
	v_mov_b32_e32 v30, v10
.LBB1_59:                               ;   Parent Loop BB1_7 Depth=1
                                        ; =>  This Inner Loop Header: Depth=2
	ds_read_b32 v1, v30
	v_add_u32_e32 v30, s33, v30
	v_cmp_le_i32_e32 vcc, s81, v30
	s_waitcnt lgkmcnt(0)
	v_and_b32_e32 v3, 0xff, v1
	v_bfe_u32 v4, v1, 8, 8
	v_and_b32_e32 v31, v27, v3
	v_bfe_u32 v3, v3, v26, 2
	v_lshrrev_b32_e32 v2, 24, v1
	v_bfe_u32 v1, v1, 16, 8
	s_waitcnt vmcnt(0)
	v_and_b32_e32 v32, v27, v4
	v_bfe_u32 v4, v4, v26, 2
	v_cmp_eq_u32_e64 s[6:7], v31, v19
	v_cmp_eq_u32_e64 s[26:27], 0, v3
	v_and_b32_e32 v33, v27, v1
	v_bfe_u32 v1, v1, v26, 2
	v_cmp_eq_u32_e64 s[20:21], v32, v19
	v_cmp_eq_u32_e64 s[28:29], 0, v4
	s_and_b64 s[26:27], s[6:7], s[26:27]
	v_and_b32_e32 v34, v27, v2
	v_bfe_u32 v2, v2, v26, 2
	v_cmp_eq_u32_e64 s[22:23], v33, v19
	v_cmp_eq_u32_e64 s[30:31], 0, v1
	;; [unrolled: 1-line block ×5, first 2 shown]
	v_cndmask_b32_e64 v1, 0, 1, s[26:27]
	s_and_b64 s[26:27], s[20:21], s[28:29]
	v_cmp_eq_u32_e64 s[24:25], v34, v19
	v_cmp_eq_u32_e64 s[34:35], 0, v2
	v_cmp_eq_u32_e64 s[42:43], 1, v2
	v_cmp_eq_u32_e64 s[50:51], 2, v2
	v_cmp_eq_u32_e64 s[58:59], 3, v2
	v_cndmask_b32_e64 v2, 0, 1, s[26:27]
	s_and_b64 s[26:27], s[22:23], s[30:31]
	v_cmp_eq_u32_e64 s[36:37], 1, v3
	v_cmp_eq_u32_e64 s[44:45], 2, v3
	;; [unrolled: 1-line block ×3, first 2 shown]
	v_cndmask_b32_e64 v3, 0, 1, s[26:27]
	s_and_b64 s[26:27], s[24:25], s[34:35]
	v_cmp_eq_u32_e64 s[38:39], 1, v4
	v_cmp_eq_u32_e64 s[46:47], 2, v4
	v_cmp_eq_u32_e64 s[54:55], 3, v4
	v_cndmask_b32_e64 v4, 0, 1, s[26:27]
	s_and_b64 s[26:27], s[6:7], s[36:37]
	v_cndmask_b32_e64 v31, 0, 1, s[26:27]
	s_and_b64 s[26:27], s[20:21], s[38:39]
	;; [unrolled: 2-line block ×5, first 2 shown]
	s_and_b64 s[6:7], s[6:7], s[52:53]
	v_cndmask_b32_e64 v35, 0, 1, s[26:27]
	s_and_b64 s[26:27], s[20:21], s[46:47]
	v_cndmask_b32_e64 v39, 0, 1, s[6:7]
	;; [unrolled: 2-line block ×7, first 2 shown]
	v_cndmask_b32_e64 v42, 0, 1, s[6:7]
	v_cmp_ne_u32_e64 s[6:7], 0, v1
	v_cmp_ne_u32_e64 s[20:21], 0, v2
	;; [unrolled: 1-line block ×11, first 2 shown]
	s_bcnt1_i32_b64 s6, s[6:7]
	s_bcnt1_i32_b64 s7, s[20:21]
	;; [unrolled: 1-line block ×8, first 2 shown]
	v_cmp_ne_u32_e64 s[34:35], 0, v34
	v_cmp_ne_u32_e64 s[40:41], 0, v37
	;; [unrolled: 1-line block ×3, first 2 shown]
	s_bcnt1_i32_b64 s23, s[28:29]
	s_bcnt1_i32_b64 s27, s[38:39]
	;; [unrolled: 1-line block ×3, first 2 shown]
	s_add_i32 s6, s84, s6
	s_add_i32 s19, s19, s22
	;; [unrolled: 1-line block ×4, first 2 shown]
	v_cmp_ne_u32_e64 s[42:43], 0, v38
	v_cmp_ne_u32_e64 s[50:51], 0, v42
	s_bcnt1_i32_b64 s25, s[34:35]
	s_bcnt1_i32_b64 s28, s[40:41]
	;; [unrolled: 1-line block ×3, first 2 shown]
	s_add_i32 s6, s6, s7
	s_add_i32 s7, s19, s23
	;; [unrolled: 1-line block ×4, first 2 shown]
	s_bcnt1_i32_b64 s29, s[42:43]
	s_bcnt1_i32_b64 s35, s[50:51]
	s_add_i32 s6, s6, s20
	s_add_i32 s7, s7, s24
	;; [unrolled: 1-line block ×8, first 2 shown]
	s_or_b64 s[70:71], vcc, s[70:71]
	v_mov_b32_e32 v1, s84
	v_mov_b32_e32 v2, s19
	;; [unrolled: 1-line block ×4, first 2 shown]
	s_andn2_b64 exec, exec, s[70:71]
	s_cbranch_execnz .LBB1_59
; %bb.60:                               ;   in Loop: Header=BB1_7 Depth=1
	s_or_b64 exec, exec, s[70:71]
.LBB1_61:                               ;   in Loop: Header=BB1_7 Depth=1
	s_or_b64 exec, exec, s[68:69]
	v_add_u32_e32 v30, s81, v0
	v_cmp_gt_i32_e32 vcc, s61, v30
	s_and_saveexec_b64 s[28:29], vcc
	s_cbranch_execz .LBB1_65
; %bb.62:                               ;   in Loop: Header=BB1_7 Depth=1
	s_mov_b64 s[30:31], 0
.LBB1_63:                               ;   Parent Loop BB1_7 Depth=1
                                        ; =>  This Inner Loop Header: Depth=2
	ds_read_u8 v31, v30
	v_add_u32_e32 v30, s62, v30
	v_cmp_le_i32_e32 vcc, s61, v30
	s_waitcnt vmcnt(0) lgkmcnt(0)
	v_and_b32_e32 v32, v27, v31
	v_bfe_u32 v31, v31, v26, 2
	v_cmp_eq_u32_e64 s[6:7], v32, v19
	v_cmp_eq_u32_e64 s[20:21], 0, v31
	;; [unrolled: 1-line block ×3, first 2 shown]
	s_and_b64 s[16:17], s[6:7], s[20:21]
	v_cmp_eq_u32_e64 s[24:25], 2, v31
	v_cmp_eq_u32_e64 s[26:27], 3, v31
	v_cndmask_b32_e64 v31, 0, 1, s[16:17]
	s_and_b64 s[16:17], s[6:7], s[22:23]
	v_cndmask_b32_e64 v32, 0, 1, s[16:17]
	s_and_b64 s[16:17], s[6:7], s[24:25]
	s_and_b64 s[6:7], s[6:7], s[26:27]
	v_cndmask_b32_e64 v33, 0, 1, s[16:17]
	v_cndmask_b32_e64 v34, 0, 1, s[6:7]
	v_cmp_ne_u32_e64 s[6:7], 0, v31
	v_cmp_ne_u32_e64 s[20:21], 0, v32
	;; [unrolled: 1-line block ×4, first 2 shown]
	s_bcnt1_i32_b64 s6, s[6:7]
	s_bcnt1_i32_b64 s7, s[20:21]
	;; [unrolled: 1-line block ×4, first 2 shown]
	v_add_u32_e32 v1, s6, v1
	v_add_u32_e32 v2, s7, v2
	;; [unrolled: 1-line block ×3, first 2 shown]
	s_or_b64 s[30:31], vcc, s[30:31]
	v_add_u32_e32 v4, s17, v4
	s_andn2_b64 exec, exec, s[30:31]
	s_cbranch_execnz .LBB1_63
; %bb.64:                               ;   in Loop: Header=BB1_7 Depth=1
	s_or_b64 exec, exec, s[30:31]
.LBB1_65:                               ;   in Loop: Header=BB1_7 Depth=1
	s_or_b64 exec, exec, s[28:29]
	s_lshl_b32 s16, s82, 6
	s_and_saveexec_b64 s[6:7], s[2:3]
	s_cbranch_execnz .LBB1_37
	s_branch .LBB1_38
.LBB1_66:                               ;   in Loop: Header=BB1_7 Depth=1
	s_or_b64 exec, exec, s[20:21]
	s_waitcnt lgkmcnt(0)
	s_barrier
	s_and_saveexec_b64 s[20:21], s[0:1]
	s_cbranch_execz .LBB1_68
; %bb.67:                               ;   in Loop: Header=BB1_7 Depth=1
	ds_read_b32 v1, v12 offset:4104
	s_waitcnt lgkmcnt(0)
	ds_write_b32 v12, v1 offset:4096
.LBB1_68:                               ;   in Loop: Header=BB1_7 Depth=1
	s_or_b64 exec, exec, s[20:21]
	s_waitcnt lgkmcnt(0)
	s_barrier
	s_mov_b64 s[20:21], -1
	s_and_b64 vcc, exec, s[6:7]
	s_cbranch_vccnz .LBB1_22
	s_branch .LBB1_32
.LBB1_69:                               ;   in Loop: Header=BB1_7 Depth=1
	v_mov_b32_e32 v1, 0
	s_mov_b32 s17, 0
.LBB1_70:                               ;   in Loop: Header=BB1_7 Depth=1
	v_readlane_b32 s20, v43, 29
	v_readlane_b32 s21, v43, 30
	s_andn2_b64 vcc, exec, s[20:21]
	s_cbranch_vccnz .LBB1_73
; %bb.71:                               ;   in Loop: Header=BB1_7 Depth=1
	s_lshl_b32 s19, s82, 8
	s_lshl_b32 s17, s17, 4
	s_add_i32 s19, s19, s17
	v_add_u32_e32 v2, s19, v24
	v_readlane_b32 s17, v43, 28
.LBB1_72:                               ;   Parent Loop BB1_7 Depth=1
                                        ; =>  This Inner Loop Header: Depth=2
	ds_read_b32 v3, v2
	s_add_i32 s17, s17, -1
	v_add_u32_e32 v2, 16, v2
	s_cmp_lg_u32 s17, 0
	s_waitcnt lgkmcnt(0)
	v_add_u32_e32 v1, v3, v1
	s_cbranch_scc1 .LBB1_72
.LBB1_73:                               ;   in Loop: Header=BB1_7 Depth=1
	v_add_lshl_u32 v2, s16, v11, 2
	ds_write_b32 v2, v1 offset:3072
.LBB1_74:                               ;   in Loop: Header=BB1_7 Depth=1
	s_or_b64 exec, exec, s[6:7]
	s_lshl_b32 s6, s16, 2
	v_mov_b32_e32 v1, s6
	s_waitcnt lgkmcnt(0)
	s_barrier
	ds_read_b128 v[1:4], v1 offset:3072
	v_cmp_eq_u32_e32 vcc, 1, v29
	s_mov_b64 s[20:21], -1
	s_mov_b64 s[28:29], -1
                                        ; implicit-def: $sgpr26_sgpr27
                                        ; implicit-def: $sgpr24_sgpr25
	s_waitcnt lgkmcnt(0)
	v_readfirstlane_b32 s42, v1
	s_cmp_eq_u32 s42, 1
	v_lshlrev_b32_e64 v1, v26, 3
	s_cselect_b64 s[6:7], -1, 0
	v_readfirstlane_b32 s46, v2
	v_readfirstlane_b32 s54, v3
	;; [unrolled: 1-line block ×3, first 2 shown]
	v_not_b32_e32 v3, v1
	s_and_b64 s[22:23], s[6:7], vcc
	s_and_saveexec_b64 s[6:7], s[22:23]
	s_cbranch_execz .LBB1_100
; %bb.75:                               ;   in Loop: Header=BB1_7 Depth=1
	ds_read_b32 v2, v12 offset:4096
	s_waitcnt lgkmcnt(0)
	s_barrier
	v_readfirstlane_b32 s16, v2
	s_and_saveexec_b64 s[24:25], s[4:5]
; %bb.76:                               ;   in Loop: Header=BB1_7 Depth=1
	ds_write_b8 v0, v12 offset:3072
; %bb.77:                               ;   in Loop: Header=BB1_7 Depth=1
	s_or_b64 exec, exec, s[24:25]
	v_and_b32_e32 v19, v19, v3
	v_or_b32_e32 v27, v27, v1
	s_mov_b64 s[24:25], -1
	s_mov_b64 s[26:27], 0
	s_cmp_lt_i32 s16, 1
	s_mov_b64 s[28:29], 0
	s_mov_b64 s[30:31], -1
	s_waitcnt lgkmcnt(0)
	s_barrier
                                        ; implicit-def: $vgpr28
	s_cbranch_scc0 .LBB1_88
; %bb.78:                               ;   in Loop: Header=BB1_7 Depth=1
	s_mov_b64 s[30:31], 0
                                        ; implicit-def: $vgpr28
	s_mov_b64 s[34:35], exec
	v_readlane_b32 s36, v43, 32
	v_readlane_b32 s37, v43, 33
	s_and_b64 s[36:37], s[34:35], s[36:37]
	s_mov_b64 exec, s[36:37]
	s_cbranch_execz .LBB1_87
; %bb.79:                               ;   in Loop: Header=BB1_7 Depth=1
	v_mov_b32_e32 v2, v9
	v_mov_b32_e32 v4, v0
                                        ; implicit-def: $sgpr36_sgpr37
	s_branch .LBB1_82
.LBB1_80:                               ;   in Loop: Header=BB1_82 Depth=2
	s_or_b64 exec, exec, s[38:39]
	s_waitcnt lgkmcnt(0)
	s_barrier
	ds_read_u16 v28, v12 offset:3072
	s_mov_b64 s[38:39], -1
	s_waitcnt lgkmcnt(0)
	s_barrier
	v_cmp_ne_u32_sdwa s[40:41], v28, v12 src0_sel:BYTE_0 src1_sel:DWORD
	s_and_b64 vcc, exec, s[40:41]
	s_mov_b64 s[40:41], -1
	s_cbranch_vccz .LBB1_85
.LBB1_81:                               ;   in Loop: Header=BB1_82 Depth=2
	s_and_b64 s[38:39], exec, s[38:39]
	s_or_b64 s[28:29], s[38:39], s[28:29]
	s_andn2_b64 s[36:37], s[36:37], exec
	s_and_b64 s[38:39], s[40:41], exec
	s_or_b64 s[36:37], s[36:37], s[38:39]
	s_andn2_b64 exec, exec, s[28:29]
	s_cbranch_execz .LBB1_86
.LBB1_82:                               ;   Parent Loop BB1_7 Depth=1
                                        ; =>  This Inner Loop Header: Depth=2
	v_cmp_gt_i32_e32 vcc, s60, v4
	s_and_saveexec_b64 s[38:39], vcc
	s_cbranch_execz .LBB1_80
; %bb.83:                               ;   in Loop: Header=BB1_82 Depth=2
	v_ashrrev_i32_e32 v28, 31, v2
	v_mov_b32_e32 v31, s73
	v_add_co_u32_e32 v30, vcc, s72, v2
	v_addc_co_u32_e32 v31, vcc, v31, v28, vcc
	global_load_ubyte v28, v[30:31], off
	s_waitcnt vmcnt(0)
	v_and_b32_e32 v30, v28, v27
	v_cmp_eq_u32_sdwa s[40:41], v30, v19 src0_sel:BYTE_0 src1_sel:DWORD
	s_and_b64 exec, exec, s[40:41]
	s_cbranch_execz .LBB1_80
; %bb.84:                               ;   in Loop: Header=BB1_82 Depth=2
	v_lshlrev_b16_e32 v28, 8, v28
	v_or_b32_e32 v28, 1, v28
	ds_write_b16 v12, v28 offset:3072
	s_branch .LBB1_80
.LBB1_85:                               ;   in Loop: Header=BB1_82 Depth=2
	v_add_u32_e32 v4, s62, v4
	v_cmp_le_i32_e32 vcc, s85, v4
	v_add_u32_e32 v2, s18, v2
	s_mov_b64 s[40:41], 0
	s_orn2_b64 s[38:39], vcc, exec
	s_branch .LBB1_81
.LBB1_86:                               ;   in Loop: Header=BB1_7 Depth=1
	s_or_b64 exec, exec, s[28:29]
	v_lshrrev_b32_sdwa v28, v25, v28 dst_sel:DWORD dst_unused:UNUSED_PAD src0_sel:DWORD src1_sel:WORD_0
	s_and_b64 s[28:29], s[36:37], exec
.LBB1_87:                               ;   in Loop: Header=BB1_7 Depth=1
	s_or_b64 exec, exec, s[34:35]
.LBB1_88:                               ;   in Loop: Header=BB1_7 Depth=1
	s_and_b64 vcc, exec, s[30:31]
	s_cbranch_vccz .LBB1_99
; %bb.89:                               ;   in Loop: Header=BB1_7 Depth=1
	v_readlane_b32 s17, v43, 19
	s_add_i32 s17, s16, s17
	s_abs_i32 s24, s17
	v_readlane_b32 s25, v43, 31
	s_mul_hi_u32 s25, s24, s25
	s_mul_i32 s25, s25, s62
	s_sub_i32 s24, s24, s25
	s_ashr_i32 s19, s17, 31
	s_sub_i32 s25, s24, s62
	s_cmp_ge_u32 s24, s62
	s_cselect_b32 s24, s25, s24
	s_sub_i32 s25, s24, s62
	s_cmp_ge_u32 s24, s62
	s_cselect_b32 s24, s25, s24
	s_xor_b32 s24, s24, s19
	s_sub_i32 s19, s19, s24
	s_add_i32 s17, s17, s19
	v_cmp_gt_i32_e32 vcc, s17, v0
                                        ; implicit-def: $vgpr28
	s_and_saveexec_b64 s[24:25], vcc
	s_cbranch_execz .LBB1_98
; %bb.90:                               ;   in Loop: Header=BB1_7 Depth=1
	s_mov_b64 s[26:27], 0
	v_mov_b32_e32 v2, v0
                                        ; implicit-def: $sgpr30_sgpr31
	s_branch .LBB1_93
.LBB1_91:                               ;   in Loop: Header=BB1_93 Depth=2
	s_or_b64 exec, exec, s[34:35]
	s_waitcnt lgkmcnt(0)
	s_barrier
	ds_read_u16 v4, v12 offset:3072
	s_mov_b64 s[34:35], -1
	s_waitcnt lgkmcnt(0)
	s_barrier
	v_cmp_ne_u32_sdwa s[36:37], v4, v12 src0_sel:BYTE_0 src1_sel:DWORD
	s_and_b64 vcc, exec, s[36:37]
	s_mov_b64 s[36:37], -1
	s_cbranch_vccz .LBB1_96
.LBB1_92:                               ;   in Loop: Header=BB1_93 Depth=2
	s_and_b64 s[34:35], exec, s[34:35]
	s_or_b64 s[26:27], s[34:35], s[26:27]
	s_andn2_b64 s[30:31], s[30:31], exec
	s_and_b64 s[34:35], s[36:37], exec
	s_or_b64 s[30:31], s[30:31], s[34:35]
	s_andn2_b64 exec, exec, s[26:27]
	s_cbranch_execz .LBB1_97
.LBB1_93:                               ;   Parent Loop BB1_7 Depth=1
                                        ; =>  This Inner Loop Header: Depth=2
	v_cmp_gt_i32_e32 vcc, s16, v2
	s_and_saveexec_b64 s[34:35], vcc
	s_cbranch_execz .LBB1_91
; %bb.94:                               ;   in Loop: Header=BB1_93 Depth=2
	ds_read_u8 v4, v2
	s_waitcnt lgkmcnt(0)
	v_and_b32_e32 v28, v4, v27
	v_cmp_eq_u32_sdwa s[36:37], v28, v19 src0_sel:BYTE_0 src1_sel:DWORD
	s_and_b64 exec, exec, s[36:37]
	s_cbranch_execz .LBB1_91
; %bb.95:                               ;   in Loop: Header=BB1_93 Depth=2
	v_lshlrev_b16_e32 v4, 8, v4
	v_or_b32_e32 v4, 1, v4
	ds_write_b16 v12, v4 offset:3072
	s_branch .LBB1_91
.LBB1_96:                               ;   in Loop: Header=BB1_93 Depth=2
	v_add_u32_e32 v2, s62, v2
	v_cmp_le_i32_e32 vcc, s17, v2
	s_mov_b64 s[36:37], 0
	s_orn2_b64 s[34:35], vcc, exec
	s_branch .LBB1_92
.LBB1_97:                               ;   in Loop: Header=BB1_7 Depth=1
	s_or_b64 exec, exec, s[26:27]
	s_andn2_b64 s[16:17], s[28:29], exec
	s_and_b64 s[26:27], s[30:31], exec
	v_lshrrev_b32_sdwa v28, v25, v4 dst_sel:DWORD dst_unused:UNUSED_PAD src0_sel:DWORD src1_sel:WORD_0
	s_or_b64 s[28:29], s[16:17], s[26:27]
.LBB1_98:                               ;   in Loop: Header=BB1_7 Depth=1
	s_or_b64 exec, exec, s[24:25]
	s_mov_b64 s[24:25], 0
	s_mov_b64 s[26:27], -1
.LBB1_99:                               ;   in Loop: Header=BB1_7 Depth=1
	s_orn2_b64 s[28:29], s[28:29], exec
.LBB1_100:                              ;   in Loop: Header=BB1_7 Depth=1
	s_or_b64 exec, exec, s[6:7]
	s_andn2_b64 s[6:7], s[66:67], exec
	s_and_b64 s[26:27], s[26:27], exec
	s_or_b64 s[66:67], s[6:7], s[26:27]
	s_andn2_b64 s[6:7], s[64:65], exec
	s_and_b64 s[24:25], s[24:25], exec
	v_readfirstlane_b32 s16, v0
	s_andn2_b64 s[94:95], s[94:95], exec
	s_or_b64 s[64:65], s[6:7], s[24:25]
                                        ; implicit-def: $vgpr4
	s_and_saveexec_b64 s[6:7], s[28:29]
	s_cbranch_execz .LBB1_6
; %bb.101:                              ;   in Loop: Header=BB1_7 Depth=1
	s_xor_b64 s[16:17], s[22:23], -1
	s_mov_b64 s[22:23], 0
	v_mov_b32_e32 v4, 1
	v_mov_b32_e32 v2, 1
	s_and_saveexec_b64 s[20:21], s[16:17]
	s_cbranch_execz .LBB1_110
; %bb.102:                              ;   in Loop: Header=BB1_7 Depth=1
	v_cmp_ge_i32_e32 vcc, s42, v29
	s_and_saveexec_b64 s[16:17], vcc
	s_xor_b64 s[22:23], exec, s[16:17]
	s_cbranch_execz .LBB1_107
; %bb.103:                              ;   in Loop: Header=BB1_7 Depth=1
	ds_read_b32 v2, v12 offset:4096
	v_and_b32_e32 v19, v19, v3
	v_or_b32_e32 v27, v27, v1
	s_waitcnt lgkmcnt(0)
	v_cmp_ne_u32_e32 vcc, 0, v2
	s_cbranch_vccnz .LBB1_107
; %bb.104:                              ;   in Loop: Header=BB1_7 Depth=1
	s_and_saveexec_b64 s[24:25], s[0:1]
; %bb.105:                              ;   in Loop: Header=BB1_7 Depth=1
	v_mov_b32_e32 v2, s42
	ds_write_b32 v12, v2 offset:4100
; %bb.106:                              ;   in Loop: Header=BB1_7 Depth=1
	s_or_b64 exec, exec, s[24:25]
	s_waitcnt lgkmcnt(0)
	s_barrier
.LBB1_107:                              ;   in Loop: Header=BB1_7 Depth=1
	s_or_saveexec_b64 s[22:23], s[22:23]
	s_mov_b64 s[24:25], 0
	v_mov_b32_e32 v2, 8
	s_xor_b64 exec, exec, s[22:23]
; %bb.108:                              ;   in Loop: Header=BB1_7 Depth=1
	s_mov_b64 s[24:25], exec
	v_subrev_u32_e32 v29, s42, v29
	v_mov_b32_e32 v2, 0
; %bb.109:                              ;   in Loop: Header=BB1_7 Depth=1
	s_or_b64 exec, exec, s[22:23]
	s_and_b64 s[22:23], s[24:25], exec
	v_mov_b32_e32 v4, v29
.LBB1_110:                              ;   in Loop: Header=BB1_7 Depth=1
	s_or_b64 exec, exec, s[20:21]
	s_mov_b64 s[20:21], -1
	s_mov_b64 s[28:29], -1
                                        ; implicit-def: $sgpr24_sgpr25
                                        ; implicit-def: $sgpr26_sgpr27
	s_and_saveexec_b64 s[16:17], s[22:23]
	s_xor_b64 s[22:23], exec, s[16:17]
	s_cbranch_execz .LBB1_227
; %bb.111:                              ;   in Loop: Header=BB1_7 Depth=1
	s_cmp_eq_u32 s46, 1
	s_cselect_b64 s[16:17], -1, 0
	v_cmp_eq_u32_e32 vcc, 1, v4
	s_and_b64 s[30:31], s[16:17], vcc
	s_mov_b64 s[34:35], -1
                                        ; implicit-def: $sgpr26_sgpr27
                                        ; implicit-def: $sgpr24_sgpr25
	s_and_saveexec_b64 s[28:29], s[30:31]
	s_cbranch_execz .LBB1_137
; %bb.112:                              ;   in Loop: Header=BB1_7 Depth=1
	ds_read_b32 v28, v12 offset:4096
	s_waitcnt lgkmcnt(0)
	s_barrier
	v_readfirstlane_b32 s16, v28
	s_and_saveexec_b64 s[24:25], s[4:5]
; %bb.113:                              ;   in Loop: Header=BB1_7 Depth=1
	ds_write_b8 v0, v12 offset:3072
; %bb.114:                              ;   in Loop: Header=BB1_7 Depth=1
	s_or_b64 exec, exec, s[24:25]
	v_and_b32_e32 v19, v19, v3
	v_lshl_or_b32 v19, 1, v26, v19
	v_or_b32_e32 v27, v27, v1
	s_mov_b64 s[24:25], -1
	s_mov_b64 s[26:27], 0
	s_cmp_gt_i32 s16, 0
	s_mov_b64 s[34:35], 0
	s_mov_b64 s[36:37], -1
	s_waitcnt lgkmcnt(0)
	s_barrier
                                        ; implicit-def: $vgpr28
	s_cbranch_scc1 .LBB1_125
; %bb.115:                              ;   in Loop: Header=BB1_7 Depth=1
	s_mov_b64 s[36:37], 0
                                        ; implicit-def: $vgpr28
	s_mov_b64 s[38:39], exec
	v_readlane_b32 s40, v43, 32
	v_readlane_b32 s41, v43, 33
	s_and_b64 s[40:41], s[38:39], s[40:41]
	s_mov_b64 exec, s[40:41]
	s_cbranch_execz .LBB1_124
; %bb.116:                              ;   in Loop: Header=BB1_7 Depth=1
	v_mov_b32_e32 v28, v9
	v_mov_b32_e32 v29, v0
                                        ; implicit-def: $sgpr40_sgpr41
	s_branch .LBB1_119
.LBB1_117:                              ;   in Loop: Header=BB1_119 Depth=2
	s_or_b64 exec, exec, s[42:43]
	s_waitcnt lgkmcnt(0)
	s_barrier
	ds_read_u16 v30, v12 offset:3072
	s_mov_b64 s[42:43], -1
	s_waitcnt lgkmcnt(0)
	s_barrier
	v_cmp_ne_u32_sdwa s[44:45], v30, v12 src0_sel:BYTE_0 src1_sel:DWORD
	s_and_b64 vcc, exec, s[44:45]
	s_mov_b64 s[44:45], -1
	s_cbranch_vccz .LBB1_122
.LBB1_118:                              ;   in Loop: Header=BB1_119 Depth=2
	s_and_b64 s[42:43], exec, s[42:43]
	s_or_b64 s[34:35], s[42:43], s[34:35]
	s_andn2_b64 s[40:41], s[40:41], exec
	s_and_b64 s[42:43], s[44:45], exec
	s_or_b64 s[40:41], s[40:41], s[42:43]
	s_andn2_b64 exec, exec, s[34:35]
	s_cbranch_execz .LBB1_123
.LBB1_119:                              ;   Parent Loop BB1_7 Depth=1
                                        ; =>  This Inner Loop Header: Depth=2
	v_cmp_gt_i32_e32 vcc, s60, v29
	s_and_saveexec_b64 s[42:43], vcc
	s_cbranch_execz .LBB1_117
; %bb.120:                              ;   in Loop: Header=BB1_119 Depth=2
	v_ashrrev_i32_e32 v31, 31, v28
	v_mov_b32_e32 v32, s73
	v_add_co_u32_e32 v30, vcc, s72, v28
	v_addc_co_u32_e32 v31, vcc, v32, v31, vcc
	global_load_ubyte v30, v[30:31], off
	s_waitcnt vmcnt(0)
	v_and_b32_e32 v31, v30, v27
	v_cmp_eq_u32_sdwa s[44:45], v31, v19 src0_sel:BYTE_0 src1_sel:DWORD
	s_and_b64 exec, exec, s[44:45]
	s_cbranch_execz .LBB1_117
; %bb.121:                              ;   in Loop: Header=BB1_119 Depth=2
	v_lshlrev_b16_e32 v30, 8, v30
	v_or_b32_e32 v30, 1, v30
	ds_write_b16 v12, v30 offset:3072
	s_branch .LBB1_117
.LBB1_122:                              ;   in Loop: Header=BB1_119 Depth=2
	v_add_u32_e32 v29, s62, v29
	v_cmp_le_i32_e32 vcc, s85, v29
	v_add_u32_e32 v28, s18, v28
	s_mov_b64 s[44:45], 0
	s_orn2_b64 s[42:43], vcc, exec
	s_branch .LBB1_118
.LBB1_123:                              ;   in Loop: Header=BB1_7 Depth=1
	s_or_b64 exec, exec, s[34:35]
	v_lshrrev_b32_sdwa v28, v25, v30 dst_sel:DWORD dst_unused:UNUSED_PAD src0_sel:DWORD src1_sel:WORD_0
	s_and_b64 s[34:35], s[40:41], exec
.LBB1_124:                              ;   in Loop: Header=BB1_7 Depth=1
	s_or_b64 exec, exec, s[38:39]
.LBB1_125:                              ;   in Loop: Header=BB1_7 Depth=1
	s_and_b64 vcc, exec, s[36:37]
	s_cbranch_vccz .LBB1_136
; %bb.126:                              ;   in Loop: Header=BB1_7 Depth=1
	v_readlane_b32 s17, v43, 19
	s_add_i32 s17, s16, s17
	s_abs_i32 s24, s17
	v_readlane_b32 s25, v43, 31
	s_mul_hi_u32 s25, s24, s25
	s_mul_i32 s25, s25, s62
	s_sub_i32 s24, s24, s25
	s_ashr_i32 s19, s17, 31
	s_sub_i32 s25, s24, s62
	s_cmp_ge_u32 s24, s62
	s_cselect_b32 s24, s25, s24
	s_sub_i32 s25, s24, s62
	s_cmp_ge_u32 s24, s62
	s_cselect_b32 s24, s25, s24
	s_xor_b32 s24, s24, s19
	s_sub_i32 s19, s19, s24
	s_add_i32 s17, s17, s19
	v_cmp_gt_i32_e32 vcc, s17, v0
                                        ; implicit-def: $vgpr28
	s_and_saveexec_b64 s[24:25], vcc
	s_cbranch_execz .LBB1_135
; %bb.127:                              ;   in Loop: Header=BB1_7 Depth=1
	s_mov_b64 s[26:27], 0
	v_mov_b32_e32 v28, v0
                                        ; implicit-def: $sgpr36_sgpr37
	s_branch .LBB1_130
.LBB1_128:                              ;   in Loop: Header=BB1_130 Depth=2
	s_or_b64 exec, exec, s[38:39]
	s_waitcnt lgkmcnt(0)
	s_barrier
	ds_read_u16 v29, v12 offset:3072
	s_mov_b64 s[38:39], -1
	s_waitcnt lgkmcnt(0)
	s_barrier
	v_cmp_eq_u32_sdwa s[40:41], v29, v12 src0_sel:BYTE_0 src1_sel:DWORD
	s_and_b64 vcc, exec, s[40:41]
	s_mov_b64 s[40:41], -1
	s_cbranch_vccnz .LBB1_133
.LBB1_129:                              ;   in Loop: Header=BB1_130 Depth=2
	s_and_b64 s[38:39], exec, s[38:39]
	s_or_b64 s[26:27], s[38:39], s[26:27]
	s_andn2_b64 s[36:37], s[36:37], exec
	s_and_b64 s[38:39], s[40:41], exec
	s_or_b64 s[36:37], s[36:37], s[38:39]
	s_andn2_b64 exec, exec, s[26:27]
	s_cbranch_execz .LBB1_134
.LBB1_130:                              ;   Parent Loop BB1_7 Depth=1
                                        ; =>  This Inner Loop Header: Depth=2
	v_cmp_gt_i32_e32 vcc, s16, v28
	s_and_saveexec_b64 s[38:39], vcc
	s_cbranch_execz .LBB1_128
; %bb.131:                              ;   in Loop: Header=BB1_130 Depth=2
	ds_read_u8 v29, v28
	s_waitcnt lgkmcnt(0)
	v_and_b32_e32 v30, v29, v27
	v_cmp_eq_u32_sdwa s[40:41], v30, v19 src0_sel:BYTE_0 src1_sel:DWORD
	s_and_b64 exec, exec, s[40:41]
	s_cbranch_execz .LBB1_128
; %bb.132:                              ;   in Loop: Header=BB1_130 Depth=2
	v_lshlrev_b16_e32 v29, 8, v29
	v_or_b32_e32 v29, 1, v29
	ds_write_b16 v12, v29 offset:3072
	s_branch .LBB1_128
.LBB1_133:                              ;   in Loop: Header=BB1_130 Depth=2
	v_add_u32_e32 v28, s62, v28
	v_cmp_le_i32_e32 vcc, s17, v28
	s_mov_b64 s[40:41], 0
	s_orn2_b64 s[38:39], vcc, exec
	s_branch .LBB1_129
.LBB1_134:                              ;   in Loop: Header=BB1_7 Depth=1
	s_or_b64 exec, exec, s[26:27]
	s_andn2_b64 s[16:17], s[34:35], exec
	s_and_b64 s[26:27], s[36:37], exec
	v_lshrrev_b32_sdwa v28, v25, v29 dst_sel:DWORD dst_unused:UNUSED_PAD src0_sel:DWORD src1_sel:WORD_0
	s_or_b64 s[34:35], s[16:17], s[26:27]
.LBB1_135:                              ;   in Loop: Header=BB1_7 Depth=1
	s_or_b64 exec, exec, s[24:25]
	s_mov_b64 s[24:25], 0
	s_mov_b64 s[26:27], -1
.LBB1_136:                              ;   in Loop: Header=BB1_7 Depth=1
	s_orn2_b64 s[34:35], s[34:35], exec
.LBB1_137:                              ;   in Loop: Header=BB1_7 Depth=1
	s_or_b64 exec, exec, s[28:29]
	s_mov_b64 s[36:37], 0
	s_and_saveexec_b64 s[28:29], s[34:35]
	s_cbranch_execz .LBB1_226
; %bb.138:                              ;   in Loop: Header=BB1_7 Depth=1
	s_xor_b64 s[16:17], s[30:31], -1
	s_mov_b64 s[40:41], 0
	v_mov_b32_e32 v29, 1
	v_mov_b32_e32 v2, 1
	s_and_saveexec_b64 s[30:31], s[16:17]
	s_cbranch_execz .LBB1_147
; %bb.139:                              ;   in Loop: Header=BB1_7 Depth=1
	v_cmp_ge_i32_e32 vcc, s46, v4
	s_and_saveexec_b64 s[16:17], vcc
	s_xor_b64 s[34:35], exec, s[16:17]
	s_cbranch_execz .LBB1_144
; %bb.140:                              ;   in Loop: Header=BB1_7 Depth=1
	ds_read_b32 v2, v12 offset:4096
	v_and_b32_e32 v19, v19, v3
	v_lshl_or_b32 v19, 1, v26, v19
	v_or_b32_e32 v27, v27, v1
	s_waitcnt lgkmcnt(0)
	v_cmp_ne_u32_e32 vcc, 0, v2
	s_cbranch_vccnz .LBB1_144
; %bb.141:                              ;   in Loop: Header=BB1_7 Depth=1
	s_and_saveexec_b64 s[36:37], s[0:1]
; %bb.142:                              ;   in Loop: Header=BB1_7 Depth=1
	v_mov_b32_e32 v2, s46
	ds_write_b32 v12, v2 offset:4100
; %bb.143:                              ;   in Loop: Header=BB1_7 Depth=1
	s_or_b64 exec, exec, s[36:37]
	s_waitcnt lgkmcnt(0)
	s_barrier
.LBB1_144:                              ;   in Loop: Header=BB1_7 Depth=1
	s_or_saveexec_b64 s[34:35], s[34:35]
	s_mov_b64 s[36:37], 0
	v_mov_b32_e32 v2, 8
	s_xor_b64 exec, exec, s[34:35]
; %bb.145:                              ;   in Loop: Header=BB1_7 Depth=1
	s_mov_b64 s[36:37], exec
	v_subrev_u32_e32 v4, s46, v4
	v_mov_b32_e32 v2, 0
; %bb.146:                              ;   in Loop: Header=BB1_7 Depth=1
	s_or_b64 exec, exec, s[34:35]
	s_and_b64 s[40:41], s[36:37], exec
	v_mov_b32_e32 v29, v4
.LBB1_147:                              ;   in Loop: Header=BB1_7 Depth=1
	s_or_b64 exec, exec, s[30:31]
	s_mov_b64 s[38:39], -1
                                        ; implicit-def: $sgpr34_sgpr35
                                        ; implicit-def: $sgpr36_sgpr37
	s_and_saveexec_b64 s[30:31], s[40:41]
	s_cbranch_execz .LBB1_225
; %bb.148:                              ;   in Loop: Header=BB1_7 Depth=1
	s_cmp_eq_u32 s54, 1
	s_cselect_b64 s[16:17], -1, 0
	v_cmp_eq_u32_e32 vcc, 1, v29
	s_and_b64 s[40:41], s[16:17], vcc
	s_mov_b64 s[42:43], -1
                                        ; implicit-def: $sgpr36_sgpr37
                                        ; implicit-def: $sgpr34_sgpr35
	s_and_saveexec_b64 s[38:39], s[40:41]
	s_cbranch_execz .LBB1_174
; %bb.149:                              ;   in Loop: Header=BB1_7 Depth=1
	ds_read_b32 v4, v12 offset:4096
	s_waitcnt lgkmcnt(0)
	s_barrier
	v_readfirstlane_b32 s16, v4
	s_and_saveexec_b64 s[34:35], s[4:5]
; %bb.150:                              ;   in Loop: Header=BB1_7 Depth=1
	ds_write_b8 v0, v12 offset:3072
; %bb.151:                              ;   in Loop: Header=BB1_7 Depth=1
	s_or_b64 exec, exec, s[34:35]
	v_and_b32_e32 v4, v19, v3
	v_lshl_or_b32 v19, 2, v26, v4
	v_or_b32_e32 v27, v27, v1
	s_mov_b64 s[34:35], -1
	s_mov_b64 s[36:37], 0
	s_cmp_gt_i32 s16, 0
	s_mov_b64 s[42:43], 0
	s_mov_b64 s[44:45], -1
	s_waitcnt lgkmcnt(0)
	s_barrier
                                        ; implicit-def: $vgpr28
	s_cbranch_scc1 .LBB1_162
; %bb.152:                              ;   in Loop: Header=BB1_7 Depth=1
	s_mov_b64 s[44:45], 0
                                        ; implicit-def: $vgpr28
	s_mov_b64 s[46:47], exec
	v_readlane_b32 s48, v43, 32
	v_readlane_b32 s49, v43, 33
	s_and_b64 s[48:49], s[46:47], s[48:49]
	s_mov_b64 exec, s[48:49]
	s_cbranch_execz .LBB1_161
; %bb.153:                              ;   in Loop: Header=BB1_7 Depth=1
	v_mov_b32_e32 v4, v9
	v_mov_b32_e32 v28, v0
                                        ; implicit-def: $sgpr48_sgpr49
	s_branch .LBB1_156
.LBB1_154:                              ;   in Loop: Header=BB1_156 Depth=2
	s_or_b64 exec, exec, s[50:51]
	s_waitcnt lgkmcnt(0)
	s_barrier
	ds_read_u16 v30, v12 offset:3072
	s_mov_b64 s[50:51], -1
	s_waitcnt lgkmcnt(0)
	s_barrier
	v_cmp_ne_u32_sdwa s[52:53], v30, v12 src0_sel:BYTE_0 src1_sel:DWORD
	s_and_b64 vcc, exec, s[52:53]
	s_mov_b64 s[52:53], -1
	s_cbranch_vccz .LBB1_159
.LBB1_155:                              ;   in Loop: Header=BB1_156 Depth=2
	s_and_b64 s[50:51], exec, s[50:51]
	s_or_b64 s[42:43], s[50:51], s[42:43]
	s_andn2_b64 s[48:49], s[48:49], exec
	s_and_b64 s[50:51], s[52:53], exec
	s_or_b64 s[48:49], s[48:49], s[50:51]
	s_andn2_b64 exec, exec, s[42:43]
	s_cbranch_execz .LBB1_160
.LBB1_156:                              ;   Parent Loop BB1_7 Depth=1
                                        ; =>  This Inner Loop Header: Depth=2
	v_cmp_gt_i32_e32 vcc, s60, v28
	s_and_saveexec_b64 s[50:51], vcc
	s_cbranch_execz .LBB1_154
; %bb.157:                              ;   in Loop: Header=BB1_156 Depth=2
	v_ashrrev_i32_e32 v31, 31, v4
	v_mov_b32_e32 v32, s73
	v_add_co_u32_e32 v30, vcc, s72, v4
	v_addc_co_u32_e32 v31, vcc, v32, v31, vcc
	global_load_ubyte v30, v[30:31], off
	s_waitcnt vmcnt(0)
	v_and_b32_e32 v31, v30, v27
	v_cmp_eq_u32_sdwa s[52:53], v31, v19 src0_sel:BYTE_0 src1_sel:DWORD
	s_and_b64 exec, exec, s[52:53]
	s_cbranch_execz .LBB1_154
; %bb.158:                              ;   in Loop: Header=BB1_156 Depth=2
	v_lshlrev_b16_e32 v30, 8, v30
	v_or_b32_e32 v30, 1, v30
	ds_write_b16 v12, v30 offset:3072
	s_branch .LBB1_154
.LBB1_159:                              ;   in Loop: Header=BB1_156 Depth=2
	v_add_u32_e32 v28, s62, v28
	v_cmp_le_i32_e32 vcc, s85, v28
	v_add_u32_e32 v4, s18, v4
	s_mov_b64 s[52:53], 0
	s_orn2_b64 s[50:51], vcc, exec
	s_branch .LBB1_155
.LBB1_160:                              ;   in Loop: Header=BB1_7 Depth=1
	s_or_b64 exec, exec, s[42:43]
	v_lshrrev_b32_sdwa v28, v25, v30 dst_sel:DWORD dst_unused:UNUSED_PAD src0_sel:DWORD src1_sel:WORD_0
	s_and_b64 s[42:43], s[48:49], exec
.LBB1_161:                              ;   in Loop: Header=BB1_7 Depth=1
	s_or_b64 exec, exec, s[46:47]
.LBB1_162:                              ;   in Loop: Header=BB1_7 Depth=1
	s_and_b64 vcc, exec, s[44:45]
	s_cbranch_vccz .LBB1_173
; %bb.163:                              ;   in Loop: Header=BB1_7 Depth=1
	v_readlane_b32 s17, v43, 19
	s_add_i32 s17, s16, s17
	s_abs_i32 s34, s17
	v_readlane_b32 s35, v43, 31
	s_mul_hi_u32 s35, s34, s35
	s_mul_i32 s35, s35, s62
	s_sub_i32 s34, s34, s35
	s_ashr_i32 s19, s17, 31
	s_sub_i32 s35, s34, s62
	s_cmp_ge_u32 s34, s62
	s_cselect_b32 s34, s35, s34
	s_sub_i32 s35, s34, s62
	s_cmp_ge_u32 s34, s62
	s_cselect_b32 s34, s35, s34
	s_xor_b32 s34, s34, s19
	s_sub_i32 s19, s19, s34
	s_add_i32 s17, s17, s19
	v_cmp_gt_i32_e32 vcc, s17, v0
                                        ; implicit-def: $vgpr28
	s_and_saveexec_b64 s[34:35], vcc
	s_cbranch_execz .LBB1_172
; %bb.164:                              ;   in Loop: Header=BB1_7 Depth=1
	s_mov_b64 s[36:37], 0
	v_mov_b32_e32 v4, v0
                                        ; implicit-def: $sgpr44_sgpr45
	s_branch .LBB1_167
.LBB1_165:                              ;   in Loop: Header=BB1_167 Depth=2
	s_or_b64 exec, exec, s[46:47]
	s_waitcnt lgkmcnt(0)
	s_barrier
	ds_read_u16 v28, v12 offset:3072
	s_mov_b64 s[46:47], -1
	s_waitcnt lgkmcnt(0)
	s_barrier
	v_cmp_eq_u32_sdwa s[48:49], v28, v12 src0_sel:BYTE_0 src1_sel:DWORD
	s_and_b64 vcc, exec, s[48:49]
	s_mov_b64 s[48:49], -1
	s_cbranch_vccnz .LBB1_170
.LBB1_166:                              ;   in Loop: Header=BB1_167 Depth=2
	s_and_b64 s[46:47], exec, s[46:47]
	s_or_b64 s[36:37], s[46:47], s[36:37]
	s_andn2_b64 s[44:45], s[44:45], exec
	s_and_b64 s[46:47], s[48:49], exec
	s_or_b64 s[44:45], s[44:45], s[46:47]
	s_andn2_b64 exec, exec, s[36:37]
	s_cbranch_execz .LBB1_171
.LBB1_167:                              ;   Parent Loop BB1_7 Depth=1
                                        ; =>  This Inner Loop Header: Depth=2
	v_cmp_gt_i32_e32 vcc, s16, v4
	s_and_saveexec_b64 s[46:47], vcc
	s_cbranch_execz .LBB1_165
; %bb.168:                              ;   in Loop: Header=BB1_167 Depth=2
	ds_read_u8 v28, v4
	s_waitcnt lgkmcnt(0)
	v_and_b32_e32 v30, v28, v27
	v_cmp_eq_u32_sdwa s[48:49], v30, v19 src0_sel:BYTE_0 src1_sel:DWORD
	s_and_b64 exec, exec, s[48:49]
	s_cbranch_execz .LBB1_165
; %bb.169:                              ;   in Loop: Header=BB1_167 Depth=2
	v_lshlrev_b16_e32 v28, 8, v28
	v_or_b32_e32 v28, 1, v28
	ds_write_b16 v12, v28 offset:3072
	s_branch .LBB1_165
.LBB1_170:                              ;   in Loop: Header=BB1_167 Depth=2
	v_add_u32_e32 v4, s62, v4
	v_cmp_le_i32_e32 vcc, s17, v4
	s_mov_b64 s[48:49], 0
	s_orn2_b64 s[46:47], vcc, exec
	s_branch .LBB1_166
.LBB1_171:                              ;   in Loop: Header=BB1_7 Depth=1
	s_or_b64 exec, exec, s[36:37]
	s_andn2_b64 s[16:17], s[42:43], exec
	s_and_b64 s[36:37], s[44:45], exec
	v_lshrrev_b32_sdwa v28, v25, v28 dst_sel:DWORD dst_unused:UNUSED_PAD src0_sel:DWORD src1_sel:WORD_0
	s_or_b64 s[42:43], s[16:17], s[36:37]
.LBB1_172:                              ;   in Loop: Header=BB1_7 Depth=1
	s_or_b64 exec, exec, s[34:35]
	s_mov_b64 s[34:35], 0
	s_mov_b64 s[36:37], -1
.LBB1_173:                              ;   in Loop: Header=BB1_7 Depth=1
	s_orn2_b64 s[42:43], s[42:43], exec
.LBB1_174:                              ;   in Loop: Header=BB1_7 Depth=1
	s_or_b64 exec, exec, s[38:39]
	s_mov_b64 s[44:45], 0
	s_and_saveexec_b64 s[38:39], s[42:43]
	s_cbranch_execz .LBB1_224
; %bb.175:                              ;   in Loop: Header=BB1_7 Depth=1
	s_xor_b64 s[16:17], s[40:41], -1
	s_mov_b64 s[48:49], 0
	v_mov_b32_e32 v4, 1
	v_mov_b32_e32 v2, 1
	s_and_saveexec_b64 s[40:41], s[16:17]
	s_cbranch_execz .LBB1_184
; %bb.176:                              ;   in Loop: Header=BB1_7 Depth=1
	v_cmp_ge_i32_e32 vcc, s54, v29
	s_and_saveexec_b64 s[16:17], vcc
	s_xor_b64 s[42:43], exec, s[16:17]
	s_cbranch_execz .LBB1_181
; %bb.177:                              ;   in Loop: Header=BB1_7 Depth=1
	ds_read_b32 v2, v12 offset:4096
	v_and_b32_e32 v3, v19, v3
	v_lshl_or_b32 v19, 2, v26, v3
	v_or_b32_e32 v27, v27, v1
	s_waitcnt lgkmcnt(0)
	v_cmp_ne_u32_e32 vcc, 0, v2
	s_cbranch_vccnz .LBB1_181
; %bb.178:                              ;   in Loop: Header=BB1_7 Depth=1
	s_and_saveexec_b64 s[44:45], s[0:1]
; %bb.179:                              ;   in Loop: Header=BB1_7 Depth=1
	v_mov_b32_e32 v2, s54
	ds_write_b32 v12, v2 offset:4100
; %bb.180:                              ;   in Loop: Header=BB1_7 Depth=1
	s_or_b64 exec, exec, s[44:45]
	s_waitcnt lgkmcnt(0)
	s_barrier
.LBB1_181:                              ;   in Loop: Header=BB1_7 Depth=1
	s_or_saveexec_b64 s[42:43], s[42:43]
	s_mov_b64 s[44:45], 0
	v_mov_b32_e32 v2, 8
	s_xor_b64 exec, exec, s[42:43]
; %bb.182:                              ;   in Loop: Header=BB1_7 Depth=1
	s_mov_b64 s[44:45], exec
	v_subrev_u32_e32 v29, s54, v29
	v_mov_b32_e32 v2, 0
; %bb.183:                              ;   in Loop: Header=BB1_7 Depth=1
	s_or_b64 exec, exec, s[42:43]
	s_and_b64 s[48:49], s[44:45], exec
	v_mov_b32_e32 v4, v29
.LBB1_184:                              ;   in Loop: Header=BB1_7 Depth=1
	s_or_b64 exec, exec, s[40:41]
	s_mov_b64 s[46:47], -1
                                        ; implicit-def: $sgpr44_sgpr45
                                        ; implicit-def: $sgpr42_sgpr43
	s_and_saveexec_b64 s[40:41], s[48:49]
	s_cbranch_execz .LBB1_223
; %bb.185:                              ;   in Loop: Header=BB1_7 Depth=1
	s_cmp_eq_u32 s61, 1
	s_cselect_b64 s[16:17], -1, 0
	v_cmp_eq_u32_e32 vcc, 1, v4
	s_and_b64 s[46:47], s[16:17], vcc
	s_mov_b64 s[50:51], -1
                                        ; implicit-def: $sgpr44_sgpr45
                                        ; implicit-def: $sgpr42_sgpr43
	s_and_saveexec_b64 s[48:49], s[46:47]
	s_cbranch_execz .LBB1_211
; %bb.186:                              ;   in Loop: Header=BB1_7 Depth=1
	ds_read_b32 v3, v12 offset:4096
	s_waitcnt lgkmcnt(0)
	s_barrier
	v_readfirstlane_b32 s16, v3
	s_and_saveexec_b64 s[42:43], s[4:5]
; %bb.187:                              ;   in Loop: Header=BB1_7 Depth=1
	ds_write_b8 v0, v12 offset:3072
; %bb.188:                              ;   in Loop: Header=BB1_7 Depth=1
	s_or_b64 exec, exec, s[42:43]
	v_or_b32_e32 v19, v19, v1
	v_or_b32_e32 v27, v27, v1
	s_mov_b64 s[42:43], -1
	s_mov_b64 s[44:45], 0
	s_cmp_gt_i32 s16, 0
	s_mov_b64 s[50:51], 0
	s_mov_b64 s[52:53], -1
	s_waitcnt lgkmcnt(0)
	s_barrier
                                        ; implicit-def: $vgpr28
	s_cbranch_scc1 .LBB1_199
; %bb.189:                              ;   in Loop: Header=BB1_7 Depth=1
	s_mov_b64 s[52:53], 0
                                        ; implicit-def: $vgpr28
	s_mov_b64 s[54:55], exec
	v_readlane_b32 s56, v43, 32
	v_readlane_b32 s57, v43, 33
	s_and_b64 s[56:57], s[54:55], s[56:57]
	s_mov_b64 exec, s[56:57]
	s_cbranch_execz .LBB1_198
; %bb.190:                              ;   in Loop: Header=BB1_7 Depth=1
	v_mov_b32_e32 v3, v9
	v_mov_b32_e32 v28, v0
                                        ; implicit-def: $sgpr56_sgpr57
	s_branch .LBB1_193
.LBB1_191:                              ;   in Loop: Header=BB1_193 Depth=2
	s_or_b64 exec, exec, s[58:59]
	s_waitcnt lgkmcnt(0)
	s_barrier
	ds_read_u16 v29, v12 offset:3072
	s_mov_b64 s[58:59], -1
	s_waitcnt lgkmcnt(0)
	s_barrier
	v_cmp_ne_u32_sdwa s[68:69], v29, v12 src0_sel:BYTE_0 src1_sel:DWORD
	s_and_b64 vcc, exec, s[68:69]
	s_mov_b64 s[68:69], -1
	s_cbranch_vccz .LBB1_196
.LBB1_192:                              ;   in Loop: Header=BB1_193 Depth=2
	s_and_b64 s[58:59], exec, s[58:59]
	s_or_b64 s[50:51], s[58:59], s[50:51]
	s_andn2_b64 s[56:57], s[56:57], exec
	s_and_b64 s[58:59], s[68:69], exec
	s_or_b64 s[56:57], s[56:57], s[58:59]
	s_andn2_b64 exec, exec, s[50:51]
	s_cbranch_execz .LBB1_197
.LBB1_193:                              ;   Parent Loop BB1_7 Depth=1
                                        ; =>  This Inner Loop Header: Depth=2
	v_cmp_gt_i32_e32 vcc, s60, v28
	s_and_saveexec_b64 s[58:59], vcc
	s_cbranch_execz .LBB1_191
; %bb.194:                              ;   in Loop: Header=BB1_193 Depth=2
	v_ashrrev_i32_e32 v30, 31, v3
	v_mov_b32_e32 v31, s73
	v_add_co_u32_e32 v29, vcc, s72, v3
	v_addc_co_u32_e32 v30, vcc, v31, v30, vcc
	global_load_ubyte v29, v[29:30], off
	s_waitcnt vmcnt(0)
	v_and_b32_e32 v30, v29, v27
	v_cmp_eq_u32_sdwa s[68:69], v30, v19 src0_sel:BYTE_0 src1_sel:DWORD
	s_and_b64 exec, exec, s[68:69]
	s_cbranch_execz .LBB1_191
; %bb.195:                              ;   in Loop: Header=BB1_193 Depth=2
	v_lshlrev_b16_e32 v29, 8, v29
	v_or_b32_e32 v29, 1, v29
	ds_write_b16 v12, v29 offset:3072
	s_branch .LBB1_191
.LBB1_196:                              ;   in Loop: Header=BB1_193 Depth=2
	v_add_u32_e32 v28, s62, v28
	v_cmp_le_i32_e32 vcc, s85, v28
	v_add_u32_e32 v3, s18, v3
	s_mov_b64 s[68:69], 0
	s_orn2_b64 s[58:59], vcc, exec
	s_branch .LBB1_192
.LBB1_197:                              ;   in Loop: Header=BB1_7 Depth=1
	s_or_b64 exec, exec, s[50:51]
	v_lshrrev_b32_sdwa v28, v25, v29 dst_sel:DWORD dst_unused:UNUSED_PAD src0_sel:DWORD src1_sel:WORD_0
	s_and_b64 s[50:51], s[56:57], exec
.LBB1_198:                              ;   in Loop: Header=BB1_7 Depth=1
	s_or_b64 exec, exec, s[54:55]
.LBB1_199:                              ;   in Loop: Header=BB1_7 Depth=1
	s_and_b64 vcc, exec, s[52:53]
	s_cbranch_vccz .LBB1_210
; %bb.200:                              ;   in Loop: Header=BB1_7 Depth=1
	v_readlane_b32 s17, v43, 19
	s_add_i32 s17, s16, s17
	s_abs_i32 s42, s17
	v_readlane_b32 s43, v43, 31
	s_mul_hi_u32 s43, s42, s43
	s_mul_i32 s43, s43, s62
	s_sub_i32 s42, s42, s43
	s_ashr_i32 s19, s17, 31
	s_sub_i32 s43, s42, s62
	s_cmp_ge_u32 s42, s62
	s_cselect_b32 s42, s43, s42
	s_sub_i32 s43, s42, s62
	s_cmp_ge_u32 s42, s62
	s_cselect_b32 s42, s43, s42
	s_xor_b32 s42, s42, s19
	s_sub_i32 s19, s19, s42
	s_add_i32 s17, s17, s19
	v_cmp_gt_i32_e32 vcc, s17, v0
                                        ; implicit-def: $vgpr28
	s_and_saveexec_b64 s[42:43], vcc
	s_cbranch_execz .LBB1_209
; %bb.201:                              ;   in Loop: Header=BB1_7 Depth=1
	s_mov_b64 s[44:45], 0
	v_mov_b32_e32 v3, v0
                                        ; implicit-def: $sgpr52_sgpr53
	s_branch .LBB1_204
.LBB1_202:                              ;   in Loop: Header=BB1_204 Depth=2
	s_or_b64 exec, exec, s[54:55]
	s_waitcnt lgkmcnt(0)
	s_barrier
	ds_read_u16 v28, v12 offset:3072
	s_mov_b64 s[54:55], -1
	s_waitcnt lgkmcnt(0)
	s_barrier
	v_cmp_eq_u32_sdwa s[56:57], v28, v12 src0_sel:BYTE_0 src1_sel:DWORD
	s_and_b64 vcc, exec, s[56:57]
	s_mov_b64 s[56:57], -1
	s_cbranch_vccnz .LBB1_207
.LBB1_203:                              ;   in Loop: Header=BB1_204 Depth=2
	s_and_b64 s[54:55], exec, s[54:55]
	s_or_b64 s[44:45], s[54:55], s[44:45]
	s_andn2_b64 s[52:53], s[52:53], exec
	s_and_b64 s[54:55], s[56:57], exec
	s_or_b64 s[52:53], s[52:53], s[54:55]
	s_andn2_b64 exec, exec, s[44:45]
	s_cbranch_execz .LBB1_208
.LBB1_204:                              ;   Parent Loop BB1_7 Depth=1
                                        ; =>  This Inner Loop Header: Depth=2
	v_cmp_gt_i32_e32 vcc, s16, v3
	s_and_saveexec_b64 s[54:55], vcc
	s_cbranch_execz .LBB1_202
; %bb.205:                              ;   in Loop: Header=BB1_204 Depth=2
	ds_read_u8 v28, v3
	s_waitcnt lgkmcnt(0)
	v_and_b32_e32 v29, v28, v27
	v_cmp_eq_u32_sdwa s[56:57], v29, v19 src0_sel:BYTE_0 src1_sel:DWORD
	s_and_b64 exec, exec, s[56:57]
	s_cbranch_execz .LBB1_202
; %bb.206:                              ;   in Loop: Header=BB1_204 Depth=2
	v_lshlrev_b16_e32 v28, 8, v28
	v_or_b32_e32 v28, 1, v28
	ds_write_b16 v12, v28 offset:3072
	s_branch .LBB1_202
.LBB1_207:                              ;   in Loop: Header=BB1_204 Depth=2
	v_add_u32_e32 v3, s62, v3
	v_cmp_le_i32_e32 vcc, s17, v3
	s_mov_b64 s[56:57], 0
	s_orn2_b64 s[54:55], vcc, exec
	s_branch .LBB1_203
.LBB1_208:                              ;   in Loop: Header=BB1_7 Depth=1
	s_or_b64 exec, exec, s[44:45]
	s_andn2_b64 s[16:17], s[50:51], exec
	s_and_b64 s[44:45], s[52:53], exec
	v_lshrrev_b32_sdwa v28, v25, v28 dst_sel:DWORD dst_unused:UNUSED_PAD src0_sel:DWORD src1_sel:WORD_0
	s_or_b64 s[50:51], s[16:17], s[44:45]
.LBB1_209:                              ;   in Loop: Header=BB1_7 Depth=1
	s_or_b64 exec, exec, s[42:43]
	s_mov_b64 s[42:43], 0
	s_mov_b64 s[44:45], -1
.LBB1_210:                              ;   in Loop: Header=BB1_7 Depth=1
	s_orn2_b64 s[50:51], s[50:51], exec
.LBB1_211:                              ;   in Loop: Header=BB1_7 Depth=1
	s_or_b64 exec, exec, s[48:49]
	s_mov_b64 s[52:53], 0
	s_and_saveexec_b64 s[48:49], s[50:51]
	s_cbranch_execz .LBB1_222
; %bb.212:                              ;   in Loop: Header=BB1_7 Depth=1
	s_xor_b64 s[16:17], s[46:47], -1
	v_mov_b32_e32 v2, 1
	v_mov_b32_e32 v3, 1
	s_and_saveexec_b64 s[46:47], s[16:17]
	s_cbranch_execz .LBB1_221
; %bb.213:                              ;   in Loop: Header=BB1_7 Depth=1
	v_cmp_ge_i32_e32 vcc, s61, v4
	s_and_saveexec_b64 s[16:17], vcc
	s_xor_b64 s[50:51], exec, s[16:17]
	s_cbranch_execz .LBB1_218
; %bb.214:                              ;   in Loop: Header=BB1_7 Depth=1
	ds_read_b32 v2, v12 offset:4096
	v_or_b32_e32 v19, v19, v1
	v_or_b32_e32 v27, v27, v1
	s_waitcnt lgkmcnt(0)
	v_cmp_ne_u32_e32 vcc, 0, v2
	s_cbranch_vccnz .LBB1_218
; %bb.215:                              ;   in Loop: Header=BB1_7 Depth=1
	s_and_saveexec_b64 s[52:53], s[0:1]
; %bb.216:                              ;   in Loop: Header=BB1_7 Depth=1
	v_mov_b32_e32 v1, s61
	ds_write_b32 v12, v1 offset:4100
; %bb.217:                              ;   in Loop: Header=BB1_7 Depth=1
	s_or_b64 exec, exec, s[52:53]
	s_waitcnt lgkmcnt(0)
	s_barrier
.LBB1_218:                              ;   in Loop: Header=BB1_7 Depth=1
	s_andn2_saveexec_b64 s[50:51], s[50:51]
; %bb.219:                              ;   in Loop: Header=BB1_7 Depth=1
	v_subrev_u32_e32 v4, s61, v4
; %bb.220:                              ;   in Loop: Header=BB1_7 Depth=1
	s_or_b64 exec, exec, s[50:51]
	v_mov_b32_e32 v2, 8
	v_mov_b32_e32 v3, v4
.LBB1_221:                              ;   in Loop: Header=BB1_7 Depth=1
	s_or_b64 exec, exec, s[46:47]
	s_mov_b64 s[52:53], exec
	v_mov_b32_e32 v4, v3
.LBB1_222:                              ;   in Loop: Header=BB1_7 Depth=1
	s_or_b64 exec, exec, s[48:49]
	s_orn2_b64 s[46:47], s[52:53], exec
.LBB1_223:                              ;   in Loop: Header=BB1_7 Depth=1
	s_or_b64 exec, exec, s[40:41]
	s_andn2_b64 s[16:17], s[36:37], exec
	s_and_b64 s[36:37], s[44:45], exec
	s_or_b64 s[36:37], s[16:17], s[36:37]
	s_andn2_b64 s[16:17], s[34:35], exec
	s_and_b64 s[34:35], s[42:43], exec
	s_or_b64 s[34:35], s[16:17], s[34:35]
	s_and_b64 s[44:45], s[46:47], exec
	v_mov_b32_e32 v29, v4
.LBB1_224:                              ;   in Loop: Header=BB1_7 Depth=1
	s_or_b64 exec, exec, s[38:39]
	s_orn2_b64 s[38:39], s[44:45], exec
.LBB1_225:                              ;   in Loop: Header=BB1_7 Depth=1
	s_or_b64 exec, exec, s[30:31]
	s_andn2_b64 s[16:17], s[26:27], exec
	s_and_b64 s[26:27], s[36:37], exec
	s_or_b64 s[26:27], s[16:17], s[26:27]
	s_andn2_b64 s[16:17], s[24:25], exec
	s_and_b64 s[24:25], s[34:35], exec
	s_or_b64 s[24:25], s[16:17], s[24:25]
	s_and_b64 s[36:37], s[38:39], exec
	v_mov_b32_e32 v4, v29
.LBB1_226:                              ;   in Loop: Header=BB1_7 Depth=1
	s_or_b64 exec, exec, s[28:29]
	s_orn2_b64 s[28:29], s[36:37], exec
.LBB1_227:                              ;   in Loop: Header=BB1_7 Depth=1
	s_or_b64 exec, exec, s[22:23]
	s_mov_b64 s[30:31], 0
                                        ; implicit-def: $sgpr16
	s_and_saveexec_b64 s[22:23], s[28:29]
	s_xor_b64 s[22:23], exec, s[22:23]
	s_cbranch_execz .LBB1_5
; %bb.228:                              ;   in Loop: Header=BB1_7 Depth=1
	v_and_b32_e32 v1, 7, v2
	v_cmp_eq_u32_e32 vcc, 0, v1
	s_mov_b64 s[20:21], -1
	s_mov_b64 s[28:29], -1
                                        ; implicit-def: $sgpr16
	s_and_saveexec_b64 s[30:31], vcc
	s_cbranch_execz .LBB1_4
; %bb.229:                              ;   in Loop: Header=BB1_7 Depth=1
	v_add_u32_e32 v1, -2, v26
	v_cmp_eq_u32_e32 vcc, 0, v26
	s_xor_b32 s16, s82, 1
	s_xor_b64 s[28:29], exec, -1
	s_orn2_b64 s[20:21], vcc, exec
	v_mov_b32_e32 v26, v1
	s_branch .LBB1_4
.LBB1_230:
	s_or_b64 exec, exec, s[86:87]
	s_xor_b64 s[8:9], s[92:93], -1
	s_xor_b64 s[2:3], s[88:89], -1
	;; [unrolled: 1-line block ×3, first 2 shown]
	s_mov_b64 s[4:5], 0
	s_and_saveexec_b64 s[10:11], s[2:3]
	s_xor_b64 s[2:3], exec, s[10:11]
	s_cbranch_execnz .LBB1_235
; %bb.231:
	s_andn2_saveexec_b64 s[0:1], s[2:3]
	s_cbranch_execnz .LBB1_255
.LBB1_232:
	s_or_b64 exec, exec, s[0:1]
	s_and_saveexec_b64 s[0:1], s[4:5]
.LBB1_233:
	; divergent unreachable
.LBB1_234:
	s_endpgm
.LBB1_235:
	s_and_saveexec_b64 s[4:5], s[8:9]
	s_xor_b64 s[4:5], exec, s[4:5]
	s_cbranch_execz .LBB1_253
; %bb.236:
	s_and_saveexec_b64 s[8:9], s[6:7]
	s_xor_b64 s[6:7], exec, s[8:9]
; %bb.237:
	v_mov_b32_e32 v28, v19
; %bb.238:
	s_or_b64 exec, exec, s[6:7]
	s_and_saveexec_b64 s[6:7], s[0:1]
	v_readlane_b32 s19, v43, 18
	v_readlane_b32 s22, v43, 14
	;; [unrolled: 1-line block ×5, first 2 shown]
; %bb.239:
	v_mov_b32_e32 v1, 0
	v_mov_b32_e32 v2, s60
	ds_write_b32 v1, v2 offset:4108
; %bb.240:
	s_or_b64 exec, exec, s[6:7]
	v_mov_b32_e32 v1, 0
	s_waitcnt lgkmcnt(0)
	s_barrier
	ds_read_b32 v1, v1 offset:4108
	s_waitcnt lgkmcnt(0)
	v_min_i32_e32 v2, s60, v1
	v_cmp_lt_i32_e32 vcc, v0, v2
	s_and_saveexec_b64 s[6:7], vcc
	s_cbranch_execz .LBB1_250
; %bb.241:
	s_mov_b64 s[8:9], 0
	v_mov_b32_e32 v3, s73
                                        ; implicit-def: $sgpr10_sgpr11
                                        ; implicit-def: $sgpr14_sgpr15
                                        ; implicit-def: $sgpr12_sgpr13
	s_branch .LBB1_243
.LBB1_242:                              ;   in Loop: Header=BB1_243 Depth=1
	s_or_b64 exec, exec, s[16:17]
	s_and_b64 s[16:17], exec, s[14:15]
	s_or_b64 s[8:9], s[16:17], s[8:9]
	s_andn2_b64 s[10:11], s[10:11], exec
	s_and_b64 s[16:17], s[12:13], exec
	s_or_b64 s[10:11], s[10:11], s[16:17]
	s_andn2_b64 exec, exec, s[8:9]
	s_cbranch_execz .LBB1_245
.LBB1_243:                              ; =>This Inner Loop Header: Depth=1
	v_ashrrev_i32_e32 v1, 31, v9
	v_add_co_u32_e32 v4, vcc, s72, v9
	v_addc_co_u32_e32 v5, vcc, v3, v1, vcc
	global_load_ubyte v4, v[4:5], off
	v_mov_b32_e32 v1, v0
	s_or_b64 s[12:13], s[12:13], exec
	s_or_b64 s[14:15], s[14:15], exec
                                        ; implicit-def: $vgpr0
	s_waitcnt vmcnt(0)
	v_cmp_ne_u16_sdwa s[20:21], v4, v28 src0_sel:DWORD src1_sel:BYTE_0
	s_and_saveexec_b64 s[16:17], s[20:21]
	s_cbranch_execz .LBB1_242
; %bb.244:                              ;   in Loop: Header=BB1_243 Depth=1
	v_add_u32_e32 v0, s62, v1
	v_cmp_ge_i32_e32 vcc, v0, v2
	s_andn2_b64 s[14:15], s[14:15], exec
	s_and_b64 s[20:21], vcc, exec
	v_add_u32_e32 v9, s18, v9
	s_andn2_b64 s[12:13], s[12:13], exec
	s_or_b64 s[14:15], s[14:15], s[20:21]
	s_branch .LBB1_242
.LBB1_245:
	s_or_b64 exec, exec, s[8:9]
	s_and_saveexec_b64 s[8:9], s[10:11]
	s_xor_b64 s[8:9], exec, s[8:9]
	s_cbranch_execz .LBB1_250
; %bb.246:
	s_mov_b64 s[8:9], exec
	s_brev_b32 s10, -2
.LBB1_247:                              ; =>This Inner Loop Header: Depth=1
	s_ff1_i32_b64 s11, s[8:9]
	v_readlane_b32 s14, v1, s11
	s_lshl_b64 s[12:13], 1, s11
	s_min_i32 s10, s10, s14
	s_andn2_b64 s[8:9], s[8:9], s[12:13]
	s_cmp_lg_u64 s[8:9], 0
	s_cbranch_scc1 .LBB1_247
; %bb.248:
	v_mbcnt_lo_u32_b32 v0, exec_lo, 0
	v_mbcnt_hi_u32_b32 v0, exec_hi, v0
	v_cmp_eq_u32_e32 vcc, 0, v0
	s_and_saveexec_b64 s[8:9], vcc
	s_xor_b64 s[8:9], exec, s[8:9]
; %bb.249:
	v_mov_b32_e32 v0, 0
	v_mov_b32_e32 v1, s10
	ds_min_i32 v0, v1 offset:4108
.LBB1_250:
	s_or_b64 exec, exec, s[6:7]
	s_waitcnt lgkmcnt(0)
	s_barrier
	s_and_saveexec_b64 s[6:7], s[0:1]
	s_cbranch_execz .LBB1_252
; %bb.251:
	v_readlane_b32 s10, v43, 8
	v_readlane_b32 s11, v43, 9
	s_mul_i32 s1, s11, s10
	v_readlane_b32 s0, v43, 13
	s_sub_i32 s1, s24, s1
	s_xor_b32 s0, s23, s0
	s_add_i32 s8, s11, 1
	s_sub_i32 s9, s1, s10
	s_cmp_ge_u32 s1, s10
	s_cselect_b32 s8, s8, s11
	s_cselect_b32 s1, s9, s1
	s_add_i32 s9, s8, 1
	s_cmp_ge_u32 s1, s10
	s_cselect_b32 s1, s9, s8
	s_xor_b32 s1, s1, s0
	s_sub_i32 s0, s1, s0
	s_mul_i32 s1, s0, s25
	v_readlane_b32 s8, v43, 6
	s_sub_i32 s1, s19, s1
	v_readlane_b32 s9, v43, 7
	v_readlane_b32 s11, v43, 10
	;; [unrolled: 1-line block ×3, first 2 shown]
	s_mul_i32 s1, s1, s9
	s_mul_i32 s0, s0, s8
	s_mul_i32 s8, s12, s11
	s_add_i32 s1, s0, s1
	v_readlane_b32 s0, v43, 15
	s_sub_i32 s8, s24, s8
	s_xor_b32 s0, s23, s0
	s_add_i32 s9, s12, 1
	s_sub_i32 s10, s8, s11
	s_cmp_ge_u32 s8, s11
	s_cselect_b32 s9, s9, s12
	s_cselect_b32 s8, s10, s8
	s_add_i32 s10, s9, 1
	s_cmp_ge_u32 s8, s11
	s_cselect_b32 s8, s10, s9
	s_xor_b32 s8, s8, s0
	s_sub_i32 s0, s8, s0
	s_mul_i32 s8, s0, s22
	v_readlane_b32 s10, v43, 2
	s_sub_i32 s8, s19, s8
	v_readlane_b32 s11, v43, 3
	s_mul_i32 s8, s8, s11
	s_mul_i32 s0, s0, s10
	v_mov_b32_e32 v2, 0
	s_add_i32 s0, s0, s8
	s_ashr_i32 s9, s1, 31
	v_readlane_b32 s10, v43, 0
	ds_read_b32 v0, v2 offset:4108
	v_readlane_b32 s11, v43, 1
	s_add_u32 s8, s10, s1
	s_addc_u32 s9, s11, s9
	s_ashr_i32 s1, s0, 31
	s_lshl_b64 s[0:1], s[0:1], 3
	v_readlane_b32 s10, v43, 4
	v_readlane_b32 s11, v43, 5
	s_add_u32 s0, s10, s0
	s_addc_u32 s1, s11, s1
	s_waitcnt lgkmcnt(0)
	v_ashrrev_i32_e32 v1, 31, v0
	global_store_dwordx2 v2, v[0:1], s[0:1]
	global_store_byte v2, v28, s[8:9]
.LBB1_252:
	s_or_b64 exec, exec, s[6:7]
.LBB1_253:
	s_or_saveexec_b64 s[0:1], s[4:5]
	s_mov_b64 s[4:5], 0
	s_xor_b64 exec, exec, s[0:1]
	s_cbranch_execnz .LBB1_256
.LBB1_254:
	s_or_b64 exec, exec, s[0:1]
	s_and_b64 s[4:5], s[4:5], exec
	s_andn2_saveexec_b64 s[0:1], s[2:3]
	s_cbranch_execz .LBB1_232
.LBB1_255:
	s_or_b64 s[4:5], s[4:5], exec
	s_trap 2
	s_or_b64 exec, exec, s[0:1]
	s_and_saveexec_b64 s[0:1], s[4:5]
	s_cbranch_execnz .LBB1_233
	s_branch .LBB1_234
.LBB1_256:
	s_mov_b64 s[4:5], exec
	s_trap 2
	s_branch .LBB1_254
	.section	.rodata,"a",@progbits
	.p2align	6, 0x0
	.amdhsa_kernel _ZN2at6native12_GLOBAL__N_114gatherKthValueIhiLi2EEEvNS_4cuda6detail10TensorInfoIKT_T0_EES8_S8_S8_S8_NS5_IS6_S8_EENS5_IlS8_EE
		.amdhsa_group_segment_fixed_size 4112
		.amdhsa_private_segment_fixed_size 0
		.amdhsa_kernarg_size 920
		.amdhsa_user_sgpr_count 6
		.amdhsa_user_sgpr_private_segment_buffer 1
		.amdhsa_user_sgpr_dispatch_ptr 0
		.amdhsa_user_sgpr_queue_ptr 0
		.amdhsa_user_sgpr_kernarg_segment_ptr 1
		.amdhsa_user_sgpr_dispatch_id 0
		.amdhsa_user_sgpr_flat_scratch_init 0
		.amdhsa_user_sgpr_private_segment_size 0
		.amdhsa_uses_dynamic_stack 0
		.amdhsa_system_sgpr_private_segment_wavefront_offset 0
		.amdhsa_system_sgpr_workgroup_id_x 1
		.amdhsa_system_sgpr_workgroup_id_y 1
		.amdhsa_system_sgpr_workgroup_id_z 1
		.amdhsa_system_sgpr_workgroup_info 0
		.amdhsa_system_vgpr_workitem_id 0
		.amdhsa_next_free_vgpr 44
		.amdhsa_next_free_sgpr 96
		.amdhsa_reserve_vcc 1
		.amdhsa_reserve_flat_scratch 0
		.amdhsa_float_round_mode_32 0
		.amdhsa_float_round_mode_16_64 0
		.amdhsa_float_denorm_mode_32 3
		.amdhsa_float_denorm_mode_16_64 3
		.amdhsa_dx10_clamp 1
		.amdhsa_ieee_mode 1
		.amdhsa_fp16_overflow 0
		.amdhsa_exception_fp_ieee_invalid_op 0
		.amdhsa_exception_fp_denorm_src 0
		.amdhsa_exception_fp_ieee_div_zero 0
		.amdhsa_exception_fp_ieee_overflow 0
		.amdhsa_exception_fp_ieee_underflow 0
		.amdhsa_exception_fp_ieee_inexact 0
		.amdhsa_exception_int_div_zero 0
	.end_amdhsa_kernel
	.section	.text._ZN2at6native12_GLOBAL__N_114gatherKthValueIhiLi2EEEvNS_4cuda6detail10TensorInfoIKT_T0_EES8_S8_S8_S8_NS5_IS6_S8_EENS5_IlS8_EE,"axG",@progbits,_ZN2at6native12_GLOBAL__N_114gatherKthValueIhiLi2EEEvNS_4cuda6detail10TensorInfoIKT_T0_EES8_S8_S8_S8_NS5_IS6_S8_EENS5_IlS8_EE,comdat
.Lfunc_end1:
	.size	_ZN2at6native12_GLOBAL__N_114gatherKthValueIhiLi2EEEvNS_4cuda6detail10TensorInfoIKT_T0_EES8_S8_S8_S8_NS5_IS6_S8_EENS5_IlS8_EE, .Lfunc_end1-_ZN2at6native12_GLOBAL__N_114gatherKthValueIhiLi2EEEvNS_4cuda6detail10TensorInfoIKT_T0_EES8_S8_S8_S8_NS5_IS6_S8_EENS5_IlS8_EE
                                        ; -- End function
	.set _ZN2at6native12_GLOBAL__N_114gatherKthValueIhiLi2EEEvNS_4cuda6detail10TensorInfoIKT_T0_EES8_S8_S8_S8_NS5_IS6_S8_EENS5_IlS8_EE.num_vgpr, 44
	.set _ZN2at6native12_GLOBAL__N_114gatherKthValueIhiLi2EEEvNS_4cuda6detail10TensorInfoIKT_T0_EES8_S8_S8_S8_NS5_IS6_S8_EENS5_IlS8_EE.num_agpr, 0
	.set _ZN2at6native12_GLOBAL__N_114gatherKthValueIhiLi2EEEvNS_4cuda6detail10TensorInfoIKT_T0_EES8_S8_S8_S8_NS5_IS6_S8_EENS5_IlS8_EE.numbered_sgpr, 96
	.set _ZN2at6native12_GLOBAL__N_114gatherKthValueIhiLi2EEEvNS_4cuda6detail10TensorInfoIKT_T0_EES8_S8_S8_S8_NS5_IS6_S8_EENS5_IlS8_EE.num_named_barrier, 0
	.set _ZN2at6native12_GLOBAL__N_114gatherKthValueIhiLi2EEEvNS_4cuda6detail10TensorInfoIKT_T0_EES8_S8_S8_S8_NS5_IS6_S8_EENS5_IlS8_EE.private_seg_size, 0
	.set _ZN2at6native12_GLOBAL__N_114gatherKthValueIhiLi2EEEvNS_4cuda6detail10TensorInfoIKT_T0_EES8_S8_S8_S8_NS5_IS6_S8_EENS5_IlS8_EE.uses_vcc, 1
	.set _ZN2at6native12_GLOBAL__N_114gatherKthValueIhiLi2EEEvNS_4cuda6detail10TensorInfoIKT_T0_EES8_S8_S8_S8_NS5_IS6_S8_EENS5_IlS8_EE.uses_flat_scratch, 0
	.set _ZN2at6native12_GLOBAL__N_114gatherKthValueIhiLi2EEEvNS_4cuda6detail10TensorInfoIKT_T0_EES8_S8_S8_S8_NS5_IS6_S8_EENS5_IlS8_EE.has_dyn_sized_stack, 0
	.set _ZN2at6native12_GLOBAL__N_114gatherKthValueIhiLi2EEEvNS_4cuda6detail10TensorInfoIKT_T0_EES8_S8_S8_S8_NS5_IS6_S8_EENS5_IlS8_EE.has_recursion, 0
	.set _ZN2at6native12_GLOBAL__N_114gatherKthValueIhiLi2EEEvNS_4cuda6detail10TensorInfoIKT_T0_EES8_S8_S8_S8_NS5_IS6_S8_EENS5_IlS8_EE.has_indirect_call, 0
	.section	.AMDGPU.csdata,"",@progbits
; Kernel info:
; codeLenInByte = 9264
; TotalNumSgprs: 100
; NumVgprs: 44
; ScratchSize: 0
; MemoryBound: 0
; FloatMode: 240
; IeeeMode: 1
; LDSByteSize: 4112 bytes/workgroup (compile time only)
; SGPRBlocks: 12
; VGPRBlocks: 10
; NumSGPRsForWavesPerEU: 100
; NumVGPRsForWavesPerEU: 44
; Occupancy: 5
; WaveLimiterHint : 1
; COMPUTE_PGM_RSRC2:SCRATCH_EN: 0
; COMPUTE_PGM_RSRC2:USER_SGPR: 6
; COMPUTE_PGM_RSRC2:TRAP_HANDLER: 0
; COMPUTE_PGM_RSRC2:TGID_X_EN: 1
; COMPUTE_PGM_RSRC2:TGID_Y_EN: 1
; COMPUTE_PGM_RSRC2:TGID_Z_EN: 1
; COMPUTE_PGM_RSRC2:TIDIG_COMP_CNT: 0
	.section	.text._ZN2at6native12_GLOBAL__N_114gatherKthValueIhiLi3EEEvNS_4cuda6detail10TensorInfoIKT_T0_EES8_S8_S8_S8_NS5_IS6_S8_EENS5_IlS8_EE,"axG",@progbits,_ZN2at6native12_GLOBAL__N_114gatherKthValueIhiLi3EEEvNS_4cuda6detail10TensorInfoIKT_T0_EES8_S8_S8_S8_NS5_IS6_S8_EENS5_IlS8_EE,comdat
	.globl	_ZN2at6native12_GLOBAL__N_114gatherKthValueIhiLi3EEEvNS_4cuda6detail10TensorInfoIKT_T0_EES8_S8_S8_S8_NS5_IS6_S8_EENS5_IlS8_EE ; -- Begin function _ZN2at6native12_GLOBAL__N_114gatherKthValueIhiLi3EEEvNS_4cuda6detail10TensorInfoIKT_T0_EES8_S8_S8_S8_NS5_IS6_S8_EENS5_IlS8_EE
	.p2align	8
	.type	_ZN2at6native12_GLOBAL__N_114gatherKthValueIhiLi3EEEvNS_4cuda6detail10TensorInfoIKT_T0_EES8_S8_S8_S8_NS5_IS6_S8_EENS5_IlS8_EE,@function
_ZN2at6native12_GLOBAL__N_114gatherKthValueIhiLi3EEEvNS_4cuda6detail10TensorInfoIKT_T0_EES8_S8_S8_S8_NS5_IS6_S8_EENS5_IlS8_EE: ; @_ZN2at6native12_GLOBAL__N_114gatherKthValueIhiLi3EEEvNS_4cuda6detail10TensorInfoIKT_T0_EES8_S8_S8_S8_NS5_IS6_S8_EENS5_IlS8_EE
; %bb.0:
	s_load_dwordx2 s[14:15], s[4:5], 0x298
	s_load_dwordx4 s[68:71], s[4:5], 0xd8
	s_add_u32 s12, s4, 0x298
	s_addc_u32 s13, s5, 0
	s_waitcnt lgkmcnt(0)
	s_mul_i32 s0, s15, s8
	s_add_i32 s0, s0, s7
	s_mul_i32 s0, s0, s14
	s_add_i32 s24, s0, s6
	s_cmp_ge_i32 s24, s70
	s_cbranch_scc1 .LBB2_234
; %bb.1:
	s_load_dwordx2 s[2:3], s[4:5], 0xc
	s_load_dwordx2 s[26:27], s[4:5], 0xf4
	s_ashr_i32 s1, s24, 31
	s_abs_i32 s8, s24
	s_load_dwordx4 s[28:31], s[4:5], 0x154
	s_waitcnt lgkmcnt(0)
	s_abs_i32 s0, s3
	v_cvt_f32_u32_e32 v1, s0
	s_ashr_i32 s7, s3, 31
	s_xor_b32 s9, s1, s7
	s_sub_i32 s7, 0, s0
	v_rcp_iflag_f32_e32 v1, v1
                                        ; implicit-def: $vgpr43 : SGPR spill to VGPR lane
                                        ; kill: killed $sgpr4 killed $sgpr5
	s_mov_b32 s90, 0
	v_writelane_b32 v43, s28, 0
	v_writelane_b32 v43, s29, 1
	v_mul_f32_e32 v1, 0x4f7ffffe, v1
	v_cvt_u32_f32_e32 v1, v1
	v_writelane_b32 v43, s30, 2
	v_writelane_b32 v43, s31, 3
	v_readfirstlane_b32 s10, v1
	s_mul_i32 s7, s7, s10
	s_mul_hi_u32 s7, s10, s7
	s_add_i32 s10, s10, s7
	s_mul_hi_u32 s7, s8, s10
	s_mul_i32 s10, s7, s0
	s_sub_i32 s10, s8, s10
	s_add_i32 s11, s7, 1
	s_sub_i32 s15, s10, s0
	s_cmp_ge_u32 s10, s0
	s_cselect_b32 s7, s11, s7
	s_cselect_b32 s10, s15, s10
	s_add_i32 s11, s7, 1
	s_cmp_ge_u32 s10, s0
	s_cselect_b32 s0, s11, s7
	s_abs_i32 s7, s2
	v_cvt_f32_u32_e32 v1, s7
	s_abs_i32 s11, s27
	v_cvt_f32_u32_e32 v2, s11
	s_xor_b32 s0, s0, s9
	v_rcp_iflag_f32_e32 v1, v1
	s_sub_i32 s16, 0, s7
	v_rcp_iflag_f32_e32 v2, v2
	s_sub_i32 s18, s0, s9
	v_mul_f32_e32 v1, 0x4f7ffffe, v1
	v_cvt_u32_f32_e32 v1, v1
	v_mul_f32_e32 v2, 0x4f7ffffe, v2
	v_cvt_u32_f32_e32 v2, v2
	s_ashr_i32 s10, s27, 31
	v_readfirstlane_b32 s0, v1
	s_mul_i32 s16, s16, s0
	s_mul_hi_u32 s9, s0, s16
	s_add_i32 s0, s0, s9
	s_sub_i32 s9, 0, s11
	v_readfirstlane_b32 s16, v2
	s_mul_i32 s9, s9, s16
	s_mul_hi_u32 s9, s16, s9
	s_add_i32 s16, s16, s9
	s_mul_hi_u32 s9, s8, s16
	s_mul_i32 s16, s9, s11
	s_sub_i32 s16, s8, s16
	s_ashr_i32 s15, s2, 31
	s_xor_b32 s10, s1, s10
	s_ashr_i32 s19, s18, 31
	s_abs_i32 s20, s18
	s_add_i32 s17, s9, 1
	s_sub_i32 s21, s16, s11
	s_cmp_ge_u32 s16, s11
	s_cselect_b32 s9, s17, s9
	s_cselect_b32 s16, s21, s16
	s_add_i32 s17, s9, 1
	s_cmp_ge_u32 s16, s11
	s_cselect_b32 s9, s17, s9
	s_load_dwordx2 s[16:17], s[4:5], 0x0
	s_load_dwordx4 s[28:31], s[4:5], 0x22c
	s_abs_i32 s11, s26
	v_cvt_f32_u32_e32 v1, s11
	s_xor_b32 s9, s9, s10
	s_sub_i32 s25, s9, s10
	s_waitcnt lgkmcnt(0)
	v_writelane_b32 v43, s28, 4
	v_writelane_b32 v43, s29, 5
	;; [unrolled: 1-line block ×4, first 2 shown]
	v_rcp_iflag_f32_e32 v1, v1
	s_load_dwordx2 s[28:29], s[4:5], 0x1cc
	s_load_dwordx2 s[22:23], s[4:5], 0x1c0
	s_sub_i32 s10, 0, s11
	v_mul_f32_e32 v1, 0x4f7ffffe, v1
	s_waitcnt lgkmcnt(0)
	s_abs_i32 s9, s29
	v_cvt_u32_f32_e32 v1, v1
	v_cvt_f32_u32_e32 v2, s9
	v_writelane_b32 v43, s22, 8
	v_writelane_b32 v43, s23, 9
	;; [unrolled: 1-line block ×3, first 2 shown]
	v_readfirstlane_b32 s11, v1
	v_rcp_iflag_f32_e32 v1, v2
	s_mul_i32 s10, s10, s11
	s_mul_hi_u32 s10, s11, s10
	s_add_i32 s21, s11, s10
	v_mul_f32_e32 v1, 0x4f7ffffe, v1
	v_cvt_u32_f32_e32 v1, v1
	s_ashr_i32 s10, s29, 31
	s_xor_b32 s1, s1, s10
	s_sub_i32 s10, 0, s9
	v_readfirstlane_b32 s11, v1
	s_mul_i32 s10, s10, s11
	s_mul_hi_u32 s10, s11, s10
	s_add_i32 s11, s11, s10
	s_mul_hi_u32 s10, s8, s11
	s_mul_i32 s11, s10, s9
	s_sub_i32 s8, s8, s11
	s_abs_i32 s23, s25
	s_add_i32 s11, s10, 1
	s_sub_i32 s22, s8, s9
	s_cmp_ge_u32 s8, s9
	s_cselect_b32 s10, s11, s10
	s_cselect_b32 s8, s22, s8
	s_add_i32 s11, s10, 1
	s_cmp_ge_u32 s8, s9
	s_cselect_b32 s22, s11, s10
	s_abs_i32 s30, s28
	v_cvt_f32_u32_e32 v1, s30
	s_load_dwordx2 s[8:9], s[4:5], 0xe8
	v_rcp_iflag_f32_e32 v1, v1
	s_waitcnt lgkmcnt(0)
	v_writelane_b32 v43, s8, 11
	v_writelane_b32 v43, s9, 12
	v_mul_f32_e32 v1, 0x4f7ffffe, v1
	v_cvt_u32_f32_e32 v1, v1
	s_load_dwordx4 s[8:11], s[4:5], 0x6c
	s_waitcnt lgkmcnt(0)
	s_mul_hi_u32 s11, s20, s0
	v_writelane_b32 v43, s23, 13
	s_mul_hi_u32 s0, s23, s21
	v_writelane_b32 v43, s0, 14
	s_xor_b32 s0, s22, s1
	s_sub_i32 s21, s0, s1
	s_sub_i32 s0, 0, s30
	v_readfirstlane_b32 s1, v1
	s_mul_i32 s0, s0, s1
	s_mul_hi_u32 s0, s1, s0
	s_abs_i32 s4, s21
	v_writelane_b32 v43, s30, 15
	s_add_i32 s1, s1, s0
	v_writelane_b32 v43, s4, 16
	s_mul_hi_u32 s0, s4, s1
	v_writelane_b32 v43, s0, 17
	v_cmp_eq_u32_e64 s[0:1], 0, v0
	s_and_saveexec_b64 s[4:5], s[0:1]
; %bb.2:
	v_mov_b32_e32 v1, 0
	v_mov_b32_e32 v2, s68
	;; [unrolled: 1-line block ×3, first 2 shown]
	ds_write_b96 v1, v[1:3] offset:4096
; %bb.3:
	s_or_b64 exec, exec, s[4:5]
	v_writelane_b32 v43, s25, 18
	s_ashr_i32 s4, s25, 31
	v_writelane_b32 v43, s4, 19
	v_writelane_b32 v43, s26, 20
	;; [unrolled: 1-line block ×3, first 2 shown]
	s_ashr_i32 s4, s26, 31
	v_writelane_b32 v43, s4, 22
	v_writelane_b32 v43, s21, 23
	s_ashr_i32 s4, s21, 31
	v_writelane_b32 v43, s4, 24
	v_writelane_b32 v43, s28, 25
	s_mul_i32 s3, s18, s3
	s_mul_i32 s5, s11, s7
	v_writelane_b32 v43, s29, 26
	s_ashr_i32 s4, s28, 31
	s_sub_i32 s3, s24, s3
	s_sub_i32 s5, s20, s5
	v_writelane_b32 v43, s4, 27
	s_mul_i32 s3, s3, s10
	s_xor_b32 s4, s19, s15
	s_add_i32 s10, s11, 1
	s_sub_i32 s15, s5, s7
	s_cmp_ge_u32 s5, s7
	s_cselect_b32 s10, s10, s11
	s_cselect_b32 s5, s15, s5
	s_add_i32 s11, s10, 1
	s_cmp_ge_u32 s5, s7
	s_cselect_b32 s5, s11, s10
	s_xor_b32 s5, s5, s4
	s_sub_i32 s4, s5, s4
	s_mul_i32 s2, s4, s2
	s_sub_i32 s2, s18, s2
	s_mul_i32 s2, s2, s9
	s_add_i32 s2, s2, s3
	s_mul_i32 s4, s4, s8
	s_waitcnt lgkmcnt(0)
	s_barrier
	s_load_dword s3, s[12:13], 0xc
	s_add_i32 s2, s2, s4
	v_mul_lo_u32 v9, s71, v0
	s_ashr_i32 s4, s2, 31
	v_mbcnt_lo_u32_b32 v1, -1, 0
	s_add_u32 s80, s16, s2
	v_mbcnt_hi_u32_b32 v11, -1, v1
	s_addc_u32 s81, s17, s4
	v_cmp_gt_u32_e32 vcc, 64, v0
	v_cmp_gt_i32_e64 s[4:5], 4, v11
	s_and_b64 s[82:83], vcc, s[4:5]
	v_mov_b32_e32 v1, s81
	v_add_co_u32_e32 v5, vcc, s80, v9
	s_waitcnt lgkmcnt(0)
	s_and_b32 s70, s3, 0xffff
	v_addc_co_u32_e32 v6, vcc, 0, v1, vcc
	v_lshlrev_b64 v[1:2], v11, -1
	s_add_i32 s8, s70, -1
	v_writelane_b32 v43, s24, 28
	s_lshl_b32 s33, s70, 2
	s_bfe_u32 s7, s3, 0xa0006
	s_add_i32 s93, s8, s68
	v_not_b32_e32 v15, v1
	v_lshrrev_b32_e32 v1, 2, v0
	v_writelane_b32 v43, s8, 29
	s_cmpk_gt_i32 s68, 0xc00
	v_cmp_gt_u32_e64 s[8:9], s68, v0
	v_and_b32_e32 v1, 0xf0, v1
	s_cselect_b64 s[84:85], -1, 0
	v_writelane_b32 v43, s8, 30
	s_cmp_gt_u32 s70, 63
	v_or_b32_e32 v16, 0xc00, v1
	v_cvt_f32_u32_e32 v1, s33
	v_writelane_b32 v43, s9, 31
	v_cmp_gt_i32_e64 s[8:9], s68, v0
	s_cselect_b64 s[86:87], -1, 0
	s_cmp_lt_u32 s6, s14
	v_writelane_b32 v43, s8, 32
	s_cselect_b32 s6, 12, 18
	v_writelane_b32 v43, s9, 33
	s_add_u32 s8, s12, s6
	s_addc_u32 s9, s13, 0
	v_rcp_iflag_f32_e32 v1, v1
	v_writelane_b32 v43, s8, 34
	s_add_i32 s6, s7, -1
	v_writelane_b32 v43, s9, 35
	s_bfe_u32 s8, s70, 0x30006
	s_and_b32 s6, s6, 0xffff
	s_cmp_gt_u32 s6, 6
	s_cselect_b64 s[10:11], -1, 0
	v_mul_f32_e32 v1, 0x4f7ffffe, v1
	v_writelane_b32 v43, s10, 36
	s_and_b32 s91, s7, 0x3f8
	v_cvt_u32_f32_e32 v1, v1
	v_writelane_b32 v43, s11, 37
	s_cmp_lg_u32 s8, 0
	v_writelane_b32 v43, s8, 38
	s_cselect_b64 s[6:7], -1, 0
	v_writelane_b32 v43, s6, 39
	v_writelane_b32 v43, s7, 40
	s_sub_i32 s6, 0, s33
	v_readfirstlane_b32 s7, v1
	s_mul_i32 s6, s6, s7
	s_mul_hi_u32 s6, s7, s6
	s_add_i32 s8, s7, s6
	s_mul_hi_u32 s6, s68, s8
	s_mul_i32 s6, s6, s33
	s_sub_i32 s6, s68, s6
	s_sub_i32 s7, s6, s33
	s_cmp_ge_u32 s6, s33
	s_cselect_b32 s6, s7, s6
	s_sub_i32 s7, s6, s33
	v_not_b32_e32 v14, v2
	s_cmp_ge_u32 s6, s33
	v_cvt_f32_u32_e32 v2, s70
	s_cselect_b32 s6, s7, s6
	s_sub_i32 s9, s68, s6
	v_add_u32_e32 v17, s9, v0
	v_mul_lo_u32 v1, v17, s71
	v_rcp_iflag_f32_e32 v2, v2
	s_sub_i32 s17, 0, s70
	s_abs_i32 s16, s93
	v_ashrrev_i32_e32 v4, 31, v1
	v_add_co_u32_e32 v7, vcc, s80, v1
	v_mul_f32_e32 v1, 0x4f7ffffe, v2
	v_cvt_u32_f32_e32 v1, v1
	s_ashr_i32 s7, s93, 31
	v_lshlrev_b32_e32 v10, 2, v0
	v_lshlrev_b32_e32 v3, 2, v11
	v_readfirstlane_b32 s18, v1
	s_mul_i32 s17, s17, s18
	s_mul_hi_u32 s17, s18, s17
	s_add_i32 s17, s18, s17
	v_writelane_b32 v43, s17, 41
	s_mul_hi_u32 s17, s16, s17
	s_mul_i32 s17, s17, s70
	s_sub_i32 s16, s16, s17
	s_sub_i32 s17, s16, s70
	s_cmp_ge_u32 s16, s70
	s_cselect_b32 s16, s17, s16
	s_sub_i32 s17, s16, s70
	v_mul_lo_u32 v1, s71, v10
	s_cmp_ge_u32 s16, s70
	s_cselect_b32 s16, s17, s16
	s_xor_b32 s16, s16, s7
	s_sub_i32 s7, s7, s16
	v_add_u32_e32 v18, s71, v1
	v_or_b32_e32 v1, 2, v10
	s_add_i32 s93, s93, s7
	v_mul_lo_u32 v20, s71, v1
	v_or_b32_e32 v1, 3, v10
	s_add_i32 s7, s70, s68
	v_mul_lo_u32 v21, s71, v1
	v_add_u32_e32 v1, s7, v0
	v_subrev_u32_e32 v1, s6, v1
	v_mul_lo_u32 v23, s71, v1
	v_mov_b32_e32 v8, s81
	v_cmp_gt_i32_e64 s[16:17], s93, v0
	s_mul_i32 s18, s71, s70
	v_cmp_eq_u32_e64 s[2:3], 0, v11
	v_cmp_gt_u32_e64 s[4:5], 2, v0
	v_mov_b32_e32 v12, 0
	v_and_b32_e32 v13, 0x100, v3
	v_cmp_gt_i32_e64 s[10:11], s9, v10
	v_cmp_gt_u32_e64 s[12:13], s68, v17
	v_addc_co_u32_e32 v8, vcc, v8, v4, vcc
	v_cmp_gt_i32_e64 s[14:15], s68, v17
	v_writelane_b32 v43, s16, 42
	s_lshl_b32 s88, s18, 2
	v_lshlrev_b32_e32 v22, 2, v9
	v_or_b32_e32 v24, 0xc00, v3
	s_mov_b64 s[94:95], 0
	v_mov_b32_e32 v26, 6
	v_mov_b32_e32 v29, s69
	;; [unrolled: 1-line block ×6, first 2 shown]
	v_writelane_b32 v43, s17, 43
                                        ; implicit-def: $sgpr74_sgpr75
                                        ; implicit-def: $sgpr60_sgpr61
                                        ; implicit-def: $sgpr78_sgpr79
                                        ; implicit-def: $sgpr64_sgpr65
                                        ; implicit-def: $sgpr66_sgpr67
                                        ; implicit-def: $sgpr62_sgpr63
	s_branch .LBB2_7
.LBB2_4:                                ;   in Loop: Header=BB2_7 Depth=1
	s_or_b64 exec, exec, s[30:31]
	s_and_b64 s[30:31], s[28:29], exec
	s_andn2_b64 s[26:27], s[26:27], exec
	s_andn2_b64 s[24:25], s[24:25], exec
	s_orn2_b64 s[20:21], s[20:21], exec
.LBB2_5:                                ;   in Loop: Header=BB2_7 Depth=1
	s_or_b64 exec, exec, s[22:23]
	s_andn2_b64 s[22:23], s[62:63], exec
	s_and_b64 s[28:29], s[30:31], exec
	s_or_b64 s[62:63], s[22:23], s[28:29]
	s_andn2_b64 s[22:23], s[66:67], exec
	s_and_b64 s[26:27], s[26:27], exec
	s_or_b64 s[66:67], s[22:23], s[26:27]
	;; [unrolled: 3-line block ×3, first 2 shown]
	s_orn2_b64 s[20:21], s[20:21], exec
.LBB2_6:                                ;   in Loop: Header=BB2_7 Depth=1
	s_or_b64 exec, exec, s[6:7]
	s_and_b64 s[6:7], exec, s[20:21]
	s_or_b64 s[94:95], s[6:7], s[94:95]
	s_andn2_b64 s[6:7], s[78:79], exec
	s_and_b64 s[20:21], s[62:63], exec
	s_or_b64 s[78:79], s[6:7], s[20:21]
	s_andn2_b64 s[6:7], s[60:61], exec
	s_and_b64 s[20:21], s[66:67], exec
	s_or_b64 s[60:61], s[6:7], s[20:21]
	s_andn2_b64 s[6:7], s[74:75], exec
	s_and_b64 s[20:21], s[64:65], exec
	s_or_b64 s[74:75], s[6:7], s[20:21]
	s_mov_b32 s90, s16
	v_mov_b32_e32 v29, v4
	s_andn2_b64 exec, exec, s[94:95]
	s_cbranch_execz .LBB2_230
.LBB2_7:                                ; =>This Loop Header: Depth=1
                                        ;     Child Loop BB2_12 Depth 2
                                        ;     Child Loop BB2_27 Depth 2
	;; [unrolled: 1-line block ×16, first 2 shown]
	ds_read_b64 v[1:2], v12 offset:4096
	s_waitcnt lgkmcnt(0)
	v_readfirstlane_b32 s69, v1
	s_cmp_gt_i32 s69, 0
	s_cbranch_scc1 .LBB2_34
; %bb.8:                                ;   in Loop: Header=BB2_7 Depth=1
	s_and_b64 vcc, exec, s[84:85]
	s_cbranch_vccz .LBB2_20
; %bb.9:                                ;   in Loop: Header=BB2_7 Depth=1
	s_movk_i32 s16, 0xc01
	v_cmp_gt_i32_e32 vcc, s16, v2
	s_mov_b64 s[6:7], 0
	s_mov_b64 s[20:21], 0
	s_cbranch_vccz .LBB2_21
; %bb.10:                               ;   in Loop: Header=BB2_7 Depth=1
	v_readlane_b32 s16, v43, 34
	v_readlane_b32 s17, v43, 35
	s_nop 4
	global_load_ushort v1, v12, s[16:17]
	global_load_ubyte v4, v[5:6], off
	v_mov_b32_e32 v30, v0
	s_waitcnt vmcnt(1)
	v_add_u32_e32 v2, v0, v1
	v_mul_lo_u32 v2, s71, v2
	v_mul_lo_u32 v3, s71, v1
	s_branch .LBB2_12
.LBB2_11:                               ;   in Loop: Header=BB2_12 Depth=2
	s_or_b64 exec, exec, s[24:25]
	v_cmp_le_i32_e32 vcc, s68, v30
	v_add_u32_e32 v2, v2, v3
	s_or_b64 s[20:21], vcc, s[20:21]
	v_mov_b32_e32 v4, v31
	s_andn2_b64 exec, exec, s[20:21]
	s_cbranch_execz .LBB2_66
.LBB2_12:                               ;   Parent Loop BB2_7 Depth=1
                                        ; =>  This Inner Loop Header: Depth=2
	v_add_u32_e32 v30, v30, v1
	v_cmp_gt_u32_e32 vcc, s68, v30
	s_waitcnt lgkmcnt(0)
	v_mov_b32_e32 v32, 0
	v_mov_b32_e32 v31, 0
	s_and_saveexec_b64 s[22:23], vcc
	s_cbranch_execz .LBB2_14
; %bb.13:                               ;   in Loop: Header=BB2_12 Depth=2
	global_load_ubyte v31, v2, s[80:81]
.LBB2_14:                               ;   in Loop: Header=BB2_12 Depth=2
	s_or_b64 exec, exec, s[22:23]
	s_waitcnt vmcnt(0)
	v_and_b32_e32 v33, v4, v27
	v_cmp_eq_u32_sdwa s[22:23], v33, v19 src0_sel:BYTE_0 src1_sel:DWORD
	s_cmp_lg_u64 s[22:23], 0
	s_cselect_b64 s[16:17], -1, 0
	s_and_b64 s[16:17], s[2:3], s[16:17]
	s_and_saveexec_b64 s[24:25], s[16:17]
	s_cbranch_execz .LBB2_18
; %bb.15:                               ;   in Loop: Header=BB2_12 Depth=2
	s_mov_b64 s[28:29], exec
	v_mbcnt_lo_u32_b32 v32, s28, 0
	v_mbcnt_hi_u32_b32 v32, s29, v32
	s_bcnt1_i32_b64 s16, s[22:23]
	v_cmp_eq_u32_e32 vcc, 0, v32
                                        ; implicit-def: $vgpr33
	s_and_saveexec_b64 s[26:27], vcc
; %bb.16:                               ;   in Loop: Header=BB2_12 Depth=2
	s_bcnt1_i32_b64 s17, s[28:29]
	s_mul_i32 s17, s16, s17
	v_mov_b32_e32 v33, s17
	ds_add_rtn_u32 v33, v12, v33 offset:4104
; %bb.17:                               ;   in Loop: Header=BB2_12 Depth=2
	s_or_b64 exec, exec, s[26:27]
	s_waitcnt lgkmcnt(0)
	v_readfirstlane_b32 s17, v33
	v_mov_b32_e32 v33, s17
	v_mad_u32_u24 v32, s16, v32, v33
.LBB2_18:                               ;   in Loop: Header=BB2_12 Depth=2
	s_or_b64 exec, exec, s[24:25]
	ds_bpermute_b32 v32, v13, v32
	s_and_saveexec_b64 s[24:25], s[22:23]
	s_cbranch_execz .LBB2_11
; %bb.19:                               ;   in Loop: Header=BB2_12 Depth=2
	v_and_b32_e32 v34, s22, v15
	v_and_b32_e32 v33, s23, v14
	v_bcnt_u32_b32 v34, v34, 0
	v_bcnt_u32_b32 v33, v33, v34
	s_waitcnt lgkmcnt(0)
	v_add_u32_e32 v32, v32, v33
	ds_write_b8 v32, v4
	s_branch .LBB2_11
.LBB2_20:                               ;   in Loop: Header=BB2_7 Depth=1
	s_mov_b64 s[6:7], -1
	s_mov_b64 s[20:21], 0
.LBB2_21:                               ;   in Loop: Header=BB2_7 Depth=1
	s_and_b64 vcc, exec, s[6:7]
	s_cbranch_vccz .LBB2_32
.LBB2_22:                               ;   in Loop: Header=BB2_7 Depth=1
	v_mov_b32_e32 v1, 0
	s_mov_b64 s[6:7], exec
	v_readlane_b32 s16, v43, 30
	v_readlane_b32 s17, v43, 31
	s_and_b64 s[16:17], s[6:7], s[16:17]
	s_mov_b64 exec, s[16:17]
	s_cbranch_execz .LBB2_24
; %bb.23:                               ;   in Loop: Header=BB2_7 Depth=1
	global_load_ubyte v1, v[5:6], off
.LBB2_24:                               ;   in Loop: Header=BB2_7 Depth=1
	s_or_b64 exec, exec, s[6:7]
	s_mov_b64 s[6:7], exec
	v_readlane_b32 s16, v43, 32
	v_readlane_b32 s17, v43, 33
	s_and_b64 s[16:17], s[6:7], s[16:17]
	s_mov_b64 exec, s[16:17]
	s_cbranch_execz .LBB2_29
; %bb.25:                               ;   in Loop: Header=BB2_7 Depth=1
	v_readlane_b32 s16, v43, 34
	v_readlane_b32 s17, v43, 35
	s_mov_b64 s[20:21], 0
	v_mov_b32_e32 v30, v0
	s_nop 2
	global_load_ushort v2, v12, s[16:17]
	s_waitcnt vmcnt(0)
	v_add_u32_e32 v3, v0, v2
	v_mul_lo_u32 v3, s71, v3
	v_mul_lo_u32 v4, s71, v2
	s_branch .LBB2_27
.LBB2_26:                               ;   in Loop: Header=BB2_27 Depth=2
	s_or_b64 exec, exec, s[22:23]
	v_cmp_le_i32_e32 vcc, s68, v31
	ds_write_b8 v30, v1
	v_add_u32_e32 v3, v3, v4
	s_or_b64 s[20:21], vcc, s[20:21]
	s_waitcnt vmcnt(0)
	v_mov_b32_e32 v1, v32
	v_mov_b32_e32 v30, v31
	s_andn2_b64 exec, exec, s[20:21]
	s_cbranch_execz .LBB2_29
.LBB2_27:                               ;   Parent Loop BB2_7 Depth=1
                                        ; =>  This Inner Loop Header: Depth=2
	v_add_u32_e32 v31, v30, v2
	v_cmp_gt_u32_e32 vcc, s68, v31
	v_mov_b32_e32 v32, 0
	s_and_saveexec_b64 s[22:23], vcc
	s_cbranch_execz .LBB2_26
; %bb.28:                               ;   in Loop: Header=BB2_27 Depth=2
	global_load_ubyte v32, v3, s[80:81]
	s_branch .LBB2_26
.LBB2_29:                               ;   in Loop: Header=BB2_7 Depth=1
	s_or_b64 exec, exec, s[6:7]
	s_waitcnt vmcnt(0) lgkmcnt(0)
	s_barrier
	s_and_saveexec_b64 s[6:7], s[0:1]
; %bb.30:                               ;   in Loop: Header=BB2_7 Depth=1
	v_mov_b32_e32 v1, s68
	ds_write_b32 v12, v1 offset:4096
; %bb.31:                               ;   in Loop: Header=BB2_7 Depth=1
	s_or_b64 exec, exec, s[6:7]
	s_mov_b64 s[20:21], -1
	s_waitcnt lgkmcnt(0)
	s_barrier
.LBB2_32:                               ;   in Loop: Header=BB2_7 Depth=1
	s_and_b64 vcc, exec, s[20:21]
	s_cbranch_vccz .LBB2_34
; %bb.33:                               ;   in Loop: Header=BB2_7 Depth=1
	ds_read_b32 v1, v12 offset:4096
	s_waitcnt lgkmcnt(0)
	v_readfirstlane_b32 s69, v1
.LBB2_34:                               ;   in Loop: Header=BB2_7 Depth=1
	s_cmp_lt_i32 s69, 1
	s_mov_b64 s[6:7], -1
                                        ; implicit-def: $vgpr4
	s_cbranch_scc1 .LBB2_44
; %bb.35:                               ;   in Loop: Header=BB2_7 Depth=1
	s_and_b64 vcc, exec, s[6:7]
	s_cbranch_vccnz .LBB2_57
.LBB2_36:                               ;   in Loop: Header=BB2_7 Depth=1
	s_lshl_b32 s16, s90, 6
	s_and_saveexec_b64 s[6:7], s[2:3]
.LBB2_37:                               ;   in Loop: Header=BB2_7 Depth=1
	v_lshl_add_u32 v30, s16, 2, v16
	ds_write_b128 v30, v[1:4]
.LBB2_38:                               ;   in Loop: Header=BB2_7 Depth=1
	s_or_b64 exec, exec, s[6:7]
	s_waitcnt vmcnt(0) lgkmcnt(0)
	s_barrier
	s_and_saveexec_b64 s[6:7], s[82:83]
	s_cbranch_execz .LBB2_74
; %bb.39:                               ;   in Loop: Header=BB2_7 Depth=1
	s_andn2_b64 vcc, exec, s[86:87]
	v_mov_b32_e32 v1, 0
	s_cbranch_vccnz .LBB2_73
; %bb.40:                               ;   in Loop: Header=BB2_7 Depth=1
	v_readlane_b32 s20, v43, 36
	v_readlane_b32 s21, v43, 37
	s_andn2_b64 vcc, exec, s[20:21]
	s_cbranch_vccnz .LBB2_69
; %bb.41:                               ;   in Loop: Header=BB2_7 Depth=1
	v_lshl_add_u32 v2, s90, 8, v24
	s_mov_b32 s17, 0
	v_mov_b32_e32 v1, 0
.LBB2_42:                               ;   Parent Loop BB2_7 Depth=1
                                        ; =>  This Inner Loop Header: Depth=2
	ds_read2_b32 v[3:4], v2 offset1:4
	ds_read2_b32 v[30:31], v2 offset0:8 offset1:12
	ds_read2_b32 v[32:33], v2 offset0:16 offset1:20
	;; [unrolled: 1-line block ×3, first 2 shown]
	s_add_i32 s17, s17, 8
	s_waitcnt lgkmcnt(3)
	v_add3_u32 v1, v3, v1, v4
	s_waitcnt lgkmcnt(2)
	v_add3_u32 v1, v30, v1, v31
	;; [unrolled: 2-line block ×3, first 2 shown]
	v_add_u32_e32 v2, 0x80, v2
	s_cmp_eq_u32 s91, s17
	s_waitcnt lgkmcnt(0)
	v_add3_u32 v1, v34, v1, v35
	s_cbranch_scc0 .LBB2_42
; %bb.43:                               ;   in Loop: Header=BB2_7 Depth=1
	s_mov_b32 s17, s91
	s_branch .LBB2_70
.LBB2_44:                               ;   in Loop: Header=BB2_7 Depth=1
	v_mov_b32_e32 v1, 0
	v_mov_b32_e32 v2, 0
	;; [unrolled: 1-line block ×4, first 2 shown]
	s_and_saveexec_b64 s[72:73], s[10:11]
	s_cbranch_execnz .LBB2_47
; %bb.45:                               ;   in Loop: Header=BB2_7 Depth=1
	s_or_b64 exec, exec, s[72:73]
	v_mov_b32_e32 v32, 0
	s_and_saveexec_b64 s[6:7], s[12:13]
	s_cbranch_execnz .LBB2_50
.LBB2_46:                               ;   in Loop: Header=BB2_7 Depth=1
	s_or_b64 exec, exec, s[6:7]
	s_and_saveexec_b64 s[20:21], s[14:15]
	s_cbranch_execnz .LBB2_51
	s_branch .LBB2_56
.LBB2_47:                               ;   in Loop: Header=BB2_7 Depth=1
	s_mov_b32 s89, 0
	s_mov_b64 s[76:77], 0
	s_mov_b32 s16, 0
	s_mov_b32 s17, 0
	;; [unrolled: 1-line block ×4, first 2 shown]
	v_mov_b32_e32 v30, v10
.LBB2_48:                               ;   Parent Loop BB2_7 Depth=1
                                        ; =>  This Inner Loop Header: Depth=2
	v_add_u32_e32 v2, s89, v22
	v_add_u32_e32 v3, s89, v18
	v_mov_b32_e32 v1, s81
	v_add_u32_e32 v4, s89, v20
	v_add_u32_e32 v32, s89, v21
	v_ashrrev_i32_e32 v34, 31, v2
	v_ashrrev_i32_e32 v37, 31, v3
	v_add_co_u32_e64 v3, s[6:7], s80, v3
	v_add_co_u32_e64 v35, s[24:25], s80, v2
	v_ashrrev_i32_e32 v38, 31, v4
	v_add_co_u32_e64 v31, s[20:21], s80, v4
	v_ashrrev_i32_e32 v39, 31, v32
	v_add_co_u32_e64 v33, s[22:23], s80, v32
	v_addc_co_u32_e64 v36, s[24:25], v1, v34, s[24:25]
	v_addc_co_u32_e64 v4, s[6:7], v1, v37, s[6:7]
	;; [unrolled: 1-line block ×4, first 2 shown]
	global_load_ubyte v1, v[35:36], off
	global_load_ubyte v2, v[3:4], off
	s_nop 0
	global_load_ubyte v3, v[31:32], off
	global_load_ubyte v4, v[33:34], off
	v_add_u32_e32 v30, s33, v30
	s_add_i32 s89, s89, s88
	v_cmp_le_i32_e32 vcc, s9, v30
	s_waitcnt vmcnt(3)
	v_and_b32_e32 v31, v27, v1
	v_bfe_u32 v1, v1, v26, 2
	s_waitcnt vmcnt(2)
	v_and_b32_e32 v32, v27, v2
	v_bfe_u32 v2, v2, v26, 2
	v_cmp_eq_u32_e64 s[6:7], v31, v19
	v_cmp_eq_u32_e64 s[26:27], 0, v1
	s_waitcnt vmcnt(1)
	v_and_b32_e32 v33, v27, v3
	v_bfe_u32 v3, v3, v26, 2
	v_cmp_eq_u32_e64 s[20:21], v32, v19
	v_cmp_eq_u32_e64 s[28:29], 0, v2
	s_and_b64 s[26:27], s[6:7], s[26:27]
	s_waitcnt vmcnt(0)
	v_and_b32_e32 v34, v27, v4
	v_bfe_u32 v4, v4, v26, 2
	v_cmp_eq_u32_e64 s[22:23], v33, v19
	v_cmp_eq_u32_e64 s[30:31], 0, v3
	;; [unrolled: 1-line block ×5, first 2 shown]
	v_cndmask_b32_e64 v1, 0, 1, s[26:27]
	s_and_b64 s[26:27], s[20:21], s[28:29]
	v_cmp_eq_u32_e64 s[24:25], v34, v19
	v_cmp_eq_u32_e64 s[34:35], 0, v4
	v_cmp_eq_u32_e64 s[38:39], 1, v2
	v_cmp_eq_u32_e64 s[46:47], 2, v2
	v_cmp_eq_u32_e64 s[54:55], 3, v2
	v_cndmask_b32_e64 v2, 0, 1, s[26:27]
	s_and_b64 s[26:27], s[22:23], s[30:31]
	v_cmp_eq_u32_e64 s[40:41], 1, v3
	v_cmp_eq_u32_e64 s[48:49], 2, v3
	;; [unrolled: 1-line block ×3, first 2 shown]
	v_cndmask_b32_e64 v3, 0, 1, s[26:27]
	s_and_b64 s[26:27], s[24:25], s[34:35]
	v_cmp_eq_u32_e64 s[42:43], 1, v4
	v_cmp_eq_u32_e64 s[50:51], 2, v4
	;; [unrolled: 1-line block ×3, first 2 shown]
	v_cndmask_b32_e64 v4, 0, 1, s[26:27]
	s_and_b64 s[26:27], s[6:7], s[36:37]
	v_cndmask_b32_e64 v31, 0, 1, s[26:27]
	s_and_b64 s[26:27], s[20:21], s[38:39]
	;; [unrolled: 2-line block ×5, first 2 shown]
	s_and_b64 s[6:7], s[6:7], s[52:53]
	v_cndmask_b32_e64 v35, 0, 1, s[26:27]
	s_and_b64 s[26:27], s[20:21], s[46:47]
	v_cndmask_b32_e64 v39, 0, 1, s[6:7]
	s_and_b64 s[6:7], s[20:21], s[54:55]
	v_cndmask_b32_e64 v36, 0, 1, s[26:27]
	s_and_b64 s[26:27], s[22:23], s[48:49]
	v_cndmask_b32_e64 v40, 0, 1, s[6:7]
	s_and_b64 s[6:7], s[22:23], s[56:57]
	v_cndmask_b32_e64 v37, 0, 1, s[26:27]
	s_and_b64 s[26:27], s[24:25], s[50:51]
	v_cndmask_b32_e64 v41, 0, 1, s[6:7]
	s_and_b64 s[6:7], s[24:25], s[58:59]
	v_cndmask_b32_e64 v38, 0, 1, s[26:27]
	v_cndmask_b32_e64 v42, 0, 1, s[6:7]
	v_cmp_ne_u32_e64 s[6:7], 0, v1
	v_cmp_ne_u32_e64 s[20:21], 0, v2
	;; [unrolled: 1-line block ×11, first 2 shown]
	s_bcnt1_i32_b64 s6, s[6:7]
	s_bcnt1_i32_b64 s7, s[20:21]
	;; [unrolled: 1-line block ×8, first 2 shown]
	v_cmp_ne_u32_e64 s[34:35], 0, v34
	v_cmp_ne_u32_e64 s[40:41], 0, v37
	;; [unrolled: 1-line block ×3, first 2 shown]
	s_bcnt1_i32_b64 s23, s[28:29]
	s_bcnt1_i32_b64 s27, s[38:39]
	;; [unrolled: 1-line block ×3, first 2 shown]
	s_add_i32 s6, s92, s6
	s_add_i32 s19, s19, s22
	;; [unrolled: 1-line block ×4, first 2 shown]
	v_cmp_ne_u32_e64 s[42:43], 0, v38
	v_cmp_ne_u32_e64 s[50:51], 0, v42
	s_bcnt1_i32_b64 s25, s[34:35]
	s_bcnt1_i32_b64 s28, s[40:41]
	;; [unrolled: 1-line block ×3, first 2 shown]
	s_add_i32 s6, s6, s7
	s_add_i32 s7, s19, s23
	;; [unrolled: 1-line block ×4, first 2 shown]
	s_bcnt1_i32_b64 s29, s[42:43]
	s_bcnt1_i32_b64 s35, s[50:51]
	s_add_i32 s6, s6, s20
	s_add_i32 s7, s7, s24
	;; [unrolled: 1-line block ×8, first 2 shown]
	s_or_b64 s[76:77], vcc, s[76:77]
	v_mov_b32_e32 v1, s92
	v_mov_b32_e32 v2, s19
	;; [unrolled: 1-line block ×4, first 2 shown]
	s_andn2_b64 exec, exec, s[76:77]
	s_cbranch_execnz .LBB2_48
; %bb.49:                               ;   in Loop: Header=BB2_7 Depth=1
	s_or_b64 exec, exec, s[76:77]
	s_or_b64 exec, exec, s[72:73]
	v_mov_b32_e32 v32, 0
	s_and_saveexec_b64 s[6:7], s[12:13]
	s_cbranch_execz .LBB2_46
.LBB2_50:                               ;   in Loop: Header=BB2_7 Depth=1
	global_load_ubyte v32, v[7:8], off
	s_or_b64 exec, exec, s[6:7]
	s_and_saveexec_b64 s[20:21], s[14:15]
	s_cbranch_execz .LBB2_56
.LBB2_51:                               ;   in Loop: Header=BB2_7 Depth=1
	s_mov_b64 s[22:23], 0
	v_mov_b32_e32 v30, v23
	v_mov_b32_e32 v31, v17
	s_branch .LBB2_53
.LBB2_52:                               ;   in Loop: Header=BB2_53 Depth=2
	s_or_b64 exec, exec, s[6:7]
	s_waitcnt vmcnt(0)
	v_and_b32_e32 v32, 0xff, v32
	v_and_b32_e32 v34, v27, v32
	v_bfe_u32 v32, v32, v26, 2
	v_cmp_eq_u32_e32 vcc, v34, v19
	v_cmp_eq_u32_e64 s[6:7], 0, v32
	s_and_b64 s[6:7], vcc, s[6:7]
	v_cndmask_b32_e64 v34, 0, 1, s[6:7]
	v_cmp_ne_u32_e64 s[6:7], 0, v34
	s_bcnt1_i32_b64 s6, s[6:7]
	v_add_u32_e32 v1, s6, v1
	v_cmp_eq_u32_e64 s[6:7], 1, v32
	s_and_b64 s[6:7], vcc, s[6:7]
	v_cndmask_b32_e64 v34, 0, 1, s[6:7]
	v_cmp_ne_u32_e64 s[6:7], 0, v34
	s_bcnt1_i32_b64 s6, s[6:7]
	v_add_u32_e32 v2, s6, v2
	;; [unrolled: 6-line block ×3, first 2 shown]
	v_cmp_eq_u32_e64 s[6:7], 3, v32
	s_and_b64 s[6:7], vcc, s[6:7]
	v_cndmask_b32_e64 v32, 0, 1, s[6:7]
	v_cmp_ne_u32_e32 vcc, 0, v32
	s_bcnt1_i32_b64 s6, vcc
	v_cmp_le_i32_e32 vcc, s68, v31
	v_add_u32_e32 v4, s6, v4
	v_add_u32_e32 v30, s18, v30
	s_or_b64 s[22:23], vcc, s[22:23]
	v_mov_b32_e32 v32, v33
	s_andn2_b64 exec, exec, s[22:23]
	s_cbranch_execz .LBB2_55
.LBB2_53:                               ;   Parent Loop BB2_7 Depth=1
                                        ; =>  This Inner Loop Header: Depth=2
	v_add_u32_e32 v31, s70, v31
	v_cmp_gt_u32_e32 vcc, s68, v31
	v_mov_b32_e32 v33, 0
	s_and_saveexec_b64 s[6:7], vcc
	s_cbranch_execz .LBB2_52
; %bb.54:                               ;   in Loop: Header=BB2_53 Depth=2
	v_ashrrev_i32_e32 v34, 31, v30
	v_mov_b32_e32 v35, s81
	v_add_co_u32_e32 v33, vcc, s80, v30
	v_addc_co_u32_e32 v34, vcc, v35, v34, vcc
	global_load_ubyte v33, v[33:34], off
	s_branch .LBB2_52
.LBB2_55:                               ;   in Loop: Header=BB2_7 Depth=1
	s_or_b64 exec, exec, s[22:23]
.LBB2_56:                               ;   in Loop: Header=BB2_7 Depth=1
	s_or_b64 exec, exec, s[20:21]
	s_branch .LBB2_36
.LBB2_57:                               ;   in Loop: Header=BB2_7 Depth=1
	s_mul_hi_u32 s6, s69, s8
	s_mul_i32 s6, s6, s33
	s_sub_i32 s6, s69, s6
	s_sub_i32 s7, s6, s33
	s_cmp_ge_u32 s6, s33
	s_cselect_b32 s6, s7, s6
	s_sub_i32 s7, s6, s33
	s_cmp_ge_u32 s6, s33
	s_cselect_b32 s6, s7, s6
	s_sub_i32 s89, s69, s6
	v_cmp_gt_u32_e32 vcc, s89, v10
	v_mov_b32_e32 v1, 0
	v_mov_b32_e32 v2, 0
	;; [unrolled: 1-line block ×4, first 2 shown]
	s_and_saveexec_b64 s[72:73], vcc
	s_cbranch_execz .LBB2_61
; %bb.58:                               ;   in Loop: Header=BB2_7 Depth=1
	s_mov_b32 s16, 0
	s_mov_b64 s[76:77], 0
	s_mov_b32 s17, 0
	s_mov_b32 s19, 0
	;; [unrolled: 1-line block ×3, first 2 shown]
	v_mov_b32_e32 v30, v10
.LBB2_59:                               ;   Parent Loop BB2_7 Depth=1
                                        ; =>  This Inner Loop Header: Depth=2
	ds_read_b32 v1, v30
	v_add_u32_e32 v30, s33, v30
	v_cmp_le_i32_e32 vcc, s89, v30
	s_waitcnt lgkmcnt(0)
	v_and_b32_e32 v3, 0xff, v1
	v_bfe_u32 v4, v1, 8, 8
	v_and_b32_e32 v31, v27, v3
	v_bfe_u32 v3, v3, v26, 2
	v_lshrrev_b32_e32 v2, 24, v1
	v_bfe_u32 v1, v1, 16, 8
	s_waitcnt vmcnt(0)
	v_and_b32_e32 v32, v27, v4
	v_bfe_u32 v4, v4, v26, 2
	v_cmp_eq_u32_e64 s[6:7], v31, v19
	v_cmp_eq_u32_e64 s[26:27], 0, v3
	v_and_b32_e32 v33, v27, v1
	v_bfe_u32 v1, v1, v26, 2
	v_cmp_eq_u32_e64 s[20:21], v32, v19
	v_cmp_eq_u32_e64 s[28:29], 0, v4
	s_and_b64 s[26:27], s[6:7], s[26:27]
	v_and_b32_e32 v34, v27, v2
	v_bfe_u32 v2, v2, v26, 2
	v_cmp_eq_u32_e64 s[22:23], v33, v19
	v_cmp_eq_u32_e64 s[30:31], 0, v1
	;; [unrolled: 1-line block ×5, first 2 shown]
	v_cndmask_b32_e64 v1, 0, 1, s[26:27]
	s_and_b64 s[26:27], s[20:21], s[28:29]
	v_cmp_eq_u32_e64 s[24:25], v34, v19
	v_cmp_eq_u32_e64 s[34:35], 0, v2
	;; [unrolled: 1-line block ×5, first 2 shown]
	v_cndmask_b32_e64 v2, 0, 1, s[26:27]
	s_and_b64 s[26:27], s[22:23], s[30:31]
	v_cmp_eq_u32_e64 s[36:37], 1, v3
	v_cmp_eq_u32_e64 s[44:45], 2, v3
	;; [unrolled: 1-line block ×3, first 2 shown]
	v_cndmask_b32_e64 v3, 0, 1, s[26:27]
	s_and_b64 s[26:27], s[24:25], s[34:35]
	v_cmp_eq_u32_e64 s[38:39], 1, v4
	v_cmp_eq_u32_e64 s[46:47], 2, v4
	;; [unrolled: 1-line block ×3, first 2 shown]
	v_cndmask_b32_e64 v4, 0, 1, s[26:27]
	s_and_b64 s[26:27], s[6:7], s[36:37]
	v_cndmask_b32_e64 v31, 0, 1, s[26:27]
	s_and_b64 s[26:27], s[20:21], s[38:39]
	;; [unrolled: 2-line block ×5, first 2 shown]
	s_and_b64 s[6:7], s[6:7], s[52:53]
	v_cndmask_b32_e64 v35, 0, 1, s[26:27]
	s_and_b64 s[26:27], s[20:21], s[46:47]
	v_cndmask_b32_e64 v39, 0, 1, s[6:7]
	;; [unrolled: 2-line block ×7, first 2 shown]
	v_cndmask_b32_e64 v42, 0, 1, s[6:7]
	v_cmp_ne_u32_e64 s[6:7], 0, v1
	v_cmp_ne_u32_e64 s[20:21], 0, v2
	;; [unrolled: 1-line block ×11, first 2 shown]
	s_bcnt1_i32_b64 s6, s[6:7]
	s_bcnt1_i32_b64 s7, s[20:21]
	;; [unrolled: 1-line block ×8, first 2 shown]
	v_cmp_ne_u32_e64 s[34:35], 0, v34
	v_cmp_ne_u32_e64 s[40:41], 0, v37
	;; [unrolled: 1-line block ×3, first 2 shown]
	s_bcnt1_i32_b64 s23, s[28:29]
	s_bcnt1_i32_b64 s27, s[38:39]
	s_bcnt1_i32_b64 s31, s[46:47]
	s_add_i32 s6, s92, s6
	s_add_i32 s19, s19, s22
	;; [unrolled: 1-line block ×4, first 2 shown]
	v_cmp_ne_u32_e64 s[42:43], 0, v38
	v_cmp_ne_u32_e64 s[50:51], 0, v42
	s_bcnt1_i32_b64 s25, s[34:35]
	s_bcnt1_i32_b64 s28, s[40:41]
	s_bcnt1_i32_b64 s34, s[48:49]
	s_add_i32 s6, s6, s7
	s_add_i32 s7, s19, s23
	;; [unrolled: 1-line block ×4, first 2 shown]
	s_bcnt1_i32_b64 s29, s[42:43]
	s_bcnt1_i32_b64 s35, s[50:51]
	s_add_i32 s6, s6, s20
	s_add_i32 s7, s7, s24
	;; [unrolled: 1-line block ×8, first 2 shown]
	s_or_b64 s[76:77], vcc, s[76:77]
	v_mov_b32_e32 v1, s92
	v_mov_b32_e32 v2, s19
	;; [unrolled: 1-line block ×4, first 2 shown]
	s_andn2_b64 exec, exec, s[76:77]
	s_cbranch_execnz .LBB2_59
; %bb.60:                               ;   in Loop: Header=BB2_7 Depth=1
	s_or_b64 exec, exec, s[76:77]
.LBB2_61:                               ;   in Loop: Header=BB2_7 Depth=1
	s_or_b64 exec, exec, s[72:73]
	v_add_u32_e32 v30, s89, v0
	v_cmp_gt_i32_e32 vcc, s69, v30
	s_and_saveexec_b64 s[28:29], vcc
	s_cbranch_execz .LBB2_65
; %bb.62:                               ;   in Loop: Header=BB2_7 Depth=1
	s_mov_b64 s[30:31], 0
.LBB2_63:                               ;   Parent Loop BB2_7 Depth=1
                                        ; =>  This Inner Loop Header: Depth=2
	ds_read_u8 v31, v30
	v_add_u32_e32 v30, s70, v30
	v_cmp_le_i32_e32 vcc, s69, v30
	s_waitcnt vmcnt(0) lgkmcnt(0)
	v_and_b32_e32 v32, v27, v31
	v_bfe_u32 v31, v31, v26, 2
	v_cmp_eq_u32_e64 s[6:7], v32, v19
	v_cmp_eq_u32_e64 s[20:21], 0, v31
	;; [unrolled: 1-line block ×3, first 2 shown]
	s_and_b64 s[16:17], s[6:7], s[20:21]
	v_cmp_eq_u32_e64 s[24:25], 2, v31
	v_cmp_eq_u32_e64 s[26:27], 3, v31
	v_cndmask_b32_e64 v31, 0, 1, s[16:17]
	s_and_b64 s[16:17], s[6:7], s[22:23]
	v_cndmask_b32_e64 v32, 0, 1, s[16:17]
	s_and_b64 s[16:17], s[6:7], s[24:25]
	s_and_b64 s[6:7], s[6:7], s[26:27]
	v_cndmask_b32_e64 v33, 0, 1, s[16:17]
	v_cndmask_b32_e64 v34, 0, 1, s[6:7]
	v_cmp_ne_u32_e64 s[6:7], 0, v31
	v_cmp_ne_u32_e64 s[20:21], 0, v32
	;; [unrolled: 1-line block ×4, first 2 shown]
	s_bcnt1_i32_b64 s6, s[6:7]
	s_bcnt1_i32_b64 s7, s[20:21]
	;; [unrolled: 1-line block ×4, first 2 shown]
	v_add_u32_e32 v1, s6, v1
	v_add_u32_e32 v2, s7, v2
	;; [unrolled: 1-line block ×3, first 2 shown]
	s_or_b64 s[30:31], vcc, s[30:31]
	v_add_u32_e32 v4, s17, v4
	s_andn2_b64 exec, exec, s[30:31]
	s_cbranch_execnz .LBB2_63
; %bb.64:                               ;   in Loop: Header=BB2_7 Depth=1
	s_or_b64 exec, exec, s[30:31]
.LBB2_65:                               ;   in Loop: Header=BB2_7 Depth=1
	s_or_b64 exec, exec, s[28:29]
	s_lshl_b32 s16, s90, 6
	s_and_saveexec_b64 s[6:7], s[2:3]
	s_cbranch_execnz .LBB2_37
	s_branch .LBB2_38
.LBB2_66:                               ;   in Loop: Header=BB2_7 Depth=1
	s_or_b64 exec, exec, s[20:21]
	s_waitcnt lgkmcnt(0)
	s_barrier
	s_and_saveexec_b64 s[20:21], s[0:1]
	s_cbranch_execz .LBB2_68
; %bb.67:                               ;   in Loop: Header=BB2_7 Depth=1
	ds_read_b32 v1, v12 offset:4104
	s_waitcnt lgkmcnt(0)
	ds_write_b32 v12, v1 offset:4096
.LBB2_68:                               ;   in Loop: Header=BB2_7 Depth=1
	s_or_b64 exec, exec, s[20:21]
	s_waitcnt lgkmcnt(0)
	s_barrier
	s_mov_b64 s[20:21], -1
	s_and_b64 vcc, exec, s[6:7]
	s_cbranch_vccnz .LBB2_22
	s_branch .LBB2_32
.LBB2_69:                               ;   in Loop: Header=BB2_7 Depth=1
	v_mov_b32_e32 v1, 0
	s_mov_b32 s17, 0
.LBB2_70:                               ;   in Loop: Header=BB2_7 Depth=1
	v_readlane_b32 s20, v43, 39
	v_readlane_b32 s21, v43, 40
	s_andn2_b64 vcc, exec, s[20:21]
	s_cbranch_vccnz .LBB2_73
; %bb.71:                               ;   in Loop: Header=BB2_7 Depth=1
	s_lshl_b32 s19, s90, 8
	s_lshl_b32 s17, s17, 4
	s_add_i32 s19, s19, s17
	v_add_u32_e32 v2, s19, v24
	v_readlane_b32 s17, v43, 38
.LBB2_72:                               ;   Parent Loop BB2_7 Depth=1
                                        ; =>  This Inner Loop Header: Depth=2
	ds_read_b32 v3, v2
	s_add_i32 s17, s17, -1
	v_add_u32_e32 v2, 16, v2
	s_cmp_lg_u32 s17, 0
	s_waitcnt lgkmcnt(0)
	v_add_u32_e32 v1, v3, v1
	s_cbranch_scc1 .LBB2_72
.LBB2_73:                               ;   in Loop: Header=BB2_7 Depth=1
	v_add_lshl_u32 v2, s16, v11, 2
	ds_write_b32 v2, v1 offset:3072
.LBB2_74:                               ;   in Loop: Header=BB2_7 Depth=1
	s_or_b64 exec, exec, s[6:7]
	s_lshl_b32 s6, s16, 2
	v_mov_b32_e32 v1, s6
	s_waitcnt lgkmcnt(0)
	s_barrier
	ds_read_b128 v[1:4], v1 offset:3072
	v_cmp_eq_u32_e32 vcc, 1, v29
	s_mov_b64 s[20:21], -1
	s_mov_b64 s[28:29], -1
                                        ; implicit-def: $sgpr26_sgpr27
                                        ; implicit-def: $sgpr24_sgpr25
	s_waitcnt lgkmcnt(0)
	v_readfirstlane_b32 s42, v1
	s_cmp_eq_u32 s42, 1
	v_lshlrev_b32_e64 v1, v26, 3
	s_cselect_b64 s[6:7], -1, 0
	v_readfirstlane_b32 s46, v2
	v_readfirstlane_b32 s54, v3
	;; [unrolled: 1-line block ×3, first 2 shown]
	v_not_b32_e32 v3, v1
	s_and_b64 s[22:23], s[6:7], vcc
	s_and_saveexec_b64 s[6:7], s[22:23]
	s_cbranch_execz .LBB2_100
; %bb.75:                               ;   in Loop: Header=BB2_7 Depth=1
	ds_read_b32 v2, v12 offset:4096
	s_waitcnt lgkmcnt(0)
	s_barrier
	v_readfirstlane_b32 s16, v2
	s_and_saveexec_b64 s[24:25], s[4:5]
; %bb.76:                               ;   in Loop: Header=BB2_7 Depth=1
	ds_write_b8 v0, v12 offset:3072
; %bb.77:                               ;   in Loop: Header=BB2_7 Depth=1
	s_or_b64 exec, exec, s[24:25]
	v_and_b32_e32 v19, v19, v3
	v_or_b32_e32 v27, v27, v1
	s_mov_b64 s[24:25], -1
	s_mov_b64 s[26:27], 0
	s_cmp_lt_i32 s16, 1
	s_mov_b64 s[28:29], 0
	s_mov_b64 s[30:31], -1
	s_waitcnt lgkmcnt(0)
	s_barrier
                                        ; implicit-def: $vgpr28
	s_cbranch_scc0 .LBB2_88
; %bb.78:                               ;   in Loop: Header=BB2_7 Depth=1
	s_mov_b64 s[30:31], 0
                                        ; implicit-def: $vgpr28
	s_mov_b64 s[34:35], exec
	v_readlane_b32 s36, v43, 42
	v_readlane_b32 s37, v43, 43
	s_and_b64 s[36:37], s[34:35], s[36:37]
	s_mov_b64 exec, s[36:37]
	s_cbranch_execz .LBB2_87
; %bb.79:                               ;   in Loop: Header=BB2_7 Depth=1
	v_mov_b32_e32 v2, v9
	v_mov_b32_e32 v4, v0
                                        ; implicit-def: $sgpr36_sgpr37
	s_branch .LBB2_82
.LBB2_80:                               ;   in Loop: Header=BB2_82 Depth=2
	s_or_b64 exec, exec, s[38:39]
	s_waitcnt lgkmcnt(0)
	s_barrier
	ds_read_u16 v28, v12 offset:3072
	s_mov_b64 s[38:39], -1
	s_waitcnt lgkmcnt(0)
	s_barrier
	v_cmp_ne_u32_sdwa s[40:41], v28, v12 src0_sel:BYTE_0 src1_sel:DWORD
	s_and_b64 vcc, exec, s[40:41]
	s_mov_b64 s[40:41], -1
	s_cbranch_vccz .LBB2_85
.LBB2_81:                               ;   in Loop: Header=BB2_82 Depth=2
	s_and_b64 s[38:39], exec, s[38:39]
	s_or_b64 s[28:29], s[38:39], s[28:29]
	s_andn2_b64 s[36:37], s[36:37], exec
	s_and_b64 s[38:39], s[40:41], exec
	s_or_b64 s[36:37], s[36:37], s[38:39]
	s_andn2_b64 exec, exec, s[28:29]
	s_cbranch_execz .LBB2_86
.LBB2_82:                               ;   Parent Loop BB2_7 Depth=1
                                        ; =>  This Inner Loop Header: Depth=2
	v_cmp_gt_i32_e32 vcc, s68, v4
	s_and_saveexec_b64 s[38:39], vcc
	s_cbranch_execz .LBB2_80
; %bb.83:                               ;   in Loop: Header=BB2_82 Depth=2
	v_ashrrev_i32_e32 v28, 31, v2
	v_mov_b32_e32 v31, s81
	v_add_co_u32_e32 v30, vcc, s80, v2
	v_addc_co_u32_e32 v31, vcc, v31, v28, vcc
	global_load_ubyte v28, v[30:31], off
	s_waitcnt vmcnt(0)
	v_and_b32_e32 v30, v28, v27
	v_cmp_eq_u32_sdwa s[40:41], v30, v19 src0_sel:BYTE_0 src1_sel:DWORD
	s_and_b64 exec, exec, s[40:41]
	s_cbranch_execz .LBB2_80
; %bb.84:                               ;   in Loop: Header=BB2_82 Depth=2
	v_lshlrev_b16_e32 v28, 8, v28
	v_or_b32_e32 v28, 1, v28
	ds_write_b16 v12, v28 offset:3072
	s_branch .LBB2_80
.LBB2_85:                               ;   in Loop: Header=BB2_82 Depth=2
	v_add_u32_e32 v4, s70, v4
	v_cmp_le_i32_e32 vcc, s93, v4
	v_add_u32_e32 v2, s18, v2
	s_mov_b64 s[40:41], 0
	s_orn2_b64 s[38:39], vcc, exec
	s_branch .LBB2_81
.LBB2_86:                               ;   in Loop: Header=BB2_7 Depth=1
	s_or_b64 exec, exec, s[28:29]
	v_lshrrev_b32_sdwa v28, v25, v28 dst_sel:DWORD dst_unused:UNUSED_PAD src0_sel:DWORD src1_sel:WORD_0
	s_and_b64 s[28:29], s[36:37], exec
.LBB2_87:                               ;   in Loop: Header=BB2_7 Depth=1
	s_or_b64 exec, exec, s[34:35]
.LBB2_88:                               ;   in Loop: Header=BB2_7 Depth=1
	s_and_b64 vcc, exec, s[30:31]
	s_cbranch_vccz .LBB2_99
; %bb.89:                               ;   in Loop: Header=BB2_7 Depth=1
	v_readlane_b32 s17, v43, 29
	s_add_i32 s17, s16, s17
	s_abs_i32 s24, s17
	v_readlane_b32 s25, v43, 41
	s_mul_hi_u32 s25, s24, s25
	s_mul_i32 s25, s25, s70
	s_sub_i32 s24, s24, s25
	s_ashr_i32 s19, s17, 31
	s_sub_i32 s25, s24, s70
	s_cmp_ge_u32 s24, s70
	s_cselect_b32 s24, s25, s24
	s_sub_i32 s25, s24, s70
	s_cmp_ge_u32 s24, s70
	s_cselect_b32 s24, s25, s24
	s_xor_b32 s24, s24, s19
	s_sub_i32 s19, s19, s24
	s_add_i32 s17, s17, s19
	v_cmp_gt_i32_e32 vcc, s17, v0
                                        ; implicit-def: $vgpr28
	s_and_saveexec_b64 s[24:25], vcc
	s_cbranch_execz .LBB2_98
; %bb.90:                               ;   in Loop: Header=BB2_7 Depth=1
	s_mov_b64 s[26:27], 0
	v_mov_b32_e32 v2, v0
                                        ; implicit-def: $sgpr30_sgpr31
	s_branch .LBB2_93
.LBB2_91:                               ;   in Loop: Header=BB2_93 Depth=2
	s_or_b64 exec, exec, s[34:35]
	s_waitcnt lgkmcnt(0)
	s_barrier
	ds_read_u16 v4, v12 offset:3072
	s_mov_b64 s[34:35], -1
	s_waitcnt lgkmcnt(0)
	s_barrier
	v_cmp_ne_u32_sdwa s[36:37], v4, v12 src0_sel:BYTE_0 src1_sel:DWORD
	s_and_b64 vcc, exec, s[36:37]
	s_mov_b64 s[36:37], -1
	s_cbranch_vccz .LBB2_96
.LBB2_92:                               ;   in Loop: Header=BB2_93 Depth=2
	s_and_b64 s[34:35], exec, s[34:35]
	s_or_b64 s[26:27], s[34:35], s[26:27]
	s_andn2_b64 s[30:31], s[30:31], exec
	s_and_b64 s[34:35], s[36:37], exec
	s_or_b64 s[30:31], s[30:31], s[34:35]
	s_andn2_b64 exec, exec, s[26:27]
	s_cbranch_execz .LBB2_97
.LBB2_93:                               ;   Parent Loop BB2_7 Depth=1
                                        ; =>  This Inner Loop Header: Depth=2
	v_cmp_gt_i32_e32 vcc, s16, v2
	s_and_saveexec_b64 s[34:35], vcc
	s_cbranch_execz .LBB2_91
; %bb.94:                               ;   in Loop: Header=BB2_93 Depth=2
	ds_read_u8 v4, v2
	s_waitcnt lgkmcnt(0)
	v_and_b32_e32 v28, v4, v27
	v_cmp_eq_u32_sdwa s[36:37], v28, v19 src0_sel:BYTE_0 src1_sel:DWORD
	s_and_b64 exec, exec, s[36:37]
	s_cbranch_execz .LBB2_91
; %bb.95:                               ;   in Loop: Header=BB2_93 Depth=2
	v_lshlrev_b16_e32 v4, 8, v4
	v_or_b32_e32 v4, 1, v4
	ds_write_b16 v12, v4 offset:3072
	s_branch .LBB2_91
.LBB2_96:                               ;   in Loop: Header=BB2_93 Depth=2
	v_add_u32_e32 v2, s70, v2
	v_cmp_le_i32_e32 vcc, s17, v2
	s_mov_b64 s[36:37], 0
	s_orn2_b64 s[34:35], vcc, exec
	s_branch .LBB2_92
.LBB2_97:                               ;   in Loop: Header=BB2_7 Depth=1
	s_or_b64 exec, exec, s[26:27]
	s_andn2_b64 s[16:17], s[28:29], exec
	s_and_b64 s[26:27], s[30:31], exec
	v_lshrrev_b32_sdwa v28, v25, v4 dst_sel:DWORD dst_unused:UNUSED_PAD src0_sel:DWORD src1_sel:WORD_0
	s_or_b64 s[28:29], s[16:17], s[26:27]
.LBB2_98:                               ;   in Loop: Header=BB2_7 Depth=1
	s_or_b64 exec, exec, s[24:25]
	s_mov_b64 s[24:25], 0
	s_mov_b64 s[26:27], -1
.LBB2_99:                               ;   in Loop: Header=BB2_7 Depth=1
	s_orn2_b64 s[28:29], s[28:29], exec
.LBB2_100:                              ;   in Loop: Header=BB2_7 Depth=1
	s_or_b64 exec, exec, s[6:7]
	s_andn2_b64 s[6:7], s[66:67], exec
	s_and_b64 s[26:27], s[26:27], exec
	s_or_b64 s[66:67], s[6:7], s[26:27]
	s_andn2_b64 s[6:7], s[64:65], exec
	s_and_b64 s[24:25], s[24:25], exec
	v_readfirstlane_b32 s16, v0
	s_andn2_b64 s[62:63], s[62:63], exec
	s_or_b64 s[64:65], s[6:7], s[24:25]
                                        ; implicit-def: $vgpr4
	s_and_saveexec_b64 s[6:7], s[28:29]
	s_cbranch_execz .LBB2_6
; %bb.101:                              ;   in Loop: Header=BB2_7 Depth=1
	s_xor_b64 s[16:17], s[22:23], -1
	s_mov_b64 s[22:23], 0
	v_mov_b32_e32 v4, 1
	v_mov_b32_e32 v2, 1
	s_and_saveexec_b64 s[20:21], s[16:17]
	s_cbranch_execz .LBB2_110
; %bb.102:                              ;   in Loop: Header=BB2_7 Depth=1
	v_cmp_ge_i32_e32 vcc, s42, v29
	s_and_saveexec_b64 s[16:17], vcc
	s_xor_b64 s[22:23], exec, s[16:17]
	s_cbranch_execz .LBB2_107
; %bb.103:                              ;   in Loop: Header=BB2_7 Depth=1
	ds_read_b32 v2, v12 offset:4096
	v_and_b32_e32 v19, v19, v3
	v_or_b32_e32 v27, v27, v1
	s_waitcnt lgkmcnt(0)
	v_cmp_ne_u32_e32 vcc, 0, v2
	s_cbranch_vccnz .LBB2_107
; %bb.104:                              ;   in Loop: Header=BB2_7 Depth=1
	s_and_saveexec_b64 s[24:25], s[0:1]
; %bb.105:                              ;   in Loop: Header=BB2_7 Depth=1
	v_mov_b32_e32 v2, s42
	ds_write_b32 v12, v2 offset:4100
; %bb.106:                              ;   in Loop: Header=BB2_7 Depth=1
	s_or_b64 exec, exec, s[24:25]
	s_waitcnt lgkmcnt(0)
	s_barrier
.LBB2_107:                              ;   in Loop: Header=BB2_7 Depth=1
	s_or_saveexec_b64 s[22:23], s[22:23]
	s_mov_b64 s[24:25], 0
	v_mov_b32_e32 v2, 8
	s_xor_b64 exec, exec, s[22:23]
; %bb.108:                              ;   in Loop: Header=BB2_7 Depth=1
	s_mov_b64 s[24:25], exec
	v_subrev_u32_e32 v29, s42, v29
	v_mov_b32_e32 v2, 0
; %bb.109:                              ;   in Loop: Header=BB2_7 Depth=1
	s_or_b64 exec, exec, s[22:23]
	s_and_b64 s[22:23], s[24:25], exec
	v_mov_b32_e32 v4, v29
.LBB2_110:                              ;   in Loop: Header=BB2_7 Depth=1
	s_or_b64 exec, exec, s[20:21]
	s_mov_b64 s[20:21], -1
	s_mov_b64 s[28:29], -1
                                        ; implicit-def: $sgpr24_sgpr25
                                        ; implicit-def: $sgpr26_sgpr27
	s_and_saveexec_b64 s[16:17], s[22:23]
	s_xor_b64 s[22:23], exec, s[16:17]
	s_cbranch_execz .LBB2_227
; %bb.111:                              ;   in Loop: Header=BB2_7 Depth=1
	s_cmp_eq_u32 s46, 1
	s_cselect_b64 s[16:17], -1, 0
	v_cmp_eq_u32_e32 vcc, 1, v4
	s_and_b64 s[30:31], s[16:17], vcc
	s_mov_b64 s[34:35], -1
                                        ; implicit-def: $sgpr26_sgpr27
                                        ; implicit-def: $sgpr24_sgpr25
	s_and_saveexec_b64 s[28:29], s[30:31]
	s_cbranch_execz .LBB2_137
; %bb.112:                              ;   in Loop: Header=BB2_7 Depth=1
	ds_read_b32 v28, v12 offset:4096
	s_waitcnt lgkmcnt(0)
	s_barrier
	v_readfirstlane_b32 s16, v28
	s_and_saveexec_b64 s[24:25], s[4:5]
; %bb.113:                              ;   in Loop: Header=BB2_7 Depth=1
	ds_write_b8 v0, v12 offset:3072
; %bb.114:                              ;   in Loop: Header=BB2_7 Depth=1
	s_or_b64 exec, exec, s[24:25]
	v_and_b32_e32 v19, v19, v3
	v_lshl_or_b32 v19, 1, v26, v19
	v_or_b32_e32 v27, v27, v1
	s_mov_b64 s[24:25], -1
	s_mov_b64 s[26:27], 0
	s_cmp_gt_i32 s16, 0
	s_mov_b64 s[34:35], 0
	s_mov_b64 s[36:37], -1
	s_waitcnt lgkmcnt(0)
	s_barrier
                                        ; implicit-def: $vgpr28
	s_cbranch_scc1 .LBB2_125
; %bb.115:                              ;   in Loop: Header=BB2_7 Depth=1
	s_mov_b64 s[36:37], 0
                                        ; implicit-def: $vgpr28
	s_mov_b64 s[38:39], exec
	v_readlane_b32 s40, v43, 42
	v_readlane_b32 s41, v43, 43
	s_and_b64 s[40:41], s[38:39], s[40:41]
	s_mov_b64 exec, s[40:41]
	s_cbranch_execz .LBB2_124
; %bb.116:                              ;   in Loop: Header=BB2_7 Depth=1
	v_mov_b32_e32 v28, v9
	v_mov_b32_e32 v29, v0
                                        ; implicit-def: $sgpr40_sgpr41
	s_branch .LBB2_119
.LBB2_117:                              ;   in Loop: Header=BB2_119 Depth=2
	s_or_b64 exec, exec, s[42:43]
	s_waitcnt lgkmcnt(0)
	s_barrier
	ds_read_u16 v30, v12 offset:3072
	s_mov_b64 s[42:43], -1
	s_waitcnt lgkmcnt(0)
	s_barrier
	v_cmp_ne_u32_sdwa s[44:45], v30, v12 src0_sel:BYTE_0 src1_sel:DWORD
	s_and_b64 vcc, exec, s[44:45]
	s_mov_b64 s[44:45], -1
	s_cbranch_vccz .LBB2_122
.LBB2_118:                              ;   in Loop: Header=BB2_119 Depth=2
	s_and_b64 s[42:43], exec, s[42:43]
	s_or_b64 s[34:35], s[42:43], s[34:35]
	s_andn2_b64 s[40:41], s[40:41], exec
	s_and_b64 s[42:43], s[44:45], exec
	s_or_b64 s[40:41], s[40:41], s[42:43]
	s_andn2_b64 exec, exec, s[34:35]
	s_cbranch_execz .LBB2_123
.LBB2_119:                              ;   Parent Loop BB2_7 Depth=1
                                        ; =>  This Inner Loop Header: Depth=2
	v_cmp_gt_i32_e32 vcc, s68, v29
	s_and_saveexec_b64 s[42:43], vcc
	s_cbranch_execz .LBB2_117
; %bb.120:                              ;   in Loop: Header=BB2_119 Depth=2
	v_ashrrev_i32_e32 v31, 31, v28
	v_mov_b32_e32 v32, s81
	v_add_co_u32_e32 v30, vcc, s80, v28
	v_addc_co_u32_e32 v31, vcc, v32, v31, vcc
	global_load_ubyte v30, v[30:31], off
	s_waitcnt vmcnt(0)
	v_and_b32_e32 v31, v30, v27
	v_cmp_eq_u32_sdwa s[44:45], v31, v19 src0_sel:BYTE_0 src1_sel:DWORD
	s_and_b64 exec, exec, s[44:45]
	s_cbranch_execz .LBB2_117
; %bb.121:                              ;   in Loop: Header=BB2_119 Depth=2
	v_lshlrev_b16_e32 v30, 8, v30
	v_or_b32_e32 v30, 1, v30
	ds_write_b16 v12, v30 offset:3072
	s_branch .LBB2_117
.LBB2_122:                              ;   in Loop: Header=BB2_119 Depth=2
	v_add_u32_e32 v29, s70, v29
	v_cmp_le_i32_e32 vcc, s93, v29
	v_add_u32_e32 v28, s18, v28
	s_mov_b64 s[44:45], 0
	s_orn2_b64 s[42:43], vcc, exec
	s_branch .LBB2_118
.LBB2_123:                              ;   in Loop: Header=BB2_7 Depth=1
	s_or_b64 exec, exec, s[34:35]
	v_lshrrev_b32_sdwa v28, v25, v30 dst_sel:DWORD dst_unused:UNUSED_PAD src0_sel:DWORD src1_sel:WORD_0
	s_and_b64 s[34:35], s[40:41], exec
.LBB2_124:                              ;   in Loop: Header=BB2_7 Depth=1
	s_or_b64 exec, exec, s[38:39]
.LBB2_125:                              ;   in Loop: Header=BB2_7 Depth=1
	s_and_b64 vcc, exec, s[36:37]
	s_cbranch_vccz .LBB2_136
; %bb.126:                              ;   in Loop: Header=BB2_7 Depth=1
	v_readlane_b32 s17, v43, 29
	s_add_i32 s17, s16, s17
	s_abs_i32 s24, s17
	v_readlane_b32 s25, v43, 41
	s_mul_hi_u32 s25, s24, s25
	s_mul_i32 s25, s25, s70
	s_sub_i32 s24, s24, s25
	s_ashr_i32 s19, s17, 31
	s_sub_i32 s25, s24, s70
	s_cmp_ge_u32 s24, s70
	s_cselect_b32 s24, s25, s24
	s_sub_i32 s25, s24, s70
	s_cmp_ge_u32 s24, s70
	s_cselect_b32 s24, s25, s24
	s_xor_b32 s24, s24, s19
	s_sub_i32 s19, s19, s24
	s_add_i32 s17, s17, s19
	v_cmp_gt_i32_e32 vcc, s17, v0
                                        ; implicit-def: $vgpr28
	s_and_saveexec_b64 s[24:25], vcc
	s_cbranch_execz .LBB2_135
; %bb.127:                              ;   in Loop: Header=BB2_7 Depth=1
	s_mov_b64 s[26:27], 0
	v_mov_b32_e32 v28, v0
                                        ; implicit-def: $sgpr36_sgpr37
	s_branch .LBB2_130
.LBB2_128:                              ;   in Loop: Header=BB2_130 Depth=2
	s_or_b64 exec, exec, s[38:39]
	s_waitcnt lgkmcnt(0)
	s_barrier
	ds_read_u16 v29, v12 offset:3072
	s_mov_b64 s[38:39], -1
	s_waitcnt lgkmcnt(0)
	s_barrier
	v_cmp_eq_u32_sdwa s[40:41], v29, v12 src0_sel:BYTE_0 src1_sel:DWORD
	s_and_b64 vcc, exec, s[40:41]
	s_mov_b64 s[40:41], -1
	s_cbranch_vccnz .LBB2_133
.LBB2_129:                              ;   in Loop: Header=BB2_130 Depth=2
	s_and_b64 s[38:39], exec, s[38:39]
	s_or_b64 s[26:27], s[38:39], s[26:27]
	s_andn2_b64 s[36:37], s[36:37], exec
	s_and_b64 s[38:39], s[40:41], exec
	s_or_b64 s[36:37], s[36:37], s[38:39]
	s_andn2_b64 exec, exec, s[26:27]
	s_cbranch_execz .LBB2_134
.LBB2_130:                              ;   Parent Loop BB2_7 Depth=1
                                        ; =>  This Inner Loop Header: Depth=2
	v_cmp_gt_i32_e32 vcc, s16, v28
	s_and_saveexec_b64 s[38:39], vcc
	s_cbranch_execz .LBB2_128
; %bb.131:                              ;   in Loop: Header=BB2_130 Depth=2
	ds_read_u8 v29, v28
	s_waitcnt lgkmcnt(0)
	v_and_b32_e32 v30, v29, v27
	v_cmp_eq_u32_sdwa s[40:41], v30, v19 src0_sel:BYTE_0 src1_sel:DWORD
	s_and_b64 exec, exec, s[40:41]
	s_cbranch_execz .LBB2_128
; %bb.132:                              ;   in Loop: Header=BB2_130 Depth=2
	v_lshlrev_b16_e32 v29, 8, v29
	v_or_b32_e32 v29, 1, v29
	ds_write_b16 v12, v29 offset:3072
	s_branch .LBB2_128
.LBB2_133:                              ;   in Loop: Header=BB2_130 Depth=2
	v_add_u32_e32 v28, s70, v28
	v_cmp_le_i32_e32 vcc, s17, v28
	s_mov_b64 s[40:41], 0
	s_orn2_b64 s[38:39], vcc, exec
	s_branch .LBB2_129
.LBB2_134:                              ;   in Loop: Header=BB2_7 Depth=1
	s_or_b64 exec, exec, s[26:27]
	s_andn2_b64 s[16:17], s[34:35], exec
	s_and_b64 s[26:27], s[36:37], exec
	v_lshrrev_b32_sdwa v28, v25, v29 dst_sel:DWORD dst_unused:UNUSED_PAD src0_sel:DWORD src1_sel:WORD_0
	s_or_b64 s[34:35], s[16:17], s[26:27]
.LBB2_135:                              ;   in Loop: Header=BB2_7 Depth=1
	s_or_b64 exec, exec, s[24:25]
	s_mov_b64 s[24:25], 0
	s_mov_b64 s[26:27], -1
.LBB2_136:                              ;   in Loop: Header=BB2_7 Depth=1
	s_orn2_b64 s[34:35], s[34:35], exec
.LBB2_137:                              ;   in Loop: Header=BB2_7 Depth=1
	s_or_b64 exec, exec, s[28:29]
	s_mov_b64 s[36:37], 0
	s_and_saveexec_b64 s[28:29], s[34:35]
	s_cbranch_execz .LBB2_226
; %bb.138:                              ;   in Loop: Header=BB2_7 Depth=1
	s_xor_b64 s[16:17], s[30:31], -1
	s_mov_b64 s[40:41], 0
	v_mov_b32_e32 v29, 1
	v_mov_b32_e32 v2, 1
	s_and_saveexec_b64 s[30:31], s[16:17]
	s_cbranch_execz .LBB2_147
; %bb.139:                              ;   in Loop: Header=BB2_7 Depth=1
	v_cmp_ge_i32_e32 vcc, s46, v4
	s_and_saveexec_b64 s[16:17], vcc
	s_xor_b64 s[34:35], exec, s[16:17]
	s_cbranch_execz .LBB2_144
; %bb.140:                              ;   in Loop: Header=BB2_7 Depth=1
	ds_read_b32 v2, v12 offset:4096
	v_and_b32_e32 v19, v19, v3
	v_lshl_or_b32 v19, 1, v26, v19
	v_or_b32_e32 v27, v27, v1
	s_waitcnt lgkmcnt(0)
	v_cmp_ne_u32_e32 vcc, 0, v2
	s_cbranch_vccnz .LBB2_144
; %bb.141:                              ;   in Loop: Header=BB2_7 Depth=1
	s_and_saveexec_b64 s[36:37], s[0:1]
; %bb.142:                              ;   in Loop: Header=BB2_7 Depth=1
	v_mov_b32_e32 v2, s46
	ds_write_b32 v12, v2 offset:4100
; %bb.143:                              ;   in Loop: Header=BB2_7 Depth=1
	s_or_b64 exec, exec, s[36:37]
	s_waitcnt lgkmcnt(0)
	s_barrier
.LBB2_144:                              ;   in Loop: Header=BB2_7 Depth=1
	s_or_saveexec_b64 s[34:35], s[34:35]
	s_mov_b64 s[36:37], 0
	v_mov_b32_e32 v2, 8
	s_xor_b64 exec, exec, s[34:35]
; %bb.145:                              ;   in Loop: Header=BB2_7 Depth=1
	s_mov_b64 s[36:37], exec
	v_subrev_u32_e32 v4, s46, v4
	v_mov_b32_e32 v2, 0
; %bb.146:                              ;   in Loop: Header=BB2_7 Depth=1
	s_or_b64 exec, exec, s[34:35]
	s_and_b64 s[40:41], s[36:37], exec
	v_mov_b32_e32 v29, v4
.LBB2_147:                              ;   in Loop: Header=BB2_7 Depth=1
	s_or_b64 exec, exec, s[30:31]
	s_mov_b64 s[38:39], -1
                                        ; implicit-def: $sgpr34_sgpr35
                                        ; implicit-def: $sgpr36_sgpr37
	s_and_saveexec_b64 s[30:31], s[40:41]
	s_cbranch_execz .LBB2_225
; %bb.148:                              ;   in Loop: Header=BB2_7 Depth=1
	s_cmp_eq_u32 s54, 1
	s_cselect_b64 s[16:17], -1, 0
	v_cmp_eq_u32_e32 vcc, 1, v29
	s_and_b64 s[40:41], s[16:17], vcc
	s_mov_b64 s[42:43], -1
                                        ; implicit-def: $sgpr36_sgpr37
                                        ; implicit-def: $sgpr34_sgpr35
	s_and_saveexec_b64 s[38:39], s[40:41]
	s_cbranch_execz .LBB2_174
; %bb.149:                              ;   in Loop: Header=BB2_7 Depth=1
	ds_read_b32 v4, v12 offset:4096
	s_waitcnt lgkmcnt(0)
	s_barrier
	v_readfirstlane_b32 s16, v4
	s_and_saveexec_b64 s[34:35], s[4:5]
; %bb.150:                              ;   in Loop: Header=BB2_7 Depth=1
	ds_write_b8 v0, v12 offset:3072
; %bb.151:                              ;   in Loop: Header=BB2_7 Depth=1
	s_or_b64 exec, exec, s[34:35]
	v_and_b32_e32 v4, v19, v3
	v_lshl_or_b32 v19, 2, v26, v4
	v_or_b32_e32 v27, v27, v1
	s_mov_b64 s[34:35], -1
	s_mov_b64 s[36:37], 0
	s_cmp_gt_i32 s16, 0
	s_mov_b64 s[42:43], 0
	s_mov_b64 s[44:45], -1
	s_waitcnt lgkmcnt(0)
	s_barrier
                                        ; implicit-def: $vgpr28
	s_cbranch_scc1 .LBB2_162
; %bb.152:                              ;   in Loop: Header=BB2_7 Depth=1
	s_mov_b64 s[44:45], 0
                                        ; implicit-def: $vgpr28
	s_mov_b64 s[46:47], exec
	v_readlane_b32 s48, v43, 42
	v_readlane_b32 s49, v43, 43
	s_and_b64 s[48:49], s[46:47], s[48:49]
	s_mov_b64 exec, s[48:49]
	s_cbranch_execz .LBB2_161
; %bb.153:                              ;   in Loop: Header=BB2_7 Depth=1
	v_mov_b32_e32 v4, v9
	v_mov_b32_e32 v28, v0
                                        ; implicit-def: $sgpr48_sgpr49
	s_branch .LBB2_156
.LBB2_154:                              ;   in Loop: Header=BB2_156 Depth=2
	s_or_b64 exec, exec, s[50:51]
	s_waitcnt lgkmcnt(0)
	s_barrier
	ds_read_u16 v30, v12 offset:3072
	s_mov_b64 s[50:51], -1
	s_waitcnt lgkmcnt(0)
	s_barrier
	v_cmp_ne_u32_sdwa s[52:53], v30, v12 src0_sel:BYTE_0 src1_sel:DWORD
	s_and_b64 vcc, exec, s[52:53]
	s_mov_b64 s[52:53], -1
	s_cbranch_vccz .LBB2_159
.LBB2_155:                              ;   in Loop: Header=BB2_156 Depth=2
	s_and_b64 s[50:51], exec, s[50:51]
	s_or_b64 s[42:43], s[50:51], s[42:43]
	s_andn2_b64 s[48:49], s[48:49], exec
	s_and_b64 s[50:51], s[52:53], exec
	s_or_b64 s[48:49], s[48:49], s[50:51]
	s_andn2_b64 exec, exec, s[42:43]
	s_cbranch_execz .LBB2_160
.LBB2_156:                              ;   Parent Loop BB2_7 Depth=1
                                        ; =>  This Inner Loop Header: Depth=2
	v_cmp_gt_i32_e32 vcc, s68, v28
	s_and_saveexec_b64 s[50:51], vcc
	s_cbranch_execz .LBB2_154
; %bb.157:                              ;   in Loop: Header=BB2_156 Depth=2
	v_ashrrev_i32_e32 v31, 31, v4
	v_mov_b32_e32 v32, s81
	v_add_co_u32_e32 v30, vcc, s80, v4
	v_addc_co_u32_e32 v31, vcc, v32, v31, vcc
	global_load_ubyte v30, v[30:31], off
	s_waitcnt vmcnt(0)
	v_and_b32_e32 v31, v30, v27
	v_cmp_eq_u32_sdwa s[52:53], v31, v19 src0_sel:BYTE_0 src1_sel:DWORD
	s_and_b64 exec, exec, s[52:53]
	s_cbranch_execz .LBB2_154
; %bb.158:                              ;   in Loop: Header=BB2_156 Depth=2
	v_lshlrev_b16_e32 v30, 8, v30
	v_or_b32_e32 v30, 1, v30
	ds_write_b16 v12, v30 offset:3072
	s_branch .LBB2_154
.LBB2_159:                              ;   in Loop: Header=BB2_156 Depth=2
	v_add_u32_e32 v28, s70, v28
	v_cmp_le_i32_e32 vcc, s93, v28
	v_add_u32_e32 v4, s18, v4
	s_mov_b64 s[52:53], 0
	s_orn2_b64 s[50:51], vcc, exec
	s_branch .LBB2_155
.LBB2_160:                              ;   in Loop: Header=BB2_7 Depth=1
	s_or_b64 exec, exec, s[42:43]
	v_lshrrev_b32_sdwa v28, v25, v30 dst_sel:DWORD dst_unused:UNUSED_PAD src0_sel:DWORD src1_sel:WORD_0
	s_and_b64 s[42:43], s[48:49], exec
.LBB2_161:                              ;   in Loop: Header=BB2_7 Depth=1
	s_or_b64 exec, exec, s[46:47]
.LBB2_162:                              ;   in Loop: Header=BB2_7 Depth=1
	s_and_b64 vcc, exec, s[44:45]
	s_cbranch_vccz .LBB2_173
; %bb.163:                              ;   in Loop: Header=BB2_7 Depth=1
	v_readlane_b32 s17, v43, 29
	s_add_i32 s17, s16, s17
	s_abs_i32 s34, s17
	v_readlane_b32 s35, v43, 41
	s_mul_hi_u32 s35, s34, s35
	s_mul_i32 s35, s35, s70
	s_sub_i32 s34, s34, s35
	s_ashr_i32 s19, s17, 31
	s_sub_i32 s35, s34, s70
	s_cmp_ge_u32 s34, s70
	s_cselect_b32 s34, s35, s34
	s_sub_i32 s35, s34, s70
	s_cmp_ge_u32 s34, s70
	s_cselect_b32 s34, s35, s34
	s_xor_b32 s34, s34, s19
	s_sub_i32 s19, s19, s34
	s_add_i32 s17, s17, s19
	v_cmp_gt_i32_e32 vcc, s17, v0
                                        ; implicit-def: $vgpr28
	s_and_saveexec_b64 s[34:35], vcc
	s_cbranch_execz .LBB2_172
; %bb.164:                              ;   in Loop: Header=BB2_7 Depth=1
	s_mov_b64 s[36:37], 0
	v_mov_b32_e32 v4, v0
                                        ; implicit-def: $sgpr44_sgpr45
	s_branch .LBB2_167
.LBB2_165:                              ;   in Loop: Header=BB2_167 Depth=2
	s_or_b64 exec, exec, s[46:47]
	s_waitcnt lgkmcnt(0)
	s_barrier
	ds_read_u16 v28, v12 offset:3072
	s_mov_b64 s[46:47], -1
	s_waitcnt lgkmcnt(0)
	s_barrier
	v_cmp_eq_u32_sdwa s[48:49], v28, v12 src0_sel:BYTE_0 src1_sel:DWORD
	s_and_b64 vcc, exec, s[48:49]
	s_mov_b64 s[48:49], -1
	s_cbranch_vccnz .LBB2_170
.LBB2_166:                              ;   in Loop: Header=BB2_167 Depth=2
	s_and_b64 s[46:47], exec, s[46:47]
	s_or_b64 s[36:37], s[46:47], s[36:37]
	s_andn2_b64 s[44:45], s[44:45], exec
	s_and_b64 s[46:47], s[48:49], exec
	s_or_b64 s[44:45], s[44:45], s[46:47]
	s_andn2_b64 exec, exec, s[36:37]
	s_cbranch_execz .LBB2_171
.LBB2_167:                              ;   Parent Loop BB2_7 Depth=1
                                        ; =>  This Inner Loop Header: Depth=2
	v_cmp_gt_i32_e32 vcc, s16, v4
	s_and_saveexec_b64 s[46:47], vcc
	s_cbranch_execz .LBB2_165
; %bb.168:                              ;   in Loop: Header=BB2_167 Depth=2
	ds_read_u8 v28, v4
	s_waitcnt lgkmcnt(0)
	v_and_b32_e32 v30, v28, v27
	v_cmp_eq_u32_sdwa s[48:49], v30, v19 src0_sel:BYTE_0 src1_sel:DWORD
	s_and_b64 exec, exec, s[48:49]
	s_cbranch_execz .LBB2_165
; %bb.169:                              ;   in Loop: Header=BB2_167 Depth=2
	v_lshlrev_b16_e32 v28, 8, v28
	v_or_b32_e32 v28, 1, v28
	ds_write_b16 v12, v28 offset:3072
	s_branch .LBB2_165
.LBB2_170:                              ;   in Loop: Header=BB2_167 Depth=2
	v_add_u32_e32 v4, s70, v4
	v_cmp_le_i32_e32 vcc, s17, v4
	s_mov_b64 s[48:49], 0
	s_orn2_b64 s[46:47], vcc, exec
	s_branch .LBB2_166
.LBB2_171:                              ;   in Loop: Header=BB2_7 Depth=1
	s_or_b64 exec, exec, s[36:37]
	s_andn2_b64 s[16:17], s[42:43], exec
	s_and_b64 s[36:37], s[44:45], exec
	v_lshrrev_b32_sdwa v28, v25, v28 dst_sel:DWORD dst_unused:UNUSED_PAD src0_sel:DWORD src1_sel:WORD_0
	s_or_b64 s[42:43], s[16:17], s[36:37]
.LBB2_172:                              ;   in Loop: Header=BB2_7 Depth=1
	s_or_b64 exec, exec, s[34:35]
	s_mov_b64 s[34:35], 0
	s_mov_b64 s[36:37], -1
.LBB2_173:                              ;   in Loop: Header=BB2_7 Depth=1
	s_orn2_b64 s[42:43], s[42:43], exec
.LBB2_174:                              ;   in Loop: Header=BB2_7 Depth=1
	s_or_b64 exec, exec, s[38:39]
	s_mov_b64 s[44:45], 0
	s_and_saveexec_b64 s[38:39], s[42:43]
	s_cbranch_execz .LBB2_224
; %bb.175:                              ;   in Loop: Header=BB2_7 Depth=1
	s_xor_b64 s[16:17], s[40:41], -1
	s_mov_b64 s[48:49], 0
	v_mov_b32_e32 v4, 1
	v_mov_b32_e32 v2, 1
	s_and_saveexec_b64 s[40:41], s[16:17]
	s_cbranch_execz .LBB2_184
; %bb.176:                              ;   in Loop: Header=BB2_7 Depth=1
	v_cmp_ge_i32_e32 vcc, s54, v29
	s_and_saveexec_b64 s[16:17], vcc
	s_xor_b64 s[42:43], exec, s[16:17]
	s_cbranch_execz .LBB2_181
; %bb.177:                              ;   in Loop: Header=BB2_7 Depth=1
	ds_read_b32 v2, v12 offset:4096
	v_and_b32_e32 v3, v19, v3
	v_lshl_or_b32 v19, 2, v26, v3
	v_or_b32_e32 v27, v27, v1
	s_waitcnt lgkmcnt(0)
	v_cmp_ne_u32_e32 vcc, 0, v2
	s_cbranch_vccnz .LBB2_181
; %bb.178:                              ;   in Loop: Header=BB2_7 Depth=1
	s_and_saveexec_b64 s[44:45], s[0:1]
; %bb.179:                              ;   in Loop: Header=BB2_7 Depth=1
	v_mov_b32_e32 v2, s54
	ds_write_b32 v12, v2 offset:4100
; %bb.180:                              ;   in Loop: Header=BB2_7 Depth=1
	s_or_b64 exec, exec, s[44:45]
	s_waitcnt lgkmcnt(0)
	s_barrier
.LBB2_181:                              ;   in Loop: Header=BB2_7 Depth=1
	s_or_saveexec_b64 s[42:43], s[42:43]
	s_mov_b64 s[44:45], 0
	v_mov_b32_e32 v2, 8
	s_xor_b64 exec, exec, s[42:43]
; %bb.182:                              ;   in Loop: Header=BB2_7 Depth=1
	s_mov_b64 s[44:45], exec
	v_subrev_u32_e32 v29, s54, v29
	v_mov_b32_e32 v2, 0
; %bb.183:                              ;   in Loop: Header=BB2_7 Depth=1
	s_or_b64 exec, exec, s[42:43]
	s_and_b64 s[48:49], s[44:45], exec
	v_mov_b32_e32 v4, v29
.LBB2_184:                              ;   in Loop: Header=BB2_7 Depth=1
	s_or_b64 exec, exec, s[40:41]
	s_mov_b64 s[46:47], -1
                                        ; implicit-def: $sgpr44_sgpr45
                                        ; implicit-def: $sgpr42_sgpr43
	s_and_saveexec_b64 s[40:41], s[48:49]
	s_cbranch_execz .LBB2_223
; %bb.185:                              ;   in Loop: Header=BB2_7 Depth=1
	s_cmp_eq_u32 s69, 1
	s_cselect_b64 s[16:17], -1, 0
	v_cmp_eq_u32_e32 vcc, 1, v4
	s_and_b64 s[46:47], s[16:17], vcc
	s_mov_b64 s[50:51], -1
                                        ; implicit-def: $sgpr44_sgpr45
                                        ; implicit-def: $sgpr42_sgpr43
	s_and_saveexec_b64 s[48:49], s[46:47]
	s_cbranch_execz .LBB2_211
; %bb.186:                              ;   in Loop: Header=BB2_7 Depth=1
	ds_read_b32 v3, v12 offset:4096
	s_waitcnt lgkmcnt(0)
	s_barrier
	v_readfirstlane_b32 s16, v3
	s_and_saveexec_b64 s[42:43], s[4:5]
; %bb.187:                              ;   in Loop: Header=BB2_7 Depth=1
	ds_write_b8 v0, v12 offset:3072
; %bb.188:                              ;   in Loop: Header=BB2_7 Depth=1
	s_or_b64 exec, exec, s[42:43]
	v_or_b32_e32 v19, v19, v1
	v_or_b32_e32 v27, v27, v1
	s_mov_b64 s[42:43], -1
	s_mov_b64 s[44:45], 0
	s_cmp_gt_i32 s16, 0
	s_mov_b64 s[50:51], 0
	s_mov_b64 s[52:53], -1
	s_waitcnt lgkmcnt(0)
	s_barrier
                                        ; implicit-def: $vgpr28
	s_cbranch_scc1 .LBB2_199
; %bb.189:                              ;   in Loop: Header=BB2_7 Depth=1
	s_mov_b64 s[52:53], 0
                                        ; implicit-def: $vgpr28
	s_mov_b64 s[54:55], exec
	v_readlane_b32 s56, v43, 42
	v_readlane_b32 s57, v43, 43
	s_and_b64 s[56:57], s[54:55], s[56:57]
	s_mov_b64 exec, s[56:57]
	s_cbranch_execz .LBB2_198
; %bb.190:                              ;   in Loop: Header=BB2_7 Depth=1
	v_mov_b32_e32 v3, v9
	v_mov_b32_e32 v28, v0
                                        ; implicit-def: $sgpr56_sgpr57
	s_branch .LBB2_193
.LBB2_191:                              ;   in Loop: Header=BB2_193 Depth=2
	s_or_b64 exec, exec, s[58:59]
	s_waitcnt lgkmcnt(0)
	s_barrier
	ds_read_u16 v29, v12 offset:3072
	s_mov_b64 s[58:59], -1
	s_waitcnt lgkmcnt(0)
	s_barrier
	v_cmp_ne_u32_sdwa s[72:73], v29, v12 src0_sel:BYTE_0 src1_sel:DWORD
	s_and_b64 vcc, exec, s[72:73]
	s_mov_b64 s[72:73], -1
	s_cbranch_vccz .LBB2_196
.LBB2_192:                              ;   in Loop: Header=BB2_193 Depth=2
	s_and_b64 s[58:59], exec, s[58:59]
	s_or_b64 s[50:51], s[58:59], s[50:51]
	s_andn2_b64 s[56:57], s[56:57], exec
	s_and_b64 s[58:59], s[72:73], exec
	s_or_b64 s[56:57], s[56:57], s[58:59]
	s_andn2_b64 exec, exec, s[50:51]
	s_cbranch_execz .LBB2_197
.LBB2_193:                              ;   Parent Loop BB2_7 Depth=1
                                        ; =>  This Inner Loop Header: Depth=2
	v_cmp_gt_i32_e32 vcc, s68, v28
	s_and_saveexec_b64 s[58:59], vcc
	s_cbranch_execz .LBB2_191
; %bb.194:                              ;   in Loop: Header=BB2_193 Depth=2
	v_ashrrev_i32_e32 v30, 31, v3
	v_mov_b32_e32 v31, s81
	v_add_co_u32_e32 v29, vcc, s80, v3
	v_addc_co_u32_e32 v30, vcc, v31, v30, vcc
	global_load_ubyte v29, v[29:30], off
	s_waitcnt vmcnt(0)
	v_and_b32_e32 v30, v29, v27
	v_cmp_eq_u32_sdwa s[72:73], v30, v19 src0_sel:BYTE_0 src1_sel:DWORD
	s_and_b64 exec, exec, s[72:73]
	s_cbranch_execz .LBB2_191
; %bb.195:                              ;   in Loop: Header=BB2_193 Depth=2
	v_lshlrev_b16_e32 v29, 8, v29
	v_or_b32_e32 v29, 1, v29
	ds_write_b16 v12, v29 offset:3072
	s_branch .LBB2_191
.LBB2_196:                              ;   in Loop: Header=BB2_193 Depth=2
	v_add_u32_e32 v28, s70, v28
	v_cmp_le_i32_e32 vcc, s93, v28
	v_add_u32_e32 v3, s18, v3
	s_mov_b64 s[72:73], 0
	s_orn2_b64 s[58:59], vcc, exec
	s_branch .LBB2_192
.LBB2_197:                              ;   in Loop: Header=BB2_7 Depth=1
	s_or_b64 exec, exec, s[50:51]
	v_lshrrev_b32_sdwa v28, v25, v29 dst_sel:DWORD dst_unused:UNUSED_PAD src0_sel:DWORD src1_sel:WORD_0
	s_and_b64 s[50:51], s[56:57], exec
.LBB2_198:                              ;   in Loop: Header=BB2_7 Depth=1
	s_or_b64 exec, exec, s[54:55]
.LBB2_199:                              ;   in Loop: Header=BB2_7 Depth=1
	s_and_b64 vcc, exec, s[52:53]
	s_cbranch_vccz .LBB2_210
; %bb.200:                              ;   in Loop: Header=BB2_7 Depth=1
	v_readlane_b32 s17, v43, 29
	s_add_i32 s17, s16, s17
	s_abs_i32 s42, s17
	v_readlane_b32 s43, v43, 41
	s_mul_hi_u32 s43, s42, s43
	s_mul_i32 s43, s43, s70
	s_sub_i32 s42, s42, s43
	s_ashr_i32 s19, s17, 31
	s_sub_i32 s43, s42, s70
	s_cmp_ge_u32 s42, s70
	s_cselect_b32 s42, s43, s42
	s_sub_i32 s43, s42, s70
	s_cmp_ge_u32 s42, s70
	s_cselect_b32 s42, s43, s42
	s_xor_b32 s42, s42, s19
	s_sub_i32 s19, s19, s42
	s_add_i32 s17, s17, s19
	v_cmp_gt_i32_e32 vcc, s17, v0
                                        ; implicit-def: $vgpr28
	s_and_saveexec_b64 s[42:43], vcc
	s_cbranch_execz .LBB2_209
; %bb.201:                              ;   in Loop: Header=BB2_7 Depth=1
	s_mov_b64 s[44:45], 0
	v_mov_b32_e32 v3, v0
                                        ; implicit-def: $sgpr52_sgpr53
	s_branch .LBB2_204
.LBB2_202:                              ;   in Loop: Header=BB2_204 Depth=2
	s_or_b64 exec, exec, s[54:55]
	s_waitcnt lgkmcnt(0)
	s_barrier
	ds_read_u16 v28, v12 offset:3072
	s_mov_b64 s[54:55], -1
	s_waitcnt lgkmcnt(0)
	s_barrier
	v_cmp_eq_u32_sdwa s[56:57], v28, v12 src0_sel:BYTE_0 src1_sel:DWORD
	s_and_b64 vcc, exec, s[56:57]
	s_mov_b64 s[56:57], -1
	s_cbranch_vccnz .LBB2_207
.LBB2_203:                              ;   in Loop: Header=BB2_204 Depth=2
	s_and_b64 s[54:55], exec, s[54:55]
	s_or_b64 s[44:45], s[54:55], s[44:45]
	s_andn2_b64 s[52:53], s[52:53], exec
	s_and_b64 s[54:55], s[56:57], exec
	s_or_b64 s[52:53], s[52:53], s[54:55]
	s_andn2_b64 exec, exec, s[44:45]
	s_cbranch_execz .LBB2_208
.LBB2_204:                              ;   Parent Loop BB2_7 Depth=1
                                        ; =>  This Inner Loop Header: Depth=2
	v_cmp_gt_i32_e32 vcc, s16, v3
	s_and_saveexec_b64 s[54:55], vcc
	s_cbranch_execz .LBB2_202
; %bb.205:                              ;   in Loop: Header=BB2_204 Depth=2
	ds_read_u8 v28, v3
	s_waitcnt lgkmcnt(0)
	v_and_b32_e32 v29, v28, v27
	v_cmp_eq_u32_sdwa s[56:57], v29, v19 src0_sel:BYTE_0 src1_sel:DWORD
	s_and_b64 exec, exec, s[56:57]
	s_cbranch_execz .LBB2_202
; %bb.206:                              ;   in Loop: Header=BB2_204 Depth=2
	v_lshlrev_b16_e32 v28, 8, v28
	v_or_b32_e32 v28, 1, v28
	ds_write_b16 v12, v28 offset:3072
	s_branch .LBB2_202
.LBB2_207:                              ;   in Loop: Header=BB2_204 Depth=2
	v_add_u32_e32 v3, s70, v3
	v_cmp_le_i32_e32 vcc, s17, v3
	s_mov_b64 s[56:57], 0
	s_orn2_b64 s[54:55], vcc, exec
	s_branch .LBB2_203
.LBB2_208:                              ;   in Loop: Header=BB2_7 Depth=1
	s_or_b64 exec, exec, s[44:45]
	s_andn2_b64 s[16:17], s[50:51], exec
	s_and_b64 s[44:45], s[52:53], exec
	v_lshrrev_b32_sdwa v28, v25, v28 dst_sel:DWORD dst_unused:UNUSED_PAD src0_sel:DWORD src1_sel:WORD_0
	s_or_b64 s[50:51], s[16:17], s[44:45]
.LBB2_209:                              ;   in Loop: Header=BB2_7 Depth=1
	s_or_b64 exec, exec, s[42:43]
	s_mov_b64 s[42:43], 0
	s_mov_b64 s[44:45], -1
.LBB2_210:                              ;   in Loop: Header=BB2_7 Depth=1
	s_orn2_b64 s[50:51], s[50:51], exec
.LBB2_211:                              ;   in Loop: Header=BB2_7 Depth=1
	s_or_b64 exec, exec, s[48:49]
	s_mov_b64 s[52:53], 0
	s_and_saveexec_b64 s[48:49], s[50:51]
	s_cbranch_execz .LBB2_222
; %bb.212:                              ;   in Loop: Header=BB2_7 Depth=1
	s_xor_b64 s[16:17], s[46:47], -1
	v_mov_b32_e32 v2, 1
	v_mov_b32_e32 v3, 1
	s_and_saveexec_b64 s[46:47], s[16:17]
	s_cbranch_execz .LBB2_221
; %bb.213:                              ;   in Loop: Header=BB2_7 Depth=1
	v_cmp_ge_i32_e32 vcc, s69, v4
	s_and_saveexec_b64 s[16:17], vcc
	s_xor_b64 s[50:51], exec, s[16:17]
	s_cbranch_execz .LBB2_218
; %bb.214:                              ;   in Loop: Header=BB2_7 Depth=1
	ds_read_b32 v2, v12 offset:4096
	v_or_b32_e32 v19, v19, v1
	v_or_b32_e32 v27, v27, v1
	s_waitcnt lgkmcnt(0)
	v_cmp_ne_u32_e32 vcc, 0, v2
	s_cbranch_vccnz .LBB2_218
; %bb.215:                              ;   in Loop: Header=BB2_7 Depth=1
	s_and_saveexec_b64 s[52:53], s[0:1]
; %bb.216:                              ;   in Loop: Header=BB2_7 Depth=1
	v_mov_b32_e32 v1, s69
	ds_write_b32 v12, v1 offset:4100
; %bb.217:                              ;   in Loop: Header=BB2_7 Depth=1
	s_or_b64 exec, exec, s[52:53]
	s_waitcnt lgkmcnt(0)
	s_barrier
.LBB2_218:                              ;   in Loop: Header=BB2_7 Depth=1
	s_andn2_saveexec_b64 s[50:51], s[50:51]
; %bb.219:                              ;   in Loop: Header=BB2_7 Depth=1
	v_subrev_u32_e32 v4, s69, v4
; %bb.220:                              ;   in Loop: Header=BB2_7 Depth=1
	s_or_b64 exec, exec, s[50:51]
	v_mov_b32_e32 v2, 8
	v_mov_b32_e32 v3, v4
.LBB2_221:                              ;   in Loop: Header=BB2_7 Depth=1
	s_or_b64 exec, exec, s[46:47]
	s_mov_b64 s[52:53], exec
	v_mov_b32_e32 v4, v3
.LBB2_222:                              ;   in Loop: Header=BB2_7 Depth=1
	s_or_b64 exec, exec, s[48:49]
	s_orn2_b64 s[46:47], s[52:53], exec
.LBB2_223:                              ;   in Loop: Header=BB2_7 Depth=1
	s_or_b64 exec, exec, s[40:41]
	s_andn2_b64 s[16:17], s[36:37], exec
	s_and_b64 s[36:37], s[44:45], exec
	s_or_b64 s[36:37], s[16:17], s[36:37]
	s_andn2_b64 s[16:17], s[34:35], exec
	s_and_b64 s[34:35], s[42:43], exec
	s_or_b64 s[34:35], s[16:17], s[34:35]
	s_and_b64 s[44:45], s[46:47], exec
	v_mov_b32_e32 v29, v4
.LBB2_224:                              ;   in Loop: Header=BB2_7 Depth=1
	s_or_b64 exec, exec, s[38:39]
	s_orn2_b64 s[38:39], s[44:45], exec
.LBB2_225:                              ;   in Loop: Header=BB2_7 Depth=1
	s_or_b64 exec, exec, s[30:31]
	s_andn2_b64 s[16:17], s[26:27], exec
	s_and_b64 s[26:27], s[36:37], exec
	s_or_b64 s[26:27], s[16:17], s[26:27]
	s_andn2_b64 s[16:17], s[24:25], exec
	s_and_b64 s[24:25], s[34:35], exec
	s_or_b64 s[24:25], s[16:17], s[24:25]
	s_and_b64 s[36:37], s[38:39], exec
	v_mov_b32_e32 v4, v29
.LBB2_226:                              ;   in Loop: Header=BB2_7 Depth=1
	s_or_b64 exec, exec, s[28:29]
	s_orn2_b64 s[28:29], s[36:37], exec
.LBB2_227:                              ;   in Loop: Header=BB2_7 Depth=1
	s_or_b64 exec, exec, s[22:23]
	s_mov_b64 s[30:31], 0
                                        ; implicit-def: $sgpr16
	s_and_saveexec_b64 s[22:23], s[28:29]
	s_xor_b64 s[22:23], exec, s[22:23]
	s_cbranch_execz .LBB2_5
; %bb.228:                              ;   in Loop: Header=BB2_7 Depth=1
	v_and_b32_e32 v1, 7, v2
	v_cmp_eq_u32_e32 vcc, 0, v1
	s_mov_b64 s[20:21], -1
	s_mov_b64 s[28:29], -1
                                        ; implicit-def: $sgpr16
	s_and_saveexec_b64 s[30:31], vcc
	s_cbranch_execz .LBB2_4
; %bb.229:                              ;   in Loop: Header=BB2_7 Depth=1
	v_add_u32_e32 v1, -2, v26
	v_cmp_eq_u32_e32 vcc, 0, v26
	s_xor_b32 s16, s90, 1
	s_xor_b64 s[28:29], exec, -1
	s_orn2_b64 s[20:21], vcc, exec
	v_mov_b32_e32 v26, v1
	s_branch .LBB2_4
.LBB2_230:
	s_or_b64 exec, exec, s[94:95]
	s_xor_b64 s[8:9], s[60:61], -1
	s_xor_b64 s[2:3], s[74:75], -1
	;; [unrolled: 1-line block ×3, first 2 shown]
	s_mov_b64 s[4:5], 0
	s_and_saveexec_b64 s[10:11], s[2:3]
	s_xor_b64 s[2:3], exec, s[10:11]
	s_cbranch_execnz .LBB2_235
; %bb.231:
	s_andn2_saveexec_b64 s[0:1], s[2:3]
	s_cbranch_execnz .LBB2_255
.LBB2_232:
	s_or_b64 exec, exec, s[0:1]
	s_and_saveexec_b64 s[0:1], s[4:5]
.LBB2_233:
	; divergent unreachable
.LBB2_234:
	s_endpgm
.LBB2_235:
	s_and_saveexec_b64 s[4:5], s[8:9]
	s_xor_b64 s[4:5], exec, s[4:5]
	s_cbranch_execz .LBB2_253
; %bb.236:
	s_and_saveexec_b64 s[8:9], s[6:7]
	s_xor_b64 s[6:7], exec, s[8:9]
; %bb.237:
	v_mov_b32_e32 v28, v19
; %bb.238:
	s_or_b64 exec, exec, s[6:7]
	s_and_saveexec_b64 s[6:7], s[0:1]
	v_readlane_b32 s22, v43, 20
	v_readlane_b32 s24, v43, 25
	;; [unrolled: 1-line block ×7, first 2 shown]
; %bb.239:
	v_mov_b32_e32 v1, 0
	v_mov_b32_e32 v2, s68
	ds_write_b32 v1, v2 offset:4108
; %bb.240:
	s_or_b64 exec, exec, s[6:7]
	v_mov_b32_e32 v1, 0
	s_waitcnt lgkmcnt(0)
	s_barrier
	ds_read_b32 v1, v1 offset:4108
	s_waitcnt lgkmcnt(0)
	v_min_i32_e32 v2, s68, v1
	v_cmp_lt_i32_e32 vcc, v0, v2
	s_and_saveexec_b64 s[6:7], vcc
	s_cbranch_execz .LBB2_250
; %bb.241:
	s_mov_b64 s[8:9], 0
	v_mov_b32_e32 v3, s81
                                        ; implicit-def: $sgpr10_sgpr11
                                        ; implicit-def: $sgpr14_sgpr15
                                        ; implicit-def: $sgpr12_sgpr13
	s_branch .LBB2_243
.LBB2_242:                              ;   in Loop: Header=BB2_243 Depth=1
	s_or_b64 exec, exec, s[16:17]
	s_and_b64 s[16:17], exec, s[14:15]
	s_or_b64 s[8:9], s[16:17], s[8:9]
	s_andn2_b64 s[10:11], s[10:11], exec
	s_and_b64 s[16:17], s[12:13], exec
	s_or_b64 s[10:11], s[10:11], s[16:17]
	s_andn2_b64 exec, exec, s[8:9]
	s_cbranch_execz .LBB2_245
.LBB2_243:                              ; =>This Inner Loop Header: Depth=1
	v_ashrrev_i32_e32 v1, 31, v9
	v_add_co_u32_e32 v4, vcc, s80, v9
	v_addc_co_u32_e32 v5, vcc, v3, v1, vcc
	global_load_ubyte v4, v[4:5], off
	v_mov_b32_e32 v1, v0
	s_or_b64 s[12:13], s[12:13], exec
	s_or_b64 s[14:15], s[14:15], exec
                                        ; implicit-def: $vgpr0
	s_waitcnt vmcnt(0)
	v_cmp_ne_u16_sdwa s[20:21], v4, v28 src0_sel:DWORD src1_sel:BYTE_0
	s_and_saveexec_b64 s[16:17], s[20:21]
	s_cbranch_execz .LBB2_242
; %bb.244:                              ;   in Loop: Header=BB2_243 Depth=1
	v_add_u32_e32 v0, s70, v1
	v_cmp_ge_i32_e32 vcc, v0, v2
	s_andn2_b64 s[14:15], s[14:15], exec
	s_and_b64 s[20:21], vcc, exec
	v_add_u32_e32 v9, s18, v9
	s_andn2_b64 s[12:13], s[12:13], exec
	s_or_b64 s[14:15], s[14:15], s[20:21]
	s_branch .LBB2_242
.LBB2_245:
	s_or_b64 exec, exec, s[8:9]
	s_and_saveexec_b64 s[8:9], s[10:11]
	s_xor_b64 s[8:9], exec, s[8:9]
	s_cbranch_execz .LBB2_250
; %bb.246:
	s_mov_b64 s[8:9], exec
	s_brev_b32 s10, -2
.LBB2_247:                              ; =>This Inner Loop Header: Depth=1
	s_ff1_i32_b64 s11, s[8:9]
	v_readlane_b32 s14, v1, s11
	s_lshl_b64 s[12:13], 1, s11
	s_min_i32 s10, s10, s14
	s_andn2_b64 s[8:9], s[8:9], s[12:13]
	s_cmp_lg_u64 s[8:9], 0
	s_cbranch_scc1 .LBB2_247
; %bb.248:
	v_mbcnt_lo_u32_b32 v0, exec_lo, 0
	v_mbcnt_hi_u32_b32 v0, exec_hi, v0
	v_cmp_eq_u32_e32 vcc, 0, v0
	s_and_saveexec_b64 s[8:9], vcc
	s_xor_b64 s[8:9], exec, s[8:9]
; %bb.249:
	v_mov_b32_e32 v0, 0
	v_mov_b32_e32 v1, s10
	ds_min_i32 v0, v1 offset:4108
.LBB2_250:
	s_or_b64 exec, exec, s[6:7]
	s_waitcnt lgkmcnt(0)
	s_barrier
	s_and_saveexec_b64 s[6:7], s[0:1]
	s_cbranch_execz .LBB2_252
; %bb.251:
	v_readlane_b32 s8, v43, 0
	s_mul_i32 s0, s26, s23
	v_readlane_b32 s10, v43, 2
	s_sub_i32 s0, s19, s0
	v_readlane_b32 s9, v43, 1
	v_readlane_b32 s11, v43, 3
	s_mov_b32 s14, s10
	s_mov_b64 s[12:13], s[8:9]
	s_mul_i32 s0, s0, s14
	v_readlane_b32 s1, v43, 19
	v_readlane_b32 s8, v43, 22
	;; [unrolled: 1-line block ×4, first 2 shown]
	s_xor_b32 s1, s1, s8
	s_mul_i32 s8, s14, s11
	v_readlane_b32 s9, v43, 13
	s_sub_i32 s8, s9, s8
	s_add_i32 s9, s14, 1
	s_sub_i32 s10, s8, s11
	s_cmp_ge_u32 s8, s11
	s_cselect_b32 s9, s9, s14
	s_cselect_b32 s8, s10, s8
	s_add_i32 s10, s9, 1
	s_cmp_ge_u32 s8, s11
	s_cselect_b32 s8, s10, s9
	s_xor_b32 s8, s8, s1
	s_sub_i32 s1, s8, s1
	s_mul_i32 s8, s1, s22
	s_sub_i32 s8, s26, s8
	s_mul_i32 s8, s8, s13
	s_add_i32 s0, s8, s0
	s_mul_i32 s1, s1, s12
	v_readlane_b32 s8, v43, 4
	s_add_i32 s1, s0, s1
	s_mul_i32 s0, s27, s25
	v_readlane_b32 s10, v43, 6
	s_sub_i32 s0, s19, s0
	v_readlane_b32 s9, v43, 5
	s_mov_b32 s14, s10
	s_mov_b64 s[12:13], s[8:9]
	s_mul_i32 s0, s0, s14
	v_readlane_b32 s8, v43, 24
	v_readlane_b32 s9, v43, 27
	;; [unrolled: 1-line block ×4, first 2 shown]
	s_xor_b32 s8, s8, s9
	s_mul_i32 s9, s15, s14
	v_readlane_b32 s10, v43, 16
	v_readlane_b32 s11, v43, 7
	s_sub_i32 s9, s10, s9
	s_add_i32 s10, s15, 1
	s_sub_i32 s11, s9, s14
	s_cmp_ge_u32 s9, s14
	s_cselect_b32 s10, s10, s15
	s_cselect_b32 s9, s11, s9
	s_add_i32 s11, s10, 1
	s_cmp_ge_u32 s9, s14
	s_cselect_b32 s9, s11, s10
	s_xor_b32 s9, s9, s8
	s_sub_i32 s8, s9, s8
	s_mul_i32 s9, s8, s24
	s_sub_i32 s9, s27, s9
	s_mul_i32 s9, s9, s13
	s_add_i32 s0, s9, s0
	s_mul_i32 s8, s8, s12
	v_mov_b32_e32 v2, 0
	s_add_i32 s0, s0, s8
	s_ashr_i32 s9, s1, 31
	v_readlane_b32 s10, v43, 11
	ds_read_b32 v0, v2 offset:4108
	v_readlane_b32 s11, v43, 12
	s_add_u32 s8, s10, s1
	s_addc_u32 s9, s11, s9
	s_ashr_i32 s1, s0, 31
	s_lshl_b64 s[0:1], s[0:1], 3
	v_readlane_b32 s10, v43, 8
	v_readlane_b32 s11, v43, 9
	s_add_u32 s0, s10, s0
	s_addc_u32 s1, s11, s1
	s_waitcnt lgkmcnt(0)
	v_ashrrev_i32_e32 v1, 31, v0
	global_store_dwordx2 v2, v[0:1], s[0:1]
	global_store_byte v2, v28, s[8:9]
.LBB2_252:
	s_or_b64 exec, exec, s[6:7]
.LBB2_253:
	s_or_saveexec_b64 s[0:1], s[4:5]
	s_mov_b64 s[4:5], 0
	s_xor_b64 exec, exec, s[0:1]
	s_cbranch_execnz .LBB2_256
.LBB2_254:
	s_or_b64 exec, exec, s[0:1]
	s_and_b64 s[4:5], s[4:5], exec
	s_andn2_saveexec_b64 s[0:1], s[2:3]
	s_cbranch_execz .LBB2_232
.LBB2_255:
	s_or_b64 s[4:5], s[4:5], exec
	s_trap 2
	s_or_b64 exec, exec, s[0:1]
	s_and_saveexec_b64 s[0:1], s[4:5]
	s_cbranch_execnz .LBB2_233
	s_branch .LBB2_234
.LBB2_256:
	s_mov_b64 s[4:5], exec
	s_trap 2
	s_branch .LBB2_254
	.section	.rodata,"a",@progbits
	.p2align	6, 0x0
	.amdhsa_kernel _ZN2at6native12_GLOBAL__N_114gatherKthValueIhiLi3EEEvNS_4cuda6detail10TensorInfoIKT_T0_EES8_S8_S8_S8_NS5_IS6_S8_EENS5_IlS8_EE
		.amdhsa_group_segment_fixed_size 4112
		.amdhsa_private_segment_fixed_size 0
		.amdhsa_kernarg_size 920
		.amdhsa_user_sgpr_count 6
		.amdhsa_user_sgpr_private_segment_buffer 1
		.amdhsa_user_sgpr_dispatch_ptr 0
		.amdhsa_user_sgpr_queue_ptr 0
		.amdhsa_user_sgpr_kernarg_segment_ptr 1
		.amdhsa_user_sgpr_dispatch_id 0
		.amdhsa_user_sgpr_flat_scratch_init 0
		.amdhsa_user_sgpr_private_segment_size 0
		.amdhsa_uses_dynamic_stack 0
		.amdhsa_system_sgpr_private_segment_wavefront_offset 0
		.amdhsa_system_sgpr_workgroup_id_x 1
		.amdhsa_system_sgpr_workgroup_id_y 1
		.amdhsa_system_sgpr_workgroup_id_z 1
		.amdhsa_system_sgpr_workgroup_info 0
		.amdhsa_system_vgpr_workitem_id 0
		.amdhsa_next_free_vgpr 44
		.amdhsa_next_free_sgpr 96
		.amdhsa_reserve_vcc 1
		.amdhsa_reserve_flat_scratch 0
		.amdhsa_float_round_mode_32 0
		.amdhsa_float_round_mode_16_64 0
		.amdhsa_float_denorm_mode_32 3
		.amdhsa_float_denorm_mode_16_64 3
		.amdhsa_dx10_clamp 1
		.amdhsa_ieee_mode 1
		.amdhsa_fp16_overflow 0
		.amdhsa_exception_fp_ieee_invalid_op 0
		.amdhsa_exception_fp_denorm_src 0
		.amdhsa_exception_fp_ieee_div_zero 0
		.amdhsa_exception_fp_ieee_overflow 0
		.amdhsa_exception_fp_ieee_underflow 0
		.amdhsa_exception_fp_ieee_inexact 0
		.amdhsa_exception_int_div_zero 0
	.end_amdhsa_kernel
	.section	.text._ZN2at6native12_GLOBAL__N_114gatherKthValueIhiLi3EEEvNS_4cuda6detail10TensorInfoIKT_T0_EES8_S8_S8_S8_NS5_IS6_S8_EENS5_IlS8_EE,"axG",@progbits,_ZN2at6native12_GLOBAL__N_114gatherKthValueIhiLi3EEEvNS_4cuda6detail10TensorInfoIKT_T0_EES8_S8_S8_S8_NS5_IS6_S8_EENS5_IlS8_EE,comdat
.Lfunc_end2:
	.size	_ZN2at6native12_GLOBAL__N_114gatherKthValueIhiLi3EEEvNS_4cuda6detail10TensorInfoIKT_T0_EES8_S8_S8_S8_NS5_IS6_S8_EENS5_IlS8_EE, .Lfunc_end2-_ZN2at6native12_GLOBAL__N_114gatherKthValueIhiLi3EEEvNS_4cuda6detail10TensorInfoIKT_T0_EES8_S8_S8_S8_NS5_IS6_S8_EENS5_IlS8_EE
                                        ; -- End function
	.set _ZN2at6native12_GLOBAL__N_114gatherKthValueIhiLi3EEEvNS_4cuda6detail10TensorInfoIKT_T0_EES8_S8_S8_S8_NS5_IS6_S8_EENS5_IlS8_EE.num_vgpr, 44
	.set _ZN2at6native12_GLOBAL__N_114gatherKthValueIhiLi3EEEvNS_4cuda6detail10TensorInfoIKT_T0_EES8_S8_S8_S8_NS5_IS6_S8_EENS5_IlS8_EE.num_agpr, 0
	.set _ZN2at6native12_GLOBAL__N_114gatherKthValueIhiLi3EEEvNS_4cuda6detail10TensorInfoIKT_T0_EES8_S8_S8_S8_NS5_IS6_S8_EENS5_IlS8_EE.numbered_sgpr, 96
	.set _ZN2at6native12_GLOBAL__N_114gatherKthValueIhiLi3EEEvNS_4cuda6detail10TensorInfoIKT_T0_EES8_S8_S8_S8_NS5_IS6_S8_EENS5_IlS8_EE.num_named_barrier, 0
	.set _ZN2at6native12_GLOBAL__N_114gatherKthValueIhiLi3EEEvNS_4cuda6detail10TensorInfoIKT_T0_EES8_S8_S8_S8_NS5_IS6_S8_EENS5_IlS8_EE.private_seg_size, 0
	.set _ZN2at6native12_GLOBAL__N_114gatherKthValueIhiLi3EEEvNS_4cuda6detail10TensorInfoIKT_T0_EES8_S8_S8_S8_NS5_IS6_S8_EENS5_IlS8_EE.uses_vcc, 1
	.set _ZN2at6native12_GLOBAL__N_114gatherKthValueIhiLi3EEEvNS_4cuda6detail10TensorInfoIKT_T0_EES8_S8_S8_S8_NS5_IS6_S8_EENS5_IlS8_EE.uses_flat_scratch, 0
	.set _ZN2at6native12_GLOBAL__N_114gatherKthValueIhiLi3EEEvNS_4cuda6detail10TensorInfoIKT_T0_EES8_S8_S8_S8_NS5_IS6_S8_EENS5_IlS8_EE.has_dyn_sized_stack, 0
	.set _ZN2at6native12_GLOBAL__N_114gatherKthValueIhiLi3EEEvNS_4cuda6detail10TensorInfoIKT_T0_EES8_S8_S8_S8_NS5_IS6_S8_EENS5_IlS8_EE.has_recursion, 0
	.set _ZN2at6native12_GLOBAL__N_114gatherKthValueIhiLi3EEEvNS_4cuda6detail10TensorInfoIKT_T0_EES8_S8_S8_S8_NS5_IS6_S8_EENS5_IlS8_EE.has_indirect_call, 0
	.section	.AMDGPU.csdata,"",@progbits
; Kernel info:
; codeLenInByte = 9828
; TotalNumSgprs: 100
; NumVgprs: 44
; ScratchSize: 0
; MemoryBound: 0
; FloatMode: 240
; IeeeMode: 1
; LDSByteSize: 4112 bytes/workgroup (compile time only)
; SGPRBlocks: 12
; VGPRBlocks: 10
; NumSGPRsForWavesPerEU: 100
; NumVGPRsForWavesPerEU: 44
; Occupancy: 5
; WaveLimiterHint : 1
; COMPUTE_PGM_RSRC2:SCRATCH_EN: 0
; COMPUTE_PGM_RSRC2:USER_SGPR: 6
; COMPUTE_PGM_RSRC2:TRAP_HANDLER: 0
; COMPUTE_PGM_RSRC2:TGID_X_EN: 1
; COMPUTE_PGM_RSRC2:TGID_Y_EN: 1
; COMPUTE_PGM_RSRC2:TGID_Z_EN: 1
; COMPUTE_PGM_RSRC2:TIDIG_COMP_CNT: 0
	.section	.text._ZN2at6native12_GLOBAL__N_114gatherKthValueIhiLin1EEEvNS_4cuda6detail10TensorInfoIKT_T0_EES8_S8_S8_S8_NS5_IS6_S8_EENS5_IlS8_EE,"axG",@progbits,_ZN2at6native12_GLOBAL__N_114gatherKthValueIhiLin1EEEvNS_4cuda6detail10TensorInfoIKT_T0_EES8_S8_S8_S8_NS5_IS6_S8_EENS5_IlS8_EE,comdat
	.globl	_ZN2at6native12_GLOBAL__N_114gatherKthValueIhiLin1EEEvNS_4cuda6detail10TensorInfoIKT_T0_EES8_S8_S8_S8_NS5_IS6_S8_EENS5_IlS8_EE ; -- Begin function _ZN2at6native12_GLOBAL__N_114gatherKthValueIhiLin1EEEvNS_4cuda6detail10TensorInfoIKT_T0_EES8_S8_S8_S8_NS5_IS6_S8_EENS5_IlS8_EE
	.p2align	8
	.type	_ZN2at6native12_GLOBAL__N_114gatherKthValueIhiLin1EEEvNS_4cuda6detail10TensorInfoIKT_T0_EES8_S8_S8_S8_NS5_IS6_S8_EENS5_IlS8_EE,@function
_ZN2at6native12_GLOBAL__N_114gatherKthValueIhiLin1EEEvNS_4cuda6detail10TensorInfoIKT_T0_EES8_S8_S8_S8_NS5_IS6_S8_EENS5_IlS8_EE: ; @_ZN2at6native12_GLOBAL__N_114gatherKthValueIhiLin1EEEvNS_4cuda6detail10TensorInfoIKT_T0_EES8_S8_S8_S8_NS5_IS6_S8_EENS5_IlS8_EE
; %bb.0:
	s_load_dwordx2 s[12:13], s[4:5], 0x298
	s_load_dwordx4 s[60:63], s[4:5], 0xd8
	s_add_u32 s10, s4, 0x298
	s_addc_u32 s11, s5, 0
	s_waitcnt lgkmcnt(0)
	s_mul_i32 s0, s13, s8
	s_add_i32 s0, s0, s7
	s_mul_i32 s0, s0, s12
	s_add_i32 s33, s0, s6
	s_cmp_ge_i32 s33, s62
	s_cbranch_scc1 .LBB3_243
; %bb.1:
	s_load_dword s0, s[4:5], 0xd0
	s_mov_b32 s3, 0
	s_mov_b32 s2, s33
	s_waitcnt lgkmcnt(0)
	s_cmp_lt_i32 s0, 2
	s_cbranch_scc1 .LBB3_4
; %bb.2:
	s_add_i32 s2, s0, -1
	s_add_i32 s7, s0, 1
	s_lshl_b64 s[0:1], s[2:3], 2
	s_add_u32 s0, s4, s0
	s_addc_u32 s1, s5, s1
	s_add_u32 s0, s0, 8
	s_addc_u32 s1, s1, 0
	s_mov_b32 s2, s33
.LBB3_3:                                ; =>This Inner Loop Header: Depth=1
	s_load_dword s8, s[0:1], 0x0
	s_load_dword s13, s[0:1], 0x64
	s_mov_b32 s9, s2
	s_abs_i32 s2, s2
	s_waitcnt lgkmcnt(0)
	s_abs_i32 s15, s8
	v_cvt_f32_u32_e32 v1, s15
	s_sub_i32 s16, 0, s15
	s_xor_b32 s14, s9, s8
	s_ashr_i32 s14, s14, 31
	v_rcp_iflag_f32_e32 v1, v1
	v_mul_f32_e32 v1, 0x4f7ffffe, v1
	v_cvt_u32_f32_e32 v1, v1
	v_readfirstlane_b32 s17, v1
	s_mul_i32 s16, s16, s17
	s_mul_hi_u32 s16, s17, s16
	s_add_i32 s17, s17, s16
	s_mul_hi_u32 s16, s2, s17
	s_mul_i32 s17, s16, s15
	s_sub_i32 s2, s2, s17
	s_add_i32 s18, s16, 1
	s_sub_i32 s17, s2, s15
	s_cmp_ge_u32 s2, s15
	s_cselect_b32 s16, s18, s16
	s_cselect_b32 s2, s17, s2
	s_add_i32 s17, s16, 1
	s_cmp_ge_u32 s2, s15
	s_cselect_b32 s2, s17, s16
	s_xor_b32 s2, s2, s14
	s_sub_i32 s2, s2, s14
	s_mul_i32 s8, s2, s8
	s_sub_i32 s8, s9, s8
	s_mul_i32 s8, s13, s8
	s_add_i32 s7, s7, -1
	s_add_i32 s3, s8, s3
	s_add_u32 s0, s0, -4
	s_addc_u32 s1, s1, -1
	s_cmp_gt_u32 s7, 2
	s_cbranch_scc1 .LBB3_3
.LBB3_4:
	s_load_dword s8, s[4:5], 0x1b8
	s_add_u32 s0, s4, 0xe8
	s_addc_u32 s1, s5, 0
	s_mov_b32 s65, 0
	s_mov_b32 s62, s33
	s_waitcnt lgkmcnt(0)
	s_cmp_lt_i32 s8, 2
	s_cbranch_scc1 .LBB3_7
; %bb.5:
	s_add_i32 s64, s8, -1
	s_add_i32 s7, s8, 1
	s_lshl_b64 s[8:9], s[64:65], 2
	s_add_u32 s8, s0, s8
	s_addc_u32 s9, s1, s9
	s_add_u32 s8, s8, 8
	s_addc_u32 s9, s9, 0
	s_mov_b32 s62, s33
.LBB3_6:                                ; =>This Inner Loop Header: Depth=1
	s_load_dword s13, s[8:9], 0x0
	s_load_dword s15, s[8:9], 0x64
	s_abs_i32 s16, s62
	s_mov_b32 s14, s62
	s_waitcnt lgkmcnt(0)
	s_abs_i32 s18, s13
	v_cvt_f32_u32_e32 v1, s18
	s_sub_i32 s19, 0, s18
	s_xor_b32 s17, s62, s13
	s_ashr_i32 s17, s17, 31
	v_rcp_iflag_f32_e32 v1, v1
	v_mul_f32_e32 v1, 0x4f7ffffe, v1
	v_cvt_u32_f32_e32 v1, v1
	v_readfirstlane_b32 s20, v1
	s_mul_i32 s19, s19, s20
	s_mul_hi_u32 s19, s20, s19
	s_add_i32 s20, s20, s19
	s_mul_hi_u32 s19, s16, s20
	s_mul_i32 s20, s19, s18
	s_sub_i32 s16, s16, s20
	s_add_i32 s21, s19, 1
	s_sub_i32 s20, s16, s18
	s_cmp_ge_u32 s16, s18
	s_cselect_b32 s19, s21, s19
	s_cselect_b32 s16, s20, s16
	s_add_i32 s20, s19, 1
	s_cmp_ge_u32 s16, s18
	s_cselect_b32 s16, s20, s19
	s_xor_b32 s16, s16, s17
	s_sub_i32 s62, s16, s17
	s_mul_i32 s13, s62, s13
	s_sub_i32 s13, s14, s13
	s_mul_i32 s13, s15, s13
	s_add_i32 s7, s7, -1
	s_add_i32 s65, s13, s65
	s_add_u32 s8, s8, -4
	s_addc_u32 s9, s9, -1
	s_cmp_gt_u32 s7, 2
	s_cbranch_scc1 .LBB3_6
.LBB3_7:
	s_load_dword s7, s[4:5], 0x6c
	s_load_dword s14, s[4:5], 0x290
	s_add_u32 s8, s4, 0x1c0
	s_addc_u32 s9, s5, 0
	s_mov_b32 s67, 0
	s_waitcnt lgkmcnt(0)
	s_cmp_lt_i32 s14, 2
	s_cbranch_scc1 .LBB3_10
; %bb.8:
	s_add_i32 s66, s14, -1
	s_add_i32 s13, s14, 1
	s_lshl_b64 s[14:15], s[66:67], 2
	s_add_u32 s8, s8, s14
	s_addc_u32 s9, s9, s15
	s_add_u32 s8, s8, 8
	s_addc_u32 s9, s9, 0
.LBB3_9:                                ; =>This Inner Loop Header: Depth=1
	s_load_dword s14, s[8:9], 0x0
	s_load_dword s16, s[8:9], 0x64
	s_abs_i32 s17, s33
	s_mov_b32 s15, s33
	s_waitcnt lgkmcnt(0)
	s_abs_i32 s19, s14
	v_cvt_f32_u32_e32 v1, s19
	s_sub_i32 s20, 0, s19
	s_xor_b32 s18, s33, s14
	s_ashr_i32 s18, s18, 31
	v_rcp_iflag_f32_e32 v1, v1
	v_mul_f32_e32 v1, 0x4f7ffffe, v1
	v_cvt_u32_f32_e32 v1, v1
	v_readfirstlane_b32 s21, v1
	s_mul_i32 s20, s20, s21
	s_mul_hi_u32 s20, s21, s20
	s_add_i32 s21, s21, s20
	s_mul_hi_u32 s20, s17, s21
	s_mul_i32 s21, s20, s19
	s_sub_i32 s17, s17, s21
	s_add_i32 s22, s20, 1
	s_sub_i32 s21, s17, s19
	s_cmp_ge_u32 s17, s19
	s_cselect_b32 s20, s22, s20
	s_cselect_b32 s17, s21, s17
	s_add_i32 s21, s20, 1
	s_cmp_ge_u32 s17, s19
	s_cselect_b32 s17, s21, s20
	s_xor_b32 s17, s17, s18
	s_sub_i32 s33, s17, s18
	s_mul_i32 s14, s33, s14
	s_sub_i32 s14, s15, s14
	s_mul_i32 s14, s16, s14
	s_add_i32 s13, s13, -1
	s_add_i32 s67, s14, s67
	s_add_u32 s8, s8, -4
	s_addc_u32 s9, s9, -1
	s_cmp_gt_u32 s13, 2
	s_cbranch_scc1 .LBB3_9
.LBB3_10:
	s_load_dword s0, s[0:1], 0x6c
                                        ; implicit-def: $vgpr43 : SGPR spill to VGPR lane
	s_mov_b32 s85, 0
	s_waitcnt lgkmcnt(0)
	v_writelane_b32 v43, s0, 0
	s_load_dwordx2 s[8:9], s[4:5], 0x0
	s_load_dwordx2 s[0:1], s[4:5], 0xe8
	s_waitcnt lgkmcnt(0)
	v_writelane_b32 v43, s0, 1
	v_writelane_b32 v43, s1, 2
	s_load_dwordx2 s[0:1], s[4:5], 0x1c0
	s_waitcnt lgkmcnt(0)
	v_writelane_b32 v43, s0, 3
	v_writelane_b32 v43, s1, 4
	v_cmp_eq_u32_e64 s[0:1], 0, v0
	s_mov_b64 s[14:15], exec
	v_writelane_b32 v43, s0, 5
	v_writelane_b32 v43, s1, 6
	s_and_b64 s[0:1], s[14:15], s[0:1]
	s_mov_b64 exec, s[0:1]
; %bb.11:
	v_mov_b32_e32 v1, 0
	v_mov_b32_e32 v2, s60
	;; [unrolled: 1-line block ×3, first 2 shown]
	ds_write_b96 v1, v[1:3] offset:4096
; %bb.12:
	s_or_b64 exec, exec, s[14:15]
	s_load_dword s0, s[4:5], 0x22c
	s_waitcnt lgkmcnt(0)
	s_barrier
	s_load_dword s1, s[10:11], 0xc
	v_writelane_b32 v43, s0, 7
	s_mul_i32 s0, s7, s2
	s_add_i32 s0, s0, s3
	v_mul_lo_u32 v9, s63, v0
	s_ashr_i32 s2, s0, 31
	v_mbcnt_lo_u32_b32 v1, -1, 0
	s_add_u32 s72, s8, s0
	v_mbcnt_hi_u32_b32 v11, -1, v1
	s_addc_u32 s73, s9, s2
	s_waitcnt lgkmcnt(0)
	s_and_b32 s64, s1, 0xffff
	v_cmp_gt_u32_e32 vcc, 64, v0
	v_cmp_gt_i32_e64 s[4:5], 4, v11
	s_bfe_u32 s0, s1, 0xa0006
	s_and_b64 s[74:75], vcc, s[4:5]
	s_add_i32 s1, s64, -1
	v_mov_b32_e32 v1, s73
	v_add_co_u32_e32 v5, vcc, s72, v9
	s_lshl_b32 s66, s64, 2
	s_add_i32 s17, s1, s60
	v_addc_co_u32_e32 v6, vcc, 0, v1, vcc
	v_lshlrev_b64 v[1:2], v11, -1
	s_cmpk_gt_i32 s60, 0xc00
	v_writelane_b32 v43, s1, 8
	s_cselect_b64 s[8:9], -1, 0
	v_not_b32_e32 v15, v1
	v_lshrrev_b32_e32 v1, 2, v0
	v_writelane_b32 v43, s8, 9
	v_and_b32_e32 v1, 0xf0, v1
	v_writelane_b32 v43, s9, 10
	v_cmp_gt_u32_e64 s[8:9], s60, v0
	s_cmp_gt_u32 s64, 63
	v_or_b32_e32 v16, 0xc00, v1
	v_cvt_f32_u32_e32 v1, s66
	v_writelane_b32 v43, s8, 11
	s_cselect_b64 s[78:79], -1, 0
	s_cmp_lt_u32 s6, s12
	v_writelane_b32 v43, s9, 12
	v_cmp_gt_i32_e64 s[8:9], s60, v0
	s_cselect_b32 s1, 12, 18
	v_writelane_b32 v43, s8, 13
	s_add_u32 s6, s10, s1
	v_writelane_b32 v43, s9, 14
	s_addc_u32 s7, s11, 0
	v_rcp_iflag_f32_e32 v1, v1
	v_writelane_b32 v43, s6, 15
	s_add_i32 s1, s0, -1
	v_writelane_b32 v43, s7, 16
	s_bfe_u32 s6, s64, 0x30006
	s_and_b32 s1, s1, 0xffff
	s_cmp_gt_u32 s1, 6
	s_cselect_b64 s[8:9], -1, 0
	v_mul_f32_e32 v1, 0x4f7ffffe, v1
	v_writelane_b32 v43, s8, 17
	s_and_b32 s84, s0, 0x3f8
	v_cvt_u32_f32_e32 v1, v1
	v_writelane_b32 v43, s9, 18
	s_cmp_lg_u32 s6, 0
	v_writelane_b32 v43, s6, 19
	s_cselect_b64 s[0:1], -1, 0
	v_writelane_b32 v43, s0, 20
	v_writelane_b32 v43, s1, 21
	s_sub_i32 s0, 0, s66
	v_readfirstlane_b32 s1, v1
	s_mul_i32 s0, s0, s1
	s_mul_hi_u32 s0, s1, s0
	s_add_i32 s80, s1, s0
	s_mul_hi_u32 s0, s60, s80
	s_mul_i32 s0, s0, s66
	s_sub_i32 s0, s60, s0
	s_sub_i32 s1, s0, s66
	s_cmp_ge_u32 s0, s66
	s_cselect_b32 s0, s1, s0
	s_sub_i32 s1, s0, s66
	v_not_b32_e32 v14, v2
	s_cmp_ge_u32 s0, s66
	v_cvt_f32_u32_e32 v2, s64
	s_cselect_b32 s0, s1, s0
	s_sub_i32 s81, s60, s0
	v_add_u32_e32 v17, s81, v0
	v_mul_lo_u32 v1, v17, s63
	v_rcp_iflag_f32_e32 v2, v2
	s_sub_i32 s7, 0, s64
	s_abs_i32 s6, s17
	v_ashrrev_i32_e32 v4, 31, v1
	v_add_co_u32_e32 v7, vcc, s72, v1
	v_mul_f32_e32 v1, 0x4f7ffffe, v2
	v_cvt_u32_f32_e32 v1, v1
	s_ashr_i32 s1, s17, 31
	v_lshlrev_b32_e32 v10, 2, v0
	v_lshlrev_b32_e32 v3, 2, v11
	v_readfirstlane_b32 s8, v1
	s_mul_i32 s7, s7, s8
	s_mul_hi_u32 s7, s8, s7
	s_add_i32 s7, s8, s7
	v_writelane_b32 v43, s7, 22
	s_mul_hi_u32 s7, s6, s7
	s_mul_i32 s7, s7, s64
	s_sub_i32 s6, s6, s7
	s_sub_i32 s7, s6, s64
	s_cmp_ge_u32 s6, s64
	s_cselect_b32 s6, s7, s6
	s_sub_i32 s7, s6, s64
	v_mul_lo_u32 v1, s63, v10
	s_cmp_ge_u32 s6, s64
	s_cselect_b32 s6, s7, s6
	s_xor_b32 s6, s6, s1
	s_sub_i32 s1, s1, s6
	v_add_u32_e32 v18, s63, v1
	v_or_b32_e32 v1, 2, v10
	s_add_i32 s17, s17, s1
	v_mul_lo_u32 v20, s63, v1
	v_or_b32_e32 v1, 3, v10
	s_add_i32 s1, s64, s60
	v_mul_lo_u32 v21, s63, v1
	v_add_u32_e32 v1, s1, v0
	v_subrev_u32_e32 v1, s0, v1
	v_mul_lo_u32 v23, s63, v1
	v_mov_b32_e32 v8, s73
	v_cmp_gt_i32_e64 s[6:7], s17, v0
	s_mul_i32 s82, s63, s64
	v_cmp_eq_u32_e64 s[2:3], 0, v11
	v_cmp_gt_u32_e64 s[4:5], 2, v0
	v_mov_b32_e32 v12, 0
	v_and_b32_e32 v13, 0x100, v3
	v_cmp_gt_i32_e64 s[10:11], s81, v10
	v_cmp_gt_u32_e64 s[12:13], s60, v17
	v_addc_co_u32_e32 v8, vcc, v8, v4, vcc
	v_cmp_gt_i32_e64 s[14:15], s60, v17
	v_writelane_b32 v43, s6, 23
	s_lshl_b32 s83, s82, 2
	v_lshlrev_b32_e32 v22, 2, v9
	v_or_b32_e32 v24, 0xc00, v3
	s_mov_b64 s[86:87], 0
	v_mov_b32_e32 v26, 6
	v_mov_b32_e32 v29, s61
	;; [unrolled: 1-line block ×6, first 2 shown]
	v_writelane_b32 v43, s7, 24
                                        ; implicit-def: $sgpr88_sgpr89
                                        ; implicit-def: $sgpr92_sgpr93
                                        ; implicit-def: $sgpr90_sgpr91
                                        ; implicit-def: $sgpr68_sgpr69
                                        ; implicit-def: $sgpr70_sgpr71
                                        ; implicit-def: $sgpr94_sgpr95
	s_branch .LBB3_16
.LBB3_13:                               ;   in Loop: Header=BB3_16 Depth=1
	s_or_b64 exec, exec, s[22:23]
	s_and_b64 s[18:19], s[18:19], exec
	s_andn2_b64 s[26:27], s[26:27], exec
	s_andn2_b64 s[24:25], s[24:25], exec
	s_orn2_b64 s[20:21], s[20:21], exec
.LBB3_14:                               ;   in Loop: Header=BB3_16 Depth=1
	s_or_b64 exec, exec, s[8:9]
	s_andn2_b64 s[8:9], s[94:95], exec
	s_and_b64 s[18:19], s[18:19], exec
	s_or_b64 s[94:95], s[8:9], s[18:19]
	s_andn2_b64 s[8:9], s[70:71], exec
	s_and_b64 s[18:19], s[26:27], exec
	s_or_b64 s[70:71], s[8:9], s[18:19]
	;; [unrolled: 3-line block ×3, first 2 shown]
	s_orn2_b64 s[20:21], s[20:21], exec
.LBB3_15:                               ;   in Loop: Header=BB3_16 Depth=1
	s_or_b64 exec, exec, s[6:7]
	s_and_b64 s[6:7], exec, s[20:21]
	s_or_b64 s[86:87], s[6:7], s[86:87]
	s_andn2_b64 s[6:7], s[90:91], exec
	s_and_b64 s[8:9], s[94:95], exec
	s_or_b64 s[90:91], s[6:7], s[8:9]
	s_andn2_b64 s[6:7], s[92:93], exec
	s_and_b64 s[8:9], s[70:71], exec
	;; [unrolled: 3-line block ×3, first 2 shown]
	s_or_b64 s[88:89], s[6:7], s[8:9]
	s_mov_b32 s85, s0
	v_mov_b32_e32 v29, v4
	s_andn2_b64 exec, exec, s[86:87]
	s_cbranch_execz .LBB3_239
.LBB3_16:                               ; =>This Loop Header: Depth=1
                                        ;     Child Loop BB3_21 Depth 2
                                        ;     Child Loop BB3_36 Depth 2
	;; [unrolled: 1-line block ×16, first 2 shown]
	ds_read_b64 v[1:2], v12 offset:4096
	s_waitcnt lgkmcnt(0)
	v_readfirstlane_b32 s61, v1
	s_cmp_gt_i32 s61, 0
	s_cbranch_scc1 .LBB3_43
; %bb.17:                               ;   in Loop: Header=BB3_16 Depth=1
	v_readlane_b32 s0, v43, 9
	v_readlane_b32 s1, v43, 10
	s_and_b64 vcc, exec, s[0:1]
	s_cbranch_vccz .LBB3_29
; %bb.18:                               ;   in Loop: Header=BB3_16 Depth=1
	s_movk_i32 s0, 0xc01
	v_cmp_gt_i32_e32 vcc, s0, v2
	s_mov_b64 s[6:7], 0
	s_mov_b64 s[8:9], 0
	s_cbranch_vccz .LBB3_30
; %bb.19:                               ;   in Loop: Header=BB3_16 Depth=1
	v_readlane_b32 s0, v43, 15
	v_readlane_b32 s1, v43, 16
	s_nop 4
	global_load_ushort v1, v12, s[0:1]
	global_load_ubyte v4, v[5:6], off
	v_mov_b32_e32 v30, v0
	s_waitcnt vmcnt(1)
	v_add_u32_e32 v2, v0, v1
	v_mul_lo_u32 v2, s63, v2
	v_mul_lo_u32 v3, s63, v1
	s_branch .LBB3_21
.LBB3_20:                               ;   in Loop: Header=BB3_21 Depth=2
	s_or_b64 exec, exec, s[20:21]
	v_cmp_le_i32_e32 vcc, s60, v30
	v_add_u32_e32 v2, v2, v3
	s_or_b64 s[8:9], vcc, s[8:9]
	v_mov_b32_e32 v4, v31
	s_andn2_b64 exec, exec, s[8:9]
	s_cbranch_execz .LBB3_75
.LBB3_21:                               ;   Parent Loop BB3_16 Depth=1
                                        ; =>  This Inner Loop Header: Depth=2
	v_add_u32_e32 v30, v30, v1
	v_cmp_gt_u32_e32 vcc, s60, v30
	s_waitcnt lgkmcnt(0)
	v_mov_b32_e32 v32, 0
	v_mov_b32_e32 v31, 0
	s_and_saveexec_b64 s[18:19], vcc
	s_cbranch_execz .LBB3_23
; %bb.22:                               ;   in Loop: Header=BB3_21 Depth=2
	global_load_ubyte v31, v2, s[72:73]
.LBB3_23:                               ;   in Loop: Header=BB3_21 Depth=2
	s_or_b64 exec, exec, s[18:19]
	s_waitcnt vmcnt(0)
	v_and_b32_e32 v33, v4, v27
	v_cmp_eq_u32_sdwa s[18:19], v33, v19 src0_sel:BYTE_0 src1_sel:DWORD
	s_cmp_lg_u64 s[18:19], 0
	s_cselect_b64 s[0:1], -1, 0
	s_and_b64 s[0:1], s[2:3], s[0:1]
	s_and_saveexec_b64 s[20:21], s[0:1]
	s_cbranch_execz .LBB3_27
; %bb.24:                               ;   in Loop: Header=BB3_21 Depth=2
	s_mov_b64 s[24:25], exec
	v_mbcnt_lo_u32_b32 v32, s24, 0
	v_mbcnt_hi_u32_b32 v32, s25, v32
	s_bcnt1_i32_b64 s0, s[18:19]
	v_cmp_eq_u32_e32 vcc, 0, v32
                                        ; implicit-def: $vgpr33
	s_and_saveexec_b64 s[22:23], vcc
; %bb.25:                               ;   in Loop: Header=BB3_21 Depth=2
	s_bcnt1_i32_b64 s1, s[24:25]
	s_mul_i32 s1, s0, s1
	v_mov_b32_e32 v33, s1
	ds_add_rtn_u32 v33, v12, v33 offset:4104
; %bb.26:                               ;   in Loop: Header=BB3_21 Depth=2
	s_or_b64 exec, exec, s[22:23]
	s_waitcnt lgkmcnt(0)
	v_readfirstlane_b32 s1, v33
	v_mov_b32_e32 v33, s1
	v_mad_u32_u24 v32, s0, v32, v33
.LBB3_27:                               ;   in Loop: Header=BB3_21 Depth=2
	s_or_b64 exec, exec, s[20:21]
	ds_bpermute_b32 v32, v13, v32
	s_and_saveexec_b64 s[20:21], s[18:19]
	s_cbranch_execz .LBB3_20
; %bb.28:                               ;   in Loop: Header=BB3_21 Depth=2
	v_and_b32_e32 v34, s18, v15
	v_and_b32_e32 v33, s19, v14
	v_bcnt_u32_b32 v34, v34, 0
	v_bcnt_u32_b32 v33, v33, v34
	s_waitcnt lgkmcnt(0)
	v_add_u32_e32 v32, v32, v33
	ds_write_b8 v32, v4
	s_branch .LBB3_20
.LBB3_29:                               ;   in Loop: Header=BB3_16 Depth=1
	s_mov_b64 s[6:7], -1
	s_mov_b64 s[8:9], 0
.LBB3_30:                               ;   in Loop: Header=BB3_16 Depth=1
	s_and_b64 vcc, exec, s[6:7]
	s_cbranch_vccz .LBB3_41
.LBB3_31:                               ;   in Loop: Header=BB3_16 Depth=1
	v_mov_b32_e32 v1, 0
	s_mov_b64 s[6:7], exec
	v_readlane_b32 s0, v43, 11
	v_readlane_b32 s1, v43, 12
	s_and_b64 s[0:1], s[6:7], s[0:1]
	s_mov_b64 exec, s[0:1]
	s_cbranch_execz .LBB3_33
; %bb.32:                               ;   in Loop: Header=BB3_16 Depth=1
	global_load_ubyte v1, v[5:6], off
.LBB3_33:                               ;   in Loop: Header=BB3_16 Depth=1
	s_or_b64 exec, exec, s[6:7]
	s_mov_b64 s[6:7], exec
	v_readlane_b32 s0, v43, 13
	v_readlane_b32 s1, v43, 14
	s_and_b64 s[0:1], s[6:7], s[0:1]
	s_mov_b64 exec, s[0:1]
	s_cbranch_execz .LBB3_38
; %bb.34:                               ;   in Loop: Header=BB3_16 Depth=1
	v_readlane_b32 s0, v43, 15
	v_readlane_b32 s1, v43, 16
	s_mov_b64 s[8:9], 0
	v_mov_b32_e32 v30, v0
	s_nop 2
	global_load_ushort v2, v12, s[0:1]
	s_waitcnt vmcnt(0)
	v_add_u32_e32 v3, v0, v2
	v_mul_lo_u32 v3, s63, v3
	v_mul_lo_u32 v4, s63, v2
	s_branch .LBB3_36
.LBB3_35:                               ;   in Loop: Header=BB3_36 Depth=2
	s_or_b64 exec, exec, s[18:19]
	v_cmp_le_i32_e32 vcc, s60, v31
	ds_write_b8 v30, v1
	v_add_u32_e32 v3, v3, v4
	s_or_b64 s[8:9], vcc, s[8:9]
	s_waitcnt vmcnt(0)
	v_mov_b32_e32 v1, v32
	v_mov_b32_e32 v30, v31
	s_andn2_b64 exec, exec, s[8:9]
	s_cbranch_execz .LBB3_38
.LBB3_36:                               ;   Parent Loop BB3_16 Depth=1
                                        ; =>  This Inner Loop Header: Depth=2
	v_add_u32_e32 v31, v30, v2
	v_cmp_gt_u32_e32 vcc, s60, v31
	v_mov_b32_e32 v32, 0
	s_and_saveexec_b64 s[18:19], vcc
	s_cbranch_execz .LBB3_35
; %bb.37:                               ;   in Loop: Header=BB3_36 Depth=2
	global_load_ubyte v32, v3, s[72:73]
	s_branch .LBB3_35
.LBB3_38:                               ;   in Loop: Header=BB3_16 Depth=1
	s_or_b64 exec, exec, s[6:7]
	s_waitcnt vmcnt(0) lgkmcnt(0)
	s_barrier
	s_mov_b64 s[6:7], exec
	v_readlane_b32 s0, v43, 5
	v_readlane_b32 s1, v43, 6
	s_and_b64 s[0:1], s[6:7], s[0:1]
	s_mov_b64 exec, s[0:1]
; %bb.39:                               ;   in Loop: Header=BB3_16 Depth=1
	v_mov_b32_e32 v1, s60
	ds_write_b32 v12, v1 offset:4096
; %bb.40:                               ;   in Loop: Header=BB3_16 Depth=1
	s_or_b64 exec, exec, s[6:7]
	s_mov_b64 s[8:9], -1
	s_waitcnt lgkmcnt(0)
	s_barrier
.LBB3_41:                               ;   in Loop: Header=BB3_16 Depth=1
	s_and_b64 vcc, exec, s[8:9]
	s_cbranch_vccz .LBB3_43
; %bb.42:                               ;   in Loop: Header=BB3_16 Depth=1
	ds_read_b32 v1, v12 offset:4096
	s_waitcnt lgkmcnt(0)
	v_readfirstlane_b32 s61, v1
.LBB3_43:                               ;   in Loop: Header=BB3_16 Depth=1
	s_cmp_lt_i32 s61, 1
	s_mov_b64 s[6:7], -1
                                        ; implicit-def: $vgpr4
	s_cbranch_scc1 .LBB3_53
; %bb.44:                               ;   in Loop: Header=BB3_16 Depth=1
	s_and_b64 vcc, exec, s[6:7]
	s_cbranch_vccnz .LBB3_66
.LBB3_45:                               ;   in Loop: Header=BB3_16 Depth=1
	s_lshl_b32 s0, s85, 6
	s_and_saveexec_b64 s[6:7], s[2:3]
.LBB3_46:                               ;   in Loop: Header=BB3_16 Depth=1
	v_lshl_add_u32 v30, s0, 2, v16
	ds_write_b128 v30, v[1:4]
.LBB3_47:                               ;   in Loop: Header=BB3_16 Depth=1
	s_or_b64 exec, exec, s[6:7]
	s_waitcnt vmcnt(0) lgkmcnt(0)
	s_barrier
	s_and_saveexec_b64 s[6:7], s[74:75]
	s_cbranch_execz .LBB3_83
; %bb.48:                               ;   in Loop: Header=BB3_16 Depth=1
	s_andn2_b64 vcc, exec, s[78:79]
	v_mov_b32_e32 v1, 0
	s_cbranch_vccnz .LBB3_82
; %bb.49:                               ;   in Loop: Header=BB3_16 Depth=1
	v_readlane_b32 s8, v43, 17
	v_readlane_b32 s9, v43, 18
	s_andn2_b64 vcc, exec, s[8:9]
	s_cbranch_vccnz .LBB3_78
; %bb.50:                               ;   in Loop: Header=BB3_16 Depth=1
	v_lshl_add_u32 v2, s85, 8, v24
	s_mov_b32 s1, 0
	v_mov_b32_e32 v1, 0
.LBB3_51:                               ;   Parent Loop BB3_16 Depth=1
                                        ; =>  This Inner Loop Header: Depth=2
	ds_read2_b32 v[3:4], v2 offset1:4
	ds_read2_b32 v[30:31], v2 offset0:8 offset1:12
	ds_read2_b32 v[32:33], v2 offset0:16 offset1:20
	;; [unrolled: 1-line block ×3, first 2 shown]
	s_add_i32 s1, s1, 8
	s_waitcnt lgkmcnt(3)
	v_add3_u32 v1, v3, v1, v4
	s_waitcnt lgkmcnt(2)
	v_add3_u32 v1, v30, v1, v31
	;; [unrolled: 2-line block ×3, first 2 shown]
	v_add_u32_e32 v2, 0x80, v2
	s_cmp_eq_u32 s84, s1
	s_waitcnt lgkmcnt(0)
	v_add3_u32 v1, v34, v1, v35
	s_cbranch_scc0 .LBB3_51
; %bb.52:                               ;   in Loop: Header=BB3_16 Depth=1
	s_mov_b32 s1, s84
	s_branch .LBB3_79
.LBB3_53:                               ;   in Loop: Header=BB3_16 Depth=1
	v_mov_b32_e32 v1, 0
	v_mov_b32_e32 v2, 0
	;; [unrolled: 1-line block ×4, first 2 shown]
	s_and_saveexec_b64 s[18:19], s[10:11]
	s_cbranch_execnz .LBB3_56
; %bb.54:                               ;   in Loop: Header=BB3_16 Depth=1
	s_or_b64 exec, exec, s[18:19]
	v_mov_b32_e32 v32, 0
	s_and_saveexec_b64 s[6:7], s[12:13]
	s_cbranch_execnz .LBB3_59
.LBB3_55:                               ;   in Loop: Header=BB3_16 Depth=1
	s_or_b64 exec, exec, s[6:7]
	s_and_saveexec_b64 s[8:9], s[14:15]
	s_cbranch_execnz .LBB3_60
	s_branch .LBB3_65
.LBB3_56:                               ;   in Loop: Header=BB3_16 Depth=1
	s_mov_b32 s16, 0
	s_mov_b64 s[8:9], 0
	s_mov_b32 s0, 0
	s_mov_b32 s1, 0
	;; [unrolled: 1-line block ×4, first 2 shown]
	v_mov_b32_e32 v30, v10
.LBB3_57:                               ;   Parent Loop BB3_16 Depth=1
                                        ; =>  This Inner Loop Header: Depth=2
	v_add_u32_e32 v2, s16, v22
	v_add_u32_e32 v3, s16, v18
	v_mov_b32_e32 v1, s73
	v_add_u32_e32 v4, s16, v20
	v_add_u32_e32 v32, s16, v21
	v_ashrrev_i32_e32 v34, 31, v2
	v_ashrrev_i32_e32 v37, 31, v3
	v_add_co_u32_e64 v3, s[6:7], s72, v3
	v_add_co_u32_e64 v35, s[24:25], s72, v2
	v_ashrrev_i32_e32 v38, 31, v4
	v_add_co_u32_e64 v31, s[20:21], s72, v4
	v_ashrrev_i32_e32 v39, 31, v32
	v_add_co_u32_e64 v33, s[22:23], s72, v32
	v_addc_co_u32_e64 v36, s[24:25], v1, v34, s[24:25]
	v_addc_co_u32_e64 v4, s[6:7], v1, v37, s[6:7]
	;; [unrolled: 1-line block ×4, first 2 shown]
	global_load_ubyte v1, v[35:36], off
	global_load_ubyte v2, v[3:4], off
	s_nop 0
	global_load_ubyte v3, v[31:32], off
	global_load_ubyte v4, v[33:34], off
	v_add_u32_e32 v30, s66, v30
	s_add_i32 s16, s16, s83
	v_cmp_le_i32_e32 vcc, s81, v30
	s_waitcnt vmcnt(3)
	v_and_b32_e32 v31, v27, v1
	v_bfe_u32 v1, v1, v26, 2
	s_waitcnt vmcnt(2)
	v_and_b32_e32 v32, v27, v2
	v_bfe_u32 v2, v2, v26, 2
	v_cmp_eq_u32_e64 s[6:7], v31, v19
	v_cmp_eq_u32_e64 s[26:27], 0, v1
	s_waitcnt vmcnt(1)
	v_and_b32_e32 v33, v27, v3
	v_bfe_u32 v3, v3, v26, 2
	v_cmp_eq_u32_e64 s[20:21], v32, v19
	v_cmp_eq_u32_e64 s[28:29], 0, v2
	s_and_b64 s[26:27], s[6:7], s[26:27]
	s_waitcnt vmcnt(0)
	v_and_b32_e32 v34, v27, v4
	v_bfe_u32 v4, v4, v26, 2
	v_cmp_eq_u32_e64 s[22:23], v33, v19
	v_cmp_eq_u32_e64 s[30:31], 0, v3
	;; [unrolled: 1-line block ×5, first 2 shown]
	v_cndmask_b32_e64 v1, 0, 1, s[26:27]
	s_and_b64 s[26:27], s[20:21], s[28:29]
	v_cmp_eq_u32_e64 s[24:25], v34, v19
	v_cmp_eq_u32_e64 s[34:35], 0, v4
	;; [unrolled: 1-line block ×5, first 2 shown]
	v_cndmask_b32_e64 v2, 0, 1, s[26:27]
	s_and_b64 s[26:27], s[22:23], s[30:31]
	v_cmp_eq_u32_e64 s[40:41], 1, v3
	v_cmp_eq_u32_e64 s[48:49], 2, v3
	;; [unrolled: 1-line block ×3, first 2 shown]
	v_cndmask_b32_e64 v3, 0, 1, s[26:27]
	s_and_b64 s[26:27], s[24:25], s[34:35]
	v_cmp_eq_u32_e64 s[42:43], 1, v4
	v_cmp_eq_u32_e64 s[50:51], 2, v4
	;; [unrolled: 1-line block ×3, first 2 shown]
	v_cndmask_b32_e64 v4, 0, 1, s[26:27]
	s_and_b64 s[26:27], s[6:7], s[36:37]
	v_cndmask_b32_e64 v31, 0, 1, s[26:27]
	s_and_b64 s[26:27], s[20:21], s[38:39]
	;; [unrolled: 2-line block ×5, first 2 shown]
	s_and_b64 s[6:7], s[6:7], s[52:53]
	v_cndmask_b32_e64 v35, 0, 1, s[26:27]
	s_and_b64 s[26:27], s[20:21], s[46:47]
	v_cndmask_b32_e64 v39, 0, 1, s[6:7]
	;; [unrolled: 2-line block ×7, first 2 shown]
	v_cndmask_b32_e64 v42, 0, 1, s[6:7]
	v_cmp_ne_u32_e64 s[6:7], 0, v1
	v_cmp_ne_u32_e64 s[20:21], 0, v2
	;; [unrolled: 1-line block ×11, first 2 shown]
	s_bcnt1_i32_b64 s6, s[6:7]
	s_bcnt1_i32_b64 s7, s[20:21]
	;; [unrolled: 1-line block ×8, first 2 shown]
	v_cmp_ne_u32_e64 s[34:35], 0, v34
	v_cmp_ne_u32_e64 s[40:41], 0, v37
	;; [unrolled: 1-line block ×3, first 2 shown]
	s_bcnt1_i32_b64 s23, s[28:29]
	s_bcnt1_i32_b64 s27, s[38:39]
	;; [unrolled: 1-line block ×3, first 2 shown]
	s_add_i32 s6, s77, s6
	s_add_i32 s22, s76, s22
	;; [unrolled: 1-line block ×4, first 2 shown]
	v_cmp_ne_u32_e64 s[42:43], 0, v38
	v_cmp_ne_u32_e64 s[50:51], 0, v42
	s_bcnt1_i32_b64 s25, s[34:35]
	s_bcnt1_i32_b64 s28, s[40:41]
	;; [unrolled: 1-line block ×3, first 2 shown]
	s_add_i32 s6, s6, s7
	s_add_i32 s7, s22, s23
	;; [unrolled: 1-line block ×4, first 2 shown]
	s_bcnt1_i32_b64 s29, s[42:43]
	s_bcnt1_i32_b64 s35, s[50:51]
	s_add_i32 s6, s6, s20
	s_add_i32 s7, s7, s24
	;; [unrolled: 1-line block ×8, first 2 shown]
	s_or_b64 s[8:9], vcc, s[8:9]
	v_mov_b32_e32 v1, s77
	v_mov_b32_e32 v2, s76
	;; [unrolled: 1-line block ×4, first 2 shown]
	s_andn2_b64 exec, exec, s[8:9]
	s_cbranch_execnz .LBB3_57
; %bb.58:                               ;   in Loop: Header=BB3_16 Depth=1
	s_or_b64 exec, exec, s[8:9]
	s_or_b64 exec, exec, s[18:19]
	v_mov_b32_e32 v32, 0
	s_and_saveexec_b64 s[6:7], s[12:13]
	s_cbranch_execz .LBB3_55
.LBB3_59:                               ;   in Loop: Header=BB3_16 Depth=1
	global_load_ubyte v32, v[7:8], off
	s_or_b64 exec, exec, s[6:7]
	s_and_saveexec_b64 s[8:9], s[14:15]
	s_cbranch_execz .LBB3_65
.LBB3_60:                               ;   in Loop: Header=BB3_16 Depth=1
	s_mov_b64 s[18:19], 0
	v_mov_b32_e32 v30, v23
	v_mov_b32_e32 v31, v17
	s_branch .LBB3_62
.LBB3_61:                               ;   in Loop: Header=BB3_62 Depth=2
	s_or_b64 exec, exec, s[6:7]
	s_waitcnt vmcnt(0)
	v_and_b32_e32 v32, 0xff, v32
	v_and_b32_e32 v34, v27, v32
	v_bfe_u32 v32, v32, v26, 2
	v_cmp_eq_u32_e32 vcc, v34, v19
	v_cmp_eq_u32_e64 s[6:7], 0, v32
	s_and_b64 s[0:1], vcc, s[6:7]
	v_cndmask_b32_e64 v34, 0, 1, s[0:1]
	v_cmp_ne_u32_e64 s[6:7], 0, v34
	s_bcnt1_i32_b64 s0, s[6:7]
	v_cmp_eq_u32_e64 s[6:7], 1, v32
	v_add_u32_e32 v1, s0, v1
	s_and_b64 s[0:1], vcc, s[6:7]
	v_cndmask_b32_e64 v34, 0, 1, s[0:1]
	v_cmp_ne_u32_e64 s[6:7], 0, v34
	s_bcnt1_i32_b64 s0, s[6:7]
	v_cmp_eq_u32_e64 s[6:7], 2, v32
	v_add_u32_e32 v2, s0, v2
	;; [unrolled: 6-line block ×3, first 2 shown]
	s_and_b64 s[0:1], vcc, s[6:7]
	v_cndmask_b32_e64 v32, 0, 1, s[0:1]
	v_cmp_ne_u32_e32 vcc, 0, v32
	s_bcnt1_i32_b64 s0, vcc
	v_cmp_le_i32_e32 vcc, s60, v31
	v_add_u32_e32 v4, s0, v4
	v_add_u32_e32 v30, s82, v30
	s_or_b64 s[18:19], vcc, s[18:19]
	v_mov_b32_e32 v32, v33
	s_andn2_b64 exec, exec, s[18:19]
	s_cbranch_execz .LBB3_64
.LBB3_62:                               ;   Parent Loop BB3_16 Depth=1
                                        ; =>  This Inner Loop Header: Depth=2
	v_add_u32_e32 v31, s64, v31
	v_cmp_gt_u32_e32 vcc, s60, v31
	v_mov_b32_e32 v33, 0
	s_and_saveexec_b64 s[6:7], vcc
	s_cbranch_execz .LBB3_61
; %bb.63:                               ;   in Loop: Header=BB3_62 Depth=2
	v_ashrrev_i32_e32 v34, 31, v30
	v_mov_b32_e32 v35, s73
	v_add_co_u32_e32 v33, vcc, s72, v30
	v_addc_co_u32_e32 v34, vcc, v35, v34, vcc
	global_load_ubyte v33, v[33:34], off
	s_branch .LBB3_61
.LBB3_64:                               ;   in Loop: Header=BB3_16 Depth=1
	s_or_b64 exec, exec, s[18:19]
.LBB3_65:                               ;   in Loop: Header=BB3_16 Depth=1
	s_or_b64 exec, exec, s[8:9]
	s_branch .LBB3_45
.LBB3_66:                               ;   in Loop: Header=BB3_16 Depth=1
	s_mul_hi_u32 s0, s61, s80
	s_mul_i32 s0, s0, s66
	s_sub_i32 s0, s61, s0
	s_sub_i32 s1, s0, s66
	s_cmp_ge_u32 s0, s66
	s_cselect_b32 s0, s1, s0
	s_sub_i32 s1, s0, s66
	s_cmp_ge_u32 s0, s66
	s_cselect_b32 s0, s1, s0
	s_sub_i32 s16, s61, s0
	v_cmp_gt_u32_e32 vcc, s16, v10
	v_mov_b32_e32 v1, 0
	v_mov_b32_e32 v2, 0
	;; [unrolled: 1-line block ×4, first 2 shown]
	s_and_saveexec_b64 s[8:9], vcc
	s_cbranch_execz .LBB3_70
; %bb.67:                               ;   in Loop: Header=BB3_16 Depth=1
	s_mov_b32 s0, 0
	s_mov_b64 s[18:19], 0
	s_mov_b32 s1, 0
	s_mov_b32 s76, 0
	;; [unrolled: 1-line block ×3, first 2 shown]
	v_mov_b32_e32 v30, v10
.LBB3_68:                               ;   Parent Loop BB3_16 Depth=1
                                        ; =>  This Inner Loop Header: Depth=2
	ds_read_b32 v1, v30
	v_add_u32_e32 v30, s66, v30
	v_cmp_le_i32_e32 vcc, s16, v30
	s_waitcnt lgkmcnt(0)
	v_and_b32_e32 v3, 0xff, v1
	v_bfe_u32 v4, v1, 8, 8
	v_and_b32_e32 v31, v27, v3
	v_bfe_u32 v3, v3, v26, 2
	v_lshrrev_b32_e32 v2, 24, v1
	v_bfe_u32 v1, v1, 16, 8
	s_waitcnt vmcnt(0)
	v_and_b32_e32 v32, v27, v4
	v_bfe_u32 v4, v4, v26, 2
	v_cmp_eq_u32_e64 s[6:7], v31, v19
	v_cmp_eq_u32_e64 s[26:27], 0, v3
	v_and_b32_e32 v33, v27, v1
	v_bfe_u32 v1, v1, v26, 2
	v_cmp_eq_u32_e64 s[20:21], v32, v19
	v_cmp_eq_u32_e64 s[28:29], 0, v4
	s_and_b64 s[26:27], s[6:7], s[26:27]
	v_and_b32_e32 v34, v27, v2
	v_bfe_u32 v2, v2, v26, 2
	v_cmp_eq_u32_e64 s[22:23], v33, v19
	v_cmp_eq_u32_e64 s[30:31], 0, v1
	;; [unrolled: 1-line block ×5, first 2 shown]
	v_cndmask_b32_e64 v1, 0, 1, s[26:27]
	s_and_b64 s[26:27], s[20:21], s[28:29]
	v_cmp_eq_u32_e64 s[24:25], v34, v19
	v_cmp_eq_u32_e64 s[34:35], 0, v2
	;; [unrolled: 1-line block ×5, first 2 shown]
	v_cndmask_b32_e64 v2, 0, 1, s[26:27]
	s_and_b64 s[26:27], s[22:23], s[30:31]
	v_cmp_eq_u32_e64 s[36:37], 1, v3
	v_cmp_eq_u32_e64 s[44:45], 2, v3
	;; [unrolled: 1-line block ×3, first 2 shown]
	v_cndmask_b32_e64 v3, 0, 1, s[26:27]
	s_and_b64 s[26:27], s[24:25], s[34:35]
	v_cmp_eq_u32_e64 s[38:39], 1, v4
	v_cmp_eq_u32_e64 s[46:47], 2, v4
	;; [unrolled: 1-line block ×3, first 2 shown]
	v_cndmask_b32_e64 v4, 0, 1, s[26:27]
	s_and_b64 s[26:27], s[6:7], s[36:37]
	v_cndmask_b32_e64 v31, 0, 1, s[26:27]
	s_and_b64 s[26:27], s[20:21], s[38:39]
	;; [unrolled: 2-line block ×5, first 2 shown]
	s_and_b64 s[6:7], s[6:7], s[52:53]
	v_cndmask_b32_e64 v35, 0, 1, s[26:27]
	s_and_b64 s[26:27], s[20:21], s[46:47]
	v_cndmask_b32_e64 v39, 0, 1, s[6:7]
	;; [unrolled: 2-line block ×7, first 2 shown]
	v_cndmask_b32_e64 v42, 0, 1, s[6:7]
	v_cmp_ne_u32_e64 s[6:7], 0, v1
	v_cmp_ne_u32_e64 s[20:21], 0, v2
	;; [unrolled: 1-line block ×11, first 2 shown]
	s_bcnt1_i32_b64 s6, s[6:7]
	s_bcnt1_i32_b64 s7, s[20:21]
	;; [unrolled: 1-line block ×8, first 2 shown]
	v_cmp_ne_u32_e64 s[34:35], 0, v34
	v_cmp_ne_u32_e64 s[40:41], 0, v37
	;; [unrolled: 1-line block ×3, first 2 shown]
	s_bcnt1_i32_b64 s23, s[28:29]
	s_bcnt1_i32_b64 s27, s[38:39]
	;; [unrolled: 1-line block ×3, first 2 shown]
	s_add_i32 s6, s77, s6
	s_add_i32 s22, s76, s22
	;; [unrolled: 1-line block ×4, first 2 shown]
	v_cmp_ne_u32_e64 s[42:43], 0, v38
	v_cmp_ne_u32_e64 s[50:51], 0, v42
	s_bcnt1_i32_b64 s25, s[34:35]
	s_bcnt1_i32_b64 s28, s[40:41]
	;; [unrolled: 1-line block ×3, first 2 shown]
	s_add_i32 s6, s6, s7
	s_add_i32 s7, s22, s23
	;; [unrolled: 1-line block ×4, first 2 shown]
	s_bcnt1_i32_b64 s29, s[42:43]
	s_bcnt1_i32_b64 s35, s[50:51]
	s_add_i32 s6, s6, s20
	s_add_i32 s7, s7, s24
	;; [unrolled: 1-line block ×8, first 2 shown]
	s_or_b64 s[18:19], vcc, s[18:19]
	v_mov_b32_e32 v1, s77
	v_mov_b32_e32 v2, s76
	v_mov_b32_e32 v3, s1
	v_mov_b32_e32 v4, s0
	s_andn2_b64 exec, exec, s[18:19]
	s_cbranch_execnz .LBB3_68
; %bb.69:                               ;   in Loop: Header=BB3_16 Depth=1
	s_or_b64 exec, exec, s[18:19]
.LBB3_70:                               ;   in Loop: Header=BB3_16 Depth=1
	s_or_b64 exec, exec, s[8:9]
	v_add_u32_e32 v30, s16, v0
	v_cmp_gt_i32_e32 vcc, s61, v30
	s_and_saveexec_b64 s[8:9], vcc
	s_cbranch_execz .LBB3_74
; %bb.71:                               ;   in Loop: Header=BB3_16 Depth=1
	s_mov_b64 s[18:19], 0
.LBB3_72:                               ;   Parent Loop BB3_16 Depth=1
                                        ; =>  This Inner Loop Header: Depth=2
	ds_read_u8 v31, v30
	v_add_u32_e32 v30, s64, v30
	v_cmp_le_i32_e32 vcc, s61, v30
	s_waitcnt vmcnt(0) lgkmcnt(0)
	v_and_b32_e32 v32, v27, v31
	v_bfe_u32 v31, v31, v26, 2
	v_cmp_eq_u32_e64 s[6:7], v32, v19
	v_cmp_eq_u32_e64 s[20:21], 0, v31
	;; [unrolled: 1-line block ×3, first 2 shown]
	s_and_b64 s[0:1], s[6:7], s[20:21]
	v_cmp_eq_u32_e64 s[24:25], 2, v31
	v_cmp_eq_u32_e64 s[26:27], 3, v31
	v_cndmask_b32_e64 v31, 0, 1, s[0:1]
	s_and_b64 s[0:1], s[6:7], s[22:23]
	v_cndmask_b32_e64 v32, 0, 1, s[0:1]
	s_and_b64 s[0:1], s[6:7], s[24:25]
	;; [unrolled: 2-line block ×3, first 2 shown]
	v_cndmask_b32_e64 v34, 0, 1, s[0:1]
	v_cmp_ne_u32_e64 s[6:7], 0, v31
	v_cmp_ne_u32_e64 s[20:21], 0, v32
	;; [unrolled: 1-line block ×4, first 2 shown]
	s_bcnt1_i32_b64 s0, s[6:7]
	s_bcnt1_i32_b64 s1, s[20:21]
	;; [unrolled: 1-line block ×4, first 2 shown]
	v_add_u32_e32 v1, s0, v1
	v_add_u32_e32 v2, s1, v2
	;; [unrolled: 1-line block ×3, first 2 shown]
	s_or_b64 s[18:19], vcc, s[18:19]
	v_add_u32_e32 v4, s7, v4
	s_andn2_b64 exec, exec, s[18:19]
	s_cbranch_execnz .LBB3_72
; %bb.73:                               ;   in Loop: Header=BB3_16 Depth=1
	s_or_b64 exec, exec, s[18:19]
.LBB3_74:                               ;   in Loop: Header=BB3_16 Depth=1
	s_or_b64 exec, exec, s[8:9]
	s_lshl_b32 s0, s85, 6
	s_and_saveexec_b64 s[6:7], s[2:3]
	s_cbranch_execnz .LBB3_46
	s_branch .LBB3_47
.LBB3_75:                               ;   in Loop: Header=BB3_16 Depth=1
	s_or_b64 exec, exec, s[8:9]
	s_waitcnt lgkmcnt(0)
	s_barrier
	s_mov_b64 s[8:9], exec
	v_readlane_b32 s0, v43, 5
	v_readlane_b32 s1, v43, 6
	s_and_b64 s[0:1], s[8:9], s[0:1]
	s_mov_b64 exec, s[0:1]
	s_cbranch_execz .LBB3_77
; %bb.76:                               ;   in Loop: Header=BB3_16 Depth=1
	ds_read_b32 v1, v12 offset:4104
	s_waitcnt lgkmcnt(0)
	ds_write_b32 v12, v1 offset:4096
.LBB3_77:                               ;   in Loop: Header=BB3_16 Depth=1
	s_or_b64 exec, exec, s[8:9]
	s_waitcnt lgkmcnt(0)
	s_barrier
	s_mov_b64 s[8:9], -1
	s_and_b64 vcc, exec, s[6:7]
	s_cbranch_vccnz .LBB3_31
	s_branch .LBB3_41
.LBB3_78:                               ;   in Loop: Header=BB3_16 Depth=1
	v_mov_b32_e32 v1, 0
	s_mov_b32 s1, 0
.LBB3_79:                               ;   in Loop: Header=BB3_16 Depth=1
	v_readlane_b32 s8, v43, 20
	v_readlane_b32 s9, v43, 21
	s_andn2_b64 vcc, exec, s[8:9]
	s_cbranch_vccnz .LBB3_82
; %bb.80:                               ;   in Loop: Header=BB3_16 Depth=1
	s_lshl_b32 s8, s85, 8
	s_lshl_b32 s1, s1, 4
	s_add_i32 s8, s8, s1
	v_add_u32_e32 v2, s8, v24
	v_readlane_b32 s1, v43, 19
.LBB3_81:                               ;   Parent Loop BB3_16 Depth=1
                                        ; =>  This Inner Loop Header: Depth=2
	ds_read_b32 v3, v2
	s_add_i32 s1, s1, -1
	v_add_u32_e32 v2, 16, v2
	s_cmp_lg_u32 s1, 0
	s_waitcnt lgkmcnt(0)
	v_add_u32_e32 v1, v3, v1
	s_cbranch_scc1 .LBB3_81
.LBB3_82:                               ;   in Loop: Header=BB3_16 Depth=1
	v_add_lshl_u32 v2, s0, v11, 2
	ds_write_b32 v2, v1 offset:3072
.LBB3_83:                               ;   in Loop: Header=BB3_16 Depth=1
	s_or_b64 exec, exec, s[6:7]
	s_lshl_b32 s0, s0, 2
	v_mov_b32_e32 v1, s0
	s_waitcnt lgkmcnt(0)
	s_barrier
	ds_read_b128 v[1:4], v1 offset:3072
	v_cmp_eq_u32_e32 vcc, 1, v29
	s_mov_b64 s[20:21], -1
	s_mov_b64 s[24:25], -1
                                        ; implicit-def: $sgpr22_sgpr23
                                        ; implicit-def: $sgpr8_sgpr9
	s_waitcnt lgkmcnt(0)
	v_readfirstlane_b32 s38, v1
	s_cmp_eq_u32 s38, 1
	v_lshlrev_b32_e64 v1, v26, 3
	s_cselect_b64 s[0:1], -1, 0
	v_readfirstlane_b32 s42, v2
	v_readfirstlane_b32 s50, v3
	;; [unrolled: 1-line block ×3, first 2 shown]
	v_not_b32_e32 v3, v1
	s_and_b64 s[18:19], s[0:1], vcc
	s_and_saveexec_b64 s[6:7], s[18:19]
	s_cbranch_execz .LBB3_109
; %bb.84:                               ;   in Loop: Header=BB3_16 Depth=1
	ds_read_b32 v2, v12 offset:4096
	s_waitcnt lgkmcnt(0)
	s_barrier
	v_readfirstlane_b32 s0, v2
	s_and_saveexec_b64 s[8:9], s[4:5]
; %bb.85:                               ;   in Loop: Header=BB3_16 Depth=1
	ds_write_b8 v0, v12 offset:3072
; %bb.86:                               ;   in Loop: Header=BB3_16 Depth=1
	s_or_b64 exec, exec, s[8:9]
	v_and_b32_e32 v19, v19, v3
	v_or_b32_e32 v27, v27, v1
	s_mov_b64 s[8:9], -1
	s_mov_b64 s[22:23], 0
	s_cmp_lt_i32 s0, 1
	s_mov_b64 s[24:25], 0
	s_mov_b64 s[26:27], -1
	s_waitcnt lgkmcnt(0)
	s_barrier
                                        ; implicit-def: $vgpr28
	s_cbranch_scc0 .LBB3_97
; %bb.87:                               ;   in Loop: Header=BB3_16 Depth=1
	s_mov_b64 s[26:27], 0
                                        ; implicit-def: $vgpr28
	s_mov_b64 s[28:29], exec
	v_readlane_b32 s30, v43, 23
	v_readlane_b32 s31, v43, 24
	s_and_b64 s[30:31], s[28:29], s[30:31]
	s_mov_b64 exec, s[30:31]
	s_cbranch_execz .LBB3_96
; %bb.88:                               ;   in Loop: Header=BB3_16 Depth=1
	v_mov_b32_e32 v2, v9
	v_mov_b32_e32 v4, v0
                                        ; implicit-def: $sgpr30_sgpr31
	s_branch .LBB3_91
.LBB3_89:                               ;   in Loop: Header=BB3_91 Depth=2
	s_or_b64 exec, exec, s[34:35]
	s_waitcnt lgkmcnt(0)
	s_barrier
	ds_read_u16 v28, v12 offset:3072
	s_mov_b64 s[34:35], -1
	s_waitcnt lgkmcnt(0)
	s_barrier
	v_cmp_ne_u32_sdwa s[36:37], v28, v12 src0_sel:BYTE_0 src1_sel:DWORD
	s_and_b64 vcc, exec, s[36:37]
	s_mov_b64 s[36:37], -1
	s_cbranch_vccz .LBB3_94
.LBB3_90:                               ;   in Loop: Header=BB3_91 Depth=2
	s_and_b64 s[34:35], exec, s[34:35]
	s_or_b64 s[24:25], s[34:35], s[24:25]
	s_andn2_b64 s[30:31], s[30:31], exec
	s_and_b64 s[34:35], s[36:37], exec
	s_or_b64 s[30:31], s[30:31], s[34:35]
	s_andn2_b64 exec, exec, s[24:25]
	s_cbranch_execz .LBB3_95
.LBB3_91:                               ;   Parent Loop BB3_16 Depth=1
                                        ; =>  This Inner Loop Header: Depth=2
	v_cmp_gt_i32_e32 vcc, s60, v4
	s_and_saveexec_b64 s[34:35], vcc
	s_cbranch_execz .LBB3_89
; %bb.92:                               ;   in Loop: Header=BB3_91 Depth=2
	v_ashrrev_i32_e32 v28, 31, v2
	v_mov_b32_e32 v31, s73
	v_add_co_u32_e32 v30, vcc, s72, v2
	v_addc_co_u32_e32 v31, vcc, v31, v28, vcc
	global_load_ubyte v28, v[30:31], off
	s_waitcnt vmcnt(0)
	v_and_b32_e32 v30, v28, v27
	v_cmp_eq_u32_sdwa s[36:37], v30, v19 src0_sel:BYTE_0 src1_sel:DWORD
	s_and_b64 exec, exec, s[36:37]
	s_cbranch_execz .LBB3_89
; %bb.93:                               ;   in Loop: Header=BB3_91 Depth=2
	v_lshlrev_b16_e32 v28, 8, v28
	v_or_b32_e32 v28, 1, v28
	ds_write_b16 v12, v28 offset:3072
	s_branch .LBB3_89
.LBB3_94:                               ;   in Loop: Header=BB3_91 Depth=2
	v_add_u32_e32 v4, s64, v4
	v_cmp_le_i32_e32 vcc, s17, v4
	v_add_u32_e32 v2, s82, v2
	s_mov_b64 s[36:37], 0
	s_orn2_b64 s[34:35], vcc, exec
	s_branch .LBB3_90
.LBB3_95:                               ;   in Loop: Header=BB3_16 Depth=1
	s_or_b64 exec, exec, s[24:25]
	v_lshrrev_b32_sdwa v28, v25, v28 dst_sel:DWORD dst_unused:UNUSED_PAD src0_sel:DWORD src1_sel:WORD_0
	s_and_b64 s[24:25], s[30:31], exec
.LBB3_96:                               ;   in Loop: Header=BB3_16 Depth=1
	s_or_b64 exec, exec, s[28:29]
.LBB3_97:                               ;   in Loop: Header=BB3_16 Depth=1
	s_and_b64 vcc, exec, s[26:27]
	s_cbranch_vccz .LBB3_108
; %bb.98:                               ;   in Loop: Header=BB3_16 Depth=1
	v_readlane_b32 s1, v43, 8
	s_add_i32 s1, s0, s1
	s_abs_i32 s9, s1
	v_readlane_b32 s16, v43, 22
	s_mul_hi_u32 s16, s9, s16
	s_mul_i32 s16, s16, s64
	s_sub_i32 s9, s9, s16
	s_ashr_i32 s8, s1, 31
	s_sub_i32 s16, s9, s64
	s_cmp_ge_u32 s9, s64
	s_cselect_b32 s9, s16, s9
	s_sub_i32 s16, s9, s64
	s_cmp_ge_u32 s9, s64
	s_cselect_b32 s9, s16, s9
	s_xor_b32 s9, s9, s8
	s_sub_i32 s8, s8, s9
	s_add_i32 s1, s1, s8
	v_cmp_gt_i32_e32 vcc, s1, v0
                                        ; implicit-def: $vgpr28
	s_and_saveexec_b64 s[8:9], vcc
	s_cbranch_execz .LBB3_107
; %bb.99:                               ;   in Loop: Header=BB3_16 Depth=1
	s_mov_b64 s[22:23], 0
	v_mov_b32_e32 v2, v0
                                        ; implicit-def: $sgpr26_sgpr27
	s_branch .LBB3_102
.LBB3_100:                              ;   in Loop: Header=BB3_102 Depth=2
	s_or_b64 exec, exec, s[28:29]
	s_waitcnt lgkmcnt(0)
	s_barrier
	ds_read_u16 v4, v12 offset:3072
	s_mov_b64 s[28:29], -1
	s_waitcnt lgkmcnt(0)
	s_barrier
	v_cmp_ne_u32_sdwa s[30:31], v4, v12 src0_sel:BYTE_0 src1_sel:DWORD
	s_and_b64 vcc, exec, s[30:31]
	s_mov_b64 s[30:31], -1
	s_cbranch_vccz .LBB3_105
.LBB3_101:                              ;   in Loop: Header=BB3_102 Depth=2
	s_and_b64 s[28:29], exec, s[28:29]
	s_or_b64 s[22:23], s[28:29], s[22:23]
	s_andn2_b64 s[26:27], s[26:27], exec
	s_and_b64 s[28:29], s[30:31], exec
	s_or_b64 s[26:27], s[26:27], s[28:29]
	s_andn2_b64 exec, exec, s[22:23]
	s_cbranch_execz .LBB3_106
.LBB3_102:                              ;   Parent Loop BB3_16 Depth=1
                                        ; =>  This Inner Loop Header: Depth=2
	v_cmp_gt_i32_e32 vcc, s0, v2
	s_and_saveexec_b64 s[28:29], vcc
	s_cbranch_execz .LBB3_100
; %bb.103:                              ;   in Loop: Header=BB3_102 Depth=2
	ds_read_u8 v4, v2
	s_waitcnt lgkmcnt(0)
	v_and_b32_e32 v28, v4, v27
	v_cmp_eq_u32_sdwa s[30:31], v28, v19 src0_sel:BYTE_0 src1_sel:DWORD
	s_and_b64 exec, exec, s[30:31]
	s_cbranch_execz .LBB3_100
; %bb.104:                              ;   in Loop: Header=BB3_102 Depth=2
	v_lshlrev_b16_e32 v4, 8, v4
	v_or_b32_e32 v4, 1, v4
	ds_write_b16 v12, v4 offset:3072
	s_branch .LBB3_100
.LBB3_105:                              ;   in Loop: Header=BB3_102 Depth=2
	v_add_u32_e32 v2, s64, v2
	v_cmp_le_i32_e32 vcc, s1, v2
	s_mov_b64 s[30:31], 0
	s_orn2_b64 s[28:29], vcc, exec
	s_branch .LBB3_101
.LBB3_106:                              ;   in Loop: Header=BB3_16 Depth=1
	s_or_b64 exec, exec, s[22:23]
	s_andn2_b64 s[0:1], s[24:25], exec
	s_and_b64 s[22:23], s[26:27], exec
	v_lshrrev_b32_sdwa v28, v25, v4 dst_sel:DWORD dst_unused:UNUSED_PAD src0_sel:DWORD src1_sel:WORD_0
	s_or_b64 s[24:25], s[0:1], s[22:23]
.LBB3_107:                              ;   in Loop: Header=BB3_16 Depth=1
	s_or_b64 exec, exec, s[8:9]
	s_mov_b64 s[8:9], 0
	s_mov_b64 s[22:23], -1
.LBB3_108:                              ;   in Loop: Header=BB3_16 Depth=1
	s_orn2_b64 s[24:25], s[24:25], exec
.LBB3_109:                              ;   in Loop: Header=BB3_16 Depth=1
	s_or_b64 exec, exec, s[6:7]
	s_andn2_b64 s[6:7], s[70:71], exec
	s_and_b64 s[22:23], s[22:23], exec
	s_or_b64 s[70:71], s[6:7], s[22:23]
	s_andn2_b64 s[6:7], s[68:69], exec
	s_and_b64 s[8:9], s[8:9], exec
	v_readfirstlane_b32 s0, v0
	s_andn2_b64 s[94:95], s[94:95], exec
	s_or_b64 s[68:69], s[6:7], s[8:9]
                                        ; implicit-def: $vgpr4
	s_and_saveexec_b64 s[6:7], s[24:25]
	s_cbranch_execz .LBB3_15
; %bb.110:                              ;   in Loop: Header=BB3_16 Depth=1
	s_xor_b64 s[0:1], s[18:19], -1
	s_mov_b64 s[18:19], 0
	v_mov_b32_e32 v4, 1
	v_mov_b32_e32 v2, 1
	s_and_saveexec_b64 s[8:9], s[0:1]
	s_cbranch_execz .LBB3_119
; %bb.111:                              ;   in Loop: Header=BB3_16 Depth=1
	v_cmp_ge_i32_e32 vcc, s38, v29
	s_and_saveexec_b64 s[0:1], vcc
	s_xor_b64 s[18:19], exec, s[0:1]
	s_cbranch_execz .LBB3_116
; %bb.112:                              ;   in Loop: Header=BB3_16 Depth=1
	ds_read_b32 v2, v12 offset:4096
	v_and_b32_e32 v19, v19, v3
	v_or_b32_e32 v27, v27, v1
	s_waitcnt lgkmcnt(0)
	v_cmp_ne_u32_e32 vcc, 0, v2
	s_cbranch_vccnz .LBB3_116
; %bb.113:                              ;   in Loop: Header=BB3_16 Depth=1
	s_mov_b64 s[20:21], exec
	v_readlane_b32 s0, v43, 5
	v_readlane_b32 s1, v43, 6
	s_and_b64 s[0:1], s[20:21], s[0:1]
	s_mov_b64 exec, s[0:1]
; %bb.114:                              ;   in Loop: Header=BB3_16 Depth=1
	v_mov_b32_e32 v2, s38
	ds_write_b32 v12, v2 offset:4100
; %bb.115:                              ;   in Loop: Header=BB3_16 Depth=1
	s_or_b64 exec, exec, s[20:21]
	s_waitcnt lgkmcnt(0)
	s_barrier
.LBB3_116:                              ;   in Loop: Header=BB3_16 Depth=1
	s_or_saveexec_b64 s[18:19], s[18:19]
	s_mov_b64 s[20:21], 0
	v_mov_b32_e32 v2, 8
	s_xor_b64 exec, exec, s[18:19]
; %bb.117:                              ;   in Loop: Header=BB3_16 Depth=1
	s_mov_b64 s[20:21], exec
	v_subrev_u32_e32 v29, s38, v29
	v_mov_b32_e32 v2, 0
; %bb.118:                              ;   in Loop: Header=BB3_16 Depth=1
	s_or_b64 exec, exec, s[18:19]
	s_and_b64 s[18:19], s[20:21], exec
	v_mov_b32_e32 v4, v29
.LBB3_119:                              ;   in Loop: Header=BB3_16 Depth=1
	s_or_b64 exec, exec, s[8:9]
	s_mov_b64 s[20:21], -1
	s_mov_b64 s[8:9], -1
                                        ; implicit-def: $sgpr24_sgpr25
                                        ; implicit-def: $sgpr26_sgpr27
	s_and_saveexec_b64 s[0:1], s[18:19]
	s_xor_b64 s[22:23], exec, s[0:1]
	s_cbranch_execz .LBB3_236
; %bb.120:                              ;   in Loop: Header=BB3_16 Depth=1
	s_cmp_eq_u32 s42, 1
	s_cselect_b64 s[0:1], -1, 0
	v_cmp_eq_u32_e32 vcc, 1, v4
	s_and_b64 s[8:9], s[0:1], vcc
	s_mov_b64 s[30:31], -1
                                        ; implicit-def: $sgpr26_sgpr27
                                        ; implicit-def: $sgpr24_sgpr25
	s_and_saveexec_b64 s[18:19], s[8:9]
	s_cbranch_execz .LBB3_146
; %bb.121:                              ;   in Loop: Header=BB3_16 Depth=1
	ds_read_b32 v28, v12 offset:4096
	s_waitcnt lgkmcnt(0)
	s_barrier
	v_readfirstlane_b32 s0, v28
	s_and_saveexec_b64 s[24:25], s[4:5]
; %bb.122:                              ;   in Loop: Header=BB3_16 Depth=1
	ds_write_b8 v0, v12 offset:3072
; %bb.123:                              ;   in Loop: Header=BB3_16 Depth=1
	s_or_b64 exec, exec, s[24:25]
	v_and_b32_e32 v19, v19, v3
	v_lshl_or_b32 v19, 1, v26, v19
	v_or_b32_e32 v27, v27, v1
	s_mov_b64 s[24:25], -1
	s_mov_b64 s[26:27], 0
	s_cmp_gt_i32 s0, 0
	s_mov_b64 s[28:29], 0
	s_waitcnt lgkmcnt(0)
	s_barrier
                                        ; implicit-def: $vgpr28
	s_cbranch_scc1 .LBB3_134
; %bb.124:                              ;   in Loop: Header=BB3_16 Depth=1
	s_mov_b64 s[30:31], 0
                                        ; implicit-def: $vgpr28
	s_mov_b64 s[34:35], exec
	v_readlane_b32 s36, v43, 23
	v_readlane_b32 s37, v43, 24
	s_and_b64 s[36:37], s[34:35], s[36:37]
	s_mov_b64 exec, s[36:37]
	s_cbranch_execz .LBB3_133
; %bb.125:                              ;   in Loop: Header=BB3_16 Depth=1
	v_mov_b32_e32 v28, v9
	v_mov_b32_e32 v29, v0
                                        ; implicit-def: $sgpr36_sgpr37
	s_branch .LBB3_128
.LBB3_126:                              ;   in Loop: Header=BB3_128 Depth=2
	s_or_b64 exec, exec, s[38:39]
	s_waitcnt lgkmcnt(0)
	s_barrier
	ds_read_u16 v30, v12 offset:3072
	s_mov_b64 s[38:39], -1
	s_waitcnt lgkmcnt(0)
	s_barrier
	v_cmp_ne_u32_sdwa s[40:41], v30, v12 src0_sel:BYTE_0 src1_sel:DWORD
	s_and_b64 vcc, exec, s[40:41]
	s_mov_b64 s[40:41], -1
	s_cbranch_vccz .LBB3_131
.LBB3_127:                              ;   in Loop: Header=BB3_128 Depth=2
	s_and_b64 s[38:39], exec, s[38:39]
	s_or_b64 s[28:29], s[38:39], s[28:29]
	s_andn2_b64 s[36:37], s[36:37], exec
	s_and_b64 s[38:39], s[40:41], exec
	s_or_b64 s[36:37], s[36:37], s[38:39]
	s_andn2_b64 exec, exec, s[28:29]
	s_cbranch_execz .LBB3_132
.LBB3_128:                              ;   Parent Loop BB3_16 Depth=1
                                        ; =>  This Inner Loop Header: Depth=2
	v_cmp_gt_i32_e32 vcc, s60, v29
	s_and_saveexec_b64 s[38:39], vcc
	s_cbranch_execz .LBB3_126
; %bb.129:                              ;   in Loop: Header=BB3_128 Depth=2
	v_ashrrev_i32_e32 v31, 31, v28
	v_mov_b32_e32 v32, s73
	v_add_co_u32_e32 v30, vcc, s72, v28
	v_addc_co_u32_e32 v31, vcc, v32, v31, vcc
	global_load_ubyte v30, v[30:31], off
	s_waitcnt vmcnt(0)
	v_and_b32_e32 v31, v30, v27
	v_cmp_eq_u32_sdwa s[40:41], v31, v19 src0_sel:BYTE_0 src1_sel:DWORD
	s_and_b64 exec, exec, s[40:41]
	s_cbranch_execz .LBB3_126
; %bb.130:                              ;   in Loop: Header=BB3_128 Depth=2
	v_lshlrev_b16_e32 v30, 8, v30
	v_or_b32_e32 v30, 1, v30
	ds_write_b16 v12, v30 offset:3072
	s_branch .LBB3_126
.LBB3_131:                              ;   in Loop: Header=BB3_128 Depth=2
	v_add_u32_e32 v29, s64, v29
	v_cmp_le_i32_e32 vcc, s17, v29
	v_add_u32_e32 v28, s82, v28
	s_mov_b64 s[40:41], 0
	s_orn2_b64 s[38:39], vcc, exec
	s_branch .LBB3_127
.LBB3_132:                              ;   in Loop: Header=BB3_16 Depth=1
	s_or_b64 exec, exec, s[28:29]
	v_lshrrev_b32_sdwa v28, v25, v30 dst_sel:DWORD dst_unused:UNUSED_PAD src0_sel:DWORD src1_sel:WORD_0
	s_and_b64 s[28:29], s[36:37], exec
.LBB3_133:                              ;   in Loop: Header=BB3_16 Depth=1
	s_or_b64 exec, exec, s[34:35]
.LBB3_134:                              ;   in Loop: Header=BB3_16 Depth=1
	s_and_b64 vcc, exec, s[30:31]
	s_cbranch_vccz .LBB3_145
; %bb.135:                              ;   in Loop: Header=BB3_16 Depth=1
	v_readlane_b32 s1, v43, 8
	s_add_i32 s1, s0, s1
	s_abs_i32 s24, s1
	v_readlane_b32 s25, v43, 22
	s_mul_hi_u32 s25, s24, s25
	s_mul_i32 s25, s25, s64
	s_sub_i32 s24, s24, s25
	s_ashr_i32 s16, s1, 31
	s_sub_i32 s25, s24, s64
	s_cmp_ge_u32 s24, s64
	s_cselect_b32 s24, s25, s24
	s_sub_i32 s25, s24, s64
	s_cmp_ge_u32 s24, s64
	s_cselect_b32 s24, s25, s24
	s_xor_b32 s24, s24, s16
	s_sub_i32 s16, s16, s24
	s_add_i32 s1, s1, s16
	v_cmp_gt_i32_e32 vcc, s1, v0
                                        ; implicit-def: $vgpr28
	s_and_saveexec_b64 s[24:25], vcc
	s_cbranch_execz .LBB3_144
; %bb.136:                              ;   in Loop: Header=BB3_16 Depth=1
	s_mov_b64 s[26:27], 0
	v_mov_b32_e32 v28, v0
                                        ; implicit-def: $sgpr30_sgpr31
	s_branch .LBB3_139
.LBB3_137:                              ;   in Loop: Header=BB3_139 Depth=2
	s_or_b64 exec, exec, s[34:35]
	s_waitcnt lgkmcnt(0)
	s_barrier
	ds_read_u16 v29, v12 offset:3072
	s_mov_b64 s[34:35], -1
	s_waitcnt lgkmcnt(0)
	s_barrier
	v_cmp_eq_u32_sdwa s[36:37], v29, v12 src0_sel:BYTE_0 src1_sel:DWORD
	s_and_b64 vcc, exec, s[36:37]
	s_mov_b64 s[36:37], -1
	s_cbranch_vccnz .LBB3_142
.LBB3_138:                              ;   in Loop: Header=BB3_139 Depth=2
	s_and_b64 s[34:35], exec, s[34:35]
	s_or_b64 s[26:27], s[34:35], s[26:27]
	s_andn2_b64 s[30:31], s[30:31], exec
	s_and_b64 s[34:35], s[36:37], exec
	s_or_b64 s[30:31], s[30:31], s[34:35]
	s_andn2_b64 exec, exec, s[26:27]
	s_cbranch_execz .LBB3_143
.LBB3_139:                              ;   Parent Loop BB3_16 Depth=1
                                        ; =>  This Inner Loop Header: Depth=2
	v_cmp_gt_i32_e32 vcc, s0, v28
	s_and_saveexec_b64 s[34:35], vcc
	s_cbranch_execz .LBB3_137
; %bb.140:                              ;   in Loop: Header=BB3_139 Depth=2
	ds_read_u8 v29, v28
	s_waitcnt lgkmcnt(0)
	v_and_b32_e32 v30, v29, v27
	v_cmp_eq_u32_sdwa s[36:37], v30, v19 src0_sel:BYTE_0 src1_sel:DWORD
	s_and_b64 exec, exec, s[36:37]
	s_cbranch_execz .LBB3_137
; %bb.141:                              ;   in Loop: Header=BB3_139 Depth=2
	v_lshlrev_b16_e32 v29, 8, v29
	v_or_b32_e32 v29, 1, v29
	ds_write_b16 v12, v29 offset:3072
	s_branch .LBB3_137
.LBB3_142:                              ;   in Loop: Header=BB3_139 Depth=2
	v_add_u32_e32 v28, s64, v28
	v_cmp_le_i32_e32 vcc, s1, v28
	s_mov_b64 s[36:37], 0
	s_orn2_b64 s[34:35], vcc, exec
	s_branch .LBB3_138
.LBB3_143:                              ;   in Loop: Header=BB3_16 Depth=1
	s_or_b64 exec, exec, s[26:27]
	s_andn2_b64 s[0:1], s[28:29], exec
	s_and_b64 s[26:27], s[30:31], exec
	v_lshrrev_b32_sdwa v28, v25, v29 dst_sel:DWORD dst_unused:UNUSED_PAD src0_sel:DWORD src1_sel:WORD_0
	s_or_b64 s[28:29], s[0:1], s[26:27]
.LBB3_144:                              ;   in Loop: Header=BB3_16 Depth=1
	s_or_b64 exec, exec, s[24:25]
	s_mov_b64 s[24:25], 0
	s_mov_b64 s[26:27], -1
.LBB3_145:                              ;   in Loop: Header=BB3_16 Depth=1
	s_orn2_b64 s[30:31], s[28:29], exec
.LBB3_146:                              ;   in Loop: Header=BB3_16 Depth=1
	s_or_b64 exec, exec, s[18:19]
	s_mov_b64 s[18:19], 0
	s_and_saveexec_b64 s[28:29], s[30:31]
	s_cbranch_execz .LBB3_235
; %bb.147:                              ;   in Loop: Header=BB3_16 Depth=1
	s_xor_b64 s[0:1], s[8:9], -1
	v_mov_b32_e32 v29, 1
	v_mov_b32_e32 v2, 1
	s_and_saveexec_b64 s[8:9], s[0:1]
	s_cbranch_execz .LBB3_156
; %bb.148:                              ;   in Loop: Header=BB3_16 Depth=1
	v_cmp_ge_i32_e32 vcc, s42, v4
	s_and_saveexec_b64 s[0:1], vcc
	s_xor_b64 s[18:19], exec, s[0:1]
	s_cbranch_execz .LBB3_153
; %bb.149:                              ;   in Loop: Header=BB3_16 Depth=1
	ds_read_b32 v2, v12 offset:4096
	v_and_b32_e32 v19, v19, v3
	v_lshl_or_b32 v19, 1, v26, v19
	v_or_b32_e32 v27, v27, v1
	s_waitcnt lgkmcnt(0)
	v_cmp_ne_u32_e32 vcc, 0, v2
	s_cbranch_vccnz .LBB3_153
; %bb.150:                              ;   in Loop: Header=BB3_16 Depth=1
	s_mov_b64 s[30:31], exec
	v_readlane_b32 s0, v43, 5
	v_readlane_b32 s1, v43, 6
	s_and_b64 s[0:1], s[30:31], s[0:1]
	s_mov_b64 exec, s[0:1]
; %bb.151:                              ;   in Loop: Header=BB3_16 Depth=1
	v_mov_b32_e32 v2, s42
	ds_write_b32 v12, v2 offset:4100
; %bb.152:                              ;   in Loop: Header=BB3_16 Depth=1
	s_or_b64 exec, exec, s[30:31]
	s_waitcnt lgkmcnt(0)
	s_barrier
.LBB3_153:                              ;   in Loop: Header=BB3_16 Depth=1
	s_or_saveexec_b64 s[18:19], s[18:19]
	s_mov_b64 s[30:31], 0
	v_mov_b32_e32 v2, 8
	s_xor_b64 exec, exec, s[18:19]
; %bb.154:                              ;   in Loop: Header=BB3_16 Depth=1
	s_mov_b64 s[30:31], exec
	v_subrev_u32_e32 v4, s42, v4
	v_mov_b32_e32 v2, 0
; %bb.155:                              ;   in Loop: Header=BB3_16 Depth=1
	s_or_b64 exec, exec, s[18:19]
	s_and_b64 s[18:19], s[30:31], exec
	v_mov_b32_e32 v29, v4
.LBB3_156:                              ;   in Loop: Header=BB3_16 Depth=1
	s_or_b64 exec, exec, s[8:9]
	s_mov_b64 s[8:9], -1
                                        ; implicit-def: $sgpr34_sgpr35
                                        ; implicit-def: $sgpr36_sgpr37
	s_and_saveexec_b64 s[30:31], s[18:19]
	s_cbranch_execz .LBB3_234
; %bb.157:                              ;   in Loop: Header=BB3_16 Depth=1
	s_cmp_eq_u32 s50, 1
	s_cselect_b64 s[0:1], -1, 0
	v_cmp_eq_u32_e32 vcc, 1, v29
	s_and_b64 s[8:9], s[0:1], vcc
	s_mov_b64 s[40:41], -1
                                        ; implicit-def: $sgpr36_sgpr37
                                        ; implicit-def: $sgpr34_sgpr35
	s_and_saveexec_b64 s[18:19], s[8:9]
	s_cbranch_execz .LBB3_183
; %bb.158:                              ;   in Loop: Header=BB3_16 Depth=1
	ds_read_b32 v4, v12 offset:4096
	s_waitcnt lgkmcnt(0)
	s_barrier
	v_readfirstlane_b32 s0, v4
	s_and_saveexec_b64 s[34:35], s[4:5]
; %bb.159:                              ;   in Loop: Header=BB3_16 Depth=1
	ds_write_b8 v0, v12 offset:3072
; %bb.160:                              ;   in Loop: Header=BB3_16 Depth=1
	s_or_b64 exec, exec, s[34:35]
	v_and_b32_e32 v4, v19, v3
	v_lshl_or_b32 v19, 2, v26, v4
	v_or_b32_e32 v27, v27, v1
	s_mov_b64 s[34:35], -1
	s_mov_b64 s[36:37], 0
	s_cmp_gt_i32 s0, 0
	s_mov_b64 s[38:39], 0
	s_waitcnt lgkmcnt(0)
	s_barrier
                                        ; implicit-def: $vgpr28
	s_cbranch_scc1 .LBB3_171
; %bb.161:                              ;   in Loop: Header=BB3_16 Depth=1
	s_mov_b64 s[40:41], 0
                                        ; implicit-def: $vgpr28
	s_mov_b64 s[42:43], exec
	v_readlane_b32 s44, v43, 23
	v_readlane_b32 s45, v43, 24
	s_and_b64 s[44:45], s[42:43], s[44:45]
	s_mov_b64 exec, s[44:45]
	s_cbranch_execz .LBB3_170
; %bb.162:                              ;   in Loop: Header=BB3_16 Depth=1
	v_mov_b32_e32 v4, v9
	v_mov_b32_e32 v28, v0
                                        ; implicit-def: $sgpr44_sgpr45
	s_branch .LBB3_165
.LBB3_163:                              ;   in Loop: Header=BB3_165 Depth=2
	s_or_b64 exec, exec, s[46:47]
	s_waitcnt lgkmcnt(0)
	s_barrier
	ds_read_u16 v30, v12 offset:3072
	s_mov_b64 s[46:47], -1
	s_waitcnt lgkmcnt(0)
	s_barrier
	v_cmp_ne_u32_sdwa s[48:49], v30, v12 src0_sel:BYTE_0 src1_sel:DWORD
	s_and_b64 vcc, exec, s[48:49]
	s_mov_b64 s[48:49], -1
	s_cbranch_vccz .LBB3_168
.LBB3_164:                              ;   in Loop: Header=BB3_165 Depth=2
	s_and_b64 s[46:47], exec, s[46:47]
	s_or_b64 s[38:39], s[46:47], s[38:39]
	s_andn2_b64 s[44:45], s[44:45], exec
	s_and_b64 s[46:47], s[48:49], exec
	s_or_b64 s[44:45], s[44:45], s[46:47]
	s_andn2_b64 exec, exec, s[38:39]
	s_cbranch_execz .LBB3_169
.LBB3_165:                              ;   Parent Loop BB3_16 Depth=1
                                        ; =>  This Inner Loop Header: Depth=2
	v_cmp_gt_i32_e32 vcc, s60, v28
	s_and_saveexec_b64 s[46:47], vcc
	s_cbranch_execz .LBB3_163
; %bb.166:                              ;   in Loop: Header=BB3_165 Depth=2
	v_ashrrev_i32_e32 v31, 31, v4
	v_mov_b32_e32 v32, s73
	v_add_co_u32_e32 v30, vcc, s72, v4
	v_addc_co_u32_e32 v31, vcc, v32, v31, vcc
	global_load_ubyte v30, v[30:31], off
	s_waitcnt vmcnt(0)
	v_and_b32_e32 v31, v30, v27
	v_cmp_eq_u32_sdwa s[48:49], v31, v19 src0_sel:BYTE_0 src1_sel:DWORD
	s_and_b64 exec, exec, s[48:49]
	s_cbranch_execz .LBB3_163
; %bb.167:                              ;   in Loop: Header=BB3_165 Depth=2
	v_lshlrev_b16_e32 v30, 8, v30
	v_or_b32_e32 v30, 1, v30
	ds_write_b16 v12, v30 offset:3072
	s_branch .LBB3_163
.LBB3_168:                              ;   in Loop: Header=BB3_165 Depth=2
	v_add_u32_e32 v28, s64, v28
	v_cmp_le_i32_e32 vcc, s17, v28
	v_add_u32_e32 v4, s82, v4
	s_mov_b64 s[48:49], 0
	s_orn2_b64 s[46:47], vcc, exec
	s_branch .LBB3_164
.LBB3_169:                              ;   in Loop: Header=BB3_16 Depth=1
	s_or_b64 exec, exec, s[38:39]
	v_lshrrev_b32_sdwa v28, v25, v30 dst_sel:DWORD dst_unused:UNUSED_PAD src0_sel:DWORD src1_sel:WORD_0
	s_and_b64 s[38:39], s[44:45], exec
.LBB3_170:                              ;   in Loop: Header=BB3_16 Depth=1
	s_or_b64 exec, exec, s[42:43]
.LBB3_171:                              ;   in Loop: Header=BB3_16 Depth=1
	s_and_b64 vcc, exec, s[40:41]
	s_cbranch_vccz .LBB3_182
; %bb.172:                              ;   in Loop: Header=BB3_16 Depth=1
	v_readlane_b32 s1, v43, 8
	s_add_i32 s1, s0, s1
	s_abs_i32 s34, s1
	v_readlane_b32 s35, v43, 22
	s_mul_hi_u32 s35, s34, s35
	s_mul_i32 s35, s35, s64
	s_sub_i32 s34, s34, s35
	s_ashr_i32 s16, s1, 31
	s_sub_i32 s35, s34, s64
	s_cmp_ge_u32 s34, s64
	s_cselect_b32 s34, s35, s34
	s_sub_i32 s35, s34, s64
	s_cmp_ge_u32 s34, s64
	s_cselect_b32 s34, s35, s34
	s_xor_b32 s34, s34, s16
	s_sub_i32 s16, s16, s34
	s_add_i32 s1, s1, s16
	v_cmp_gt_i32_e32 vcc, s1, v0
                                        ; implicit-def: $vgpr28
	s_and_saveexec_b64 s[34:35], vcc
	s_cbranch_execz .LBB3_181
; %bb.173:                              ;   in Loop: Header=BB3_16 Depth=1
	s_mov_b64 s[36:37], 0
	v_mov_b32_e32 v4, v0
                                        ; implicit-def: $sgpr40_sgpr41
	s_branch .LBB3_176
.LBB3_174:                              ;   in Loop: Header=BB3_176 Depth=2
	s_or_b64 exec, exec, s[42:43]
	s_waitcnt lgkmcnt(0)
	s_barrier
	ds_read_u16 v28, v12 offset:3072
	s_mov_b64 s[42:43], -1
	s_waitcnt lgkmcnt(0)
	s_barrier
	v_cmp_eq_u32_sdwa s[44:45], v28, v12 src0_sel:BYTE_0 src1_sel:DWORD
	s_and_b64 vcc, exec, s[44:45]
	s_mov_b64 s[44:45], -1
	s_cbranch_vccnz .LBB3_179
.LBB3_175:                              ;   in Loop: Header=BB3_176 Depth=2
	s_and_b64 s[42:43], exec, s[42:43]
	s_or_b64 s[36:37], s[42:43], s[36:37]
	s_andn2_b64 s[40:41], s[40:41], exec
	s_and_b64 s[42:43], s[44:45], exec
	s_or_b64 s[40:41], s[40:41], s[42:43]
	s_andn2_b64 exec, exec, s[36:37]
	s_cbranch_execz .LBB3_180
.LBB3_176:                              ;   Parent Loop BB3_16 Depth=1
                                        ; =>  This Inner Loop Header: Depth=2
	v_cmp_gt_i32_e32 vcc, s0, v4
	s_and_saveexec_b64 s[42:43], vcc
	s_cbranch_execz .LBB3_174
; %bb.177:                              ;   in Loop: Header=BB3_176 Depth=2
	ds_read_u8 v28, v4
	s_waitcnt lgkmcnt(0)
	v_and_b32_e32 v30, v28, v27
	v_cmp_eq_u32_sdwa s[44:45], v30, v19 src0_sel:BYTE_0 src1_sel:DWORD
	s_and_b64 exec, exec, s[44:45]
	s_cbranch_execz .LBB3_174
; %bb.178:                              ;   in Loop: Header=BB3_176 Depth=2
	v_lshlrev_b16_e32 v28, 8, v28
	v_or_b32_e32 v28, 1, v28
	ds_write_b16 v12, v28 offset:3072
	s_branch .LBB3_174
.LBB3_179:                              ;   in Loop: Header=BB3_176 Depth=2
	v_add_u32_e32 v4, s64, v4
	v_cmp_le_i32_e32 vcc, s1, v4
	s_mov_b64 s[44:45], 0
	s_orn2_b64 s[42:43], vcc, exec
	s_branch .LBB3_175
.LBB3_180:                              ;   in Loop: Header=BB3_16 Depth=1
	s_or_b64 exec, exec, s[36:37]
	s_andn2_b64 s[0:1], s[38:39], exec
	s_and_b64 s[36:37], s[40:41], exec
	v_lshrrev_b32_sdwa v28, v25, v28 dst_sel:DWORD dst_unused:UNUSED_PAD src0_sel:DWORD src1_sel:WORD_0
	s_or_b64 s[38:39], s[0:1], s[36:37]
.LBB3_181:                              ;   in Loop: Header=BB3_16 Depth=1
	s_or_b64 exec, exec, s[34:35]
	s_mov_b64 s[34:35], 0
	s_mov_b64 s[36:37], -1
.LBB3_182:                              ;   in Loop: Header=BB3_16 Depth=1
	s_orn2_b64 s[40:41], s[38:39], exec
.LBB3_183:                              ;   in Loop: Header=BB3_16 Depth=1
	s_or_b64 exec, exec, s[18:19]
	s_mov_b64 s[18:19], 0
	s_and_saveexec_b64 s[38:39], s[40:41]
	s_cbranch_execz .LBB3_233
; %bb.184:                              ;   in Loop: Header=BB3_16 Depth=1
	s_xor_b64 s[0:1], s[8:9], -1
	s_mov_b64 s[44:45], 0
	v_mov_b32_e32 v4, 1
	v_mov_b32_e32 v2, 1
	s_and_saveexec_b64 s[8:9], s[0:1]
	s_cbranch_execz .LBB3_193
; %bb.185:                              ;   in Loop: Header=BB3_16 Depth=1
	v_cmp_ge_i32_e32 vcc, s50, v29
	s_and_saveexec_b64 s[0:1], vcc
	s_xor_b64 s[18:19], exec, s[0:1]
	s_cbranch_execz .LBB3_190
; %bb.186:                              ;   in Loop: Header=BB3_16 Depth=1
	ds_read_b32 v2, v12 offset:4096
	v_and_b32_e32 v3, v19, v3
	v_lshl_or_b32 v19, 2, v26, v3
	v_or_b32_e32 v27, v27, v1
	s_waitcnt lgkmcnt(0)
	v_cmp_ne_u32_e32 vcc, 0, v2
	s_cbranch_vccnz .LBB3_190
; %bb.187:                              ;   in Loop: Header=BB3_16 Depth=1
	s_mov_b64 s[40:41], exec
	v_readlane_b32 s0, v43, 5
	v_readlane_b32 s1, v43, 6
	s_and_b64 s[0:1], s[40:41], s[0:1]
	s_mov_b64 exec, s[0:1]
; %bb.188:                              ;   in Loop: Header=BB3_16 Depth=1
	v_mov_b32_e32 v2, s50
	ds_write_b32 v12, v2 offset:4100
; %bb.189:                              ;   in Loop: Header=BB3_16 Depth=1
	s_or_b64 exec, exec, s[40:41]
	s_waitcnt lgkmcnt(0)
	s_barrier
.LBB3_190:                              ;   in Loop: Header=BB3_16 Depth=1
	s_or_saveexec_b64 s[18:19], s[18:19]
	s_mov_b64 s[40:41], 0
	v_mov_b32_e32 v2, 8
	s_xor_b64 exec, exec, s[18:19]
; %bb.191:                              ;   in Loop: Header=BB3_16 Depth=1
	s_mov_b64 s[40:41], exec
	v_subrev_u32_e32 v29, s50, v29
	v_mov_b32_e32 v2, 0
; %bb.192:                              ;   in Loop: Header=BB3_16 Depth=1
	s_or_b64 exec, exec, s[18:19]
	s_and_b64 s[44:45], s[40:41], exec
	v_mov_b32_e32 v4, v29
.LBB3_193:                              ;   in Loop: Header=BB3_16 Depth=1
	s_or_b64 exec, exec, s[8:9]
	s_mov_b64 s[42:43], -1
                                        ; implicit-def: $sgpr18_sgpr19
                                        ; implicit-def: $sgpr8_sgpr9
	s_and_saveexec_b64 s[40:41], s[44:45]
	s_cbranch_execz .LBB3_232
; %bb.194:                              ;   in Loop: Header=BB3_16 Depth=1
	s_cmp_eq_u32 s58, 1
	s_cselect_b64 s[0:1], -1, 0
	v_cmp_eq_u32_e32 vcc, 1, v4
	s_and_b64 s[42:43], s[0:1], vcc
	s_mov_b64 s[46:47], -1
                                        ; implicit-def: $sgpr18_sgpr19
                                        ; implicit-def: $sgpr8_sgpr9
	s_and_saveexec_b64 s[44:45], s[42:43]
	s_cbranch_execz .LBB3_220
; %bb.195:                              ;   in Loop: Header=BB3_16 Depth=1
	ds_read_b32 v3, v12 offset:4096
	s_waitcnt lgkmcnt(0)
	s_barrier
	v_readfirstlane_b32 s0, v3
	s_and_saveexec_b64 s[8:9], s[4:5]
; %bb.196:                              ;   in Loop: Header=BB3_16 Depth=1
	ds_write_b8 v0, v12 offset:3072
; %bb.197:                              ;   in Loop: Header=BB3_16 Depth=1
	s_or_b64 exec, exec, s[8:9]
	v_or_b32_e32 v19, v19, v1
	v_or_b32_e32 v27, v27, v1
	s_mov_b64 s[8:9], -1
	s_mov_b64 s[18:19], 0
	s_cmp_gt_i32 s0, 0
	s_mov_b64 s[46:47], 0
	s_mov_b64 s[48:49], -1
	s_waitcnt lgkmcnt(0)
	s_barrier
                                        ; implicit-def: $vgpr28
	s_cbranch_scc1 .LBB3_208
; %bb.198:                              ;   in Loop: Header=BB3_16 Depth=1
	s_mov_b64 s[48:49], 0
                                        ; implicit-def: $vgpr28
	s_mov_b64 s[50:51], exec
	v_readlane_b32 s52, v43, 23
	v_readlane_b32 s53, v43, 24
	s_and_b64 s[52:53], s[50:51], s[52:53]
	s_mov_b64 exec, s[52:53]
	s_cbranch_execz .LBB3_207
; %bb.199:                              ;   in Loop: Header=BB3_16 Depth=1
	v_mov_b32_e32 v3, v9
	v_mov_b32_e32 v28, v0
                                        ; implicit-def: $sgpr52_sgpr53
	s_branch .LBB3_202
.LBB3_200:                              ;   in Loop: Header=BB3_202 Depth=2
	s_or_b64 exec, exec, s[54:55]
	s_waitcnt lgkmcnt(0)
	s_barrier
	ds_read_u16 v29, v12 offset:3072
	s_mov_b64 s[54:55], -1
	s_waitcnt lgkmcnt(0)
	s_barrier
	v_cmp_ne_u32_sdwa s[56:57], v29, v12 src0_sel:BYTE_0 src1_sel:DWORD
	s_and_b64 vcc, exec, s[56:57]
	s_mov_b64 s[56:57], -1
	s_cbranch_vccz .LBB3_205
.LBB3_201:                              ;   in Loop: Header=BB3_202 Depth=2
	s_and_b64 s[54:55], exec, s[54:55]
	s_or_b64 s[46:47], s[54:55], s[46:47]
	s_andn2_b64 s[52:53], s[52:53], exec
	s_and_b64 s[54:55], s[56:57], exec
	s_or_b64 s[52:53], s[52:53], s[54:55]
	s_andn2_b64 exec, exec, s[46:47]
	s_cbranch_execz .LBB3_206
.LBB3_202:                              ;   Parent Loop BB3_16 Depth=1
                                        ; =>  This Inner Loop Header: Depth=2
	v_cmp_gt_i32_e32 vcc, s60, v28
	s_and_saveexec_b64 s[54:55], vcc
	s_cbranch_execz .LBB3_200
; %bb.203:                              ;   in Loop: Header=BB3_202 Depth=2
	v_ashrrev_i32_e32 v30, 31, v3
	v_mov_b32_e32 v31, s73
	v_add_co_u32_e32 v29, vcc, s72, v3
	v_addc_co_u32_e32 v30, vcc, v31, v30, vcc
	global_load_ubyte v29, v[29:30], off
	s_waitcnt vmcnt(0)
	v_and_b32_e32 v30, v29, v27
	v_cmp_eq_u32_sdwa s[56:57], v30, v19 src0_sel:BYTE_0 src1_sel:DWORD
	s_and_b64 exec, exec, s[56:57]
	s_cbranch_execz .LBB3_200
; %bb.204:                              ;   in Loop: Header=BB3_202 Depth=2
	v_lshlrev_b16_e32 v29, 8, v29
	v_or_b32_e32 v29, 1, v29
	ds_write_b16 v12, v29 offset:3072
	s_branch .LBB3_200
.LBB3_205:                              ;   in Loop: Header=BB3_202 Depth=2
	v_add_u32_e32 v28, s64, v28
	v_cmp_le_i32_e32 vcc, s17, v28
	v_add_u32_e32 v3, s82, v3
	s_mov_b64 s[56:57], 0
	s_orn2_b64 s[54:55], vcc, exec
	s_branch .LBB3_201
.LBB3_206:                              ;   in Loop: Header=BB3_16 Depth=1
	s_or_b64 exec, exec, s[46:47]
	v_lshrrev_b32_sdwa v28, v25, v29 dst_sel:DWORD dst_unused:UNUSED_PAD src0_sel:DWORD src1_sel:WORD_0
	s_and_b64 s[46:47], s[52:53], exec
.LBB3_207:                              ;   in Loop: Header=BB3_16 Depth=1
	s_or_b64 exec, exec, s[50:51]
.LBB3_208:                              ;   in Loop: Header=BB3_16 Depth=1
	s_and_b64 vcc, exec, s[48:49]
	s_cbranch_vccz .LBB3_219
; %bb.209:                              ;   in Loop: Header=BB3_16 Depth=1
	v_readlane_b32 s1, v43, 8
	s_add_i32 s1, s0, s1
	s_abs_i32 s9, s1
	v_readlane_b32 s16, v43, 22
	s_mul_hi_u32 s16, s9, s16
	s_mul_i32 s16, s16, s64
	s_sub_i32 s9, s9, s16
	s_ashr_i32 s8, s1, 31
	s_sub_i32 s16, s9, s64
	s_cmp_ge_u32 s9, s64
	s_cselect_b32 s9, s16, s9
	s_sub_i32 s16, s9, s64
	s_cmp_ge_u32 s9, s64
	s_cselect_b32 s9, s16, s9
	s_xor_b32 s9, s9, s8
	s_sub_i32 s8, s8, s9
	s_add_i32 s1, s1, s8
	v_cmp_gt_i32_e32 vcc, s1, v0
                                        ; implicit-def: $vgpr28
	s_and_saveexec_b64 s[8:9], vcc
	s_cbranch_execz .LBB3_218
; %bb.210:                              ;   in Loop: Header=BB3_16 Depth=1
	s_mov_b64 s[18:19], 0
	v_mov_b32_e32 v3, v0
                                        ; implicit-def: $sgpr48_sgpr49
	s_branch .LBB3_213
.LBB3_211:                              ;   in Loop: Header=BB3_213 Depth=2
	s_or_b64 exec, exec, s[50:51]
	s_waitcnt lgkmcnt(0)
	s_barrier
	ds_read_u16 v28, v12 offset:3072
	s_mov_b64 s[50:51], -1
	s_waitcnt lgkmcnt(0)
	s_barrier
	v_cmp_eq_u32_sdwa s[52:53], v28, v12 src0_sel:BYTE_0 src1_sel:DWORD
	s_and_b64 vcc, exec, s[52:53]
	s_mov_b64 s[52:53], -1
	s_cbranch_vccnz .LBB3_216
.LBB3_212:                              ;   in Loop: Header=BB3_213 Depth=2
	s_and_b64 s[50:51], exec, s[50:51]
	s_or_b64 s[18:19], s[50:51], s[18:19]
	s_andn2_b64 s[48:49], s[48:49], exec
	s_and_b64 s[50:51], s[52:53], exec
	s_or_b64 s[48:49], s[48:49], s[50:51]
	s_andn2_b64 exec, exec, s[18:19]
	s_cbranch_execz .LBB3_217
.LBB3_213:                              ;   Parent Loop BB3_16 Depth=1
                                        ; =>  This Inner Loop Header: Depth=2
	v_cmp_gt_i32_e32 vcc, s0, v3
	s_and_saveexec_b64 s[50:51], vcc
	s_cbranch_execz .LBB3_211
; %bb.214:                              ;   in Loop: Header=BB3_213 Depth=2
	ds_read_u8 v28, v3
	s_waitcnt lgkmcnt(0)
	v_and_b32_e32 v29, v28, v27
	v_cmp_eq_u32_sdwa s[52:53], v29, v19 src0_sel:BYTE_0 src1_sel:DWORD
	s_and_b64 exec, exec, s[52:53]
	s_cbranch_execz .LBB3_211
; %bb.215:                              ;   in Loop: Header=BB3_213 Depth=2
	v_lshlrev_b16_e32 v28, 8, v28
	v_or_b32_e32 v28, 1, v28
	ds_write_b16 v12, v28 offset:3072
	s_branch .LBB3_211
.LBB3_216:                              ;   in Loop: Header=BB3_213 Depth=2
	v_add_u32_e32 v3, s64, v3
	v_cmp_le_i32_e32 vcc, s1, v3
	s_mov_b64 s[52:53], 0
	s_orn2_b64 s[50:51], vcc, exec
	s_branch .LBB3_212
.LBB3_217:                              ;   in Loop: Header=BB3_16 Depth=1
	s_or_b64 exec, exec, s[18:19]
	s_andn2_b64 s[0:1], s[46:47], exec
	s_and_b64 s[18:19], s[48:49], exec
	v_lshrrev_b32_sdwa v28, v25, v28 dst_sel:DWORD dst_unused:UNUSED_PAD src0_sel:DWORD src1_sel:WORD_0
	s_or_b64 s[46:47], s[0:1], s[18:19]
.LBB3_218:                              ;   in Loop: Header=BB3_16 Depth=1
	s_or_b64 exec, exec, s[8:9]
	s_mov_b64 s[8:9], 0
	s_mov_b64 s[18:19], -1
.LBB3_219:                              ;   in Loop: Header=BB3_16 Depth=1
	s_orn2_b64 s[46:47], s[46:47], exec
.LBB3_220:                              ;   in Loop: Header=BB3_16 Depth=1
	s_or_b64 exec, exec, s[44:45]
	s_mov_b64 s[48:49], 0
	s_and_saveexec_b64 s[44:45], s[46:47]
	s_cbranch_execz .LBB3_231
; %bb.221:                              ;   in Loop: Header=BB3_16 Depth=1
	s_xor_b64 s[0:1], s[42:43], -1
	v_mov_b32_e32 v2, 1
	v_mov_b32_e32 v3, 1
	s_and_saveexec_b64 s[42:43], s[0:1]
	s_cbranch_execz .LBB3_230
; %bb.222:                              ;   in Loop: Header=BB3_16 Depth=1
	v_cmp_ge_i32_e32 vcc, s58, v4
	s_and_saveexec_b64 s[0:1], vcc
	s_xor_b64 s[46:47], exec, s[0:1]
	s_cbranch_execz .LBB3_227
; %bb.223:                              ;   in Loop: Header=BB3_16 Depth=1
	ds_read_b32 v2, v12 offset:4096
	v_or_b32_e32 v19, v19, v1
	v_or_b32_e32 v27, v27, v1
	s_waitcnt lgkmcnt(0)
	v_cmp_ne_u32_e32 vcc, 0, v2
	s_cbranch_vccnz .LBB3_227
; %bb.224:                              ;   in Loop: Header=BB3_16 Depth=1
	s_mov_b64 s[48:49], exec
	v_readlane_b32 s0, v43, 5
	v_readlane_b32 s1, v43, 6
	s_and_b64 s[0:1], s[48:49], s[0:1]
	s_mov_b64 exec, s[0:1]
; %bb.225:                              ;   in Loop: Header=BB3_16 Depth=1
	v_mov_b32_e32 v1, s58
	ds_write_b32 v12, v1 offset:4100
; %bb.226:                              ;   in Loop: Header=BB3_16 Depth=1
	s_or_b64 exec, exec, s[48:49]
	s_waitcnt lgkmcnt(0)
	s_barrier
.LBB3_227:                              ;   in Loop: Header=BB3_16 Depth=1
	s_andn2_saveexec_b64 s[46:47], s[46:47]
; %bb.228:                              ;   in Loop: Header=BB3_16 Depth=1
	v_subrev_u32_e32 v4, s58, v4
; %bb.229:                              ;   in Loop: Header=BB3_16 Depth=1
	s_or_b64 exec, exec, s[46:47]
	v_mov_b32_e32 v2, 8
	v_mov_b32_e32 v3, v4
.LBB3_230:                              ;   in Loop: Header=BB3_16 Depth=1
	s_or_b64 exec, exec, s[42:43]
	s_mov_b64 s[48:49], exec
	v_mov_b32_e32 v4, v3
.LBB3_231:                              ;   in Loop: Header=BB3_16 Depth=1
	s_or_b64 exec, exec, s[44:45]
	s_orn2_b64 s[42:43], s[48:49], exec
.LBB3_232:                              ;   in Loop: Header=BB3_16 Depth=1
	s_or_b64 exec, exec, s[40:41]
	s_andn2_b64 s[0:1], s[36:37], exec
	s_and_b64 s[18:19], s[18:19], exec
	s_or_b64 s[36:37], s[0:1], s[18:19]
	s_andn2_b64 s[0:1], s[34:35], exec
	s_and_b64 s[8:9], s[8:9], exec
	s_or_b64 s[34:35], s[0:1], s[8:9]
	s_and_b64 s[18:19], s[42:43], exec
	v_mov_b32_e32 v29, v4
.LBB3_233:                              ;   in Loop: Header=BB3_16 Depth=1
	s_or_b64 exec, exec, s[38:39]
	s_orn2_b64 s[8:9], s[18:19], exec
.LBB3_234:                              ;   in Loop: Header=BB3_16 Depth=1
	s_or_b64 exec, exec, s[30:31]
	s_andn2_b64 s[0:1], s[26:27], exec
	s_and_b64 s[18:19], s[36:37], exec
	s_or_b64 s[26:27], s[0:1], s[18:19]
	s_andn2_b64 s[0:1], s[24:25], exec
	s_and_b64 s[18:19], s[34:35], exec
	s_or_b64 s[24:25], s[0:1], s[18:19]
	s_and_b64 s[18:19], s[8:9], exec
	v_mov_b32_e32 v4, v29
.LBB3_235:                              ;   in Loop: Header=BB3_16 Depth=1
	s_or_b64 exec, exec, s[28:29]
	s_orn2_b64 s[8:9], s[18:19], exec
.LBB3_236:                              ;   in Loop: Header=BB3_16 Depth=1
	s_or_b64 exec, exec, s[22:23]
	s_mov_b64 s[18:19], 0
                                        ; implicit-def: $sgpr0
	s_and_saveexec_b64 s[22:23], s[8:9]
	s_xor_b64 s[8:9], exec, s[22:23]
	s_cbranch_execz .LBB3_14
; %bb.237:                              ;   in Loop: Header=BB3_16 Depth=1
	v_and_b32_e32 v1, 7, v2
	v_cmp_eq_u32_e32 vcc, 0, v1
	s_mov_b64 s[20:21], -1
	s_mov_b64 s[18:19], -1
                                        ; implicit-def: $sgpr0
	s_and_saveexec_b64 s[22:23], vcc
	s_cbranch_execz .LBB3_13
; %bb.238:                              ;   in Loop: Header=BB3_16 Depth=1
	v_add_u32_e32 v1, -2, v26
	v_cmp_eq_u32_e32 vcc, 0, v26
	s_xor_b32 s0, s85, 1
	s_xor_b64 s[18:19], exec, -1
	s_orn2_b64 s[20:21], vcc, exec
	v_mov_b32_e32 v26, v1
	s_branch .LBB3_13
.LBB3_239:
	s_or_b64 exec, exec, s[86:87]
	s_xor_b64 s[8:9], s[92:93], -1
	s_xor_b64 s[0:1], s[88:89], -1
	;; [unrolled: 1-line block ×3, first 2 shown]
	s_mov_b64 s[4:5], 0
	s_and_saveexec_b64 s[2:3], s[0:1]
	s_xor_b64 s[2:3], exec, s[2:3]
	s_cbranch_execnz .LBB3_244
; %bb.240:
	s_andn2_saveexec_b64 s[0:1], s[2:3]
	s_cbranch_execnz .LBB3_264
.LBB3_241:
	s_or_b64 exec, exec, s[0:1]
	s_and_saveexec_b64 s[0:1], s[4:5]
.LBB3_242:
	; divergent unreachable
.LBB3_243:
	s_endpgm
.LBB3_244:
	s_and_saveexec_b64 s[0:1], s[8:9]
	s_xor_b64 s[4:5], exec, s[0:1]
	s_cbranch_execz .LBB3_262
; %bb.245:
	s_and_saveexec_b64 s[0:1], s[6:7]
	s_xor_b64 s[6:7], exec, s[0:1]
; %bb.246:
	v_mov_b32_e32 v28, v19
; %bb.247:
	s_or_b64 exec, exec, s[6:7]
	s_mov_b64 s[6:7], exec
	v_readlane_b32 s0, v43, 5
	v_readlane_b32 s1, v43, 6
	s_and_b64 s[0:1], s[6:7], s[0:1]
	s_mov_b64 exec, s[0:1]
; %bb.248:
	v_mov_b32_e32 v1, 0
	v_mov_b32_e32 v2, s60
	ds_write_b32 v1, v2 offset:4108
; %bb.249:
	s_or_b64 exec, exec, s[6:7]
	v_mov_b32_e32 v1, 0
	s_waitcnt lgkmcnt(0)
	s_barrier
	ds_read_b32 v1, v1 offset:4108
	s_waitcnt lgkmcnt(0)
	v_min_i32_e32 v2, s60, v1
	v_cmp_lt_i32_e32 vcc, v0, v2
	s_and_saveexec_b64 s[6:7], vcc
	s_cbranch_execz .LBB3_259
; %bb.250:
	s_mov_b64 s[8:9], 0
	v_mov_b32_e32 v3, s73
                                        ; implicit-def: $sgpr10_sgpr11
                                        ; implicit-def: $sgpr14_sgpr15
                                        ; implicit-def: $sgpr12_sgpr13
	s_branch .LBB3_252
.LBB3_251:                              ;   in Loop: Header=BB3_252 Depth=1
	s_or_b64 exec, exec, s[16:17]
	s_and_b64 s[0:1], exec, s[14:15]
	s_or_b64 s[8:9], s[0:1], s[8:9]
	s_andn2_b64 s[0:1], s[10:11], exec
	s_and_b64 s[10:11], s[12:13], exec
	s_or_b64 s[10:11], s[0:1], s[10:11]
	s_andn2_b64 exec, exec, s[8:9]
	s_cbranch_execz .LBB3_254
.LBB3_252:                              ; =>This Inner Loop Header: Depth=1
	v_ashrrev_i32_e32 v1, 31, v9
	v_add_co_u32_e32 v4, vcc, s72, v9
	v_addc_co_u32_e32 v5, vcc, v3, v1, vcc
	global_load_ubyte v4, v[4:5], off
	v_mov_b32_e32 v1, v0
	s_or_b64 s[12:13], s[12:13], exec
	s_or_b64 s[14:15], s[14:15], exec
                                        ; implicit-def: $vgpr0
	s_waitcnt vmcnt(0)
	v_cmp_ne_u16_sdwa s[0:1], v4, v28 src0_sel:DWORD src1_sel:BYTE_0
	s_and_saveexec_b64 s[16:17], s[0:1]
	s_cbranch_execz .LBB3_251
; %bb.253:                              ;   in Loop: Header=BB3_252 Depth=1
	v_add_u32_e32 v0, s64, v1
	v_cmp_ge_i32_e32 vcc, v0, v2
	s_andn2_b64 s[0:1], s[14:15], exec
	s_and_b64 s[14:15], vcc, exec
	v_add_u32_e32 v9, s82, v9
	s_andn2_b64 s[12:13], s[12:13], exec
	s_or_b64 s[14:15], s[0:1], s[14:15]
	s_branch .LBB3_251
.LBB3_254:
	s_or_b64 exec, exec, s[8:9]
	s_and_saveexec_b64 s[0:1], s[10:11]
	s_xor_b64 s[0:1], exec, s[0:1]
	s_cbranch_execz .LBB3_259
; %bb.255:
	s_mov_b64 s[8:9], exec
	s_brev_b32 s0, -2
.LBB3_256:                              ; =>This Inner Loop Header: Depth=1
	s_ff1_i32_b64 s1, s[8:9]
	v_readlane_b32 s12, v1, s1
	s_lshl_b64 s[10:11], 1, s1
	s_min_i32 s0, s0, s12
	s_andn2_b64 s[8:9], s[8:9], s[10:11]
	s_cmp_lg_u64 s[8:9], 0
	s_cbranch_scc1 .LBB3_256
; %bb.257:
	v_mbcnt_lo_u32_b32 v0, exec_lo, 0
	v_mbcnt_hi_u32_b32 v0, exec_hi, v0
	v_cmp_eq_u32_e32 vcc, 0, v0
	s_and_saveexec_b64 s[8:9], vcc
	s_xor_b64 s[8:9], exec, s[8:9]
; %bb.258:
	v_mov_b32_e32 v0, 0
	v_mov_b32_e32 v1, s0
	ds_min_i32 v0, v1 offset:4108
.LBB3_259:
	s_or_b64 exec, exec, s[6:7]
	s_waitcnt lgkmcnt(0)
	s_barrier
	s_mov_b64 s[6:7], exec
	v_readlane_b32 s0, v43, 5
	v_readlane_b32 s1, v43, 6
	s_and_b64 s[0:1], s[6:7], s[0:1]
	s_mov_b64 exec, s[0:1]
	s_cbranch_execz .LBB3_261
; %bb.260:
	v_readlane_b32 s0, v43, 0
	s_mul_i32 s0, s0, s62
	s_add_i32 s1, s0, s65
	v_readlane_b32 s0, v43, 7
	s_mul_i32 s0, s0, s33
	v_mov_b32_e32 v2, 0
	s_add_i32 s0, s0, s67
	s_ashr_i32 s9, s1, 31
	v_readlane_b32 s10, v43, 1
	ds_read_b32 v0, v2 offset:4108
	v_readlane_b32 s11, v43, 2
	s_add_u32 s8, s10, s1
	s_addc_u32 s9, s11, s9
	s_ashr_i32 s1, s0, 31
	s_lshl_b64 s[0:1], s[0:1], 3
	v_readlane_b32 s10, v43, 3
	v_readlane_b32 s11, v43, 4
	s_add_u32 s0, s10, s0
	s_addc_u32 s1, s11, s1
	s_waitcnt lgkmcnt(0)
	v_ashrrev_i32_e32 v1, 31, v0
	global_store_dwordx2 v2, v[0:1], s[0:1]
	global_store_byte v2, v28, s[8:9]
.LBB3_261:
	s_or_b64 exec, exec, s[6:7]
.LBB3_262:
	s_or_saveexec_b64 s[0:1], s[4:5]
	s_mov_b64 s[4:5], 0
	s_xor_b64 exec, exec, s[0:1]
	s_cbranch_execnz .LBB3_265
.LBB3_263:
	s_or_b64 exec, exec, s[0:1]
	s_and_b64 s[4:5], s[4:5], exec
	s_andn2_saveexec_b64 s[0:1], s[2:3]
	s_cbranch_execz .LBB3_241
.LBB3_264:
	s_or_b64 s[4:5], s[4:5], exec
	s_trap 2
	s_or_b64 exec, exec, s[0:1]
	s_and_saveexec_b64 s[0:1], s[4:5]
	s_cbranch_execnz .LBB3_242
	s_branch .LBB3_243
.LBB3_265:
	s_mov_b64 s[4:5], exec
	s_trap 2
	s_branch .LBB3_263
	.section	.rodata,"a",@progbits
	.p2align	6, 0x0
	.amdhsa_kernel _ZN2at6native12_GLOBAL__N_114gatherKthValueIhiLin1EEEvNS_4cuda6detail10TensorInfoIKT_T0_EES8_S8_S8_S8_NS5_IS6_S8_EENS5_IlS8_EE
		.amdhsa_group_segment_fixed_size 4112
		.amdhsa_private_segment_fixed_size 0
		.amdhsa_kernarg_size 920
		.amdhsa_user_sgpr_count 6
		.amdhsa_user_sgpr_private_segment_buffer 1
		.amdhsa_user_sgpr_dispatch_ptr 0
		.amdhsa_user_sgpr_queue_ptr 0
		.amdhsa_user_sgpr_kernarg_segment_ptr 1
		.amdhsa_user_sgpr_dispatch_id 0
		.amdhsa_user_sgpr_flat_scratch_init 0
		.amdhsa_user_sgpr_private_segment_size 0
		.amdhsa_uses_dynamic_stack 0
		.amdhsa_system_sgpr_private_segment_wavefront_offset 0
		.amdhsa_system_sgpr_workgroup_id_x 1
		.amdhsa_system_sgpr_workgroup_id_y 1
		.amdhsa_system_sgpr_workgroup_id_z 1
		.amdhsa_system_sgpr_workgroup_info 0
		.amdhsa_system_vgpr_workitem_id 0
		.amdhsa_next_free_vgpr 44
		.amdhsa_next_free_sgpr 96
		.amdhsa_reserve_vcc 1
		.amdhsa_reserve_flat_scratch 0
		.amdhsa_float_round_mode_32 0
		.amdhsa_float_round_mode_16_64 0
		.amdhsa_float_denorm_mode_32 3
		.amdhsa_float_denorm_mode_16_64 3
		.amdhsa_dx10_clamp 1
		.amdhsa_ieee_mode 1
		.amdhsa_fp16_overflow 0
		.amdhsa_exception_fp_ieee_invalid_op 0
		.amdhsa_exception_fp_denorm_src 0
		.amdhsa_exception_fp_ieee_div_zero 0
		.amdhsa_exception_fp_ieee_overflow 0
		.amdhsa_exception_fp_ieee_underflow 0
		.amdhsa_exception_fp_ieee_inexact 0
		.amdhsa_exception_int_div_zero 0
	.end_amdhsa_kernel
	.section	.text._ZN2at6native12_GLOBAL__N_114gatherKthValueIhiLin1EEEvNS_4cuda6detail10TensorInfoIKT_T0_EES8_S8_S8_S8_NS5_IS6_S8_EENS5_IlS8_EE,"axG",@progbits,_ZN2at6native12_GLOBAL__N_114gatherKthValueIhiLin1EEEvNS_4cuda6detail10TensorInfoIKT_T0_EES8_S8_S8_S8_NS5_IS6_S8_EENS5_IlS8_EE,comdat
.Lfunc_end3:
	.size	_ZN2at6native12_GLOBAL__N_114gatherKthValueIhiLin1EEEvNS_4cuda6detail10TensorInfoIKT_T0_EES8_S8_S8_S8_NS5_IS6_S8_EENS5_IlS8_EE, .Lfunc_end3-_ZN2at6native12_GLOBAL__N_114gatherKthValueIhiLin1EEEvNS_4cuda6detail10TensorInfoIKT_T0_EES8_S8_S8_S8_NS5_IS6_S8_EENS5_IlS8_EE
                                        ; -- End function
	.set _ZN2at6native12_GLOBAL__N_114gatherKthValueIhiLin1EEEvNS_4cuda6detail10TensorInfoIKT_T0_EES8_S8_S8_S8_NS5_IS6_S8_EENS5_IlS8_EE.num_vgpr, 44
	.set _ZN2at6native12_GLOBAL__N_114gatherKthValueIhiLin1EEEvNS_4cuda6detail10TensorInfoIKT_T0_EES8_S8_S8_S8_NS5_IS6_S8_EENS5_IlS8_EE.num_agpr, 0
	.set _ZN2at6native12_GLOBAL__N_114gatherKthValueIhiLin1EEEvNS_4cuda6detail10TensorInfoIKT_T0_EES8_S8_S8_S8_NS5_IS6_S8_EENS5_IlS8_EE.numbered_sgpr, 96
	.set _ZN2at6native12_GLOBAL__N_114gatherKthValueIhiLin1EEEvNS_4cuda6detail10TensorInfoIKT_T0_EES8_S8_S8_S8_NS5_IS6_S8_EENS5_IlS8_EE.num_named_barrier, 0
	.set _ZN2at6native12_GLOBAL__N_114gatherKthValueIhiLin1EEEvNS_4cuda6detail10TensorInfoIKT_T0_EES8_S8_S8_S8_NS5_IS6_S8_EENS5_IlS8_EE.private_seg_size, 0
	.set _ZN2at6native12_GLOBAL__N_114gatherKthValueIhiLin1EEEvNS_4cuda6detail10TensorInfoIKT_T0_EES8_S8_S8_S8_NS5_IS6_S8_EENS5_IlS8_EE.uses_vcc, 1
	.set _ZN2at6native12_GLOBAL__N_114gatherKthValueIhiLin1EEEvNS_4cuda6detail10TensorInfoIKT_T0_EES8_S8_S8_S8_NS5_IS6_S8_EENS5_IlS8_EE.uses_flat_scratch, 0
	.set _ZN2at6native12_GLOBAL__N_114gatherKthValueIhiLin1EEEvNS_4cuda6detail10TensorInfoIKT_T0_EES8_S8_S8_S8_NS5_IS6_S8_EENS5_IlS8_EE.has_dyn_sized_stack, 0
	.set _ZN2at6native12_GLOBAL__N_114gatherKthValueIhiLin1EEEvNS_4cuda6detail10TensorInfoIKT_T0_EES8_S8_S8_S8_NS5_IS6_S8_EENS5_IlS8_EE.has_recursion, 0
	.set _ZN2at6native12_GLOBAL__N_114gatherKthValueIhiLin1EEEvNS_4cuda6detail10TensorInfoIKT_T0_EES8_S8_S8_S8_NS5_IS6_S8_EENS5_IlS8_EE.has_indirect_call, 0
	.section	.AMDGPU.csdata,"",@progbits
; Kernel info:
; codeLenInByte = 9608
; TotalNumSgprs: 100
; NumVgprs: 44
; ScratchSize: 0
; MemoryBound: 0
; FloatMode: 240
; IeeeMode: 1
; LDSByteSize: 4112 bytes/workgroup (compile time only)
; SGPRBlocks: 12
; VGPRBlocks: 10
; NumSGPRsForWavesPerEU: 100
; NumVGPRsForWavesPerEU: 44
; Occupancy: 5
; WaveLimiterHint : 1
; COMPUTE_PGM_RSRC2:SCRATCH_EN: 0
; COMPUTE_PGM_RSRC2:USER_SGPR: 6
; COMPUTE_PGM_RSRC2:TRAP_HANDLER: 0
; COMPUTE_PGM_RSRC2:TGID_X_EN: 1
; COMPUTE_PGM_RSRC2:TGID_Y_EN: 1
; COMPUTE_PGM_RSRC2:TGID_Z_EN: 1
; COMPUTE_PGM_RSRC2:TIDIG_COMP_CNT: 0
	.section	.text._ZN2at6native12_GLOBAL__N_114gatherKthValueIhlLi1EEEvNS_4cuda6detail10TensorInfoIKT_T0_EES8_S8_S8_S8_NS5_IS6_S8_EENS5_IlS8_EE,"axG",@progbits,_ZN2at6native12_GLOBAL__N_114gatherKthValueIhlLi1EEEvNS_4cuda6detail10TensorInfoIKT_T0_EES8_S8_S8_S8_NS5_IS6_S8_EENS5_IlS8_EE,comdat
	.globl	_ZN2at6native12_GLOBAL__N_114gatherKthValueIhlLi1EEEvNS_4cuda6detail10TensorInfoIKT_T0_EES8_S8_S8_S8_NS5_IS6_S8_EENS5_IlS8_EE ; -- Begin function _ZN2at6native12_GLOBAL__N_114gatherKthValueIhlLi1EEEvNS_4cuda6detail10TensorInfoIKT_T0_EES8_S8_S8_S8_NS5_IS6_S8_EENS5_IlS8_EE
	.p2align	8
	.type	_ZN2at6native12_GLOBAL__N_114gatherKthValueIhlLi1EEEvNS_4cuda6detail10TensorInfoIKT_T0_EES8_S8_S8_S8_NS5_IS6_S8_EENS5_IlS8_EE,@function
_ZN2at6native12_GLOBAL__N_114gatherKthValueIhlLi1EEEvNS_4cuda6detail10TensorInfoIKT_T0_EES8_S8_S8_S8_NS5_IS6_S8_EENS5_IlS8_EE: ; @_ZN2at6native12_GLOBAL__N_114gatherKthValueIhlLi1EEEvNS_4cuda6detail10TensorInfoIKT_T0_EES8_S8_S8_S8_NS5_IS6_S8_EENS5_IlS8_EE
; %bb.0:
	s_load_dwordx2 s[18:19], s[4:5], 0x500
	s_load_dwordx8 s[24:31], s[4:5], 0x1a0
	s_add_u32 s16, s4, 0x500
	s_addc_u32 s17, s5, 0
	s_mov_b32 s11, 0
	s_waitcnt lgkmcnt(0)
	s_mul_i32 s0, s19, s8
	s_add_i32 s0, s0, s7
	s_mul_i32 s0, s0, s18
	s_add_i32 s10, s0, s6
	v_mov_b32_e32 v1, s10
	v_mov_b32_e32 v2, s11
	v_cmp_le_i64_e32 vcc, s[28:29], v[1:2]
	s_cbranch_vccnz .LBB4_274
; %bb.1:
	s_load_dwordx2 s[0:1], s[4:5], 0x430
                                        ; implicit-def: $vgpr62 : SGPR spill to VGPR lane
	s_load_dwordx2 s[8:9], s[4:5], 0xd0
	s_load_dwordx2 s[2:3], s[4:5], 0x0
	s_waitcnt lgkmcnt(0)
	v_writelane_b32 v62, s0, 0
	v_writelane_b32 v62, s1, 1
	s_load_dwordx2 s[0:1], s[4:5], 0x360
	s_waitcnt lgkmcnt(0)
	v_writelane_b32 v62, s0, 2
	v_writelane_b32 v62, s1, 3
	;; [unrolled: 4-line block ×4, first 2 shown]
	v_cmp_eq_u32_e64 s[0:1], 0, v0
	s_mov_b64 s[4:5], exec
	v_writelane_b32 v62, s0, 8
	v_writelane_b32 v62, s1, 9
	s_and_b64 s[0:1], s[4:5], s[0:1]
	s_mov_b64 exec, s[0:1]
	s_cbranch_execz .LBB4_3
; %bb.2:
	v_mov_b32_e32 v1, 0
	v_mov_b32_e32 v3, s24
	;; [unrolled: 1-line block ×4, first 2 shown]
	ds_write_b32 v1, v1 offset:5136
	ds_write_b128 v1, v[1:4] offset:5120
.LBB4_3:
	s_or_b64 exec, exec, s[4:5]
	s_mul_i32 s0, s9, s10
	s_mul_hi_u32 s1, s8, s10
	s_add_i32 s4, s1, s0
	s_mov_b32 s0, s10
	v_writelane_b32 v62, s0, 10
	v_writelane_b32 v62, s1, 11
	s_mul_i32 s0, s8, s10
	s_add_u32 s42, s2, s0
	v_mad_u64_u32 v[4:5], s[0:1], s30, v0, 0
	v_mbcnt_lo_u32_b32 v1, -1, 0
	v_mbcnt_hi_u32_b32 v30, -1, v1
	v_mov_b32_e32 v1, v5
	v_mad_u64_u32 v[1:2], s[0:1], s31, v0, v[1:2]
	s_addc_u32 s43, s3, s4
	v_mov_b32_e32 v2, s43
	v_add_co_u32_e32 v12, vcc, s42, v4
	v_mov_b32_e32 v5, 0xc00
	v_mov_b32_e32 v3, 0
	v_addc_co_u32_e32 v13, vcc, v2, v1, vcc
	v_add_u32_e32 v2, 2, v0
	v_mov_b32_e32 v6, 0
	v_cmp_gt_i64_e32 vcc, s[24:25], v[2:3]
	v_cmp_gt_i64_e64 s[0:1], s[24:25], v[5:6]
	v_mov_b32_e32 v5, v1
	v_mov_b32_e32 v1, s25
	v_cndmask_b32_e32 v6, 0, v1, vcc
	v_mov_b32_e32 v1, s24
	v_cndmask_b32_e32 v1, v2, v1, vcc
	v_not_b32_e32 v2, v0
	v_add_co_u32_e32 v1, vcc, v1, v2
	v_writelane_b32 v62, s0, 12
	v_addc_co_u32_e32 v2, vcc, -1, v6, vcc
	v_writelane_b32 v62, s1, 13
	v_cmp_lt_u64_e64 s[0:1], 3, v[1:2]
	v_and_b32_e32 v16, -4, v1
	v_writelane_b32 v62, s0, 14
	v_mov_b32_e32 v17, v2
	v_writelane_b32 v62, s1, 15
	v_cmp_ne_u64_e64 s[0:1], v[1:2], v[16:17]
	v_lshlrev_b32_e32 v14, 2, v0
	v_writelane_b32 v62, s0, 16
	v_or_b32_e32 v2, 3, v14
	v_writelane_b32 v62, s1, 17
	v_mad_u64_u32 v[18:19], s[0:1], s30, v2, 0
	v_or_b32_e32 v10, 2, v14
	v_mad_u64_u32 v[20:21], s[0:1], s30, v10, 0
	v_mov_b32_e32 v1, v19
	v_mov_b32_e32 v8, s30
	v_mad_u64_u32 v[1:2], s[0:1], s31, v2, v[1:2]
	v_mov_b32_e32 v9, s31
	v_mov_b32_e32 v2, v21
	v_mad_u64_u32 v[21:22], s[0:1], s30, v14, v[8:9]
	v_mad_u64_u32 v[8:9], s[0:1], s31, v10, v[2:3]
	v_mov_b32_e32 v2, v22
	v_mad_u64_u32 v[9:10], s[0:1], s31, v14, v[2:3]
	v_cmp_gt_u32_e64 s[0:1], 2, v0
	v_writelane_b32 v62, s0, 18
	s_waitcnt lgkmcnt(0)
	s_barrier
	v_writelane_b32 v62, s1, 19
	s_load_dword s0, s[16:17], 0xc
	v_mov_b32_e32 v33, v1
	v_mov_b32_e32 v1, v3
	v_cmp_gt_u32_e32 vcc, 64, v0
	v_cmp_gt_i32_e64 s[8:9], 4, v30
	v_cmp_gt_i64_e64 s[2:3], s[24:25], v[0:1]
	s_and_b64 s[46:47], vcc, s[8:9]
	s_waitcnt lgkmcnt(0)
	s_and_b32 s33, s0, 0xffff
	s_bfe_u32 s4, s0, 0xa0006
	v_writelane_b32 v62, s2, 20
	s_cmp_gt_u32 s33, 63
	v_writelane_b32 v62, s3, 21
	s_cselect_b64 s[0:1], -1, 0
	v_writelane_b32 v62, s0, 22
	v_writelane_b32 v62, s1, 23
	s_add_u32 s0, s33, -1
	s_addc_u32 s1, 0, -1
	s_add_u32 s9, s0, s24
	s_addc_u32 s51, s1, s25
	s_cmp_lt_u32 s6, s18
	v_writelane_b32 v62, s0, 24
	s_cselect_b32 s0, 12, 18
	s_add_u32 s52, s16, s0
	s_addc_u32 s53, s17, 0
	s_add_i32 s5, s4, -1
	s_bfe_u32 s6, s33, 0x30006
	s_and_b32 s5, s5, 0xffff
	s_cmp_gt_u32 s5, 6
	v_writelane_b32 v62, s1, 25
	s_cselect_b64 s[14:15], -1, 0
	v_lshlrev_b32_e32 v2, 2, v30
	v_writelane_b32 v62, s14, 26
	s_and_b32 s49, s4, 0x3f8
	v_and_b32_e32 v36, 0x100, v2
	v_lshrrev_b32_e32 v2, 1, v0
	v_writelane_b32 v62, s15, 27
	s_cmp_lg_u32 s6, 0
	v_and_b32_e32 v2, 0x1e0, v2
	v_writelane_b32 v62, s6, 28
	s_cselect_b64 s[4:5], -1, 0
	v_lshlrev_b64 v[6:7], v30, -1
	v_or_b32_e32 v37, 0xc00, v2
	v_writelane_b32 v62, s4, 29
	v_mov_b32_e32 v2, s25
	v_add_co_u32_e32 v38, vcc, s24, v0
	v_writelane_b32 v62, s5, 30
	v_lshlrev_b64 v[22:23], 2, v[4:5]
	v_addc_co_u32_e32 v39, vcc, 0, v2, vcc
	v_mov_b32_e32 v2, 0xc00
	s_mul_i32 s4, s31, s33
	s_mul_hi_u32 s5, s30, s33
	v_mov_b32_e32 v24, s26
	v_not_b32_e32 v31, v7
	v_not_b32_e32 v32, v6
	v_mov_b32_e32 v34, v8
	v_mov_b32_e32 v35, v9
	s_mov_b32 s45, 0
	v_cmp_eq_u32_e64 s[10:11], 0, v30
	v_mov_b32_e32 v15, v3
	s_mov_b32 s34, s30
	s_mov_b32 s57, s31
	;; [unrolled: 1-line block ×9, first 2 shown]
	s_lshl_b64 s[58:59], s[30:31], 2
	v_lshl_or_b32 v41, v30, 3, v2
	s_add_i32 s35, s5, s4
	s_mul_i32 s56, s30, s33
	s_mov_b64 s[60:61], 0
	s_mov_b32 s13, 0xc0c0004
	s_mov_b32 s92, 0
	v_mov_b32_e32 v42, 8
	v_mov_b32_e32 v44, 0
	;; [unrolled: 1-line block ×4, first 2 shown]
	v_add_co_u32_e32 v19, vcc, v16, v0
	v_mov_b32_e32 v25, s27
                                        ; implicit-def: $sgpr62_sgpr63
                                        ; implicit-def: $sgpr66_sgpr67
                                        ; implicit-def: $sgpr64_sgpr65
                                        ; implicit-def: $sgpr70_sgpr71
                                        ; implicit-def: $sgpr72_sgpr73
                                        ; implicit-def: $sgpr68_sgpr69
	s_branch .LBB4_7
.LBB4_4:                                ;   in Loop: Header=BB4_7 Depth=1
	s_or_b64 exec, exec, s[4:5]
	s_and_b64 s[16:17], s[16:17], exec
	s_andn2_b64 s[74:75], s[74:75], exec
	s_andn2_b64 s[6:7], s[6:7], exec
	s_orn2_b64 s[20:21], s[20:21], exec
.LBB4_5:                                ;   in Loop: Header=BB4_7 Depth=1
	s_or_b64 exec, exec, s[14:15]
	s_andn2_b64 s[4:5], s[68:69], exec
	s_and_b64 s[14:15], s[16:17], exec
	s_or_b64 s[68:69], s[4:5], s[14:15]
	s_andn2_b64 s[4:5], s[72:73], exec
	s_and_b64 s[14:15], s[74:75], exec
	s_or_b64 s[72:73], s[4:5], s[14:15]
	;; [unrolled: 3-line block ×3, first 2 shown]
	s_orn2_b64 s[6:7], s[20:21], exec
.LBB4_6:                                ;   in Loop: Header=BB4_7 Depth=1
	s_or_b64 exec, exec, s[18:19]
	s_and_b64 s[4:5], exec, s[6:7]
	s_or_b64 s[60:61], s[4:5], s[60:61]
	s_andn2_b64 s[4:5], s[64:65], exec
	s_and_b64 s[6:7], s[68:69], exec
	s_or_b64 s[64:65], s[4:5], s[6:7]
	s_andn2_b64 s[4:5], s[66:67], exec
	s_and_b64 s[6:7], s[72:73], exec
	;; [unrolled: 3-line block ×3, first 2 shown]
	v_mov_b32_e32 v25, v9
	s_or_b64 s[62:63], s[4:5], s[6:7]
	v_mov_b32_e32 v24, v8
	s_andn2_b64 exec, exec, s[60:61]
	s_cbranch_execz .LBB4_270
.LBB4_7:                                ; =>This Loop Header: Depth=1
                                        ;     Child Loop BB4_12 Depth 2
                                        ;     Child Loop BB4_26 Depth 2
	;; [unrolled: 1-line block ×17, first 2 shown]
	ds_read_b128 v[4:7], v3 offset:5120
	s_waitcnt lgkmcnt(0)
	v_readfirstlane_b32 s23, v5
	v_readfirstlane_b32 s22, v4
	v_cmp_gt_i64_e64 s[4:5], s[22:23], 0
	s_and_b64 vcc, exec, s[4:5]
	s_cbranch_vccnz .LBB4_39
; %bb.8:                                ;   in Loop: Header=BB4_7 Depth=1
	v_readlane_b32 s4, v62, 12
	v_readlane_b32 s5, v62, 13
	s_and_b64 vcc, exec, s[4:5]
	s_cbranch_vccz .LBB4_20
; %bb.9:                                ;   in Loop: Header=BB4_7 Depth=1
	s_mov_b64 s[4:5], 0xc01
	v_cmp_gt_i64_e32 vcc, s[4:5], v[6:7]
	s_mov_b64 s[16:17], 0
	s_mov_b64 s[6:7], 0
	s_cbranch_vccz .LBB4_21
; %bb.10:                               ;   in Loop: Header=BB4_7 Depth=1
	global_load_ushort v6, v3, s[52:53]
	global_load_ubyte v2, v[12:13], off
	v_mov_b32_e32 v4, s42
	v_mov_b32_e32 v5, s43
	s_mov_b64 s[18:19], 0
	s_waitcnt vmcnt(1)
	v_and_b32_e32 v8, 0xffff, v6
	v_readfirstlane_b32 s6, v6
	v_add_co_u32_e32 v6, vcc, v0, v8
	v_addc_co_u32_e64 v7, s[4:5], 0, 0, vcc
	v_mul_lo_u32 v7, s30, v7
	v_mul_lo_u32 v9, s31, v6
	v_mad_u64_u32 v[4:5], s[4:5], s30, v6, v[4:5]
	s_and_b32 s6, 0xffff, s6
	s_mul_i32 s4, s31, s6
	s_mul_hi_u32 s5, s30, s6
	v_add3_u32 v5, v9, v5, v7
	v_mov_b32_e32 v7, v1
	s_mul_i32 s23, s30, s6
	s_add_i32 s28, s5, s4
	v_mov_b32_e32 v6, v0
	s_branch .LBB4_12
.LBB4_11:                               ;   in Loop: Header=BB4_12 Depth=2
	s_or_b64 exec, exec, s[4:5]
	v_mov_b32_e32 v2, s28
	v_add_co_u32_e32 v4, vcc, s23, v4
	v_addc_co_u32_e32 v5, vcc, v5, v2, vcc
	v_mov_b32_e32 v2, v9
	s_andn2_b64 exec, exec, s[18:19]
	s_cbranch_execz .LBB4_73
.LBB4_12:                               ;   Parent Loop BB4_7 Depth=1
                                        ; =>  This Inner Loop Header: Depth=2
	v_add_co_u32_e32 v6, vcc, v6, v8
	v_addc_co_u32_e32 v7, vcc, 0, v7, vcc
	v_cmp_gt_i64_e64 s[6:7], s[24:25], v[6:7]
	v_cmp_le_i64_e32 vcc, s[24:25], v[6:7]
	s_waitcnt lgkmcnt(0)
	v_mov_b32_e32 v10, 0
	v_mov_b32_e32 v9, 0
	s_and_saveexec_b64 s[4:5], s[6:7]
	s_cbranch_execz .LBB4_14
; %bb.13:                               ;   in Loop: Header=BB4_12 Depth=2
	global_load_ubyte v9, v[4:5], off
.LBB4_14:                               ;   in Loop: Header=BB4_12 Depth=2
	s_or_b64 exec, exec, s[4:5]
	s_waitcnt vmcnt(0)
	v_and_b32_e32 v11, v2, v43
	v_cmp_eq_u32_sdwa s[14:15], v11, v40 src0_sel:BYTE_0 src1_sel:DWORD
	s_cmp_lg_u64 s[14:15], 0
	s_cselect_b64 s[4:5], -1, 0
	s_and_b64 s[4:5], s[10:11], s[4:5]
	s_and_saveexec_b64 s[20:21], s[4:5]
	s_cbranch_execz .LBB4_18
; %bb.15:                               ;   in Loop: Header=BB4_12 Depth=2
	s_mov_b64 s[26:27], exec
	v_mbcnt_lo_u32_b32 v10, s26, 0
	v_mbcnt_hi_u32_b32 v10, s27, v10
	s_bcnt1_i32_b64 s29, s[14:15]
	v_cmp_eq_u32_e64 s[6:7], 0, v10
                                        ; implicit-def: $vgpr11
	s_and_saveexec_b64 s[4:5], s[6:7]
; %bb.16:                               ;   in Loop: Header=BB4_12 Depth=2
	s_bcnt1_i32_b64 s6, s[26:27]
	s_mul_i32 s6, s29, s6
	v_mov_b32_e32 v11, s6
	ds_add_rtn_u32 v11, v3, v11 offset:5136
; %bb.17:                               ;   in Loop: Header=BB4_12 Depth=2
	s_or_b64 exec, exec, s[4:5]
	s_waitcnt lgkmcnt(0)
	v_readfirstlane_b32 s4, v11
	v_mov_b32_e32 v11, s4
	v_mad_u32_u24 v10, s29, v10, v11
.LBB4_18:                               ;   in Loop: Header=BB4_12 Depth=2
	s_or_b64 exec, exec, s[20:21]
	ds_bpermute_b32 v10, v36, v10
	s_and_b64 s[4:5], exec, vcc
	s_or_b64 s[18:19], s[4:5], s[18:19]
	s_and_saveexec_b64 s[4:5], s[14:15]
	s_cbranch_execz .LBB4_11
; %bb.19:                               ;   in Loop: Header=BB4_12 Depth=2
	v_and_b32_e32 v26, s14, v32
	v_and_b32_e32 v11, s15, v31
	v_bcnt_u32_b32 v26, v26, 0
	v_bcnt_u32_b32 v11, v11, v26
	s_waitcnt lgkmcnt(0)
	v_add_u32_e32 v10, v10, v11
	ds_write_b8 v10, v2
	s_branch .LBB4_11
.LBB4_20:                               ;   in Loop: Header=BB4_7 Depth=1
	s_mov_b64 s[16:17], -1
	s_mov_b64 s[6:7], 0
.LBB4_21:                               ;   in Loop: Header=BB4_7 Depth=1
	s_and_b64 vcc, exec, s[16:17]
	s_cbranch_vccz .LBB4_37
.LBB4_22:                               ;   in Loop: Header=BB4_7 Depth=1
	s_mov_b64 s[18:19], exec
	v_readlane_b32 s4, v62, 20
	v_readlane_b32 s5, v62, 21
	s_and_b64 s[4:5], s[18:19], s[4:5]
	s_mov_b64 exec, s[4:5]
	s_cbranch_execz .LBB4_34
; %bb.23:                               ;   in Loop: Header=BB4_7 Depth=1
	global_load_ushort v2, v3, s[52:53]
	global_load_ubyte v28, v[12:13], off
	v_mov_b32_e32 v6, v0
	s_waitcnt vmcnt(1)
	v_readfirstlane_b32 s4, v2
	v_add_u32_sdwa v2, v2, v0 dst_sel:DWORD dst_unused:UNUSED_PAD src0_sel:WORD_0 src1_sel:DWORD
	v_cmp_gt_i64_e32 vcc, s[24:25], v[2:3]
	s_and_saveexec_b64 s[20:21], vcc
	s_cbranch_execz .LBB4_33
; %bb.24:                               ;   in Loop: Header=BB4_7 Depth=1
	s_and_b32 s4, s4, 0xffff
	s_cmp_eq_u32 s4, 1
	v_readlane_b32 s14, v62, 14
                                        ; implicit-def: $vgpr6_vgpr7
	s_cselect_b64 s[6:7], -1, 0
	v_readlane_b32 s15, v62, 15
	v_mov_b32_e32 v8, v1
	v_mov_b32_e32 v5, v3
	s_and_b64 s[14:15], s[14:15], s[6:7]
	s_mov_b64 s[6:7], -1
	v_mov_b32_e32 v7, v0
	v_mov_b32_e32 v4, v2
	s_and_saveexec_b64 s[26:27], s[14:15]
	s_cbranch_execz .LBB4_28
; %bb.25:                               ;   in Loop: Header=BB4_7 Depth=1
	v_add_co_u32_e32 v8, vcc, 3, v2
	v_addc_co_u32_e64 v9, s[6:7], 0, 0, vcc
	v_add_co_u32_e32 v6, vcc, 2, v2
	v_addc_co_u32_e64 v7, s[6:7], 0, 0, vcc
	;; [unrolled: 2-line block ×3, first 2 shown]
	v_mov_b32_e32 v27, v17
	v_mov_b32_e32 v11, v9
	s_waitcnt vmcnt(0)
	v_lshlrev_b32_e32 v45, 24, v28
	s_mov_b64 s[28:29], 0
	v_mov_b32_e32 v26, v16
	v_mov_b32_e32 v29, v0
	;; [unrolled: 1-line block ×9, first 2 shown]
.LBB4_26:                               ;   Parent Loop BB4_7 Depth=1
                                        ; =>  This Inner Loop Header: Depth=2
	v_mul_lo_u32 v28, v9, s1
	v_mul_lo_u32 v54, v8, s2
	v_mad_u64_u32 v[46:47], s[6:7], v8, s1, 0
	v_mul_lo_u32 v55, v7, s8
	v_mul_lo_u32 v56, v6, s0
	v_mad_u64_u32 v[48:49], s[6:7], v6, s8, 0
	v_mov_b32_e32 v53, s43
	v_mul_lo_u32 v57, v5, s34
	v_mul_lo_u32 v58, v4, s57
	v_mad_u64_u32 v[50:51], s[6:7], v4, s34, 0
	v_mov_b32_e32 v52, s42
	v_mul_lo_u32 v60, v10, s48
	v_mul_lo_u32 v61, v11, s3
	v_mad_u64_u32 v[52:53], s[6:7], v10, s3, v[52:53]
	v_mov_b32_e32 v59, s43
	v_add3_u32 v28, v47, v54, v28
	v_add3_u32 v56, v49, v56, v55
	v_add_co_u32_e32 v47, vcc, s42, v48
	v_add3_u32 v51, v51, v58, v57
	v_add_co_u32_e64 v49, s[6:7], s42, v46
	v_add_co_u32_e64 v54, s[16:17], s42, v50
	v_addc_co_u32_e32 v48, vcc, v59, v56, vcc
	v_addc_co_u32_e64 v55, s[16:17], v59, v51, s[16:17]
	v_addc_co_u32_e64 v50, vcc, v59, v28, s[6:7]
	v_add3_u32 v53, v61, v53, v60
	global_load_ubyte v46, v[47:48], off
	s_nop 0
	global_load_ubyte v47, v[49:50], off
	global_load_ubyte v28, v[52:53], off
	;; [unrolled: 1-line block ×3, first 2 shown]
	v_add_co_u32_e32 v8, vcc, 4, v8
	v_addc_co_u32_e32 v9, vcc, 0, v9, vcc
	v_add_co_u32_e32 v6, vcc, 4, v6
	v_addc_co_u32_e32 v7, vcc, 0, v7, vcc
	;; [unrolled: 2-line block ×3, first 2 shown]
	v_add_co_u32_e32 v26, vcc, -4, v26
	v_addc_co_u32_e32 v27, vcc, -1, v27, vcc
	s_mov_b32 s5, 0xc0c0007
	v_cmp_eq_u64_e32 vcc, 0, v[26:27]
	v_add_co_u32_e64 v10, s[6:7], 4, v10
	v_addc_co_u32_e64 v11, s[6:7], 0, v11, s[6:7]
	s_or_b64 s[28:29], vcc, s[28:29]
	s_waitcnt vmcnt(1)
	v_perm_b32 v50, v47, v28, s13
	s_waitcnt vmcnt(0)
	v_perm_b32 v49, v48, v46, s13
	v_perm_b32 v46, v46, v47, s13
	v_perm_b32 v45, v45, v48, s5
	v_lshl_or_b32 v47, v50, 16, v49
	v_lshl_or_b32 v45, v46, 16, v45
	ds_write_b32 v29, v45
	v_add_u32_e32 v29, 4, v29
	v_mov_b32_e32 v45, v47
	s_andn2_b64 exec, exec, s[28:29]
	s_cbranch_execnz .LBB4_26
; %bb.27:                               ;   in Loop: Header=BB4_7 Depth=1
	s_or_b64 exec, exec, s[28:29]
	v_readlane_b32 s6, v62, 16
	v_add_co_u32_e32 v4, vcc, v2, v16
	v_readlane_b32 s7, v62, 17
	v_addc_co_u32_e32 v5, vcc, 0, v17, vcc
	v_add_co_u32_e32 v6, vcc, -1, v4
	s_orn2_b64 s[6:7], s[6:7], exec
	v_mov_b32_e32 v7, v19
	v_mov_b32_e32 v8, v20
.LBB4_28:                               ;   in Loop: Header=BB4_7 Depth=1
	s_or_b64 exec, exec, s[26:27]
	s_and_saveexec_b64 s[14:15], s[6:7]
	s_cbranch_execz .LBB4_32
; %bb.29:                               ;   in Loop: Header=BB4_7 Depth=1
	v_mov_b32_e32 v8, s42
	v_mov_b32_e32 v9, s43
	v_mad_u64_u32 v[9:10], s[6:7], s30, v4, v[8:9]
	v_mul_lo_u32 v2, s30, v5
	v_mul_lo_u32 v6, s31, v4
	s_mul_i32 s6, s31, s4
	s_mul_hi_u32 s7, s30, s4
	s_mov_b64 s[16:17], 0
	s_sub_u32 s5, 0, s4
	v_add3_u32 v10, v6, v10, v2
	s_add_i32 s23, s7, s6
	s_mul_i32 s26, s30, s4
.LBB4_30:                               ;   Parent Loop BB4_7 Depth=1
                                        ; =>  This Inner Loop Header: Depth=2
	global_load_ubyte v2, v[9:10], off
	v_mov_b32_e32 v27, v5
	v_mov_b32_e32 v26, v4
	;; [unrolled: 1-line block ×3, first 2 shown]
	v_add_co_u32_e32 v9, vcc, s26, v9
	v_add_co_u32_e64 v4, s[6:7], s4, v26
	v_addc_co_u32_e64 v5, s[6:7], 0, v27, s[6:7]
	v_addc_co_u32_e32 v10, vcc, v10, v6, vcc
	v_cmp_le_i64_e32 vcc, s[24:25], v[4:5]
	s_waitcnt vmcnt(1)
	ds_write_b8 v7, v28
	v_mov_b32_e32 v7, v26
	v_add_co_u32_e64 v6, s[6:7], s5, v4
	s_or_b64 s[16:17], vcc, s[16:17]
	v_mov_b32_e32 v8, v27
	s_waitcnt vmcnt(0)
	v_mov_b32_e32 v28, v2
	s_andn2_b64 exec, exec, s[16:17]
	s_cbranch_execnz .LBB4_30
; %bb.31:                               ;   in Loop: Header=BB4_7 Depth=1
	s_or_b64 exec, exec, s[16:17]
	v_mov_b32_e32 v28, v2
.LBB4_32:                               ;   in Loop: Header=BB4_7 Depth=1
	s_or_b64 exec, exec, s[14:15]
.LBB4_33:                               ;   in Loop: Header=BB4_7 Depth=1
	s_or_b64 exec, exec, s[20:21]
	s_waitcnt vmcnt(0)
	ds_write_b8 v6, v28
.LBB4_34:                               ;   in Loop: Header=BB4_7 Depth=1
	s_or_b64 exec, exec, s[18:19]
	s_waitcnt lgkmcnt(0)
	s_barrier
	s_mov_b64 s[4:5], exec
	v_readlane_b32 s6, v62, 8
	v_readlane_b32 s7, v62, 9
	s_and_b64 s[6:7], s[4:5], s[6:7]
	s_mov_b64 exec, s[6:7]
; %bb.35:                               ;   in Loop: Header=BB4_7 Depth=1
	v_mov_b32_e32 v4, s24
	v_mov_b32_e32 v5, s25
	ds_write_b64 v3, v[4:5] offset:5120
; %bb.36:                               ;   in Loop: Header=BB4_7 Depth=1
	s_or_b64 exec, exec, s[4:5]
	s_mov_b64 s[6:7], -1
	s_waitcnt lgkmcnt(0)
	s_barrier
.LBB4_37:                               ;   in Loop: Header=BB4_7 Depth=1
	s_and_b64 vcc, exec, s[6:7]
	s_cbranch_vccz .LBB4_39
; %bb.38:                               ;   in Loop: Header=BB4_7 Depth=1
	ds_read_b64 v[4:5], v3 offset:5120
	s_waitcnt lgkmcnt(0)
	v_readfirstlane_b32 s22, v4
.LBB4_39:                               ;   in Loop: Header=BB4_7 Depth=1
	s_cmp_lt_i32 s22, 1
	s_mov_b64 s[6:7], -1
                                        ; implicit-def: $vgpr10_vgpr11
                                        ; implicit-def: $vgpr6_vgpr7
	s_cbranch_scc1 .LBB4_49
; %bb.40:                               ;   in Loop: Header=BB4_7 Depth=1
	s_and_b64 vcc, exec, s[6:7]
	s_cbranch_vccnz .LBB4_63
.LBB4_41:                               ;   in Loop: Header=BB4_7 Depth=1
	s_lshl_b32 s14, s92, 6
	s_and_saveexec_b64 s[4:5], s[10:11]
	s_cbranch_execz .LBB4_43
.LBB4_42:                               ;   in Loop: Header=BB4_7 Depth=1
	v_lshl_add_u32 v2, s14, 3, v37
	ds_write_b128 v2, v[4:7]
	ds_write_b128 v2, v[8:11] offset:16
.LBB4_43:                               ;   in Loop: Header=BB4_7 Depth=1
	s_or_b64 exec, exec, s[4:5]
	s_waitcnt lgkmcnt(0)
	s_barrier
	s_and_saveexec_b64 s[6:7], s[46:47]
	s_cbranch_execz .LBB4_81
; %bb.44:                               ;   in Loop: Header=BB4_7 Depth=1
	v_readlane_b32 s4, v62, 22
	v_mov_b32_e32 v4, 0
	v_readlane_b32 s5, v62, 23
	v_mov_b32_e32 v5, 0
	s_andn2_b64 vcc, exec, s[4:5]
	s_cbranch_vccnz .LBB4_80
; %bb.45:                               ;   in Loop: Header=BB4_7 Depth=1
	v_readlane_b32 s4, v62, 26
	v_readlane_b32 s5, v62, 27
	s_andn2_b64 vcc, exec, s[4:5]
	s_cbranch_vccnz .LBB4_76
; %bb.46:                               ;   in Loop: Header=BB4_7 Depth=1
	v_mov_b32_e32 v4, 0
	v_lshl_add_u32 v2, s92, 9, v41
	v_mov_b32_e32 v5, 0
	s_mov_b32 s4, 0
.LBB4_47:                               ;   Parent Loop BB4_7 Depth=1
                                        ; =>  This Inner Loop Header: Depth=2
	ds_read2_b64 v[6:9], v2 offset1:4
	ds_read2_b64 v[26:29], v2 offset0:8 offset1:12
	ds_read2_b64 v[45:48], v2 offset0:16 offset1:20
	;; [unrolled: 1-line block ×3, first 2 shown]
	s_add_i32 s4, s4, 8
	s_waitcnt lgkmcnt(3)
	v_add_co_u32_e32 v4, vcc, v6, v4
	v_addc_co_u32_e32 v5, vcc, v7, v5, vcc
	v_add_co_u32_e32 v4, vcc, v8, v4
	v_addc_co_u32_e32 v5, vcc, v9, v5, vcc
	s_waitcnt lgkmcnt(2)
	v_add_co_u32_e32 v4, vcc, v26, v4
	v_addc_co_u32_e32 v5, vcc, v27, v5, vcc
	v_add_co_u32_e32 v4, vcc, v28, v4
	v_addc_co_u32_e32 v5, vcc, v29, v5, vcc
	;; [unrolled: 5-line block ×3, first 2 shown]
	s_waitcnt lgkmcnt(0)
	v_add_co_u32_e32 v4, vcc, v49, v4
	v_addc_co_u32_e32 v5, vcc, v50, v5, vcc
	v_add_co_u32_e32 v4, vcc, v51, v4
	v_add_u32_e32 v2, 0x100, v2
	s_cmp_eq_u32 s49, s4
	v_addc_co_u32_e32 v5, vcc, v52, v5, vcc
	s_cbranch_scc0 .LBB4_47
; %bb.48:                               ;   in Loop: Header=BB4_7 Depth=1
	s_mov_b32 s4, s49
	s_branch .LBB4_77
.LBB4_49:                               ;   in Loop: Header=BB4_7 Depth=1
	global_load_ushort v2, v3, s[52:53]
	s_mov_b32 s4, s45
	s_waitcnt vmcnt(0)
	v_readfirstlane_b32 s5, v2
	s_and_b32 s14, s5, 0xffff
	s_lshl_b32 s15, s14, 2
	s_mov_b32 s5, s25
	s_cmp_lg_u64 s[4:5], 0
	s_cbranch_scc0 .LBB4_72
; %bb.50:                               ;   in Loop: Header=BB4_7 Depth=1
	s_add_u32 s4, s15, 0
	s_addc_u32 s5, 0, 0
	s_xor_b64 s[6:7], s[4:5], 0
	v_cvt_f32_u32_e32 v2, s6
	v_cvt_f32_u32_e32 v4, s7
	s_sub_u32 s16, 0, s6
	s_subb_u32 s17, 0, s7
	v_mac_f32_e32 v2, 0x4f800000, v4
	v_rcp_f32_e32 v2, v2
	v_mul_f32_e32 v2, 0x5f7ffffc, v2
	v_mul_f32_e32 v4, 0x2f800000, v2
	v_trunc_f32_e32 v4, v4
	v_mac_f32_e32 v2, 0xcf800000, v4
	v_cvt_u32_f32_e32 v4, v4
	v_cvt_u32_f32_e32 v2, v2
	v_readfirstlane_b32 s18, v4
	v_readfirstlane_b32 s4, v2
	s_mul_i32 s5, s16, s18
	s_mul_hi_u32 s20, s16, s4
	s_mul_i32 s19, s17, s4
	s_add_i32 s5, s20, s5
	s_mul_i32 s21, s16, s4
	s_add_i32 s5, s5, s19
	s_mul_i32 s20, s4, s5
	s_mul_hi_u32 s23, s4, s21
	s_mul_hi_u32 s19, s4, s5
	s_add_u32 s20, s23, s20
	s_addc_u32 s19, 0, s19
	s_mul_hi_u32 s26, s18, s21
	s_mul_i32 s21, s18, s21
	s_add_u32 s20, s20, s21
	s_mul_hi_u32 s23, s18, s5
	s_addc_u32 s19, s19, s26
	s_addc_u32 s20, s23, 0
	s_mul_i32 s5, s18, s5
	s_add_u32 s5, s19, s5
	s_addc_u32 s19, 0, s20
	s_add_u32 s20, s4, s5
	s_cselect_b64 s[4:5], -1, 0
	s_cmp_lg_u64 s[4:5], 0
	s_addc_u32 s18, s18, s19
	s_mul_i32 s4, s16, s18
	s_mul_hi_u32 s5, s16, s20
	s_add_i32 s4, s5, s4
	s_mul_i32 s17, s17, s20
	s_add_i32 s4, s4, s17
	s_mul_i32 s16, s16, s20
	s_mul_hi_u32 s17, s18, s16
	s_mul_i32 s19, s18, s16
	s_mul_i32 s23, s20, s4
	s_mul_hi_u32 s16, s20, s16
	s_mul_hi_u32 s21, s20, s4
	s_add_u32 s16, s16, s23
	s_addc_u32 s21, 0, s21
	s_add_u32 s16, s16, s19
	s_mul_hi_u32 s5, s18, s4
	s_addc_u32 s16, s21, s17
	s_addc_u32 s5, s5, 0
	s_mul_i32 s4, s18, s4
	s_add_u32 s4, s16, s4
	s_addc_u32 s16, 0, s5
	s_add_u32 s19, s20, s4
	s_cselect_b64 s[4:5], -1, 0
	s_cmp_lg_u64 s[4:5], 0
	s_addc_u32 s18, s18, s16
	s_ashr_i32 s4, s25, 31
	s_add_u32 s16, s24, s4
	s_mov_b32 s5, s4
	s_addc_u32 s17, s25, s4
	s_xor_b64 s[16:17], s[16:17], s[4:5]
	s_mul_i32 s21, s16, s18
	s_mul_hi_u32 s23, s16, s19
	s_mul_hi_u32 s20, s16, s18
	s_add_u32 s21, s23, s21
	s_addc_u32 s20, 0, s20
	s_mul_hi_u32 s26, s17, s19
	s_mul_i32 s19, s17, s19
	s_add_u32 s19, s21, s19
	s_mul_hi_u32 s23, s17, s18
	s_addc_u32 s19, s20, s26
	s_addc_u32 s20, s23, 0
	s_mul_i32 s18, s17, s18
	s_add_u32 s18, s19, s18
	s_addc_u32 s19, 0, s20
	s_mul_i32 s19, s6, s19
	s_mul_hi_u32 s20, s6, s18
	s_add_i32 s19, s20, s19
	s_mul_i32 s20, s7, s18
	s_add_i32 s23, s19, s20
	s_sub_i32 s20, s17, s23
	s_mul_i32 s18, s6, s18
	s_sub_u32 s16, s16, s18
	s_cselect_b64 s[18:19], -1, 0
	s_cmp_lg_u64 s[18:19], 0
	s_subb_u32 s26, s20, s7
	s_sub_u32 s27, s16, s6
	s_cselect_b64 s[20:21], -1, 0
	s_cmp_lg_u64 s[20:21], 0
	s_subb_u32 s28, s26, 0
	s_cmp_ge_u32 s28, s7
	s_cselect_b32 s29, -1, 0
	s_cmp_ge_u32 s27, s6
	s_cselect_b32 s36, -1, 0
	s_cmp_eq_u32 s28, s7
	s_cselect_b32 s29, s36, s29
	s_cmp_lg_u64 s[20:21], 0
	s_subb_u32 s26, s26, s7
	s_sub_u32 s36, s27, s6
	s_cselect_b64 s[20:21], -1, 0
	s_cmp_lg_u64 s[20:21], 0
	s_subb_u32 s20, s26, 0
	s_cmp_lg_u32 s29, 0
	s_cselect_b32 s21, s36, s27
	s_cselect_b32 s20, s20, s28
	s_cmp_lg_u64 s[18:19], 0
	s_subb_u32 s17, s17, s23
	s_cmp_ge_u32 s17, s7
	s_cselect_b32 s18, -1, 0
	s_cmp_ge_u32 s16, s6
	s_cselect_b32 s6, -1, 0
	s_cmp_eq_u32 s17, s7
	s_cselect_b32 s6, s6, s18
	s_cmp_lg_u32 s6, 0
	s_cselect_b32 s7, s20, s17
	s_cselect_b32 s6, s21, s16
	s_xor_b64 s[6:7], s[6:7], s[4:5]
	s_sub_u32 s26, s6, s4
	s_subb_u32 s27, s7, s4
	s_cbranch_execnz .LBB4_52
.LBB4_51:                               ;   in Loop: Header=BB4_7 Depth=1
	v_cvt_f32_u32_e32 v2, s15
	s_sub_i32 s4, 0, s15
	v_rcp_iflag_f32_e32 v2, v2
	v_mul_f32_e32 v2, 0x4f7ffffe, v2
	v_cvt_u32_f32_e32 v2, v2
	v_readfirstlane_b32 s5, v2
	s_mul_i32 s4, s4, s5
	s_mul_hi_u32 s4, s5, s4
	s_add_i32 s5, s5, s4
	s_mul_hi_u32 s4, s24, s5
	s_mul_i32 s4, s4, s15
	s_sub_i32 s4, s24, s4
	s_sub_i32 s5, s4, s15
	s_cmp_ge_u32 s4, s15
	s_cselect_b32 s4, s5, s4
	s_sub_i32 s5, s4, s15
	s_cmp_ge_u32 s4, s15
	s_cselect_b32 s44, s5, s4
	s_mov_b64 s[26:27], s[44:45]
.LBB4_52:                               ;   in Loop: Header=BB4_7 Depth=1
	s_sub_u32 s74, s24, s26
	s_subb_u32 s75, s25, s27
	v_cmp_gt_i64_e32 vcc, s[74:75], v[14:15]
	v_mov_b32_e32 v4, 0
	v_mov_b32_e32 v6, 0
	v_mov_b32_e32 v8, 0
	v_mov_b32_e32 v10, 0
	v_mov_b32_e32 v5, 0
	v_mov_b32_e32 v7, 0
	v_mov_b32_e32 v9, 0
	v_mov_b32_e32 v11, 0
	s_and_saveexec_b64 s[76:77], vcc
	s_cbranch_execz .LBB4_56
; %bb.53:                               ;   in Loop: Header=BB4_7 Depth=1
	s_mul_i32 s4, s59, s14
	s_mul_hi_u32 s5, s58, s14
	v_mov_b32_e32 v27, v15
	s_add_i32 s4, s5, s4
	s_mov_b64 s[78:79], 0
	s_mov_b64 s[80:81], s[42:43]
	;; [unrolled: 1-line block ×6, first 2 shown]
	v_mov_b32_e32 v26, v14
.LBB4_54:                               ;   Parent Loop BB4_7 Depth=1
                                        ; =>  This Inner Loop Header: Depth=2
	v_add_co_u32_e32 v4, vcc, s80, v22
	v_mov_b32_e32 v2, s81
	v_addc_co_u32_e32 v5, vcc, v2, v23, vcc
	global_load_ubyte v6, v[4:5], off
	v_add_co_u32_e32 v4, vcc, s80, v21
	v_addc_co_u32_e32 v5, vcc, v2, v35, vcc
	global_load_ubyte v7, v[4:5], off
	v_add_co_u32_e32 v4, vcc, s80, v20
	;; [unrolled: 3-line block ×3, first 2 shown]
	v_addc_co_u32_e32 v5, vcc, v2, v33, vcc
	global_load_ubyte v2, v[4:5], off
	s_waitcnt vmcnt(3)
	v_and_b32_e32 v4, v43, v6
	v_cmp_eq_u32_e32 vcc, v4, v40
	s_waitcnt vmcnt(2)
	v_and_b32_e32 v4, v43, v7
	v_cmp_eq_u32_e64 s[6:7], v4, v40
	v_bfe_u32 v5, v7, s12, 2
	s_waitcnt vmcnt(1)
	v_and_b32_e32 v4, v43, v8
	v_cmp_eq_u32_e64 s[16:17], v4, v40
	s_waitcnt vmcnt(0)
	v_and_b32_e32 v4, v43, v2
	v_cmp_eq_u32_e64 s[18:19], v4, v40
	v_bfe_u32 v4, v6, s12, 2
	v_cmp_eq_u32_e64 s[20:21], 0, v4
	v_bfe_u32 v6, v8, s12, 2
	s_and_b64 s[28:29], vcc, s[20:21]
	v_cmp_eq_u32_e64 s[20:21], 0, v5
	v_bfe_u32 v2, v2, s12, 2
	s_and_b64 s[36:37], s[6:7], s[20:21]
	v_cmp_eq_u32_e64 s[20:21], 0, v6
	s_and_b64 s[38:39], s[16:17], s[20:21]
	v_cmp_eq_u32_e64 s[20:21], 0, v2
	v_cndmask_b32_e64 v7, 0, 1, s[28:29]
	s_and_b64 s[40:41], s[18:19], s[20:21]
	v_cmp_ne_u32_e64 s[20:21], 0, v7
	v_cndmask_b32_e64 v7, 0, 1, s[36:37]
	s_bcnt1_i32_b64 s5, s[20:21]
	v_cmp_ne_u32_e64 s[20:21], 0, v7
	v_cndmask_b32_e64 v7, 0, 1, s[38:39]
	s_bcnt1_i32_b64 s23, s[20:21]
	;; [unrolled: 3-line block ×3, first 2 shown]
	v_cmp_ne_u32_e64 s[20:21], 0, v7
	s_bcnt1_i32_b64 s20, s[20:21]
	s_add_u32 s5, s5, s88
	s_addc_u32 s21, 0, s89
	s_add_u32 s5, s5, s23
	s_addc_u32 s21, s21, 0
	;; [unrolled: 2-line block ×4, first 2 shown]
	v_cmp_eq_u32_e64 s[20:21], 1, v4
	s_and_b64 s[28:29], vcc, s[20:21]
	v_cmp_eq_u32_e64 s[20:21], 1, v5
	s_and_b64 s[36:37], s[6:7], s[20:21]
	v_cmp_eq_u32_e64 s[20:21], 1, v6
	s_and_b64 s[38:39], s[16:17], s[20:21]
	v_cmp_eq_u32_e64 s[20:21], 1, v2
	v_cndmask_b32_e64 v7, 0, 1, s[28:29]
	s_and_b64 s[40:41], s[18:19], s[20:21]
	v_cmp_ne_u32_e64 s[20:21], 0, v7
	v_cndmask_b32_e64 v7, 0, 1, s[36:37]
	s_bcnt1_i32_b64 s5, s[20:21]
	v_cmp_ne_u32_e64 s[20:21], 0, v7
	v_cndmask_b32_e64 v7, 0, 1, s[38:39]
	s_bcnt1_i32_b64 s23, s[20:21]
	;; [unrolled: 3-line block ×3, first 2 shown]
	v_cmp_ne_u32_e64 s[20:21], 0, v7
	s_bcnt1_i32_b64 s20, s[20:21]
	s_add_u32 s5, s5, s86
	s_addc_u32 s21, 0, s87
	s_add_u32 s5, s5, s23
	s_addc_u32 s21, s21, 0
	;; [unrolled: 2-line block ×4, first 2 shown]
	v_cmp_eq_u32_e64 s[20:21], 2, v4
	s_and_b64 s[28:29], vcc, s[20:21]
	v_cmp_eq_u32_e64 s[20:21], 2, v5
	s_and_b64 s[36:37], s[6:7], s[20:21]
	v_cmp_eq_u32_e64 s[20:21], 2, v6
	s_and_b64 s[38:39], s[16:17], s[20:21]
	v_cmp_eq_u32_e64 s[20:21], 2, v2
	v_cndmask_b32_e64 v7, 0, 1, s[28:29]
	s_and_b64 s[40:41], s[18:19], s[20:21]
	v_cmp_ne_u32_e64 s[20:21], 0, v7
	v_cndmask_b32_e64 v7, 0, 1, s[36:37]
	s_bcnt1_i32_b64 s5, s[20:21]
	v_cmp_ne_u32_e64 s[20:21], 0, v7
	v_cndmask_b32_e64 v7, 0, 1, s[38:39]
	s_bcnt1_i32_b64 s23, s[20:21]
	;; [unrolled: 3-line block ×3, first 2 shown]
	v_cmp_ne_u32_e64 s[20:21], 0, v7
	s_bcnt1_i32_b64 s20, s[20:21]
	s_add_u32 s5, s5, s84
	s_addc_u32 s21, 0, s85
	s_add_u32 s5, s5, s23
	s_addc_u32 s21, s21, 0
	;; [unrolled: 2-line block ×4, first 2 shown]
	v_cmp_eq_u32_e64 s[20:21], 3, v4
	s_and_b64 s[20:21], vcc, s[20:21]
	v_cmp_eq_u32_e32 vcc, 3, v5
	s_and_b64 s[6:7], s[6:7], vcc
	v_cmp_eq_u32_e32 vcc, 3, v6
	s_and_b64 s[16:17], s[16:17], vcc
	v_cmp_eq_u32_e32 vcc, 3, v2
	v_cndmask_b32_e64 v2, 0, 1, s[20:21]
	s_and_b64 s[18:19], s[18:19], vcc
	v_cmp_ne_u32_e32 vcc, 0, v2
	v_cndmask_b32_e64 v2, 0, 1, s[6:7]
	s_bcnt1_i32_b64 s5, vcc
	v_cmp_ne_u32_e32 vcc, 0, v2
	v_cndmask_b32_e64 v2, 0, 1, s[16:17]
	s_bcnt1_i32_b64 s6, vcc
	;; [unrolled: 3-line block ×3, first 2 shown]
	v_cmp_ne_u32_e32 vcc, 0, v2
	s_bcnt1_i32_b64 s16, vcc
	s_add_u32 s5, s5, s82
	s_addc_u32 s17, 0, s83
	s_add_u32 s5, s5, s6
	s_addc_u32 s6, s17, 0
	;; [unrolled: 2-line block ×3, first 2 shown]
	s_add_u32 s82, s5, s16
	v_add_co_u32_e32 v26, vcc, s15, v26
	s_addc_u32 s83, s6, 0
	v_addc_co_u32_e32 v27, vcc, 0, v27, vcc
	s_mul_i32 s5, s58, s14
	s_add_u32 s80, s80, s5
	v_cmp_le_i64_e32 vcc, s[74:75], v[26:27]
	s_addc_u32 s81, s81, s4
	v_mov_b32_e32 v4, s88
	v_mov_b32_e32 v6, s86
	;; [unrolled: 1-line block ×4, first 2 shown]
	s_or_b64 s[78:79], vcc, s[78:79]
	v_mov_b32_e32 v5, s89
	v_mov_b32_e32 v7, s87
	;; [unrolled: 1-line block ×4, first 2 shown]
	s_andn2_b64 exec, exec, s[78:79]
	s_cbranch_execnz .LBB4_54
; %bb.55:                               ;   in Loop: Header=BB4_7 Depth=1
	s_or_b64 exec, exec, s[78:79]
.LBB4_56:                               ;   in Loop: Header=BB4_7 Depth=1
	s_or_b64 exec, exec, s[76:77]
	v_mov_b32_e32 v2, s75
	v_add_co_u32_e32 v26, vcc, s74, v0
	v_addc_co_u32_e32 v27, vcc, 0, v2, vcc
	v_cmp_gt_i64_e32 vcc, s[24:25], v[26:27]
	s_and_saveexec_b64 s[16:17], vcc
	s_cbranch_execz .LBB4_62
; %bb.57:                               ;   in Loop: Header=BB4_7 Depth=1
	v_mov_b32_e32 v28, s42
	v_mov_b32_e32 v29, s43
	v_mad_u64_u32 v[45:46], s[4:5], v26, s30, v[28:29]
	v_mul_lo_u32 v2, v26, s31
	v_mul_lo_u32 v47, v27, s30
	s_mul_i32 s20, s30, s14
	s_mov_b64 s[18:19], 0
	v_add3_u32 v46, v47, v46, v2
	global_load_ubyte v45, v[45:46], off
	v_add_co_u32_e32 v2, vcc, s14, v38
	v_addc_co_u32_e32 v46, vcc, 0, v39, vcc
	v_mov_b32_e32 v47, s27
	v_subrev_co_u32_e32 v2, vcc, s26, v2
	v_subb_co_u32_e32 v46, vcc, v46, v47, vcc
	v_mul_lo_u32 v46, s30, v46
	v_mul_lo_u32 v47, s31, v2
	v_mad_u64_u32 v[28:29], s[4:5], s30, v2, v[28:29]
	s_mul_i32 s4, s31, s14
	s_mul_hi_u32 s5, s30, s14
	v_add3_u32 v29, v47, v29, v46
	s_add_i32 s15, s5, s4
	s_branch .LBB4_59
.LBB4_58:                               ;   in Loop: Header=BB4_59 Depth=2
	s_or_b64 exec, exec, s[4:5]
	s_waitcnt vmcnt(0)
	v_and_b32_e32 v45, 0xff, v45
	s_and_b64 s[4:5], exec, vcc
	v_and_b32_e32 v46, v43, v45
	v_bfe_u32 v45, v45, s12, 2
	s_or_b64 s[18:19], s[4:5], s[18:19]
	v_cmp_eq_u32_e32 vcc, v46, v40
	v_cmp_eq_u32_e64 s[6:7], 0, v45
	s_and_b64 s[4:5], vcc, s[6:7]
	v_cndmask_b32_e64 v46, 0, 1, s[4:5]
	v_cmp_ne_u32_e64 s[6:7], 0, v46
	s_bcnt1_i32_b64 s4, s[6:7]
	v_add_co_u32_e64 v4, s[6:7], s4, v4
	v_addc_co_u32_e64 v5, s[6:7], 0, v5, s[6:7]
	v_cmp_eq_u32_e64 s[6:7], 1, v45
	s_and_b64 s[4:5], vcc, s[6:7]
	v_cndmask_b32_e64 v46, 0, 1, s[4:5]
	v_cmp_ne_u32_e64 s[6:7], 0, v46
	s_bcnt1_i32_b64 s4, s[6:7]
	v_add_co_u32_e64 v6, s[6:7], s4, v6
	v_addc_co_u32_e64 v7, s[6:7], 0, v7, s[6:7]
	;; [unrolled: 7-line block ×3, first 2 shown]
	v_cmp_eq_u32_e64 s[6:7], 3, v45
	s_and_b64 s[4:5], vcc, s[6:7]
	v_cndmask_b32_e64 v45, 0, 1, s[4:5]
	v_cmp_ne_u32_e32 vcc, 0, v45
	s_bcnt1_i32_b64 s4, vcc
	v_add_co_u32_e32 v10, vcc, s4, v10
	v_addc_co_u32_e32 v11, vcc, 0, v11, vcc
	v_mov_b32_e32 v45, s15
	v_add_co_u32_e32 v28, vcc, s20, v28
	v_addc_co_u32_e32 v29, vcc, v29, v45, vcc
	v_mov_b32_e32 v45, v2
	s_andn2_b64 exec, exec, s[18:19]
	s_cbranch_execz .LBB4_61
.LBB4_59:                               ;   Parent Loop BB4_7 Depth=1
                                        ; =>  This Inner Loop Header: Depth=2
	v_add_co_u32_e32 v26, vcc, s14, v26
	v_addc_co_u32_e32 v27, vcc, 0, v27, vcc
	v_cmp_gt_i64_e64 s[6:7], s[24:25], v[26:27]
	v_cmp_le_i64_e32 vcc, s[24:25], v[26:27]
	v_mov_b32_e32 v2, 0
	s_and_saveexec_b64 s[4:5], s[6:7]
	s_cbranch_execz .LBB4_58
; %bb.60:                               ;   in Loop: Header=BB4_59 Depth=2
	global_load_ubyte v2, v[28:29], off
	s_branch .LBB4_58
.LBB4_61:                               ;   in Loop: Header=BB4_7 Depth=1
	s_or_b64 exec, exec, s[18:19]
.LBB4_62:                               ;   in Loop: Header=BB4_7 Depth=1
	s_or_b64 exec, exec, s[16:17]
	s_branch .LBB4_41
.LBB4_63:                               ;   in Loop: Header=BB4_7 Depth=1
	global_load_ushort v2, v3, s[52:53]
	v_mov_b32_e32 v8, 0
	v_mov_b32_e32 v9, 0
	s_waitcnt vmcnt(0)
	v_readfirstlane_b32 s4, v2
	s_and_b32 s4, 0xffff, s4
	s_lshl_b32 s5, s4, 2
	v_cvt_f32_u32_e32 v4, s5
	s_sub_i32 s6, 0, s5
	v_rcp_iflag_f32_e32 v6, v4
	v_mov_b32_e32 v4, 0
	v_mov_b32_e32 v5, 0
	v_mul_f32_e32 v6, 0x4f7ffffe, v6
	v_cvt_u32_f32_e32 v10, v6
	v_mov_b32_e32 v6, 0
	v_mov_b32_e32 v7, 0
	v_readfirstlane_b32 s7, v10
	s_mul_i32 s6, s6, s7
	s_mul_hi_u32 s6, s7, s6
	s_add_i32 s7, s7, s6
	s_mul_hi_u32 s6, s22, s7
	s_mul_i32 s7, s6, s5
	s_sub_i32 s7, s22, s7
	s_add_i32 s14, s6, 1
	s_sub_i32 s15, s7, s5
	s_cmp_ge_u32 s7, s5
	s_cselect_b32 s6, s14, s6
	s_cselect_b32 s7, s15, s7
	s_add_i32 s14, s6, 1
	s_cmp_ge_u32 s7, s5
	s_cselect_b32 s6, s14, s6
	s_mul_hi_u32 s27, s4, s6
	s_mul_i32 s26, s4, s6
	s_lshl_b64 s[74:75], s[26:27], 2
	v_cmp_gt_u64_e32 vcc, s[74:75], v[14:15]
	v_mov_b32_e32 v10, 0
	v_mov_b32_e32 v11, 0
	s_and_saveexec_b64 s[76:77], vcc
	s_cbranch_execz .LBB4_67
; %bb.64:                               ;   in Loop: Header=BB4_7 Depth=1
	v_mov_b32_e32 v27, v15
	s_mov_b64 s[78:79], 0
	v_mov_b32_e32 v28, v14
	s_mov_b64 s[80:81], 0
	s_mov_b64 s[82:83], 0
	;; [unrolled: 1-line block ×4, first 2 shown]
	v_mov_b32_e32 v26, v14
.LBB4_65:                               ;   Parent Loop BB4_7 Depth=1
                                        ; =>  This Inner Loop Header: Depth=2
	ds_read_b32 v4, v28
	v_add_u32_e32 v28, s5, v28
	s_waitcnt lgkmcnt(0)
	v_and_b32_e32 v6, 0xff, v4
	v_bfe_u32 v7, v4, 8, 8
	v_and_b32_e32 v8, v43, v6
	v_bfe_u32 v6, v6, s12, 2
	v_lshrrev_b32_e32 v5, 24, v4
	v_bfe_u32 v4, v4, 16, 8
	v_cmp_eq_u32_e32 vcc, v8, v40
	v_and_b32_e32 v8, v43, v7
	v_bfe_u32 v7, v7, s12, 2
	v_cmp_eq_u32_e64 s[20:21], 0, v6
	v_cmp_eq_u32_e64 s[6:7], v8, v40
	v_and_b32_e32 v8, v43, v4
	v_bfe_u32 v4, v4, s12, 2
	s_and_b64 s[14:15], vcc, s[20:21]
	v_cmp_eq_u32_e64 s[20:21], 0, v7
	v_cmp_eq_u32_e64 s[16:17], v8, v40
	v_and_b32_e32 v8, v43, v5
	v_bfe_u32 v5, v5, s12, 2
	s_and_b64 s[28:29], s[6:7], s[20:21]
	v_cmp_eq_u32_e64 s[20:21], 0, v4
	v_cmp_eq_u32_e64 s[18:19], v8, v40
	s_and_b64 s[36:37], s[16:17], s[20:21]
	v_cmp_eq_u32_e64 s[20:21], 0, v5
	v_cndmask_b32_e64 v8, 0, 1, s[14:15]
	s_and_b64 s[38:39], s[18:19], s[20:21]
	v_cmp_ne_u32_e64 s[20:21], 0, v8
	v_cndmask_b32_e64 v8, 0, 1, s[28:29]
	s_bcnt1_i32_b64 s14, s[20:21]
	v_cmp_ne_u32_e64 s[20:21], 0, v8
	v_cndmask_b32_e64 v8, 0, 1, s[36:37]
	s_bcnt1_i32_b64 s15, s[20:21]
	;; [unrolled: 3-line block ×3, first 2 shown]
	v_cmp_ne_u32_e64 s[20:21], 0, v8
	s_bcnt1_i32_b64 s20, s[20:21]
	s_add_u32 s14, s14, s86
	s_addc_u32 s21, 0, s87
	s_add_u32 s14, s14, s15
	s_addc_u32 s15, s21, 0
	;; [unrolled: 2-line block ×3, first 2 shown]
	s_add_u32 s86, s14, s20
	v_cmp_eq_u32_e64 s[20:21], 1, v6
	s_addc_u32 s87, s15, 0
	s_and_b64 s[14:15], vcc, s[20:21]
	v_cmp_eq_u32_e64 s[20:21], 1, v7
	s_and_b64 s[28:29], s[6:7], s[20:21]
	v_cmp_eq_u32_e64 s[20:21], 1, v4
	s_and_b64 s[36:37], s[16:17], s[20:21]
	v_cmp_eq_u32_e64 s[20:21], 1, v5
	v_cndmask_b32_e64 v8, 0, 1, s[14:15]
	s_and_b64 s[38:39], s[18:19], s[20:21]
	v_cmp_ne_u32_e64 s[20:21], 0, v8
	v_cndmask_b32_e64 v8, 0, 1, s[28:29]
	s_bcnt1_i32_b64 s14, s[20:21]
	v_cmp_ne_u32_e64 s[20:21], 0, v8
	v_cndmask_b32_e64 v8, 0, 1, s[36:37]
	s_bcnt1_i32_b64 s15, s[20:21]
	v_cmp_ne_u32_e64 s[20:21], 0, v8
	v_cndmask_b32_e64 v8, 0, 1, s[38:39]
	s_bcnt1_i32_b64 s23, s[20:21]
	v_cmp_ne_u32_e64 s[20:21], 0, v8
	s_bcnt1_i32_b64 s20, s[20:21]
	s_add_u32 s14, s14, s84
	s_addc_u32 s21, 0, s85
	s_add_u32 s14, s14, s15
	s_addc_u32 s15, s21, 0
	;; [unrolled: 2-line block ×3, first 2 shown]
	s_add_u32 s84, s14, s20
	v_cmp_eq_u32_e64 s[20:21], 2, v6
	s_addc_u32 s85, s15, 0
	s_and_b64 s[14:15], vcc, s[20:21]
	v_cmp_eq_u32_e64 s[20:21], 2, v7
	s_and_b64 s[28:29], s[6:7], s[20:21]
	v_cmp_eq_u32_e64 s[20:21], 2, v4
	s_and_b64 s[36:37], s[16:17], s[20:21]
	v_cmp_eq_u32_e64 s[20:21], 2, v5
	v_cndmask_b32_e64 v8, 0, 1, s[14:15]
	s_and_b64 s[38:39], s[18:19], s[20:21]
	v_cmp_ne_u32_e64 s[20:21], 0, v8
	v_cndmask_b32_e64 v8, 0, 1, s[28:29]
	s_bcnt1_i32_b64 s14, s[20:21]
	v_cmp_ne_u32_e64 s[20:21], 0, v8
	v_cndmask_b32_e64 v8, 0, 1, s[36:37]
	s_bcnt1_i32_b64 s15, s[20:21]
	;; [unrolled: 3-line block ×3, first 2 shown]
	v_cmp_ne_u32_e64 s[20:21], 0, v8
	s_bcnt1_i32_b64 s20, s[20:21]
	s_add_u32 s14, s14, s82
	s_addc_u32 s21, 0, s83
	s_add_u32 s14, s14, s15
	s_addc_u32 s15, s21, 0
	;; [unrolled: 2-line block ×3, first 2 shown]
	s_add_u32 s82, s14, s20
	v_cmp_eq_u32_e64 s[20:21], 3, v6
	s_addc_u32 s83, s15, 0
	s_and_b64 s[14:15], vcc, s[20:21]
	v_cmp_eq_u32_e32 vcc, 3, v7
	s_and_b64 s[6:7], s[6:7], vcc
	v_cmp_eq_u32_e32 vcc, 3, v4
	s_and_b64 s[16:17], s[16:17], vcc
	v_cmp_eq_u32_e32 vcc, 3, v5
	v_cndmask_b32_e64 v4, 0, 1, s[14:15]
	s_and_b64 s[18:19], s[18:19], vcc
	v_cmp_ne_u32_e32 vcc, 0, v4
	v_cndmask_b32_e64 v4, 0, 1, s[6:7]
	s_bcnt1_i32_b64 s14, vcc
	v_cmp_ne_u32_e32 vcc, 0, v4
	v_cndmask_b32_e64 v4, 0, 1, s[16:17]
	s_bcnt1_i32_b64 s6, vcc
	;; [unrolled: 3-line block ×3, first 2 shown]
	v_cmp_ne_u32_e32 vcc, 0, v4
	s_bcnt1_i32_b64 s15, vcc
	s_add_u32 s14, s14, s80
	s_addc_u32 s16, 0, s81
	s_add_u32 s6, s14, s6
	s_addc_u32 s14, s16, 0
	s_add_u32 s6, s6, s7
	v_add_co_u32_e32 v26, vcc, s5, v26
	s_addc_u32 s7, s14, 0
	v_addc_co_u32_e32 v27, vcc, 0, v27, vcc
	s_add_u32 s80, s6, s15
	v_cmp_le_u64_e32 vcc, s[74:75], v[26:27]
	s_addc_u32 s81, s7, 0
	v_mov_b32_e32 v4, s86
	v_mov_b32_e32 v6, s84
	;; [unrolled: 1-line block ×4, first 2 shown]
	s_or_b64 s[78:79], vcc, s[78:79]
	v_mov_b32_e32 v5, s87
	v_mov_b32_e32 v7, s85
	;; [unrolled: 1-line block ×4, first 2 shown]
	s_andn2_b64 exec, exec, s[78:79]
	s_cbranch_execnz .LBB4_65
; %bb.66:                               ;   in Loop: Header=BB4_7 Depth=1
	s_or_b64 exec, exec, s[78:79]
.LBB4_67:                               ;   in Loop: Header=BB4_7 Depth=1
	s_or_b64 exec, exec, s[76:77]
	v_mov_b32_e32 v27, s75
	v_add_co_u32_e32 v26, vcc, s74, v0
	s_and_b32 s44, s22, 0x7fffffff
	v_addc_co_u32_e32 v27, vcc, 0, v27, vcc
	v_cmp_gt_u64_e32 vcc, s[44:45], v[26:27]
	s_and_saveexec_b64 s[28:29], vcc
	s_cbranch_execz .LBB4_71
; %bb.68:                               ;   in Loop: Header=BB4_7 Depth=1
	v_lshl_add_u32 v28, s26, 2, v0
	s_mov_b64 s[26:27], 0
.LBB4_69:                               ;   Parent Loop BB4_7 Depth=1
                                        ; =>  This Inner Loop Header: Depth=2
	ds_read_u8 v29, v28
	v_add_co_u32_sdwa v26, vcc, v26, v2 dst_sel:DWORD dst_unused:UNUSED_PAD src0_sel:DWORD src1_sel:WORD_0
	v_addc_co_u32_e32 v27, vcc, 0, v27, vcc
	s_waitcnt lgkmcnt(0)
	v_and_b32_e32 v45, v43, v29
	v_bfe_u32 v29, v29, s12, 2
	v_cmp_eq_u32_e64 s[6:7], v45, v40
	v_cmp_eq_u32_e64 s[16:17], 0, v29
	;; [unrolled: 1-line block ×3, first 2 shown]
	s_and_b64 s[14:15], s[6:7], s[16:17]
	v_cmp_eq_u32_e64 s[20:21], 2, v29
	v_cmp_eq_u32_e64 s[22:23], 3, v29
	v_cndmask_b32_e64 v29, 0, 1, s[14:15]
	s_and_b64 s[14:15], s[6:7], s[18:19]
	v_cndmask_b32_e64 v45, 0, 1, s[14:15]
	s_and_b64 s[14:15], s[6:7], s[20:21]
	s_and_b64 s[6:7], s[6:7], s[22:23]
	v_cndmask_b32_e64 v47, 0, 1, s[6:7]
	v_cmp_ne_u32_e64 s[6:7], 0, v29
	s_bcnt1_i32_b64 s5, s[6:7]
	v_cmp_ne_u32_e64 s[16:17], 0, v45
	v_add_co_u32_e64 v4, s[6:7], s5, v4
	v_cndmask_b32_e64 v46, 0, 1, s[14:15]
	s_bcnt1_i32_b64 s14, s[16:17]
	v_addc_co_u32_e64 v5, s[6:7], 0, v5, s[6:7]
	v_cmp_le_u64_e32 vcc, s[44:45], v[26:27]
	v_cmp_ne_u32_e64 s[18:19], 0, v46
	v_cmp_ne_u32_e64 s[20:21], 0, v47
	v_add_co_u32_e64 v6, s[6:7], s14, v6
	s_bcnt1_i32_b64 s15, s[18:19]
	s_bcnt1_i32_b64 s16, s[20:21]
	v_addc_co_u32_e64 v7, s[6:7], 0, v7, s[6:7]
	v_add_co_u32_e64 v8, s[6:7], s15, v8
	s_or_b64 s[26:27], vcc, s[26:27]
	v_add_co_u32_e32 v10, vcc, s16, v10
	v_add_u32_e32 v28, s4, v28
	v_addc_co_u32_e64 v9, s[6:7], 0, v9, s[6:7]
	v_addc_co_u32_e32 v11, vcc, 0, v11, vcc
	s_andn2_b64 exec, exec, s[26:27]
	s_cbranch_execnz .LBB4_69
; %bb.70:                               ;   in Loop: Header=BB4_7 Depth=1
	s_or_b64 exec, exec, s[26:27]
.LBB4_71:                               ;   in Loop: Header=BB4_7 Depth=1
	s_or_b64 exec, exec, s[28:29]
	s_lshl_b32 s14, s92, 6
	s_and_saveexec_b64 s[4:5], s[10:11]
	s_cbranch_execnz .LBB4_42
	s_branch .LBB4_43
.LBB4_72:                               ;   in Loop: Header=BB4_7 Depth=1
                                        ; implicit-def: $sgpr26_sgpr27
	s_branch .LBB4_51
.LBB4_73:                               ;   in Loop: Header=BB4_7 Depth=1
	s_or_b64 exec, exec, s[18:19]
	s_waitcnt lgkmcnt(0)
	s_barrier
	s_mov_b64 s[4:5], exec
	v_readlane_b32 s6, v62, 8
	v_readlane_b32 s7, v62, 9
	s_and_b64 s[6:7], s[4:5], s[6:7]
	s_mov_b64 exec, s[6:7]
	s_cbranch_execz .LBB4_75
; %bb.74:                               ;   in Loop: Header=BB4_7 Depth=1
	ds_read_b32 v4, v3 offset:5136
	s_waitcnt lgkmcnt(0)
	v_ashrrev_i32_e32 v5, 31, v4
	ds_write_b64 v3, v[4:5] offset:5120
.LBB4_75:                               ;   in Loop: Header=BB4_7 Depth=1
	s_or_b64 exec, exec, s[4:5]
	s_waitcnt lgkmcnt(0)
	s_barrier
	s_mov_b64 s[6:7], -1
	s_and_b64 vcc, exec, s[16:17]
	s_cbranch_vccnz .LBB4_22
	s_branch .LBB4_37
.LBB4_76:                               ;   in Loop: Header=BB4_7 Depth=1
	v_mov_b32_e32 v4, 0
	v_mov_b32_e32 v5, 0
	s_mov_b32 s4, 0
.LBB4_77:                               ;   in Loop: Header=BB4_7 Depth=1
	v_readlane_b32 s16, v62, 29
	v_readlane_b32 s17, v62, 30
	s_andn2_b64 vcc, exec, s[16:17]
	s_cbranch_vccnz .LBB4_80
; %bb.78:                               ;   in Loop: Header=BB4_7 Depth=1
	s_lshl_b32 s5, s92, 9
	s_lshl_b32 s4, s4, 5
	s_add_i32 s5, s5, s4
	v_add_u32_e32 v2, s5, v41
	v_readlane_b32 s4, v62, 28
.LBB4_79:                               ;   Parent Loop BB4_7 Depth=1
                                        ; =>  This Inner Loop Header: Depth=2
	ds_read_b64 v[6:7], v2
	s_add_i32 s4, s4, -1
	v_add_u32_e32 v2, 32, v2
	s_cmp_lg_u32 s4, 0
	s_waitcnt lgkmcnt(0)
	v_add_co_u32_e32 v4, vcc, v6, v4
	v_addc_co_u32_e32 v5, vcc, v7, v5, vcc
	s_cbranch_scc1 .LBB4_79
.LBB4_80:                               ;   in Loop: Header=BB4_7 Depth=1
	v_add_lshl_u32 v2, s14, v30, 3
	ds_write_b64 v2, v[4:5] offset:3072
.LBB4_81:                               ;   in Loop: Header=BB4_7 Depth=1
	s_or_b64 exec, exec, s[6:7]
	s_lshl_b32 s4, s14, 3
	v_mov_b32_e32 v2, s4
	s_waitcnt lgkmcnt(0)
	s_barrier
	ds_read_b128 v[8:11], v2 offset:3088
	ds_read_b128 v[4:7], v2 offset:3072
	v_cmp_eq_u64_e64 s[6:7], 1, v[24:25]
	s_lshl_b32 s93, 3, s12
	s_not_b32 s54, s93
	s_waitcnt lgkmcnt(1)
	v_readfirstlane_b32 s26, v8
	s_waitcnt lgkmcnt(0)
	v_cmp_eq_u64_e32 vcc, 1, v[4:5]
	v_readfirstlane_b32 s27, v9
	v_readfirstlane_b32 s16, v10
	;; [unrolled: 1-line block ×3, first 2 shown]
	s_and_b64 s[20:21], vcc, s[6:7]
	s_mov_b64 s[6:7], -1
	s_mov_b64 s[14:15], -1
                                        ; implicit-def: $sgpr76_sgpr77
                                        ; implicit-def: $sgpr74_sgpr75
	s_and_saveexec_b64 s[18:19], s[20:21]
	s_cbranch_execz .LBB4_113
; %bb.82:                               ;   in Loop: Header=BB4_7 Depth=1
	ds_read_b64 v[8:9], v3 offset:5120
	s_waitcnt lgkmcnt(0)
	s_barrier
	v_readfirstlane_b32 s22, v8
	v_readfirstlane_b32 s23, v9
	s_mov_b64 s[4:5], exec
	v_readlane_b32 s14, v62, 18
	v_readlane_b32 s15, v62, 19
	s_and_b64 s[14:15], s[4:5], s[14:15]
	s_mov_b64 exec, s[14:15]
; %bb.83:                               ;   in Loop: Header=BB4_7 Depth=1
	ds_write_b8 v0, v3 offset:3072
; %bb.84:                               ;   in Loop: Header=BB4_7 Depth=1
	s_or_b64 exec, exec, s[4:5]
	v_cmp_lt_i64_e64 s[4:5], s[22:23], 1
	v_and_b32_e32 v40, s54, v40
	v_or_b32_e32 v43, s93, v43
	s_mov_b64 s[74:75], -1
	s_mov_b64 s[76:77], 0
	s_and_b64 vcc, exec, s[4:5]
	s_mov_b64 s[28:29], 0
	s_mov_b64 s[36:37], -1
	s_waitcnt lgkmcnt(0)
	s_barrier
                                        ; implicit-def: $vgpr44
	s_cbranch_vccz .LBB4_98
; %bb.85:                               ;   in Loop: Header=BB4_7 Depth=1
	s_mov_b32 s50, s45
	s_cmp_lg_u64 s[50:51], 0
	s_cbranch_scc0 .LBB4_139
; %bb.86:                               ;   in Loop: Header=BB4_7 Depth=1
	s_add_u32 s4, s33, 0
	s_addc_u32 s5, 0, 0
	s_xor_b64 s[28:29], s[4:5], 0
	v_cvt_f32_u32_e32 v2, s28
	v_cvt_f32_u32_e32 v8, s29
	s_sub_u32 s14, 0, s28
	s_subb_u32 s15, 0, s29
	v_mac_f32_e32 v2, 0x4f800000, v8
	v_rcp_f32_e32 v2, v2
	v_mul_f32_e32 v2, 0x5f7ffffc, v2
	v_mul_f32_e32 v8, 0x2f800000, v2
	v_trunc_f32_e32 v8, v8
	v_mac_f32_e32 v2, 0xcf800000, v8
	v_cvt_u32_f32_e32 v8, v8
	v_cvt_u32_f32_e32 v2, v2
	v_readfirstlane_b32 s36, v8
	v_readfirstlane_b32 s4, v2
	s_mul_i32 s5, s14, s36
	s_mul_hi_u32 s38, s14, s4
	s_mul_i32 s37, s15, s4
	s_add_i32 s5, s38, s5
	s_mul_i32 s39, s14, s4
	s_add_i32 s5, s5, s37
	s_mul_i32 s38, s4, s5
	s_mul_hi_u32 s40, s4, s39
	s_mul_hi_u32 s37, s4, s5
	s_add_u32 s38, s40, s38
	s_addc_u32 s37, 0, s37
	s_mul_hi_u32 s41, s36, s39
	s_mul_i32 s39, s36, s39
	s_add_u32 s38, s38, s39
	s_mul_hi_u32 s40, s36, s5
	s_addc_u32 s37, s37, s41
	s_addc_u32 s38, s40, 0
	s_mul_i32 s5, s36, s5
	s_add_u32 s5, s37, s5
	s_addc_u32 s37, 0, s38
	s_add_u32 s38, s4, s5
	s_cselect_b64 s[4:5], -1, 0
	s_cmp_lg_u64 s[4:5], 0
	s_addc_u32 s36, s36, s37
	s_mul_i32 s4, s14, s36
	s_mul_hi_u32 s5, s14, s38
	s_add_i32 s4, s5, s4
	s_mul_i32 s15, s15, s38
	s_add_i32 s4, s4, s15
	s_mul_i32 s14, s14, s38
	s_mul_hi_u32 s15, s36, s14
	s_mul_i32 s37, s36, s14
	s_mul_i32 s40, s38, s4
	s_mul_hi_u32 s14, s38, s14
	s_mul_hi_u32 s39, s38, s4
	s_add_u32 s14, s14, s40
	s_addc_u32 s39, 0, s39
	s_add_u32 s14, s14, s37
	s_mul_hi_u32 s5, s36, s4
	s_addc_u32 s14, s39, s15
	s_addc_u32 s5, s5, 0
	s_mul_i32 s4, s36, s4
	s_add_u32 s4, s14, s4
	s_addc_u32 s14, 0, s5
	s_add_u32 s37, s38, s4
	s_cselect_b64 s[4:5], -1, 0
	s_cmp_lg_u64 s[4:5], 0
	s_addc_u32 s36, s36, s14
	s_ashr_i32 s4, s51, 31
	s_add_u32 s14, s9, s4
	s_mov_b32 s5, s4
	s_addc_u32 s15, s51, s4
	s_xor_b64 s[14:15], s[14:15], s[4:5]
	s_mul_i32 s39, s14, s36
	s_mul_hi_u32 s40, s14, s37
	s_mul_hi_u32 s38, s14, s36
	s_add_u32 s39, s40, s39
	s_addc_u32 s38, 0, s38
	s_mul_hi_u32 s41, s15, s37
	s_mul_i32 s37, s15, s37
	s_add_u32 s37, s39, s37
	s_mul_hi_u32 s40, s15, s36
	s_addc_u32 s37, s38, s41
	s_addc_u32 s38, s40, 0
	s_mul_i32 s36, s15, s36
	s_add_u32 s36, s37, s36
	s_addc_u32 s37, 0, s38
	s_mul_i32 s37, s28, s37
	s_mul_hi_u32 s38, s28, s36
	s_add_i32 s37, s38, s37
	s_mul_i32 s38, s29, s36
	s_add_i32 s40, s37, s38
	s_sub_i32 s38, s15, s40
	s_mul_i32 s36, s28, s36
	s_sub_u32 s14, s14, s36
	s_cselect_b64 s[36:37], -1, 0
	s_cmp_lg_u64 s[36:37], 0
	s_subb_u32 s41, s38, s29
	s_sub_u32 s44, s14, s28
	s_cselect_b64 s[38:39], -1, 0
	s_cmp_lg_u64 s[38:39], 0
	s_subb_u32 s50, s41, 0
	s_cmp_ge_u32 s50, s29
	s_cselect_b32 s55, -1, 0
	s_cmp_ge_u32 s44, s28
	s_cselect_b32 s78, -1, 0
	s_cmp_eq_u32 s50, s29
	s_cselect_b32 s55, s78, s55
	s_cmp_lg_u64 s[38:39], 0
	s_subb_u32 s41, s41, s29
	s_sub_u32 s78, s44, s28
	s_cselect_b64 s[38:39], -1, 0
	s_cmp_lg_u64 s[38:39], 0
	s_subb_u32 s38, s41, 0
	s_cmp_lg_u32 s55, 0
	s_cselect_b32 s39, s78, s44
	s_cselect_b32 s38, s38, s50
	s_cmp_lg_u64 s[36:37], 0
	s_subb_u32 s15, s15, s40
	s_cmp_ge_u32 s15, s29
	s_cselect_b32 s36, -1, 0
	s_cmp_ge_u32 s14, s28
	s_cselect_b32 s28, -1, 0
	s_cmp_eq_u32 s15, s29
	s_cselect_b32 s28, s28, s36
	s_cmp_lg_u32 s28, 0
	s_cselect_b32 s15, s38, s15
	s_cselect_b32 s14, s39, s14
	s_xor_b64 s[14:15], s[14:15], s[4:5]
	s_sub_u32 s14, s14, s4
	s_subb_u32 s15, s15, s4
	s_cbranch_execnz .LBB4_88
.LBB4_87:                               ;   in Loop: Header=BB4_7 Depth=1
	v_cvt_f32_u32_e32 v2, s33
	s_sub_i32 s4, 0, s33
	v_rcp_iflag_f32_e32 v2, v2
	v_mul_f32_e32 v2, 0x4f7ffffe, v2
	v_cvt_u32_f32_e32 v2, v2
	v_readfirstlane_b32 s5, v2
	s_mul_i32 s4, s4, s5
	s_mul_hi_u32 s4, s5, s4
	s_add_i32 s5, s5, s4
	s_mul_hi_u32 s4, s9, s5
	s_mul_i32 s4, s4, s33
	s_sub_i32 s4, s9, s4
	s_sub_i32 s5, s4, s33
	s_cmp_ge_u32 s4, s33
	s_cselect_b32 s4, s5, s4
	s_sub_i32 s5, s4, s33
	s_cmp_ge_u32 s4, s33
	s_cselect_b32 s44, s5, s4
	s_mov_b64 s[14:15], s[44:45]
.LBB4_88:                               ;   in Loop: Header=BB4_7 Depth=1
	s_sub_u32 s40, s9, s14
	s_subb_u32 s41, s51, s15
	v_cmp_gt_i64_e32 vcc, s[40:41], v[0:1]
	s_mov_b64 s[36:37], 0
	s_mov_b64 s[28:29], 0
                                        ; implicit-def: $vgpr44
	s_and_saveexec_b64 s[38:39], vcc
	s_cbranch_execz .LBB4_97
; %bb.89:                               ;   in Loop: Header=BB4_7 Depth=1
	v_mov_b32_e32 v8, v12
	v_mov_b32_e32 v11, v1
	;; [unrolled: 1-line block ×4, first 2 shown]
                                        ; implicit-def: $sgpr14_sgpr15
	s_branch .LBB4_92
.LBB4_90:                               ;   in Loop: Header=BB4_92 Depth=2
	s_or_b64 exec, exec, s[4:5]
	s_waitcnt lgkmcnt(0)
	s_barrier
	ds_read_u16 v2, v3 offset:3072
	s_mov_b64 s[4:5], -1
	s_waitcnt lgkmcnt(0)
	s_barrier
	v_cmp_ne_u32_sdwa s[78:79], v2, v3 src0_sel:BYTE_0 src1_sel:DWORD
	s_and_b64 vcc, exec, s[78:79]
	s_mov_b64 s[78:79], -1
	s_cbranch_vccz .LBB4_95
.LBB4_91:                               ;   in Loop: Header=BB4_92 Depth=2
	s_and_b64 s[4:5], exec, s[4:5]
	s_or_b64 s[28:29], s[4:5], s[28:29]
	s_andn2_b64 s[4:5], s[14:15], exec
	s_and_b64 s[14:15], s[78:79], exec
	s_or_b64 s[14:15], s[4:5], s[14:15]
	s_andn2_b64 exec, exec, s[28:29]
	s_cbranch_execz .LBB4_96
.LBB4_92:                               ;   Parent Loop BB4_7 Depth=1
                                        ; =>  This Inner Loop Header: Depth=2
	v_cmp_gt_i64_e32 vcc, s[24:25], v[10:11]
	s_and_saveexec_b64 s[4:5], vcc
	s_cbranch_execz .LBB4_90
; %bb.93:                               ;   in Loop: Header=BB4_92 Depth=2
	global_load_ubyte v2, v[8:9], off
	s_waitcnt vmcnt(0)
	v_and_b32_e32 v26, v2, v43
	v_cmp_eq_u32_sdwa s[78:79], v26, v40 src0_sel:BYTE_0 src1_sel:DWORD
	s_and_b64 exec, exec, s[78:79]
	s_cbranch_execz .LBB4_90
; %bb.94:                               ;   in Loop: Header=BB4_92 Depth=2
	v_lshlrev_b16_e32 v2, 8, v2
	v_or_b32_e32 v2, 1, v2
	ds_write_b16 v3, v2 offset:3072
	s_branch .LBB4_90
.LBB4_95:                               ;   in Loop: Header=BB4_92 Depth=2
	v_add_co_u32_e32 v10, vcc, s33, v10
	v_addc_co_u32_e32 v11, vcc, 0, v11, vcc
	v_mov_b32_e32 v26, s35
	v_add_co_u32_e32 v8, vcc, s56, v8
	v_addc_co_u32_e32 v9, vcc, v9, v26, vcc
	v_cmp_le_i64_e32 vcc, s[40:41], v[10:11]
	s_mov_b64 s[78:79], 0
	s_orn2_b64 s[4:5], vcc, exec
	s_branch .LBB4_91
.LBB4_96:                               ;   in Loop: Header=BB4_7 Depth=1
	s_or_b64 exec, exec, s[28:29]
	v_lshrrev_b32_sdwa v44, v42, v2 dst_sel:DWORD dst_unused:UNUSED_PAD src0_sel:DWORD src1_sel:WORD_0
	s_and_b64 s[28:29], s[14:15], exec
.LBB4_97:                               ;   in Loop: Header=BB4_7 Depth=1
	s_or_b64 exec, exec, s[38:39]
.LBB4_98:                               ;   in Loop: Header=BB4_7 Depth=1
	s_and_b64 vcc, exec, s[36:37]
	s_cbranch_vccz .LBB4_112
; %bb.99:                               ;   in Loop: Header=BB4_7 Depth=1
	v_readlane_b32 s4, v62, 24
	s_add_u32 s36, s22, s4
	v_readlane_b32 s4, v62, 25
	s_addc_u32 s75, s23, s4
	s_mov_b32 s74, s45
	s_cmp_lg_u64 s[74:75], 0
	s_cbranch_scc0 .LBB4_140
; %bb.100:                              ;   in Loop: Header=BB4_7 Depth=1
	s_add_u32 s4, s33, 0
	s_addc_u32 s5, 0, 0
	s_xor_b64 s[76:77], s[4:5], 0
	v_cvt_f32_u32_e32 v2, s76
	v_cvt_f32_u32_e32 v8, s77
	s_sub_u32 s14, 0, s76
	s_subb_u32 s15, 0, s77
	v_mac_f32_e32 v2, 0x4f800000, v8
	v_rcp_f32_e32 v2, v2
	v_mul_f32_e32 v2, 0x5f7ffffc, v2
	v_mul_f32_e32 v8, 0x2f800000, v2
	v_trunc_f32_e32 v8, v8
	v_mac_f32_e32 v2, 0xcf800000, v8
	v_cvt_u32_f32_e32 v8, v8
	v_cvt_u32_f32_e32 v2, v2
	v_readfirstlane_b32 s37, v8
	v_readfirstlane_b32 s4, v2
	s_mul_i32 s5, s14, s37
	s_mul_hi_u32 s39, s14, s4
	s_mul_i32 s38, s15, s4
	s_add_i32 s5, s39, s5
	s_mul_i32 s40, s14, s4
	s_add_i32 s5, s5, s38
	s_mul_i32 s39, s4, s5
	s_mul_hi_u32 s41, s4, s40
	s_mul_hi_u32 s38, s4, s5
	s_add_u32 s39, s41, s39
	s_addc_u32 s38, 0, s38
	s_mul_hi_u32 s44, s37, s40
	s_mul_i32 s40, s37, s40
	s_add_u32 s39, s39, s40
	s_mul_hi_u32 s41, s37, s5
	s_addc_u32 s38, s38, s44
	s_addc_u32 s39, s41, 0
	s_mul_i32 s5, s37, s5
	s_add_u32 s5, s38, s5
	s_addc_u32 s38, 0, s39
	s_add_u32 s39, s4, s5
	s_cselect_b64 s[4:5], -1, 0
	s_cmp_lg_u64 s[4:5], 0
	s_addc_u32 s37, s37, s38
	s_mul_i32 s4, s14, s37
	s_mul_hi_u32 s5, s14, s39
	s_add_i32 s4, s5, s4
	s_mul_i32 s15, s15, s39
	s_add_i32 s4, s4, s15
	s_mul_i32 s14, s14, s39
	s_mul_hi_u32 s15, s37, s14
	s_mul_i32 s38, s37, s14
	s_mul_i32 s41, s39, s4
	s_mul_hi_u32 s14, s39, s14
	s_mul_hi_u32 s40, s39, s4
	s_add_u32 s14, s14, s41
	s_addc_u32 s40, 0, s40
	s_add_u32 s14, s14, s38
	s_mul_hi_u32 s5, s37, s4
	s_addc_u32 s14, s40, s15
	s_addc_u32 s5, s5, 0
	s_mul_i32 s4, s37, s4
	s_add_u32 s4, s14, s4
	s_addc_u32 s14, 0, s5
	s_add_u32 s38, s39, s4
	s_cselect_b64 s[4:5], -1, 0
	s_cmp_lg_u64 s[4:5], 0
	s_addc_u32 s37, s37, s14
	s_ashr_i32 s4, s75, 31
	s_add_u32 s14, s36, s4
	s_mov_b32 s5, s4
	s_addc_u32 s15, s75, s4
	s_xor_b64 s[14:15], s[14:15], s[4:5]
	s_mul_i32 s40, s14, s37
	s_mul_hi_u32 s41, s14, s38
	s_mul_hi_u32 s39, s14, s37
	s_add_u32 s40, s41, s40
	s_addc_u32 s39, 0, s39
	s_mul_hi_u32 s44, s15, s38
	s_mul_i32 s38, s15, s38
	s_add_u32 s38, s40, s38
	s_mul_hi_u32 s41, s15, s37
	s_addc_u32 s38, s39, s44
	s_addc_u32 s39, s41, 0
	s_mul_i32 s37, s15, s37
	s_add_u32 s37, s38, s37
	s_addc_u32 s38, 0, s39
	s_mul_i32 s38, s76, s38
	s_mul_hi_u32 s39, s76, s37
	s_add_i32 s38, s39, s38
	s_mul_i32 s39, s77, s37
	s_add_i32 s44, s38, s39
	s_sub_i32 s40, s15, s44
	s_mul_i32 s37, s76, s37
	s_sub_u32 s14, s14, s37
	s_cselect_b64 s[38:39], -1, 0
	s_cmp_lg_u64 s[38:39], 0
	s_subb_u32 s37, s40, s77
	s_sub_u32 s50, s14, s76
	s_cselect_b64 s[40:41], -1, 0
	s_cmp_lg_u64 s[40:41], 0
	s_subb_u32 s55, s37, 0
	s_cmp_ge_u32 s55, s77
	s_cselect_b32 s74, -1, 0
	s_cmp_ge_u32 s50, s76
	s_cselect_b32 s78, -1, 0
	s_cmp_eq_u32 s55, s77
	s_cselect_b32 s74, s78, s74
	s_cmp_lg_u64 s[40:41], 0
	s_subb_u32 s37, s37, s77
	s_sub_u32 s78, s50, s76
	s_cselect_b64 s[40:41], -1, 0
	s_cmp_lg_u64 s[40:41], 0
	s_subb_u32 s37, s37, 0
	s_cmp_lg_u32 s74, 0
	s_cselect_b32 s40, s78, s50
	s_cselect_b32 s37, s37, s55
	s_cmp_lg_u64 s[38:39], 0
	s_subb_u32 s15, s15, s44
	s_cmp_ge_u32 s15, s77
	s_cselect_b32 s38, -1, 0
	s_cmp_ge_u32 s14, s76
	s_cselect_b32 s39, -1, 0
	s_cmp_eq_u32 s15, s77
	s_cselect_b32 s38, s39, s38
	s_cmp_lg_u32 s38, 0
	s_cselect_b32 s15, s37, s15
	s_cselect_b32 s14, s40, s14
	s_xor_b64 s[14:15], s[14:15], s[4:5]
	s_sub_u32 s14, s14, s4
	s_subb_u32 s15, s15, s4
	s_cbranch_execnz .LBB4_102
.LBB4_101:                              ;   in Loop: Header=BB4_7 Depth=1
	v_cvt_f32_u32_e32 v2, s33
	s_sub_i32 s4, 0, s33
	v_rcp_iflag_f32_e32 v2, v2
	v_mul_f32_e32 v2, 0x4f7ffffe, v2
	v_cvt_u32_f32_e32 v2, v2
	v_readfirstlane_b32 s5, v2
	s_mul_i32 s4, s4, s5
	s_mul_hi_u32 s4, s5, s4
	s_add_i32 s5, s5, s4
	s_mul_hi_u32 s4, s36, s5
	s_mul_i32 s4, s4, s33
	s_sub_i32 s4, s36, s4
	s_sub_i32 s5, s4, s33
	s_cmp_ge_u32 s4, s33
	s_cselect_b32 s4, s5, s4
	s_sub_i32 s5, s4, s33
	s_cmp_ge_u32 s4, s33
	s_cselect_b32 s44, s5, s4
	s_mov_b64 s[14:15], s[44:45]
.LBB4_102:                              ;   in Loop: Header=BB4_7 Depth=1
	s_sub_u32 s38, s36, s14
	s_subb_u32 s39, s75, s15
	v_cmp_gt_i64_e32 vcc, s[38:39], v[0:1]
                                        ; implicit-def: $vgpr44
	s_and_saveexec_b64 s[36:37], vcc
	s_cbranch_execz .LBB4_111
; %bb.103:                              ;   in Loop: Header=BB4_7 Depth=1
	v_mov_b32_e32 v9, v1
	s_mov_b64 s[14:15], 0
	v_mov_b32_e32 v2, v0
	v_mov_b32_e32 v8, v0
                                        ; implicit-def: $sgpr40_sgpr41
	s_branch .LBB4_106
.LBB4_104:                              ;   in Loop: Header=BB4_106 Depth=2
	s_or_b64 exec, exec, s[4:5]
	s_waitcnt lgkmcnt(0)
	s_barrier
	ds_read_u16 v10, v3 offset:3072
	s_mov_b64 s[4:5], -1
	s_waitcnt lgkmcnt(0)
	s_barrier
	v_cmp_ne_u32_sdwa s[74:75], v10, v3 src0_sel:BYTE_0 src1_sel:DWORD
	s_and_b64 vcc, exec, s[74:75]
	s_mov_b64 s[74:75], -1
	s_cbranch_vccz .LBB4_109
.LBB4_105:                              ;   in Loop: Header=BB4_106 Depth=2
	s_and_b64 s[4:5], exec, s[4:5]
	s_or_b64 s[14:15], s[4:5], s[14:15]
	s_andn2_b64 s[4:5], s[40:41], exec
	s_and_b64 s[40:41], s[74:75], exec
	s_or_b64 s[40:41], s[4:5], s[40:41]
	s_andn2_b64 exec, exec, s[14:15]
	s_cbranch_execz .LBB4_110
.LBB4_106:                              ;   Parent Loop BB4_7 Depth=1
                                        ; =>  This Inner Loop Header: Depth=2
	v_cmp_gt_u64_e32 vcc, s[22:23], v[8:9]
	s_and_saveexec_b64 s[4:5], vcc
	s_cbranch_execz .LBB4_104
; %bb.107:                              ;   in Loop: Header=BB4_106 Depth=2
	ds_read_u8 v10, v2
	s_waitcnt lgkmcnt(0)
	v_and_b32_e32 v11, v10, v43
	v_cmp_eq_u32_sdwa s[74:75], v11, v40 src0_sel:BYTE_0 src1_sel:DWORD
	s_and_b64 exec, exec, s[74:75]
	s_cbranch_execz .LBB4_104
; %bb.108:                              ;   in Loop: Header=BB4_106 Depth=2
	v_lshlrev_b16_e32 v10, 8, v10
	v_or_b32_e32 v10, 1, v10
	ds_write_b16 v3, v10 offset:3072
	s_branch .LBB4_104
.LBB4_109:                              ;   in Loop: Header=BB4_106 Depth=2
	v_add_co_u32_e32 v8, vcc, s33, v8
	v_addc_co_u32_e32 v9, vcc, 0, v9, vcc
	v_cmp_le_i64_e32 vcc, s[38:39], v[8:9]
	v_add_u32_e32 v2, s33, v2
	s_mov_b64 s[74:75], 0
	s_orn2_b64 s[4:5], vcc, exec
	s_branch .LBB4_105
.LBB4_110:                              ;   in Loop: Header=BB4_7 Depth=1
	s_or_b64 exec, exec, s[14:15]
	s_andn2_b64 s[4:5], s[28:29], exec
	s_and_b64 s[14:15], s[40:41], exec
	v_lshrrev_b32_sdwa v44, v42, v10 dst_sel:DWORD dst_unused:UNUSED_PAD src0_sel:DWORD src1_sel:WORD_0
	s_or_b64 s[28:29], s[4:5], s[14:15]
.LBB4_111:                              ;   in Loop: Header=BB4_7 Depth=1
	s_or_b64 exec, exec, s[36:37]
	s_mov_b64 s[74:75], 0
	s_mov_b64 s[76:77], -1
.LBB4_112:                              ;   in Loop: Header=BB4_7 Depth=1
	s_orn2_b64 s[14:15], s[28:29], exec
.LBB4_113:                              ;   in Loop: Header=BB4_7 Depth=1
	s_or_b64 exec, exec, s[18:19]
	s_andn2_b64 s[4:5], s[72:73], exec
	s_and_b64 s[18:19], s[76:77], exec
	s_or_b64 s[72:73], s[4:5], s[18:19]
	s_andn2_b64 s[4:5], s[70:71], exec
	s_and_b64 s[18:19], s[74:75], exec
	s_andn2_b64 s[68:69], s[68:69], exec
	s_or_b64 s[70:71], s[4:5], s[18:19]
                                        ; implicit-def: $vgpr8_vgpr9
	s_and_saveexec_b64 s[18:19], s[14:15]
	s_cbranch_execz .LBB4_6
; %bb.114:                              ;   in Loop: Header=BB4_7 Depth=1
	v_mov_b32_e32 v8, 1
	s_xor_b64 s[4:5], s[20:21], -1
	v_mov_b32_e32 v2, 1
	v_mov_b32_e32 v9, 0
	s_mov_b64 s[22:23], 0
	s_and_saveexec_b64 s[6:7], s[4:5]
	s_cbranch_execz .LBB4_123
; %bb.115:                              ;   in Loop: Header=BB4_7 Depth=1
	v_cmp_le_i64_e32 vcc, v[24:25], v[4:5]
	s_and_saveexec_b64 s[4:5], vcc
	s_xor_b64 s[14:15], exec, s[4:5]
	s_cbranch_execz .LBB4_120
; %bb.116:                              ;   in Loop: Header=BB4_7 Depth=1
	ds_read_b64 v[8:9], v3 offset:5120
	v_and_b32_e32 v40, s54, v40
	v_or_b32_e32 v43, s93, v43
	s_waitcnt lgkmcnt(0)
	v_cmp_ne_u64_e32 vcc, 0, v[8:9]
	s_cbranch_vccnz .LBB4_120
; %bb.117:                              ;   in Loop: Header=BB4_7 Depth=1
	s_mov_b64 s[4:5], exec
	v_readlane_b32 s20, v62, 8
	v_readlane_b32 s21, v62, 9
	s_and_b64 s[20:21], s[4:5], s[20:21]
	s_mov_b64 exec, s[20:21]
; %bb.118:                              ;   in Loop: Header=BB4_7 Depth=1
	ds_write_b64 v3, v[4:5] offset:5128
; %bb.119:                              ;   in Loop: Header=BB4_7 Depth=1
	s_or_b64 exec, exec, s[4:5]
	s_waitcnt lgkmcnt(0)
	s_barrier
.LBB4_120:                              ;   in Loop: Header=BB4_7 Depth=1
	s_or_saveexec_b64 s[14:15], s[14:15]
	s_mov_b64 s[20:21], 0
	v_mov_b32_e32 v2, 8
	s_xor_b64 exec, exec, s[14:15]
; %bb.121:                              ;   in Loop: Header=BB4_7 Depth=1
	v_sub_co_u32_e32 v24, vcc, v24, v4
	s_mov_b64 s[20:21], exec
	v_subb_co_u32_e32 v25, vcc, v25, v5, vcc
	v_mov_b32_e32 v2, 0
; %bb.122:                              ;   in Loop: Header=BB4_7 Depth=1
	s_or_b64 exec, exec, s[14:15]
	v_mov_b32_e32 v8, v24
	s_and_b64 s[22:23], s[20:21], exec
	v_mov_b32_e32 v9, v25
.LBB4_123:                              ;   in Loop: Header=BB4_7 Depth=1
	s_or_b64 exec, exec, s[6:7]
	s_mov_b64 s[20:21], -1
	s_mov_b64 s[14:15], -1
                                        ; implicit-def: $sgpr6_sgpr7
                                        ; implicit-def: $sgpr74_sgpr75
	s_and_saveexec_b64 s[4:5], s[22:23]
	s_xor_b64 s[22:23], exec, s[4:5]
	s_cbranch_execz .LBB4_265
; %bb.124:                              ;   in Loop: Header=BB4_7 Depth=1
	v_cmp_eq_u64_e32 vcc, 1, v[6:7]
	v_cmp_eq_u64_e64 s[6:7], 1, v[8:9]
                                        ; implicit-def: $sgpr74_sgpr75
	s_and_b64 s[78:79], vcc, s[6:7]
                                        ; implicit-def: $sgpr6_sgpr7
	s_and_saveexec_b64 s[76:77], s[78:79]
	s_cbranch_execz .LBB4_158
; %bb.125:                              ;   in Loop: Header=BB4_7 Depth=1
	ds_read_b64 v[4:5], v3 offset:5120
	s_waitcnt lgkmcnt(0)
	s_barrier
	v_readfirstlane_b32 s80, v4
	v_readfirstlane_b32 s81, v5
	s_mov_b64 s[4:5], exec
	v_readlane_b32 s6, v62, 18
	v_readlane_b32 s7, v62, 19
	s_and_b64 s[6:7], s[4:5], s[6:7]
	s_mov_b64 exec, s[6:7]
; %bb.126:                              ;   in Loop: Header=BB4_7 Depth=1
	ds_write_b8 v0, v3 offset:3072
; %bb.127:                              ;   in Loop: Header=BB4_7 Depth=1
	s_or_b64 exec, exec, s[4:5]
	v_cmp_gt_i64_e64 s[4:5], s[80:81], 0
	v_and_b32_e32 v4, s54, v40
	v_lshl_or_b32 v40, 1, s12, v4
	v_or_b32_e32 v43, s93, v43
	s_mov_b64 s[6:7], -1
	s_mov_b64 s[74:75], 0
	s_and_b64 vcc, exec, s[4:5]
	s_mov_b64 s[82:83], 0
	s_mov_b64 s[28:29], -1
	s_waitcnt lgkmcnt(0)
	s_barrier
                                        ; implicit-def: $vgpr44
	s_cbranch_vccnz .LBB4_143
; %bb.128:                              ;   in Loop: Header=BB4_7 Depth=1
	s_mov_b32 s50, s45
	s_cmp_lg_u64 s[50:51], 0
	s_cbranch_scc0 .LBB4_185
; %bb.129:                              ;   in Loop: Header=BB4_7 Depth=1
	s_add_u32 s4, s33, 0
	s_addc_u32 s5, 0, 0
	s_xor_b64 s[28:29], s[4:5], 0
	v_cvt_f32_u32_e32 v4, s28
	v_cvt_f32_u32_e32 v5, s29
	s_sub_u32 s14, 0, s28
	s_subb_u32 s15, 0, s29
	v_mac_f32_e32 v4, 0x4f800000, v5
	v_rcp_f32_e32 v4, v4
	v_mul_f32_e32 v4, 0x5f7ffffc, v4
	v_mul_f32_e32 v5, 0x2f800000, v4
	v_trunc_f32_e32 v5, v5
	v_mac_f32_e32 v4, 0xcf800000, v5
	v_cvt_u32_f32_e32 v5, v5
	v_cvt_u32_f32_e32 v4, v4
	v_readfirstlane_b32 s36, v5
	v_readfirstlane_b32 s4, v4
	s_mul_i32 s5, s14, s36
	s_mul_hi_u32 s38, s14, s4
	s_mul_i32 s37, s15, s4
	s_add_i32 s5, s38, s5
	s_mul_i32 s39, s14, s4
	s_add_i32 s5, s5, s37
	s_mul_i32 s38, s4, s5
	s_mul_hi_u32 s40, s4, s39
	s_mul_hi_u32 s37, s4, s5
	s_add_u32 s38, s40, s38
	s_addc_u32 s37, 0, s37
	s_mul_hi_u32 s41, s36, s39
	s_mul_i32 s39, s36, s39
	s_add_u32 s38, s38, s39
	s_mul_hi_u32 s40, s36, s5
	s_addc_u32 s37, s37, s41
	s_addc_u32 s38, s40, 0
	s_mul_i32 s5, s36, s5
	s_add_u32 s5, s37, s5
	s_addc_u32 s37, 0, s38
	s_add_u32 s38, s4, s5
	s_cselect_b64 s[4:5], -1, 0
	s_cmp_lg_u64 s[4:5], 0
	s_addc_u32 s36, s36, s37
	s_mul_i32 s4, s14, s36
	s_mul_hi_u32 s5, s14, s38
	s_add_i32 s4, s5, s4
	s_mul_i32 s15, s15, s38
	s_add_i32 s4, s4, s15
	s_mul_i32 s14, s14, s38
	s_mul_hi_u32 s15, s36, s14
	s_mul_i32 s37, s36, s14
	s_mul_i32 s40, s38, s4
	s_mul_hi_u32 s14, s38, s14
	s_mul_hi_u32 s39, s38, s4
	s_add_u32 s14, s14, s40
	s_addc_u32 s39, 0, s39
	s_add_u32 s14, s14, s37
	s_mul_hi_u32 s5, s36, s4
	s_addc_u32 s14, s39, s15
	s_addc_u32 s5, s5, 0
	s_mul_i32 s4, s36, s4
	s_add_u32 s4, s14, s4
	s_addc_u32 s14, 0, s5
	s_add_u32 s37, s38, s4
	s_cselect_b64 s[4:5], -1, 0
	s_cmp_lg_u64 s[4:5], 0
	s_addc_u32 s36, s36, s14
	s_ashr_i32 s4, s51, 31
	s_add_u32 s14, s9, s4
	s_mov_b32 s5, s4
	s_addc_u32 s15, s51, s4
	s_xor_b64 s[14:15], s[14:15], s[4:5]
	s_mul_i32 s39, s14, s36
	s_mul_hi_u32 s40, s14, s37
	s_mul_hi_u32 s38, s14, s36
	s_add_u32 s39, s40, s39
	s_addc_u32 s38, 0, s38
	s_mul_hi_u32 s41, s15, s37
	s_mul_i32 s37, s15, s37
	s_add_u32 s37, s39, s37
	s_mul_hi_u32 s40, s15, s36
	s_addc_u32 s37, s38, s41
	s_addc_u32 s38, s40, 0
	s_mul_i32 s36, s15, s36
	s_add_u32 s36, s37, s36
	s_addc_u32 s37, 0, s38
	s_mul_i32 s37, s28, s37
	s_mul_hi_u32 s38, s28, s36
	s_add_i32 s37, s38, s37
	s_mul_i32 s38, s29, s36
	s_add_i32 s40, s37, s38
	s_sub_i32 s38, s15, s40
	s_mul_i32 s36, s28, s36
	s_sub_u32 s14, s14, s36
	s_cselect_b64 s[36:37], -1, 0
	s_cmp_lg_u64 s[36:37], 0
	s_subb_u32 s41, s38, s29
	s_sub_u32 s44, s14, s28
	s_cselect_b64 s[38:39], -1, 0
	s_cmp_lg_u64 s[38:39], 0
	s_subb_u32 s50, s41, 0
	s_cmp_ge_u32 s50, s29
	s_cselect_b32 s55, -1, 0
	s_cmp_ge_u32 s44, s28
	s_cselect_b32 s82, -1, 0
	s_cmp_eq_u32 s50, s29
	s_cselect_b32 s55, s82, s55
	s_cmp_lg_u64 s[38:39], 0
	s_subb_u32 s41, s41, s29
	s_sub_u32 s82, s44, s28
	s_cselect_b64 s[38:39], -1, 0
	s_cmp_lg_u64 s[38:39], 0
	s_subb_u32 s38, s41, 0
	s_cmp_lg_u32 s55, 0
	s_cselect_b32 s39, s82, s44
	s_cselect_b32 s38, s38, s50
	s_cmp_lg_u64 s[36:37], 0
	s_subb_u32 s15, s15, s40
	s_cmp_ge_u32 s15, s29
	s_cselect_b32 s36, -1, 0
	s_cmp_ge_u32 s14, s28
	s_cselect_b32 s28, -1, 0
	s_cmp_eq_u32 s15, s29
	s_cselect_b32 s28, s28, s36
	s_cmp_lg_u32 s28, 0
	s_cselect_b32 s15, s38, s15
	s_cselect_b32 s14, s39, s14
	s_xor_b64 s[14:15], s[14:15], s[4:5]
	s_sub_u32 s14, s14, s4
	s_subb_u32 s15, s15, s4
	s_cbranch_execnz .LBB4_131
.LBB4_130:                              ;   in Loop: Header=BB4_7 Depth=1
	v_cvt_f32_u32_e32 v4, s33
	s_sub_i32 s4, 0, s33
	v_rcp_iflag_f32_e32 v4, v4
	v_mul_f32_e32 v4, 0x4f7ffffe, v4
	v_cvt_u32_f32_e32 v4, v4
	v_readfirstlane_b32 s5, v4
	s_mul_i32 s4, s4, s5
	s_mul_hi_u32 s4, s5, s4
	s_add_i32 s5, s5, s4
	s_mul_hi_u32 s4, s9, s5
	s_mul_i32 s4, s4, s33
	s_sub_i32 s4, s9, s4
	s_sub_i32 s5, s4, s33
	s_cmp_ge_u32 s4, s33
	s_cselect_b32 s4, s5, s4
	s_sub_i32 s5, s4, s33
	s_cmp_ge_u32 s4, s33
	s_cselect_b32 s44, s5, s4
	s_mov_b64 s[14:15], s[44:45]
.LBB4_131:                              ;   in Loop: Header=BB4_7 Depth=1
	s_sub_u32 s38, s9, s14
	s_subb_u32 s39, s51, s15
	v_cmp_gt_i64_e32 vcc, s[38:39], v[0:1]
	s_mov_b64 s[28:29], 0
	s_mov_b64 s[82:83], 0
                                        ; implicit-def: $vgpr44
	s_and_saveexec_b64 s[36:37], vcc
	s_cbranch_execz .LBB4_142
; %bb.132:                              ;   in Loop: Header=BB4_7 Depth=1
	v_mov_b32_e32 v4, v12
	v_mov_b32_e32 v11, v1
	s_mov_b64 s[40:41], 0
	v_mov_b32_e32 v5, v13
	v_mov_b32_e32 v10, v0
                                        ; implicit-def: $sgpr82_sgpr83
	s_branch .LBB4_135
.LBB4_133:                              ;   in Loop: Header=BB4_135 Depth=2
	s_or_b64 exec, exec, s[14:15]
	s_waitcnt lgkmcnt(0)
	s_barrier
	ds_read_u16 v24, v3 offset:3072
	s_mov_b64 s[4:5], -1
	s_waitcnt lgkmcnt(0)
	s_barrier
	v_cmp_ne_u32_sdwa s[14:15], v24, v3 src0_sel:BYTE_0 src1_sel:DWORD
	s_and_b64 vcc, exec, s[14:15]
	s_mov_b64 s[14:15], -1
	s_cbranch_vccz .LBB4_138
.LBB4_134:                              ;   in Loop: Header=BB4_135 Depth=2
	s_and_b64 s[4:5], exec, s[4:5]
	s_or_b64 s[40:41], s[4:5], s[40:41]
	s_andn2_b64 s[4:5], s[82:83], exec
	s_and_b64 s[14:15], s[14:15], exec
	s_or_b64 s[82:83], s[4:5], s[14:15]
	s_andn2_b64 exec, exec, s[40:41]
	s_cbranch_execz .LBB4_141
.LBB4_135:                              ;   Parent Loop BB4_7 Depth=1
                                        ; =>  This Inner Loop Header: Depth=2
	v_cmp_gt_i64_e32 vcc, s[24:25], v[10:11]
	s_and_saveexec_b64 s[14:15], vcc
	s_cbranch_execz .LBB4_133
; %bb.136:                              ;   in Loop: Header=BB4_135 Depth=2
	global_load_ubyte v24, v[4:5], off
	s_waitcnt vmcnt(0)
	v_and_b32_e32 v25, v24, v43
	v_cmp_eq_u32_sdwa s[4:5], v25, v40 src0_sel:BYTE_0 src1_sel:DWORD
	s_and_b64 exec, exec, s[4:5]
	s_cbranch_execz .LBB4_133
; %bb.137:                              ;   in Loop: Header=BB4_135 Depth=2
	v_lshlrev_b16_e32 v24, 8, v24
	v_or_b32_e32 v24, 1, v24
	ds_write_b16 v3, v24 offset:3072
	s_branch .LBB4_133
.LBB4_138:                              ;   in Loop: Header=BB4_135 Depth=2
	v_add_co_u32_e32 v10, vcc, s33, v10
	v_addc_co_u32_e32 v11, vcc, 0, v11, vcc
	v_mov_b32_e32 v25, s35
	v_add_co_u32_e32 v4, vcc, s56, v4
	v_addc_co_u32_e32 v5, vcc, v5, v25, vcc
	v_cmp_le_i64_e32 vcc, s[38:39], v[10:11]
	s_mov_b64 s[14:15], 0
	s_orn2_b64 s[4:5], vcc, exec
	s_branch .LBB4_134
.LBB4_139:                              ;   in Loop: Header=BB4_7 Depth=1
                                        ; implicit-def: $sgpr14_sgpr15
	s_branch .LBB4_87
.LBB4_140:                              ;   in Loop: Header=BB4_7 Depth=1
                                        ; implicit-def: $sgpr14_sgpr15
	s_branch .LBB4_101
.LBB4_141:                              ;   in Loop: Header=BB4_7 Depth=1
	s_or_b64 exec, exec, s[40:41]
	v_lshrrev_b32_sdwa v44, v42, v24 dst_sel:DWORD dst_unused:UNUSED_PAD src0_sel:DWORD src1_sel:WORD_0
	s_and_b64 s[82:83], s[82:83], exec
.LBB4_142:                              ;   in Loop: Header=BB4_7 Depth=1
	s_or_b64 exec, exec, s[36:37]
.LBB4_143:                              ;   in Loop: Header=BB4_7 Depth=1
	s_and_b64 vcc, exec, s[28:29]
	s_cbranch_vccz .LBB4_157
; %bb.144:                              ;   in Loop: Header=BB4_7 Depth=1
	v_readlane_b32 s4, v62, 24
	s_add_u32 s36, s80, s4
	v_readlane_b32 s4, v62, 25
	s_addc_u32 s7, s81, s4
	s_mov_b32 s6, s45
	s_cmp_lg_u64 s[6:7], 0
	s_cbranch_scc0 .LBB4_186
; %bb.145:                              ;   in Loop: Header=BB4_7 Depth=1
	s_add_u32 s4, s33, 0
	s_addc_u32 s5, 0, 0
	s_xor_b64 s[28:29], s[4:5], 0
	v_cvt_f32_u32_e32 v4, s28
	v_cvt_f32_u32_e32 v5, s29
	s_sub_u32 s6, 0, s28
	s_subb_u32 s14, 0, s29
	v_mac_f32_e32 v4, 0x4f800000, v5
	v_rcp_f32_e32 v4, v4
	v_mul_f32_e32 v4, 0x5f7ffffc, v4
	v_mul_f32_e32 v5, 0x2f800000, v4
	v_trunc_f32_e32 v5, v5
	v_mac_f32_e32 v4, 0xcf800000, v5
	v_cvt_u32_f32_e32 v5, v5
	v_cvt_u32_f32_e32 v4, v4
	v_readfirstlane_b32 s15, v5
	v_readfirstlane_b32 s4, v4
	s_mul_i32 s5, s6, s15
	s_mul_hi_u32 s38, s6, s4
	s_mul_i32 s37, s14, s4
	s_add_i32 s5, s38, s5
	s_mul_i32 s39, s6, s4
	s_add_i32 s5, s5, s37
	s_mul_i32 s38, s4, s5
	s_mul_hi_u32 s40, s4, s39
	s_mul_hi_u32 s37, s4, s5
	s_add_u32 s38, s40, s38
	s_addc_u32 s37, 0, s37
	s_mul_hi_u32 s41, s15, s39
	s_mul_i32 s39, s15, s39
	s_add_u32 s38, s38, s39
	s_mul_hi_u32 s40, s15, s5
	s_addc_u32 s37, s37, s41
	s_addc_u32 s38, s40, 0
	s_mul_i32 s5, s15, s5
	s_add_u32 s5, s37, s5
	s_addc_u32 s37, 0, s38
	s_add_u32 s38, s4, s5
	s_cselect_b64 s[4:5], -1, 0
	s_cmp_lg_u64 s[4:5], 0
	s_addc_u32 s15, s15, s37
	s_mul_i32 s4, s6, s15
	s_mul_hi_u32 s5, s6, s38
	s_add_i32 s4, s5, s4
	s_mul_i32 s14, s14, s38
	s_add_i32 s4, s4, s14
	s_mul_i32 s6, s6, s38
	s_mul_hi_u32 s14, s15, s6
	s_mul_i32 s37, s15, s6
	s_mul_i32 s40, s38, s4
	s_mul_hi_u32 s6, s38, s6
	s_mul_hi_u32 s39, s38, s4
	s_add_u32 s6, s6, s40
	s_addc_u32 s39, 0, s39
	s_add_u32 s6, s6, s37
	s_mul_hi_u32 s5, s15, s4
	s_addc_u32 s6, s39, s14
	s_addc_u32 s5, s5, 0
	s_mul_i32 s4, s15, s4
	s_add_u32 s4, s6, s4
	s_addc_u32 s6, 0, s5
	s_add_u32 s37, s38, s4
	s_cselect_b64 s[4:5], -1, 0
	s_cmp_lg_u64 s[4:5], 0
	s_addc_u32 s6, s15, s6
	s_ashr_i32 s4, s7, 31
	s_add_u32 s14, s36, s4
	s_mov_b32 s5, s4
	s_addc_u32 s15, s7, s4
	s_xor_b64 s[14:15], s[14:15], s[4:5]
	s_mul_i32 s39, s14, s6
	s_mul_hi_u32 s40, s14, s37
	s_mul_hi_u32 s38, s14, s6
	s_add_u32 s39, s40, s39
	s_addc_u32 s38, 0, s38
	s_mul_hi_u32 s41, s15, s37
	s_mul_i32 s37, s15, s37
	s_add_u32 s37, s39, s37
	s_mul_hi_u32 s40, s15, s6
	s_addc_u32 s37, s38, s41
	s_addc_u32 s38, s40, 0
	s_mul_i32 s6, s15, s6
	s_add_u32 s6, s37, s6
	s_addc_u32 s37, 0, s38
	s_mul_i32 s37, s28, s37
	s_mul_hi_u32 s38, s28, s6
	s_add_i32 s37, s38, s37
	s_mul_i32 s38, s29, s6
	s_add_i32 s37, s37, s38
	s_sub_i32 s40, s15, s37
	s_mul_i32 s6, s28, s6
	s_sub_u32 s6, s14, s6
	s_cselect_b64 s[38:39], -1, 0
	s_cmp_lg_u64 s[38:39], 0
	s_subb_u32 s14, s40, s29
	s_sub_u32 s44, s6, s28
	s_cselect_b64 s[40:41], -1, 0
	s_cmp_lg_u64 s[40:41], 0
	s_subb_u32 s50, s14, 0
	s_cmp_ge_u32 s50, s29
	s_cselect_b32 s55, -1, 0
	s_cmp_ge_u32 s44, s28
	s_cselect_b32 s74, -1, 0
	s_cmp_eq_u32 s50, s29
	s_cselect_b32 s55, s74, s55
	s_cmp_lg_u64 s[40:41], 0
	s_subb_u32 s14, s14, s29
	s_sub_u32 s74, s44, s28
	s_cselect_b64 s[40:41], -1, 0
	s_cmp_lg_u64 s[40:41], 0
	s_subb_u32 s14, s14, 0
	s_cmp_lg_u32 s55, 0
	s_cselect_b32 s40, s74, s44
	s_cselect_b32 s14, s14, s50
	s_cmp_lg_u64 s[38:39], 0
	s_subb_u32 s15, s15, s37
	s_cmp_ge_u32 s15, s29
	s_cselect_b32 s37, -1, 0
	s_cmp_ge_u32 s6, s28
	s_cselect_b32 s28, -1, 0
	s_cmp_eq_u32 s15, s29
	s_cselect_b32 s28, s28, s37
	s_cmp_lg_u32 s28, 0
	s_cselect_b32 s15, s14, s15
	s_cselect_b32 s14, s40, s6
	s_xor_b64 s[14:15], s[14:15], s[4:5]
	s_sub_u32 s14, s14, s4
	s_subb_u32 s15, s15, s4
	s_cbranch_execnz .LBB4_147
.LBB4_146:                              ;   in Loop: Header=BB4_7 Depth=1
	v_cvt_f32_u32_e32 v4, s33
	s_sub_i32 s4, 0, s33
	v_rcp_iflag_f32_e32 v4, v4
	v_mul_f32_e32 v4, 0x4f7ffffe, v4
	v_cvt_u32_f32_e32 v4, v4
	v_readfirstlane_b32 s5, v4
	s_mul_i32 s4, s4, s5
	s_mul_hi_u32 s4, s5, s4
	s_add_i32 s5, s5, s4
	s_mul_hi_u32 s4, s36, s5
	s_mul_i32 s4, s4, s33
	s_sub_i32 s4, s36, s4
	s_sub_i32 s5, s4, s33
	s_cmp_ge_u32 s4, s33
	s_cselect_b32 s4, s5, s4
	s_sub_i32 s5, s4, s33
	s_cmp_ge_u32 s4, s33
	s_cselect_b32 s44, s5, s4
	s_mov_b64 s[14:15], s[44:45]
.LBB4_147:                              ;   in Loop: Header=BB4_7 Depth=1
	s_sub_u32 s28, s36, s14
	s_subb_u32 s29, s7, s15
	v_cmp_gt_i64_e32 vcc, s[28:29], v[0:1]
                                        ; implicit-def: $vgpr44
	s_and_saveexec_b64 s[6:7], vcc
	s_cbranch_execz .LBB4_156
; %bb.148:                              ;   in Loop: Header=BB4_7 Depth=1
	v_mov_b32_e32 v5, v1
	s_mov_b64 s[14:15], 0
	v_mov_b32_e32 v10, v0
	v_mov_b32_e32 v4, v0
                                        ; implicit-def: $sgpr36_sgpr37
	s_branch .LBB4_151
.LBB4_149:                              ;   in Loop: Header=BB4_151 Depth=2
	s_or_b64 exec, exec, s[38:39]
	s_waitcnt lgkmcnt(0)
	s_barrier
	ds_read_u16 v11, v3 offset:3072
	s_mov_b64 s[4:5], -1
	s_waitcnt lgkmcnt(0)
	s_barrier
	v_cmp_eq_u32_sdwa s[38:39], v11, v3 src0_sel:BYTE_0 src1_sel:DWORD
	s_and_b64 vcc, exec, s[38:39]
	s_mov_b64 s[38:39], -1
	s_cbranch_vccnz .LBB4_154
.LBB4_150:                              ;   in Loop: Header=BB4_151 Depth=2
	s_and_b64 s[4:5], exec, s[4:5]
	s_or_b64 s[14:15], s[4:5], s[14:15]
	s_andn2_b64 s[4:5], s[36:37], exec
	s_and_b64 s[36:37], s[38:39], exec
	s_or_b64 s[36:37], s[4:5], s[36:37]
	s_andn2_b64 exec, exec, s[14:15]
	s_cbranch_execz .LBB4_155
.LBB4_151:                              ;   Parent Loop BB4_7 Depth=1
                                        ; =>  This Inner Loop Header: Depth=2
	v_cmp_gt_u64_e32 vcc, s[80:81], v[4:5]
	s_and_saveexec_b64 s[38:39], vcc
	s_cbranch_execz .LBB4_149
; %bb.152:                              ;   in Loop: Header=BB4_151 Depth=2
	ds_read_u8 v11, v10
	s_waitcnt lgkmcnt(0)
	v_and_b32_e32 v24, v11, v43
	v_cmp_eq_u32_sdwa s[4:5], v24, v40 src0_sel:BYTE_0 src1_sel:DWORD
	s_and_b64 exec, exec, s[4:5]
	s_cbranch_execz .LBB4_149
; %bb.153:                              ;   in Loop: Header=BB4_151 Depth=2
	v_lshlrev_b16_e32 v11, 8, v11
	v_or_b32_e32 v11, 1, v11
	ds_write_b16 v3, v11 offset:3072
	s_branch .LBB4_149
.LBB4_154:                              ;   in Loop: Header=BB4_151 Depth=2
	v_add_co_u32_e32 v4, vcc, s33, v4
	v_addc_co_u32_e32 v5, vcc, 0, v5, vcc
	v_cmp_le_i64_e32 vcc, s[28:29], v[4:5]
	v_add_u32_e32 v10, s33, v10
	s_mov_b64 s[38:39], 0
	s_orn2_b64 s[4:5], vcc, exec
	s_branch .LBB4_150
.LBB4_155:                              ;   in Loop: Header=BB4_7 Depth=1
	s_or_b64 exec, exec, s[14:15]
	s_andn2_b64 s[4:5], s[82:83], exec
	s_and_b64 s[14:15], s[36:37], exec
	v_lshrrev_b32_sdwa v44, v42, v11 dst_sel:DWORD dst_unused:UNUSED_PAD src0_sel:DWORD src1_sel:WORD_0
	s_or_b64 s[82:83], s[4:5], s[14:15]
.LBB4_156:                              ;   in Loop: Header=BB4_7 Depth=1
	s_or_b64 exec, exec, s[6:7]
	s_mov_b64 s[6:7], 0
	s_mov_b64 s[74:75], -1
.LBB4_157:                              ;   in Loop: Header=BB4_7 Depth=1
	s_orn2_b64 s[14:15], s[82:83], exec
.LBB4_158:                              ;   in Loop: Header=BB4_7 Depth=1
	s_or_b64 exec, exec, s[76:77]
	s_mov_b64 s[28:29], 0
	s_and_saveexec_b64 s[76:77], s[14:15]
	s_cbranch_execz .LBB4_264
; %bb.159:                              ;   in Loop: Header=BB4_7 Depth=1
	v_mov_b32_e32 v4, 1
	s_xor_b64 s[4:5], s[78:79], -1
	v_mov_b32_e32 v2, 1
	v_mov_b32_e32 v5, 0
	s_mov_b64 s[36:37], 0
	s_and_saveexec_b64 s[28:29], s[4:5]
	s_cbranch_execz .LBB4_169
; %bb.160:                              ;   in Loop: Header=BB4_7 Depth=1
	v_cmp_le_i64_e32 vcc, v[8:9], v[6:7]
	s_and_saveexec_b64 s[4:5], vcc
	s_xor_b64 s[14:15], exec, s[4:5]
	s_cbranch_execz .LBB4_166
; %bb.161:                              ;   in Loop: Header=BB4_7 Depth=1
	ds_read_b64 v[4:5], v3 offset:5120
	v_and_b32_e32 v2, s54, v40
	v_lshl_or_b32 v40, 1, s12, v2
	v_or_b32_e32 v43, s93, v43
	s_waitcnt lgkmcnt(0)
	v_cmp_ne_u64_e32 vcc, 0, v[4:5]
	s_cbranch_vccnz .LBB4_165
; %bb.162:                              ;   in Loop: Header=BB4_7 Depth=1
	s_mov_b64 s[4:5], exec
	v_readlane_b32 s36, v62, 8
	v_readlane_b32 s37, v62, 9
	s_and_b64 s[36:37], s[4:5], s[36:37]
	s_mov_b64 exec, s[36:37]
; %bb.163:                              ;   in Loop: Header=BB4_7 Depth=1
	ds_write_b64 v3, v[6:7] offset:5128
; %bb.164:                              ;   in Loop: Header=BB4_7 Depth=1
	s_or_b64 exec, exec, s[4:5]
	s_waitcnt lgkmcnt(0)
	s_barrier
.LBB4_165:                              ;   in Loop: Header=BB4_7 Depth=1
                                        ; implicit-def: $vgpr4_vgpr5_vgpr6_vgpr7
.LBB4_166:                              ;   in Loop: Header=BB4_7 Depth=1
	s_or_saveexec_b64 s[14:15], s[14:15]
	s_mov_b64 s[36:37], 0
	v_mov_b32_e32 v2, 8
	s_xor_b64 exec, exec, s[14:15]
; %bb.167:                              ;   in Loop: Header=BB4_7 Depth=1
	v_sub_co_u32_e32 v8, vcc, v8, v6
	v_subb_co_u32_e32 v9, vcc, v9, v7, vcc
	v_mov_b32_e32 v2, 0
	s_mov_b64 s[36:37], exec
; %bb.168:                              ;   in Loop: Header=BB4_7 Depth=1
	s_or_b64 exec, exec, s[14:15]
	v_mov_b32_e32 v4, v8
	s_and_b64 s[36:37], s[36:37], exec
	v_mov_b32_e32 v5, v9
.LBB4_169:                              ;   in Loop: Header=BB4_7 Depth=1
	s_or_b64 exec, exec, s[28:29]
	s_mov_b64 s[14:15], -1
                                        ; implicit-def: $sgpr80_sgpr81
                                        ; implicit-def: $sgpr82_sgpr83
	s_and_saveexec_b64 s[78:79], s[36:37]
	s_cbranch_execz .LBB4_263
; %bb.170:                              ;   in Loop: Header=BB4_7 Depth=1
	s_cmp_eq_u64 s[26:27], 1
	v_cmp_eq_u64_e32 vcc, 1, v[4:5]
	s_cselect_b64 s[4:5], -1, 0
	s_and_b64 s[86:87], s[4:5], vcc
                                        ; implicit-def: $sgpr82_sgpr83
                                        ; implicit-def: $sgpr80_sgpr81
	s_and_saveexec_b64 s[84:85], s[86:87]
	s_cbranch_execz .LBB4_204
; %bb.171:                              ;   in Loop: Header=BB4_7 Depth=1
	ds_read_b64 v[6:7], v3 offset:5120
	s_waitcnt lgkmcnt(0)
	s_barrier
	v_readfirstlane_b32 s88, v6
	v_readfirstlane_b32 s89, v7
	s_mov_b64 s[4:5], exec
	v_readlane_b32 s14, v62, 18
	v_readlane_b32 s15, v62, 19
	s_and_b64 s[14:15], s[4:5], s[14:15]
	s_mov_b64 exec, s[14:15]
; %bb.172:                              ;   in Loop: Header=BB4_7 Depth=1
	ds_write_b8 v0, v3 offset:3072
; %bb.173:                              ;   in Loop: Header=BB4_7 Depth=1
	s_or_b64 exec, exec, s[4:5]
	v_cmp_gt_i64_e64 s[4:5], s[88:89], 0
	v_and_b32_e32 v6, s54, v40
	v_lshl_or_b32 v40, 2, s12, v6
	v_or_b32_e32 v43, s93, v43
	s_mov_b64 s[80:81], -1
	s_mov_b64 s[82:83], 0
	s_and_b64 vcc, exec, s[4:5]
	s_mov_b64 s[90:91], 0
	s_mov_b64 s[28:29], -1
	s_waitcnt lgkmcnt(0)
	s_barrier
                                        ; implicit-def: $vgpr44
	s_cbranch_vccnz .LBB4_189
; %bb.174:                              ;   in Loop: Header=BB4_7 Depth=1
	s_mov_b32 s50, s45
	s_cmp_lg_u64 s[50:51], 0
	s_cbranch_scc0 .LBB4_230
; %bb.175:                              ;   in Loop: Header=BB4_7 Depth=1
	s_add_u32 s4, s33, 0
	s_addc_u32 s5, 0, 0
	s_xor_b64 s[28:29], s[4:5], 0
	v_cvt_f32_u32_e32 v6, s28
	v_cvt_f32_u32_e32 v7, s29
	s_sub_u32 s14, 0, s28
	s_subb_u32 s15, 0, s29
	v_mac_f32_e32 v6, 0x4f800000, v7
	v_rcp_f32_e32 v6, v6
	v_mul_f32_e32 v6, 0x5f7ffffc, v6
	v_mul_f32_e32 v7, 0x2f800000, v6
	v_trunc_f32_e32 v7, v7
	v_mac_f32_e32 v6, 0xcf800000, v7
	v_cvt_u32_f32_e32 v7, v7
	v_cvt_u32_f32_e32 v6, v6
	v_readfirstlane_b32 s36, v7
	v_readfirstlane_b32 s4, v6
	s_mul_i32 s5, s14, s36
	s_mul_hi_u32 s38, s14, s4
	s_mul_i32 s37, s15, s4
	s_add_i32 s5, s38, s5
	s_mul_i32 s39, s14, s4
	s_add_i32 s5, s5, s37
	s_mul_i32 s38, s4, s5
	s_mul_hi_u32 s40, s4, s39
	s_mul_hi_u32 s37, s4, s5
	s_add_u32 s38, s40, s38
	s_addc_u32 s37, 0, s37
	s_mul_hi_u32 s41, s36, s39
	s_mul_i32 s39, s36, s39
	s_add_u32 s38, s38, s39
	s_mul_hi_u32 s40, s36, s5
	s_addc_u32 s37, s37, s41
	s_addc_u32 s38, s40, 0
	s_mul_i32 s5, s36, s5
	s_add_u32 s5, s37, s5
	s_addc_u32 s37, 0, s38
	s_add_u32 s38, s4, s5
	s_cselect_b64 s[4:5], -1, 0
	s_cmp_lg_u64 s[4:5], 0
	s_addc_u32 s36, s36, s37
	s_mul_i32 s4, s14, s36
	s_mul_hi_u32 s5, s14, s38
	s_add_i32 s4, s5, s4
	s_mul_i32 s15, s15, s38
	s_add_i32 s4, s4, s15
	s_mul_i32 s14, s14, s38
	s_mul_hi_u32 s15, s36, s14
	s_mul_i32 s37, s36, s14
	s_mul_i32 s40, s38, s4
	s_mul_hi_u32 s14, s38, s14
	s_mul_hi_u32 s39, s38, s4
	s_add_u32 s14, s14, s40
	s_addc_u32 s39, 0, s39
	s_add_u32 s14, s14, s37
	s_mul_hi_u32 s5, s36, s4
	s_addc_u32 s14, s39, s15
	s_addc_u32 s5, s5, 0
	s_mul_i32 s4, s36, s4
	s_add_u32 s4, s14, s4
	s_addc_u32 s14, 0, s5
	s_add_u32 s37, s38, s4
	s_cselect_b64 s[4:5], -1, 0
	s_cmp_lg_u64 s[4:5], 0
	s_addc_u32 s36, s36, s14
	s_ashr_i32 s4, s51, 31
	s_add_u32 s14, s9, s4
	s_mov_b32 s5, s4
	s_addc_u32 s15, s51, s4
	s_xor_b64 s[14:15], s[14:15], s[4:5]
	s_mul_i32 s39, s14, s36
	s_mul_hi_u32 s40, s14, s37
	s_mul_hi_u32 s38, s14, s36
	s_add_u32 s39, s40, s39
	s_addc_u32 s38, 0, s38
	s_mul_hi_u32 s41, s15, s37
	s_mul_i32 s37, s15, s37
	s_add_u32 s37, s39, s37
	s_mul_hi_u32 s40, s15, s36
	s_addc_u32 s37, s38, s41
	s_addc_u32 s38, s40, 0
	s_mul_i32 s36, s15, s36
	s_add_u32 s36, s37, s36
	s_addc_u32 s37, 0, s38
	s_mul_i32 s37, s28, s37
	s_mul_hi_u32 s38, s28, s36
	s_add_i32 s37, s38, s37
	s_mul_i32 s38, s29, s36
	s_add_i32 s40, s37, s38
	s_sub_i32 s38, s15, s40
	s_mul_i32 s36, s28, s36
	s_sub_u32 s14, s14, s36
	s_cselect_b64 s[36:37], -1, 0
	s_cmp_lg_u64 s[36:37], 0
	s_subb_u32 s41, s38, s29
	s_sub_u32 s44, s14, s28
	s_cselect_b64 s[38:39], -1, 0
	s_cmp_lg_u64 s[38:39], 0
	s_subb_u32 s50, s41, 0
	s_cmp_ge_u32 s50, s29
	s_cselect_b32 s55, -1, 0
	s_cmp_ge_u32 s44, s28
	s_cselect_b32 s90, -1, 0
	s_cmp_eq_u32 s50, s29
	s_cselect_b32 s55, s90, s55
	s_cmp_lg_u64 s[38:39], 0
	s_subb_u32 s41, s41, s29
	s_sub_u32 s90, s44, s28
	s_cselect_b64 s[38:39], -1, 0
	s_cmp_lg_u64 s[38:39], 0
	s_subb_u32 s38, s41, 0
	s_cmp_lg_u32 s55, 0
	s_cselect_b32 s39, s90, s44
	s_cselect_b32 s38, s38, s50
	s_cmp_lg_u64 s[36:37], 0
	s_subb_u32 s15, s15, s40
	s_cmp_ge_u32 s15, s29
	s_cselect_b32 s36, -1, 0
	s_cmp_ge_u32 s14, s28
	s_cselect_b32 s28, -1, 0
	s_cmp_eq_u32 s15, s29
	s_cselect_b32 s28, s28, s36
	s_cmp_lg_u32 s28, 0
	s_cselect_b32 s15, s38, s15
	s_cselect_b32 s14, s39, s14
	s_xor_b64 s[14:15], s[14:15], s[4:5]
	s_sub_u32 s14, s14, s4
	s_subb_u32 s15, s15, s4
	s_cbranch_execnz .LBB4_177
.LBB4_176:                              ;   in Loop: Header=BB4_7 Depth=1
	v_cvt_f32_u32_e32 v6, s33
	s_sub_i32 s4, 0, s33
	v_rcp_iflag_f32_e32 v6, v6
	v_mul_f32_e32 v6, 0x4f7ffffe, v6
	v_cvt_u32_f32_e32 v6, v6
	v_readfirstlane_b32 s5, v6
	s_mul_i32 s4, s4, s5
	s_mul_hi_u32 s4, s5, s4
	s_add_i32 s5, s5, s4
	s_mul_hi_u32 s4, s9, s5
	s_mul_i32 s4, s4, s33
	s_sub_i32 s4, s9, s4
	s_sub_i32 s5, s4, s33
	s_cmp_ge_u32 s4, s33
	s_cselect_b32 s4, s5, s4
	s_sub_i32 s5, s4, s33
	s_cmp_ge_u32 s4, s33
	s_cselect_b32 s44, s5, s4
	s_mov_b64 s[14:15], s[44:45]
.LBB4_177:                              ;   in Loop: Header=BB4_7 Depth=1
	s_sub_u32 s38, s9, s14
	s_subb_u32 s39, s51, s15
	v_cmp_gt_i64_e32 vcc, s[38:39], v[0:1]
	s_mov_b64 s[28:29], 0
	s_mov_b64 s[90:91], 0
                                        ; implicit-def: $vgpr44
	s_and_saveexec_b64 s[36:37], vcc
	s_cbranch_execz .LBB4_188
; %bb.178:                              ;   in Loop: Header=BB4_7 Depth=1
	v_mov_b32_e32 v6, v12
	v_mov_b32_e32 v9, v1
	s_mov_b64 s[40:41], 0
	v_mov_b32_e32 v7, v13
	v_mov_b32_e32 v8, v0
                                        ; implicit-def: $sgpr90_sgpr91
	s_branch .LBB4_181
.LBB4_179:                              ;   in Loop: Header=BB4_181 Depth=2
	s_or_b64 exec, exec, s[14:15]
	s_waitcnt lgkmcnt(0)
	s_barrier
	ds_read_u16 v10, v3 offset:3072
	s_mov_b64 s[4:5], -1
	s_waitcnt lgkmcnt(0)
	s_barrier
	v_cmp_ne_u32_sdwa s[14:15], v10, v3 src0_sel:BYTE_0 src1_sel:DWORD
	s_and_b64 vcc, exec, s[14:15]
	s_mov_b64 s[14:15], -1
	s_cbranch_vccz .LBB4_184
.LBB4_180:                              ;   in Loop: Header=BB4_181 Depth=2
	s_and_b64 s[4:5], exec, s[4:5]
	s_or_b64 s[40:41], s[4:5], s[40:41]
	s_andn2_b64 s[4:5], s[90:91], exec
	s_and_b64 s[14:15], s[14:15], exec
	s_or_b64 s[90:91], s[4:5], s[14:15]
	s_andn2_b64 exec, exec, s[40:41]
	s_cbranch_execz .LBB4_187
.LBB4_181:                              ;   Parent Loop BB4_7 Depth=1
                                        ; =>  This Inner Loop Header: Depth=2
	v_cmp_gt_i64_e32 vcc, s[24:25], v[8:9]
	s_and_saveexec_b64 s[14:15], vcc
	s_cbranch_execz .LBB4_179
; %bb.182:                              ;   in Loop: Header=BB4_181 Depth=2
	global_load_ubyte v10, v[6:7], off
	s_waitcnt vmcnt(0)
	v_and_b32_e32 v11, v10, v43
	v_cmp_eq_u32_sdwa s[4:5], v11, v40 src0_sel:BYTE_0 src1_sel:DWORD
	s_and_b64 exec, exec, s[4:5]
	s_cbranch_execz .LBB4_179
; %bb.183:                              ;   in Loop: Header=BB4_181 Depth=2
	v_lshlrev_b16_e32 v10, 8, v10
	v_or_b32_e32 v10, 1, v10
	ds_write_b16 v3, v10 offset:3072
	s_branch .LBB4_179
.LBB4_184:                              ;   in Loop: Header=BB4_181 Depth=2
	v_add_co_u32_e32 v8, vcc, s33, v8
	v_addc_co_u32_e32 v9, vcc, 0, v9, vcc
	v_mov_b32_e32 v11, s35
	v_add_co_u32_e32 v6, vcc, s56, v6
	v_addc_co_u32_e32 v7, vcc, v7, v11, vcc
	v_cmp_le_i64_e32 vcc, s[38:39], v[8:9]
	s_mov_b64 s[14:15], 0
	s_orn2_b64 s[4:5], vcc, exec
	s_branch .LBB4_180
.LBB4_185:                              ;   in Loop: Header=BB4_7 Depth=1
                                        ; implicit-def: $sgpr14_sgpr15
	s_branch .LBB4_130
.LBB4_186:                              ;   in Loop: Header=BB4_7 Depth=1
                                        ; implicit-def: $sgpr14_sgpr15
	s_branch .LBB4_146
.LBB4_187:                              ;   in Loop: Header=BB4_7 Depth=1
	s_or_b64 exec, exec, s[40:41]
	v_lshrrev_b32_sdwa v44, v42, v10 dst_sel:DWORD dst_unused:UNUSED_PAD src0_sel:DWORD src1_sel:WORD_0
	s_and_b64 s[90:91], s[90:91], exec
.LBB4_188:                              ;   in Loop: Header=BB4_7 Depth=1
	s_or_b64 exec, exec, s[36:37]
.LBB4_189:                              ;   in Loop: Header=BB4_7 Depth=1
	s_and_b64 vcc, exec, s[28:29]
	s_cbranch_vccz .LBB4_203
; %bb.190:                              ;   in Loop: Header=BB4_7 Depth=1
	v_readlane_b32 s4, v62, 24
	s_add_u32 s36, s88, s4
	v_readlane_b32 s4, v62, 25
	s_addc_u32 s29, s89, s4
	s_mov_b32 s28, s45
	s_cmp_lg_u64 s[28:29], 0
	s_cbranch_scc0 .LBB4_231
; %bb.191:                              ;   in Loop: Header=BB4_7 Depth=1
	s_add_u32 s4, s33, 0
	s_addc_u32 s5, 0, 0
	s_xor_b64 s[80:81], s[4:5], 0
	v_cvt_f32_u32_e32 v6, s80
	v_cvt_f32_u32_e32 v7, s81
	s_sub_u32 s14, 0, s80
	s_subb_u32 s15, 0, s81
	v_mac_f32_e32 v6, 0x4f800000, v7
	v_rcp_f32_e32 v6, v6
	v_mul_f32_e32 v6, 0x5f7ffffc, v6
	v_mul_f32_e32 v7, 0x2f800000, v6
	v_trunc_f32_e32 v7, v7
	v_mac_f32_e32 v6, 0xcf800000, v7
	v_cvt_u32_f32_e32 v7, v7
	v_cvt_u32_f32_e32 v6, v6
	v_readfirstlane_b32 s28, v7
	v_readfirstlane_b32 s4, v6
	s_mul_i32 s5, s14, s28
	s_mul_hi_u32 s38, s14, s4
	s_mul_i32 s37, s15, s4
	s_add_i32 s5, s38, s5
	s_mul_i32 s39, s14, s4
	s_add_i32 s5, s5, s37
	s_mul_i32 s38, s4, s5
	s_mul_hi_u32 s40, s4, s39
	s_mul_hi_u32 s37, s4, s5
	s_add_u32 s38, s40, s38
	s_addc_u32 s37, 0, s37
	s_mul_hi_u32 s41, s28, s39
	s_mul_i32 s39, s28, s39
	s_add_u32 s38, s38, s39
	s_mul_hi_u32 s40, s28, s5
	s_addc_u32 s37, s37, s41
	s_addc_u32 s38, s40, 0
	s_mul_i32 s5, s28, s5
	s_add_u32 s5, s37, s5
	s_addc_u32 s37, 0, s38
	s_add_u32 s38, s4, s5
	s_cselect_b64 s[4:5], -1, 0
	s_cmp_lg_u64 s[4:5], 0
	s_addc_u32 s28, s28, s37
	s_mul_i32 s4, s14, s28
	s_mul_hi_u32 s5, s14, s38
	s_add_i32 s4, s5, s4
	s_mul_i32 s15, s15, s38
	s_add_i32 s4, s4, s15
	s_mul_i32 s14, s14, s38
	s_mul_hi_u32 s15, s28, s14
	s_mul_i32 s37, s28, s14
	s_mul_i32 s40, s38, s4
	s_mul_hi_u32 s14, s38, s14
	s_mul_hi_u32 s39, s38, s4
	s_add_u32 s14, s14, s40
	s_addc_u32 s39, 0, s39
	s_add_u32 s14, s14, s37
	s_mul_hi_u32 s5, s28, s4
	s_addc_u32 s14, s39, s15
	s_addc_u32 s5, s5, 0
	s_mul_i32 s4, s28, s4
	s_add_u32 s4, s14, s4
	s_addc_u32 s14, 0, s5
	s_add_u32 s37, s38, s4
	s_cselect_b64 s[4:5], -1, 0
	s_cmp_lg_u64 s[4:5], 0
	s_addc_u32 s28, s28, s14
	s_ashr_i32 s4, s29, 31
	s_add_u32 s14, s36, s4
	s_mov_b32 s5, s4
	s_addc_u32 s15, s29, s4
	s_xor_b64 s[14:15], s[14:15], s[4:5]
	s_mul_i32 s39, s14, s28
	s_mul_hi_u32 s40, s14, s37
	s_mul_hi_u32 s38, s14, s28
	s_add_u32 s39, s40, s39
	s_addc_u32 s38, 0, s38
	s_mul_hi_u32 s41, s15, s37
	s_mul_i32 s37, s15, s37
	s_add_u32 s37, s39, s37
	s_mul_hi_u32 s40, s15, s28
	s_addc_u32 s37, s38, s41
	s_addc_u32 s38, s40, 0
	s_mul_i32 s28, s15, s28
	s_add_u32 s28, s37, s28
	s_addc_u32 s37, 0, s38
	s_mul_i32 s37, s80, s37
	s_mul_hi_u32 s38, s80, s28
	s_add_i32 s37, s38, s37
	s_mul_i32 s38, s81, s28
	s_add_i32 s37, s37, s38
	s_sub_i32 s40, s15, s37
	s_mul_i32 s28, s80, s28
	s_sub_u32 s14, s14, s28
	s_cselect_b64 s[38:39], -1, 0
	s_cmp_lg_u64 s[38:39], 0
	s_subb_u32 s28, s40, s81
	s_sub_u32 s44, s14, s80
	s_cselect_b64 s[40:41], -1, 0
	s_cmp_lg_u64 s[40:41], 0
	s_subb_u32 s50, s28, 0
	s_cmp_ge_u32 s50, s81
	s_cselect_b32 s55, -1, 0
	s_cmp_ge_u32 s44, s80
	s_cselect_b32 s82, -1, 0
	s_cmp_eq_u32 s50, s81
	s_cselect_b32 s55, s82, s55
	s_cmp_lg_u64 s[40:41], 0
	s_subb_u32 s28, s28, s81
	s_sub_u32 s82, s44, s80
	s_cselect_b64 s[40:41], -1, 0
	s_cmp_lg_u64 s[40:41], 0
	s_subb_u32 s28, s28, 0
	s_cmp_lg_u32 s55, 0
	s_cselect_b32 s40, s82, s44
	s_cselect_b32 s28, s28, s50
	s_cmp_lg_u64 s[38:39], 0
	s_subb_u32 s15, s15, s37
	s_cmp_ge_u32 s15, s81
	s_cselect_b32 s37, -1, 0
	s_cmp_ge_u32 s14, s80
	s_cselect_b32 s38, -1, 0
	s_cmp_eq_u32 s15, s81
	s_cselect_b32 s37, s38, s37
	s_cmp_lg_u32 s37, 0
	s_cselect_b32 s15, s28, s15
	s_cselect_b32 s14, s40, s14
	s_xor_b64 s[14:15], s[14:15], s[4:5]
	s_sub_u32 s14, s14, s4
	s_subb_u32 s15, s15, s4
	s_cbranch_execnz .LBB4_193
.LBB4_192:                              ;   in Loop: Header=BB4_7 Depth=1
	v_cvt_f32_u32_e32 v6, s33
	s_sub_i32 s4, 0, s33
	v_rcp_iflag_f32_e32 v6, v6
	v_mul_f32_e32 v6, 0x4f7ffffe, v6
	v_cvt_u32_f32_e32 v6, v6
	v_readfirstlane_b32 s5, v6
	s_mul_i32 s4, s4, s5
	s_mul_hi_u32 s4, s5, s4
	s_add_i32 s5, s5, s4
	s_mul_hi_u32 s4, s36, s5
	s_mul_i32 s4, s4, s33
	s_sub_i32 s4, s36, s4
	s_sub_i32 s5, s4, s33
	s_cmp_ge_u32 s4, s33
	s_cselect_b32 s4, s5, s4
	s_sub_i32 s5, s4, s33
	s_cmp_ge_u32 s4, s33
	s_cselect_b32 s44, s5, s4
	s_mov_b64 s[14:15], s[44:45]
.LBB4_193:                              ;   in Loop: Header=BB4_7 Depth=1
	s_sub_u32 s36, s36, s14
	s_subb_u32 s37, s29, s15
	v_cmp_gt_i64_e32 vcc, s[36:37], v[0:1]
                                        ; implicit-def: $vgpr44
	s_and_saveexec_b64 s[28:29], vcc
	s_cbranch_execz .LBB4_202
; %bb.194:                              ;   in Loop: Header=BB4_7 Depth=1
	v_mov_b32_e32 v7, v1
	s_mov_b64 s[14:15], 0
	v_mov_b32_e32 v8, v0
	v_mov_b32_e32 v6, v0
                                        ; implicit-def: $sgpr38_sgpr39
	s_branch .LBB4_197
.LBB4_195:                              ;   in Loop: Header=BB4_197 Depth=2
	s_or_b64 exec, exec, s[40:41]
	s_waitcnt lgkmcnt(0)
	s_barrier
	ds_read_u16 v9, v3 offset:3072
	s_mov_b64 s[4:5], -1
	s_waitcnt lgkmcnt(0)
	s_barrier
	v_cmp_eq_u32_sdwa s[40:41], v9, v3 src0_sel:BYTE_0 src1_sel:DWORD
	s_and_b64 vcc, exec, s[40:41]
	s_mov_b64 s[40:41], -1
	s_cbranch_vccnz .LBB4_200
.LBB4_196:                              ;   in Loop: Header=BB4_197 Depth=2
	s_and_b64 s[4:5], exec, s[4:5]
	s_or_b64 s[14:15], s[4:5], s[14:15]
	s_andn2_b64 s[4:5], s[38:39], exec
	s_and_b64 s[38:39], s[40:41], exec
	s_or_b64 s[38:39], s[4:5], s[38:39]
	s_andn2_b64 exec, exec, s[14:15]
	s_cbranch_execz .LBB4_201
.LBB4_197:                              ;   Parent Loop BB4_7 Depth=1
                                        ; =>  This Inner Loop Header: Depth=2
	v_cmp_gt_u64_e32 vcc, s[88:89], v[6:7]
	s_and_saveexec_b64 s[40:41], vcc
	s_cbranch_execz .LBB4_195
; %bb.198:                              ;   in Loop: Header=BB4_197 Depth=2
	ds_read_u8 v9, v8
	s_waitcnt lgkmcnt(0)
	v_and_b32_e32 v10, v9, v43
	v_cmp_eq_u32_sdwa s[4:5], v10, v40 src0_sel:BYTE_0 src1_sel:DWORD
	s_and_b64 exec, exec, s[4:5]
	s_cbranch_execz .LBB4_195
; %bb.199:                              ;   in Loop: Header=BB4_197 Depth=2
	v_lshlrev_b16_e32 v9, 8, v9
	v_or_b32_e32 v9, 1, v9
	ds_write_b16 v3, v9 offset:3072
	s_branch .LBB4_195
.LBB4_200:                              ;   in Loop: Header=BB4_197 Depth=2
	v_add_co_u32_e32 v6, vcc, s33, v6
	v_addc_co_u32_e32 v7, vcc, 0, v7, vcc
	v_cmp_le_i64_e32 vcc, s[36:37], v[6:7]
	v_add_u32_e32 v8, s33, v8
	s_mov_b64 s[40:41], 0
	s_orn2_b64 s[4:5], vcc, exec
	s_branch .LBB4_196
.LBB4_201:                              ;   in Loop: Header=BB4_7 Depth=1
	s_or_b64 exec, exec, s[14:15]
	s_andn2_b64 s[4:5], s[90:91], exec
	s_and_b64 s[14:15], s[38:39], exec
	v_lshrrev_b32_sdwa v44, v42, v9 dst_sel:DWORD dst_unused:UNUSED_PAD src0_sel:DWORD src1_sel:WORD_0
	s_or_b64 s[90:91], s[4:5], s[14:15]
.LBB4_202:                              ;   in Loop: Header=BB4_7 Depth=1
	s_or_b64 exec, exec, s[28:29]
	s_mov_b64 s[80:81], 0
	s_mov_b64 s[82:83], -1
.LBB4_203:                              ;   in Loop: Header=BB4_7 Depth=1
	s_orn2_b64 s[14:15], s[90:91], exec
.LBB4_204:                              ;   in Loop: Header=BB4_7 Depth=1
	s_or_b64 exec, exec, s[84:85]
	s_mov_b64 s[28:29], 0
	s_and_saveexec_b64 s[84:85], s[14:15]
	s_cbranch_execz .LBB4_262
; %bb.205:                              ;   in Loop: Header=BB4_7 Depth=1
	v_mov_b32_e32 v6, 1
	s_xor_b64 s[4:5], s[86:87], -1
	v_mov_b32_e32 v2, 1
	v_mov_b32_e32 v7, 0
	s_mov_b64 s[36:37], 0
	s_and_saveexec_b64 s[28:29], s[4:5]
	s_cbranch_execz .LBB4_214
; %bb.206:                              ;   in Loop: Header=BB4_7 Depth=1
	v_cmp_ge_i64_e32 vcc, s[26:27], v[4:5]
	s_and_saveexec_b64 s[4:5], vcc
	s_xor_b64 s[14:15], exec, s[4:5]
	s_cbranch_execz .LBB4_211
; %bb.207:                              ;   in Loop: Header=BB4_7 Depth=1
	ds_read_b64 v[6:7], v3 offset:5120
	v_and_b32_e32 v2, s54, v40
	v_lshl_or_b32 v40, 2, s12, v2
	v_or_b32_e32 v43, s93, v43
	s_waitcnt lgkmcnt(0)
	v_cmp_ne_u64_e32 vcc, 0, v[6:7]
	s_cbranch_vccnz .LBB4_211
; %bb.208:                              ;   in Loop: Header=BB4_7 Depth=1
	s_mov_b64 s[4:5], exec
	v_readlane_b32 s36, v62, 8
	v_readlane_b32 s37, v62, 9
	s_and_b64 s[36:37], s[4:5], s[36:37]
	s_mov_b64 exec, s[36:37]
; %bb.209:                              ;   in Loop: Header=BB4_7 Depth=1
	v_mov_b32_e32 v6, s26
	v_mov_b32_e32 v7, s27
	ds_write_b64 v3, v[6:7] offset:5128
; %bb.210:                              ;   in Loop: Header=BB4_7 Depth=1
	s_or_b64 exec, exec, s[4:5]
	s_waitcnt lgkmcnt(0)
	s_barrier
.LBB4_211:                              ;   in Loop: Header=BB4_7 Depth=1
	s_or_saveexec_b64 s[14:15], s[14:15]
	s_mov_b64 s[36:37], 0
	v_mov_b32_e32 v2, 8
	s_xor_b64 exec, exec, s[14:15]
; %bb.212:                              ;   in Loop: Header=BB4_7 Depth=1
	v_subrev_co_u32_e32 v4, vcc, s26, v4
	v_mov_b32_e32 v2, s27
	v_subb_co_u32_e32 v5, vcc, v5, v2, vcc
	v_mov_b32_e32 v2, 0
	s_mov_b64 s[36:37], exec
; %bb.213:                              ;   in Loop: Header=BB4_7 Depth=1
	s_or_b64 exec, exec, s[14:15]
	v_mov_b32_e32 v7, v5
	s_and_b64 s[36:37], s[36:37], exec
	v_mov_b32_e32 v6, v4
.LBB4_214:                              ;   in Loop: Header=BB4_7 Depth=1
	s_or_b64 exec, exec, s[28:29]
	s_mov_b64 s[14:15], -1
                                        ; implicit-def: $sgpr94_sgpr95
                                        ; implicit-def: $sgpr86_sgpr87
	s_and_saveexec_b64 s[26:27], s[36:37]
	s_cbranch_execz .LBB4_261
; %bb.215:                              ;   in Loop: Header=BB4_7 Depth=1
	s_cmp_eq_u64 s[16:17], 1
	v_cmp_eq_u64_e32 vcc, 1, v[6:7]
	s_cselect_b64 s[4:5], -1, 0
	s_and_b64 s[54:55], s[4:5], vcc
                                        ; implicit-def: $sgpr94_sgpr95
                                        ; implicit-def: $sgpr86_sgpr87
	s_and_saveexec_b64 s[88:89], s[54:55]
	s_cbranch_execz .LBB4_249
; %bb.216:                              ;   in Loop: Header=BB4_7 Depth=1
	ds_read_b64 v[4:5], v3 offset:5120
	s_waitcnt lgkmcnt(0)
	s_barrier
	v_readfirstlane_b32 s90, v4
	v_readfirstlane_b32 s91, v5
	s_mov_b64 s[4:5], exec
	v_readlane_b32 s14, v62, 18
	v_readlane_b32 s15, v62, 19
	s_and_b64 s[14:15], s[4:5], s[14:15]
	s_mov_b64 exec, s[14:15]
; %bb.217:                              ;   in Loop: Header=BB4_7 Depth=1
	ds_write_b8 v0, v3 offset:3072
; %bb.218:                              ;   in Loop: Header=BB4_7 Depth=1
	s_or_b64 exec, exec, s[4:5]
	v_cmp_gt_i64_e64 s[4:5], s[90:91], 0
	v_or_b32_e32 v40, s93, v40
	v_or_b32_e32 v43, s93, v43
	s_mov_b64 s[86:87], -1
	s_mov_b64 s[94:95], 0
	s_and_b64 vcc, exec, s[4:5]
	s_mov_b64 s[28:29], 0
	s_mov_b64 s[36:37], -1
	s_waitcnt lgkmcnt(0)
	s_barrier
                                        ; implicit-def: $vgpr44
	s_cbranch_vccnz .LBB4_234
; %bb.219:                              ;   in Loop: Header=BB4_7 Depth=1
	s_mov_b32 s50, s45
	v_writelane_b32 v62, s54, 31
	s_cmp_lg_u64 s[50:51], 0
	v_writelane_b32 v62, s55, 32
	s_cbranch_scc0 .LBB4_268
; %bb.220:                              ;   in Loop: Header=BB4_7 Depth=1
	s_add_u32 s4, s33, 0
	s_addc_u32 s5, 0, 0
	s_xor_b64 s[28:29], s[4:5], 0
	v_cvt_f32_u32_e32 v4, s28
	v_cvt_f32_u32_e32 v5, s29
	s_sub_u32 s14, 0, s28
	s_subb_u32 s15, 0, s29
	v_mac_f32_e32 v4, 0x4f800000, v5
	v_rcp_f32_e32 v4, v4
	v_mul_f32_e32 v4, 0x5f7ffffc, v4
	v_mul_f32_e32 v5, 0x2f800000, v4
	v_trunc_f32_e32 v5, v5
	v_mac_f32_e32 v4, 0xcf800000, v5
	v_cvt_u32_f32_e32 v5, v5
	v_cvt_u32_f32_e32 v4, v4
	v_readfirstlane_b32 s36, v5
	v_readfirstlane_b32 s4, v4
	s_mul_i32 s5, s14, s36
	s_mul_hi_u32 s38, s14, s4
	s_mul_i32 s37, s15, s4
	s_add_i32 s5, s38, s5
	s_mul_i32 s39, s14, s4
	s_add_i32 s5, s5, s37
	s_mul_i32 s38, s4, s5
	s_mul_hi_u32 s40, s4, s39
	s_mul_hi_u32 s37, s4, s5
	s_add_u32 s38, s40, s38
	s_addc_u32 s37, 0, s37
	s_mul_hi_u32 s41, s36, s39
	s_mul_i32 s39, s36, s39
	s_add_u32 s38, s38, s39
	s_mul_hi_u32 s40, s36, s5
	s_addc_u32 s37, s37, s41
	s_addc_u32 s38, s40, 0
	s_mul_i32 s5, s36, s5
	s_add_u32 s5, s37, s5
	s_addc_u32 s37, 0, s38
	s_add_u32 s38, s4, s5
	s_cselect_b64 s[4:5], -1, 0
	s_cmp_lg_u64 s[4:5], 0
	s_addc_u32 s36, s36, s37
	s_mul_i32 s4, s14, s36
	s_mul_hi_u32 s5, s14, s38
	s_add_i32 s4, s5, s4
	s_mul_i32 s15, s15, s38
	s_add_i32 s4, s4, s15
	s_mul_i32 s14, s14, s38
	s_mul_hi_u32 s15, s36, s14
	s_mul_i32 s37, s36, s14
	s_mul_i32 s40, s38, s4
	s_mul_hi_u32 s14, s38, s14
	s_mul_hi_u32 s39, s38, s4
	s_add_u32 s14, s14, s40
	s_addc_u32 s39, 0, s39
	s_add_u32 s14, s14, s37
	s_mul_hi_u32 s5, s36, s4
	s_addc_u32 s14, s39, s15
	s_addc_u32 s5, s5, 0
	s_mul_i32 s4, s36, s4
	s_add_u32 s4, s14, s4
	s_addc_u32 s14, 0, s5
	s_add_u32 s37, s38, s4
	s_cselect_b64 s[4:5], -1, 0
	s_cmp_lg_u64 s[4:5], 0
	s_addc_u32 s36, s36, s14
	s_ashr_i32 s4, s51, 31
	s_add_u32 s14, s9, s4
	s_mov_b32 s5, s4
	s_addc_u32 s15, s51, s4
	s_xor_b64 s[14:15], s[14:15], s[4:5]
	s_mul_i32 s39, s14, s36
	s_mul_hi_u32 s40, s14, s37
	s_mul_hi_u32 s38, s14, s36
	s_add_u32 s39, s40, s39
	s_addc_u32 s38, 0, s38
	s_mul_hi_u32 s41, s15, s37
	s_mul_i32 s37, s15, s37
	s_add_u32 s37, s39, s37
	s_mul_hi_u32 s40, s15, s36
	s_addc_u32 s37, s38, s41
	s_addc_u32 s38, s40, 0
	s_mul_i32 s36, s15, s36
	s_add_u32 s36, s37, s36
	s_addc_u32 s37, 0, s38
	s_mul_i32 s37, s28, s37
	s_mul_hi_u32 s38, s28, s36
	s_add_i32 s37, s38, s37
	s_mul_i32 s38, s29, s36
	s_add_i32 s40, s37, s38
	s_sub_i32 s38, s15, s40
	s_mul_i32 s36, s28, s36
	s_sub_u32 s14, s14, s36
	s_cselect_b64 s[36:37], -1, 0
	s_cmp_lg_u64 s[36:37], 0
	s_subb_u32 s41, s38, s29
	s_sub_u32 s44, s14, s28
	s_cselect_b64 s[38:39], -1, 0
	s_cmp_lg_u64 s[38:39], 0
	s_subb_u32 s50, s41, 0
	s_cmp_ge_u32 s50, s29
	s_cselect_b32 s54, -1, 0
	s_cmp_ge_u32 s44, s28
	s_cselect_b32 s55, -1, 0
	s_cmp_eq_u32 s50, s29
	s_cselect_b32 s54, s55, s54
	s_cmp_lg_u64 s[38:39], 0
	s_subb_u32 s41, s41, s29
	s_sub_u32 s55, s44, s28
	s_cselect_b64 s[38:39], -1, 0
	s_cmp_lg_u64 s[38:39], 0
	s_subb_u32 s38, s41, 0
	s_cmp_lg_u32 s54, 0
	s_cselect_b32 s39, s55, s44
	s_cselect_b32 s38, s38, s50
	s_cmp_lg_u64 s[36:37], 0
	s_subb_u32 s15, s15, s40
	s_cmp_ge_u32 s15, s29
	s_cselect_b32 s36, -1, 0
	s_cmp_ge_u32 s14, s28
	s_cselect_b32 s28, -1, 0
	s_cmp_eq_u32 s15, s29
	s_cselect_b32 s28, s28, s36
	s_cmp_lg_u32 s28, 0
	s_cselect_b32 s15, s38, s15
	s_cselect_b32 s14, s39, s14
	s_xor_b64 s[14:15], s[14:15], s[4:5]
	s_sub_u32 s14, s14, s4
	s_subb_u32 s15, s15, s4
	s_cbranch_execnz .LBB4_222
.LBB4_221:                              ;   in Loop: Header=BB4_7 Depth=1
	v_cvt_f32_u32_e32 v4, s33
	s_sub_i32 s4, 0, s33
	v_rcp_iflag_f32_e32 v4, v4
	v_mul_f32_e32 v4, 0x4f7ffffe, v4
	v_cvt_u32_f32_e32 v4, v4
	v_readfirstlane_b32 s5, v4
	s_mul_i32 s4, s4, s5
	s_mul_hi_u32 s4, s5, s4
	s_add_i32 s5, s5, s4
	s_mul_hi_u32 s4, s9, s5
	s_mul_i32 s4, s4, s33
	s_sub_i32 s4, s9, s4
	s_sub_i32 s5, s4, s33
	s_cmp_ge_u32 s4, s33
	s_cselect_b32 s4, s5, s4
	s_sub_i32 s5, s4, s33
	s_cmp_ge_u32 s4, s33
	s_cselect_b32 s44, s5, s4
	s_mov_b64 s[14:15], s[44:45]
.LBB4_222:                              ;   in Loop: Header=BB4_7 Depth=1
	s_sub_u32 s40, s9, s14
	s_subb_u32 s41, s51, s15
	v_cmp_gt_i64_e32 vcc, s[40:41], v[0:1]
	s_mov_b64 s[36:37], 0
	s_mov_b64 s[28:29], 0
                                        ; implicit-def: $vgpr44
	s_and_saveexec_b64 s[38:39], vcc
	s_cbranch_execz .LBB4_233
; %bb.223:                              ;   in Loop: Header=BB4_7 Depth=1
	v_mov_b32_e32 v4, v12
	v_mov_b32_e32 v9, v1
	;; [unrolled: 1-line block ×4, first 2 shown]
                                        ; implicit-def: $sgpr14_sgpr15
	s_branch .LBB4_226
.LBB4_224:                              ;   in Loop: Header=BB4_226 Depth=2
	s_or_b64 exec, exec, s[4:5]
	s_waitcnt lgkmcnt(0)
	s_barrier
	ds_read_u16 v10, v3 offset:3072
	s_mov_b64 s[4:5], -1
	s_waitcnt lgkmcnt(0)
	s_barrier
	v_cmp_ne_u32_sdwa s[54:55], v10, v3 src0_sel:BYTE_0 src1_sel:DWORD
	s_and_b64 vcc, exec, s[54:55]
	s_mov_b64 s[54:55], -1
	s_cbranch_vccz .LBB4_229
.LBB4_225:                              ;   in Loop: Header=BB4_226 Depth=2
	s_and_b64 s[4:5], exec, s[4:5]
	s_or_b64 s[28:29], s[4:5], s[28:29]
	s_andn2_b64 s[4:5], s[14:15], exec
	s_and_b64 s[14:15], s[54:55], exec
	s_or_b64 s[14:15], s[4:5], s[14:15]
	s_andn2_b64 exec, exec, s[28:29]
	s_cbranch_execz .LBB4_232
.LBB4_226:                              ;   Parent Loop BB4_7 Depth=1
                                        ; =>  This Inner Loop Header: Depth=2
	v_cmp_gt_i64_e32 vcc, s[24:25], v[8:9]
	s_and_saveexec_b64 s[4:5], vcc
	s_cbranch_execz .LBB4_224
; %bb.227:                              ;   in Loop: Header=BB4_226 Depth=2
	global_load_ubyte v10, v[4:5], off
	s_waitcnt vmcnt(0)
	v_and_b32_e32 v11, v10, v43
	v_cmp_eq_u32_sdwa s[54:55], v11, v40 src0_sel:BYTE_0 src1_sel:DWORD
	s_and_b64 exec, exec, s[54:55]
	s_cbranch_execz .LBB4_224
; %bb.228:                              ;   in Loop: Header=BB4_226 Depth=2
	v_lshlrev_b16_e32 v10, 8, v10
	v_or_b32_e32 v10, 1, v10
	ds_write_b16 v3, v10 offset:3072
	s_branch .LBB4_224
.LBB4_229:                              ;   in Loop: Header=BB4_226 Depth=2
	v_add_co_u32_e32 v8, vcc, s33, v8
	v_addc_co_u32_e32 v9, vcc, 0, v9, vcc
	v_mov_b32_e32 v11, s35
	v_add_co_u32_e32 v4, vcc, s56, v4
	v_addc_co_u32_e32 v5, vcc, v5, v11, vcc
	v_cmp_le_i64_e32 vcc, s[40:41], v[8:9]
	s_mov_b64 s[54:55], 0
	s_orn2_b64 s[4:5], vcc, exec
	s_branch .LBB4_225
.LBB4_230:                              ;   in Loop: Header=BB4_7 Depth=1
                                        ; implicit-def: $sgpr14_sgpr15
	s_branch .LBB4_176
.LBB4_231:                              ;   in Loop: Header=BB4_7 Depth=1
                                        ; implicit-def: $sgpr14_sgpr15
	s_branch .LBB4_192
.LBB4_232:                              ;   in Loop: Header=BB4_7 Depth=1
	s_or_b64 exec, exec, s[28:29]
	v_lshrrev_b32_sdwa v44, v42, v10 dst_sel:DWORD dst_unused:UNUSED_PAD src0_sel:DWORD src1_sel:WORD_0
	s_and_b64 s[28:29], s[14:15], exec
.LBB4_233:                              ;   in Loop: Header=BB4_7 Depth=1
	s_or_b64 exec, exec, s[38:39]
	v_readlane_b32 s54, v62, 31
	v_readlane_b32 s55, v62, 32
.LBB4_234:                              ;   in Loop: Header=BB4_7 Depth=1
	s_and_b64 vcc, exec, s[36:37]
	s_cbranch_vccz .LBB4_248
; %bb.235:                              ;   in Loop: Header=BB4_7 Depth=1
	v_readlane_b32 s4, v62, 24
	s_add_u32 s38, s90, s4
	v_readlane_b32 s4, v62, 25
	s_addc_u32 s37, s91, s4
	s_mov_b32 s36, s45
	s_cmp_lg_u64 s[36:37], 0
	s_cbranch_scc0 .LBB4_269
; %bb.236:                              ;   in Loop: Header=BB4_7 Depth=1
	s_add_u32 s4, s33, 0
	s_addc_u32 s5, 0, 0
	s_xor_b64 s[94:95], s[4:5], 0
	v_cvt_f32_u32_e32 v4, s94
	v_cvt_f32_u32_e32 v5, s95
	s_sub_u32 s14, 0, s94
	s_subb_u32 s15, 0, s95
	s_mov_b64 vcc, s[54:55]
	v_mac_f32_e32 v4, 0x4f800000, v5
	v_rcp_f32_e32 v4, v4
	v_mul_f32_e32 v4, 0x5f7ffffc, v4
	v_mul_f32_e32 v5, 0x2f800000, v4
	v_trunc_f32_e32 v5, v5
	v_mac_f32_e32 v4, 0xcf800000, v5
	v_cvt_u32_f32_e32 v5, v5
	v_cvt_u32_f32_e32 v4, v4
	v_readfirstlane_b32 s36, v5
	v_readfirstlane_b32 s4, v4
	s_mul_i32 s5, s14, s36
	s_mul_hi_u32 s40, s14, s4
	s_mul_i32 s39, s15, s4
	s_add_i32 s5, s40, s5
	s_mul_i32 s41, s14, s4
	s_add_i32 s5, s5, s39
	s_mul_i32 s40, s4, s5
	s_mul_hi_u32 s44, s4, s41
	s_mul_hi_u32 s39, s4, s5
	s_add_u32 s40, s44, s40
	s_addc_u32 s39, 0, s39
	s_mul_hi_u32 s50, s36, s41
	s_mul_i32 s41, s36, s41
	s_add_u32 s40, s40, s41
	s_mul_hi_u32 s44, s36, s5
	s_addc_u32 s39, s39, s50
	s_addc_u32 s40, s44, 0
	s_mul_i32 s5, s36, s5
	s_add_u32 s5, s39, s5
	s_addc_u32 s39, 0, s40
	s_add_u32 s40, s4, s5
	s_cselect_b64 s[4:5], -1, 0
	s_cmp_lg_u64 s[4:5], 0
	s_addc_u32 s36, s36, s39
	s_mul_i32 s4, s14, s36
	s_mul_hi_u32 s5, s14, s40
	s_add_i32 s4, s5, s4
	s_mul_i32 s15, s15, s40
	s_add_i32 s4, s4, s15
	s_mul_i32 s14, s14, s40
	s_mul_hi_u32 s15, s36, s14
	s_mul_i32 s39, s36, s14
	s_mul_i32 s44, s40, s4
	s_mul_hi_u32 s14, s40, s14
	s_mul_hi_u32 s41, s40, s4
	s_add_u32 s14, s14, s44
	s_addc_u32 s41, 0, s41
	s_add_u32 s14, s14, s39
	s_mul_hi_u32 s5, s36, s4
	s_addc_u32 s14, s41, s15
	s_addc_u32 s5, s5, 0
	s_mul_i32 s4, s36, s4
	s_add_u32 s4, s14, s4
	s_addc_u32 s14, 0, s5
	s_add_u32 s39, s40, s4
	s_cselect_b64 s[4:5], -1, 0
	s_cmp_lg_u64 s[4:5], 0
	s_addc_u32 s36, s36, s14
	s_ashr_i32 s4, s37, 31
	s_add_u32 s14, s38, s4
	s_mov_b32 s5, s4
	s_addc_u32 s15, s37, s4
	s_xor_b64 s[14:15], s[14:15], s[4:5]
	s_mul_i32 s41, s14, s36
	s_mul_hi_u32 s44, s14, s39
	s_mul_hi_u32 s40, s14, s36
	s_add_u32 s41, s44, s41
	s_addc_u32 s40, 0, s40
	s_mul_hi_u32 s50, s15, s39
	s_mul_i32 s39, s15, s39
	s_add_u32 s39, s41, s39
	s_mul_hi_u32 s44, s15, s36
	s_addc_u32 s39, s40, s50
	s_addc_u32 s40, s44, 0
	s_mul_i32 s36, s15, s36
	s_add_u32 s36, s39, s36
	s_addc_u32 s39, 0, s40
	s_mul_i32 s39, s94, s39
	s_mul_hi_u32 s40, s94, s36
	s_add_i32 s39, s40, s39
	s_mul_i32 s40, s95, s36
	s_add_i32 s39, s39, s40
	s_sub_i32 s44, s15, s39
	s_mul_i32 s36, s94, s36
	s_sub_u32 s14, s14, s36
	s_cselect_b64 s[40:41], -1, 0
	s_cmp_lg_u64 s[40:41], 0
	s_subb_u32 s36, s44, s95
	s_sub_u32 s44, s14, s94
	s_cselect_b64 s[54:55], -1, 0
	s_cmp_lg_u64 s[54:55], 0
	s_subb_u32 s50, s36, 0
	s_cmp_ge_u32 s50, s95
	s_cselect_b32 s86, -1, 0
	s_cmp_ge_u32 s44, s94
	s_cselect_b32 s87, -1, 0
	s_cmp_eq_u32 s50, s95
	s_cselect_b32 s86, s87, s86
	s_cmp_lg_u64 s[54:55], 0
	s_subb_u32 s36, s36, s95
	s_sub_u32 s87, s44, s94
	s_cselect_b64 s[54:55], -1, 0
	s_cmp_lg_u64 s[54:55], 0
	s_subb_u32 s36, s36, 0
	s_cmp_lg_u32 s86, 0
	s_cselect_b32 s44, s87, s44
	s_cselect_b32 s36, s36, s50
	s_cmp_lg_u64 s[40:41], 0
	s_subb_u32 s15, s15, s39
	s_cmp_ge_u32 s15, s95
	s_cselect_b32 s39, -1, 0
	s_cmp_ge_u32 s14, s94
	s_cselect_b32 s40, -1, 0
	s_cmp_eq_u32 s15, s95
	s_cselect_b32 s39, s40, s39
	s_cmp_lg_u32 s39, 0
	s_cselect_b32 s15, s36, s15
	s_cselect_b32 s14, s44, s14
	s_xor_b64 s[14:15], s[14:15], s[4:5]
	s_sub_u32 s14, s14, s4
	s_mov_b64 s[54:55], vcc
	s_subb_u32 s15, s15, s4
	s_cbranch_execnz .LBB4_238
.LBB4_237:                              ;   in Loop: Header=BB4_7 Depth=1
	v_cvt_f32_u32_e32 v4, s33
	s_sub_i32 s4, 0, s33
	v_rcp_iflag_f32_e32 v4, v4
	v_mul_f32_e32 v4, 0x4f7ffffe, v4
	v_cvt_u32_f32_e32 v4, v4
	v_readfirstlane_b32 s5, v4
	s_mul_i32 s4, s4, s5
	s_mul_hi_u32 s4, s5, s4
	s_add_i32 s5, s5, s4
	s_mul_hi_u32 s4, s38, s5
	s_mul_i32 s4, s4, s33
	s_sub_i32 s4, s38, s4
	s_sub_i32 s5, s4, s33
	s_cmp_ge_u32 s4, s33
	s_cselect_b32 s4, s5, s4
	s_sub_i32 s5, s4, s33
	s_cmp_ge_u32 s4, s33
	s_cselect_b32 s44, s5, s4
	s_mov_b64 s[14:15], s[44:45]
.LBB4_238:                              ;   in Loop: Header=BB4_7 Depth=1
	s_sub_u32 s38, s38, s14
	s_subb_u32 s39, s37, s15
	v_cmp_gt_i64_e32 vcc, s[38:39], v[0:1]
                                        ; implicit-def: $vgpr44
	s_and_saveexec_b64 s[36:37], vcc
	s_cbranch_execz .LBB4_247
; %bb.239:                              ;   in Loop: Header=BB4_7 Depth=1
	v_mov_b32_e32 v5, v1
	s_mov_b64 s[86:87], s[54:55]
	s_mov_b64 s[14:15], 0
	v_mov_b32_e32 v8, v0
	v_mov_b32_e32 v4, v0
                                        ; implicit-def: $sgpr40_sgpr41
	s_branch .LBB4_242
.LBB4_240:                              ;   in Loop: Header=BB4_242 Depth=2
	s_or_b64 exec, exec, s[4:5]
	s_waitcnt lgkmcnt(0)
	s_barrier
	ds_read_u16 v9, v3 offset:3072
	s_mov_b64 s[4:5], -1
	s_waitcnt lgkmcnt(0)
	s_barrier
	v_cmp_eq_u32_sdwa s[54:55], v9, v3 src0_sel:BYTE_0 src1_sel:DWORD
	s_and_b64 vcc, exec, s[54:55]
	s_mov_b64 s[54:55], -1
	s_cbranch_vccnz .LBB4_245
.LBB4_241:                              ;   in Loop: Header=BB4_242 Depth=2
	s_and_b64 s[4:5], exec, s[4:5]
	s_or_b64 s[14:15], s[4:5], s[14:15]
	s_andn2_b64 s[4:5], s[40:41], exec
	s_and_b64 s[40:41], s[54:55], exec
	s_or_b64 s[40:41], s[4:5], s[40:41]
	s_andn2_b64 exec, exec, s[14:15]
	s_cbranch_execz .LBB4_246
.LBB4_242:                              ;   Parent Loop BB4_7 Depth=1
                                        ; =>  This Inner Loop Header: Depth=2
	v_cmp_gt_u64_e32 vcc, s[90:91], v[4:5]
	s_and_saveexec_b64 s[4:5], vcc
	s_cbranch_execz .LBB4_240
; %bb.243:                              ;   in Loop: Header=BB4_242 Depth=2
	ds_read_u8 v9, v8
	s_waitcnt lgkmcnt(0)
	v_and_b32_e32 v10, v9, v43
	v_cmp_eq_u32_sdwa s[54:55], v10, v40 src0_sel:BYTE_0 src1_sel:DWORD
	s_and_b64 exec, exec, s[54:55]
	s_cbranch_execz .LBB4_240
; %bb.244:                              ;   in Loop: Header=BB4_242 Depth=2
	v_lshlrev_b16_e32 v9, 8, v9
	v_or_b32_e32 v9, 1, v9
	ds_write_b16 v3, v9 offset:3072
	s_branch .LBB4_240
.LBB4_245:                              ;   in Loop: Header=BB4_242 Depth=2
	v_add_co_u32_e32 v4, vcc, s33, v4
	v_addc_co_u32_e32 v5, vcc, 0, v5, vcc
	v_cmp_le_i64_e32 vcc, s[38:39], v[4:5]
	v_add_u32_e32 v8, s33, v8
	s_mov_b64 s[54:55], 0
	s_orn2_b64 s[4:5], vcc, exec
	s_branch .LBB4_241
.LBB4_246:                              ;   in Loop: Header=BB4_7 Depth=1
	s_or_b64 exec, exec, s[14:15]
	s_andn2_b64 s[4:5], s[28:29], exec
	s_and_b64 s[14:15], s[40:41], exec
	v_lshrrev_b32_sdwa v44, v42, v9 dst_sel:DWORD dst_unused:UNUSED_PAD src0_sel:DWORD src1_sel:WORD_0
	s_or_b64 s[28:29], s[4:5], s[14:15]
	s_mov_b64 s[54:55], s[86:87]
.LBB4_247:                              ;   in Loop: Header=BB4_7 Depth=1
	s_or_b64 exec, exec, s[36:37]
	s_mov_b64 s[86:87], 0
	s_mov_b64 s[94:95], -1
.LBB4_248:                              ;   in Loop: Header=BB4_7 Depth=1
	s_orn2_b64 s[14:15], s[28:29], exec
.LBB4_249:                              ;   in Loop: Header=BB4_7 Depth=1
	s_or_b64 exec, exec, s[88:89]
	s_mov_b64 s[36:37], 0
	s_and_saveexec_b64 s[28:29], s[14:15]
	s_cbranch_execz .LBB4_260
; %bb.250:                              ;   in Loop: Header=BB4_7 Depth=1
	v_mov_b32_e32 v4, 1
	s_xor_b64 s[4:5], s[54:55], -1
	v_mov_b32_e32 v5, 0
	v_mov_b32_e32 v2, 1
	s_and_saveexec_b64 s[36:37], s[4:5]
	s_cbranch_execz .LBB4_259
; %bb.251:                              ;   in Loop: Header=BB4_7 Depth=1
	v_cmp_ge_i64_e32 vcc, s[16:17], v[6:7]
	s_and_saveexec_b64 s[4:5], vcc
	s_xor_b64 s[14:15], exec, s[4:5]
	s_cbranch_execz .LBB4_256
; %bb.252:                              ;   in Loop: Header=BB4_7 Depth=1
	ds_read_b64 v[4:5], v3 offset:5120
	v_or_b32_e32 v40, s93, v40
	v_or_b32_e32 v43, s93, v43
	s_waitcnt lgkmcnt(0)
	v_cmp_ne_u64_e32 vcc, 0, v[4:5]
	s_cbranch_vccnz .LBB4_256
; %bb.253:                              ;   in Loop: Header=BB4_7 Depth=1
	s_mov_b64 s[4:5], exec
	v_readlane_b32 s38, v62, 8
	v_readlane_b32 s39, v62, 9
	s_and_b64 s[38:39], s[4:5], s[38:39]
	s_mov_b64 exec, s[38:39]
; %bb.254:                              ;   in Loop: Header=BB4_7 Depth=1
	v_mov_b32_e32 v4, s16
	v_mov_b32_e32 v5, s17
	ds_write_b64 v3, v[4:5] offset:5128
; %bb.255:                              ;   in Loop: Header=BB4_7 Depth=1
	s_or_b64 exec, exec, s[4:5]
	s_waitcnt lgkmcnt(0)
	s_barrier
.LBB4_256:                              ;   in Loop: Header=BB4_7 Depth=1
	s_andn2_saveexec_b64 s[14:15], s[14:15]
; %bb.257:                              ;   in Loop: Header=BB4_7 Depth=1
	v_mov_b32_e32 v2, s17
	v_subrev_co_u32_e32 v6, vcc, s16, v6
	v_subb_co_u32_e32 v7, vcc, v7, v2, vcc
; %bb.258:                              ;   in Loop: Header=BB4_7 Depth=1
	s_or_b64 exec, exec, s[14:15]
	v_mov_b32_e32 v4, v6
	v_mov_b32_e32 v2, 8
	;; [unrolled: 1-line block ×3, first 2 shown]
.LBB4_259:                              ;   in Loop: Header=BB4_7 Depth=1
	s_or_b64 exec, exec, s[36:37]
	v_mov_b32_e32 v7, v5
	s_mov_b64 s[36:37], exec
	v_mov_b32_e32 v6, v4
.LBB4_260:                              ;   in Loop: Header=BB4_7 Depth=1
	s_or_b64 exec, exec, s[28:29]
	s_orn2_b64 s[14:15], s[36:37], exec
.LBB4_261:                              ;   in Loop: Header=BB4_7 Depth=1
	s_or_b64 exec, exec, s[26:27]
	s_andn2_b64 s[4:5], s[82:83], exec
	s_and_b64 s[16:17], s[94:95], exec
	s_or_b64 s[82:83], s[4:5], s[16:17]
	s_andn2_b64 s[4:5], s[80:81], exec
	s_and_b64 s[16:17], s[86:87], exec
	v_mov_b32_e32 v4, v6
	s_or_b64 s[80:81], s[4:5], s[16:17]
	s_and_b64 s[28:29], s[14:15], exec
	v_mov_b32_e32 v5, v7
.LBB4_262:                              ;   in Loop: Header=BB4_7 Depth=1
	s_or_b64 exec, exec, s[84:85]
	s_orn2_b64 s[14:15], s[28:29], exec
.LBB4_263:                              ;   in Loop: Header=BB4_7 Depth=1
	s_or_b64 exec, exec, s[78:79]
	s_andn2_b64 s[4:5], s[74:75], exec
	s_and_b64 s[16:17], s[82:83], exec
	s_or_b64 s[74:75], s[4:5], s[16:17]
	s_andn2_b64 s[4:5], s[6:7], exec
	s_and_b64 s[6:7], s[80:81], exec
	v_mov_b32_e32 v9, v5
	s_or_b64 s[6:7], s[4:5], s[6:7]
	s_and_b64 s[28:29], s[14:15], exec
	v_mov_b32_e32 v8, v4
.LBB4_264:                              ;   in Loop: Header=BB4_7 Depth=1
	s_or_b64 exec, exec, s[76:77]
	s_orn2_b64 s[14:15], s[28:29], exec
.LBB4_265:                              ;   in Loop: Header=BB4_7 Depth=1
	s_or_b64 exec, exec, s[22:23]
	s_mov_b64 s[16:17], 0
	s_and_saveexec_b64 s[4:5], s[14:15]
	s_xor_b64 s[14:15], exec, s[4:5]
	s_cbranch_execz .LBB4_5
; %bb.266:                              ;   in Loop: Header=BB4_7 Depth=1
	v_and_b32_e32 v2, 7, v2
	v_cmp_eq_u32_e32 vcc, 0, v2
	s_mov_b64 s[20:21], -1
	s_mov_b64 s[16:17], -1
	s_and_saveexec_b64 s[4:5], vcc
	s_cbranch_execz .LBB4_4
; %bb.267:                              ;   in Loop: Header=BB4_7 Depth=1
	s_xor_b32 s92, s92, 1
	s_add_i32 s22, s12, -2
	s_cmp_eq_u32 s12, 0
	s_cselect_b64 s[20:21], -1, 0
	s_xor_b64 s[16:17], exec, -1
	s_orn2_b64 s[20:21], s[20:21], exec
	s_mov_b32 s12, s22
	s_branch .LBB4_4
.LBB4_268:                              ;   in Loop: Header=BB4_7 Depth=1
                                        ; implicit-def: $sgpr14_sgpr15
	s_branch .LBB4_221
.LBB4_269:                              ;   in Loop: Header=BB4_7 Depth=1
                                        ; implicit-def: $sgpr14_sgpr15
	s_branch .LBB4_237
.LBB4_270:
	s_or_b64 exec, exec, s[60:61]
	s_xor_b64 s[6:7], s[66:67], -1
	s_xor_b64 s[0:1], s[62:63], -1
	s_xor_b64 s[10:11], s[64:65], -1
	s_mov_b64 s[2:3], 0
	s_and_saveexec_b64 s[4:5], s[0:1]
	s_xor_b64 s[4:5], exec, s[4:5]
	s_cbranch_execnz .LBB4_275
; %bb.271:
	s_andn2_saveexec_b64 s[0:1], s[4:5]
	s_cbranch_execnz .LBB4_297
.LBB4_272:
	s_or_b64 exec, exec, s[0:1]
	s_and_saveexec_b64 s[0:1], s[2:3]
.LBB4_273:
	; divergent unreachable
.LBB4_274:
	s_endpgm
.LBB4_275:
	s_and_saveexec_b64 s[0:1], s[6:7]
	s_xor_b64 s[6:7], exec, s[0:1]
	s_cbranch_execz .LBB4_295
; %bb.276:
	s_and_saveexec_b64 s[0:1], s[10:11]
	s_xor_b64 s[2:3], exec, s[0:1]
; %bb.277:
	v_mov_b32_e32 v44, v40
; %bb.278:
	s_or_b64 exec, exec, s[2:3]
	s_mov_b64 s[2:3], exec
	v_readlane_b32 s0, v62, 8
	v_readlane_b32 s1, v62, 9
	s_and_b64 s[0:1], s[2:3], s[0:1]
	v_readlane_b32 s26, v62, 10
	v_readlane_b32 s27, v62, 11
	s_mov_b64 exec, s[0:1]
; %bb.279:
	v_mov_b32_e32 v2, 0
	v_mov_b32_e32 v3, s24
	ds_write_b32 v2, v3 offset:5140
; %bb.280:
	s_or_b64 exec, exec, s[2:3]
	s_waitcnt lgkmcnt(0)
	s_barrier
	s_mov_b64 s[10:11], exec
	v_readlane_b32 s0, v62, 20
	v_readlane_b32 s1, v62, 21
	s_and_b64 s[0:1], s[10:11], s[0:1]
	s_mov_b64 exec, s[0:1]
	s_cbranch_execz .LBB4_292
; %bb.281:
	v_mov_b32_e32 v2, 0
	ds_read_b32 v4, v2 offset:5140
	s_mov_b64 s[8:9], 0
                                        ; implicit-def: $sgpr12_sgpr13
                                        ; implicit-def: $sgpr14_sgpr15
                                        ; implicit-def: $sgpr16_sgpr17
	s_waitcnt lgkmcnt(0)
	v_ashrrev_i32_e32 v5, 31, v4
	s_branch .LBB4_284
.LBB4_282:                              ;   in Loop: Header=BB4_284 Depth=1
	s_or_b64 exec, exec, s[22:23]
	s_andn2_b64 s[0:1], s[16:17], exec
	s_and_b64 s[16:17], s[20:21], exec
	s_or_b64 s[16:17], s[0:1], s[16:17]
	s_andn2_b64 s[0:1], s[14:15], exec
	s_and_b64 s[2:3], s[2:3], exec
	s_or_b64 s[14:15], s[0:1], s[2:3]
.LBB4_283:                              ;   in Loop: Header=BB4_284 Depth=1
	s_or_b64 exec, exec, s[18:19]
	s_and_b64 s[0:1], exec, s[14:15]
	s_or_b64 s[8:9], s[0:1], s[8:9]
	s_andn2_b64 s[0:1], s[12:13], exec
	s_and_b64 s[2:3], s[16:17], exec
	s_or_b64 s[12:13], s[0:1], s[2:3]
	s_andn2_b64 exec, exec, s[8:9]
	s_cbranch_execz .LBB4_287
.LBB4_284:                              ; =>This Inner Loop Header: Depth=1
	v_mov_b32_e32 v3, v1
	v_mov_b32_e32 v2, v0
	v_cmp_lt_i64_e32 vcc, v[2:3], v[4:5]
	s_or_b64 s[16:17], s[16:17], exec
	s_or_b64 s[14:15], s[14:15], exec
                                        ; implicit-def: $vgpr0_vgpr1
	s_and_saveexec_b64 s[18:19], vcc
	s_cbranch_execz .LBB4_283
; %bb.285:                              ;   in Loop: Header=BB4_284 Depth=1
	global_load_ubyte v0, v[12:13], off
	s_mov_b64 s[2:3], -1
	s_mov_b64 s[20:21], 0
	s_waitcnt vmcnt(0)
	v_cmp_ne_u16_sdwa s[0:1], v0, v44 src0_sel:DWORD src1_sel:BYTE_0
                                        ; implicit-def: $vgpr0_vgpr1
	s_and_saveexec_b64 s[22:23], s[0:1]
	s_cbranch_execz .LBB4_282
; %bb.286:                              ;   in Loop: Header=BB4_284 Depth=1
	v_add_co_u32_e32 v0, vcc, s33, v2
	v_addc_co_u32_e32 v1, vcc, 0, v3, vcc
	v_mov_b32_e32 v3, s35
	v_cmp_le_i64_e32 vcc, s[24:25], v[0:1]
	v_add_co_u32_e64 v12, s[2:3], s56, v12
	v_addc_co_u32_e64 v13, s[2:3], v13, v3, s[2:3]
	s_mov_b64 s[20:21], exec
	s_orn2_b64 s[2:3], vcc, exec
	s_branch .LBB4_282
.LBB4_287:
	s_or_b64 exec, exec, s[8:9]
	s_xor_b64 s[0:1], s[12:13], -1
	s_and_saveexec_b64 s[2:3], s[0:1]
	s_xor_b64 s[2:3], exec, s[2:3]
	s_cbranch_execz .LBB4_292
; %bb.288:
	s_mov_b64 s[2:3], exec
	s_brev_b32 s0, -2
.LBB4_289:                              ; =>This Inner Loop Header: Depth=1
	s_ff1_i32_b64 s1, s[2:3]
	v_readlane_b32 s12, v2, s1
	s_lshl_b64 s[8:9], 1, s1
	s_min_i32 s0, s0, s12
	s_andn2_b64 s[2:3], s[2:3], s[8:9]
	s_cmp_lg_u64 s[2:3], 0
	s_cbranch_scc1 .LBB4_289
; %bb.290:
	v_mbcnt_lo_u32_b32 v0, exec_lo, 0
	v_mbcnt_hi_u32_b32 v0, exec_hi, v0
	v_cmp_eq_u32_e32 vcc, 0, v0
	s_and_saveexec_b64 s[2:3], vcc
	s_xor_b64 s[2:3], exec, s[2:3]
; %bb.291:
	v_mov_b32_e32 v0, 0
	v_mov_b32_e32 v1, s0
	ds_min_i32 v0, v1 offset:5140
.LBB4_292:
	s_or_b64 exec, exec, s[10:11]
	s_waitcnt lgkmcnt(0)
	s_barrier
	s_mov_b64 s[2:3], exec
	v_readlane_b32 s0, v62, 8
	v_readlane_b32 s1, v62, 9
	s_and_b64 s[0:1], s[2:3], s[0:1]
	s_mov_b64 exec, s[0:1]
	s_cbranch_execz .LBB4_294
; %bb.293:
	v_readlane_b32 s8, v62, 4
	v_readlane_b32 s9, v62, 5
	;; [unrolled: 1-line block ×3, first 2 shown]
	s_mul_i32 s0, s9, s26
	s_mul_hi_u32 s1, s8, s26
	v_readlane_b32 s11, v62, 1
	v_mov_b32_e32 v2, 0
	s_add_i32 s9, s1, s0
	s_mul_i32 s0, s11, s26
	s_mul_hi_u32 s1, s10, s26
	ds_read_b32 v0, v2 offset:5140
	s_mul_i32 s8, s8, s26
	s_add_i32 s1, s1, s0
	s_mul_i32 s0, s10, s26
	v_readlane_b32 s10, v62, 6
	v_readlane_b32 s11, v62, 7
	s_add_u32 s8, s10, s8
	s_addc_u32 s9, s11, s9
	s_lshl_b64 s[0:1], s[0:1], 3
	v_readlane_b32 s10, v62, 2
	v_readlane_b32 s11, v62, 3
	s_add_u32 s0, s10, s0
	s_addc_u32 s1, s11, s1
	s_waitcnt lgkmcnt(0)
	v_ashrrev_i32_e32 v1, 31, v0
	global_store_dwordx2 v2, v[0:1], s[0:1]
	global_store_byte v2, v44, s[8:9]
.LBB4_294:
	s_or_b64 exec, exec, s[2:3]
.LBB4_295:
	s_or_saveexec_b64 s[0:1], s[6:7]
	s_mov_b64 s[2:3], 0
	s_xor_b64 exec, exec, s[0:1]
	s_cbranch_execnz .LBB4_298
.LBB4_296:
	s_or_b64 exec, exec, s[0:1]
	s_and_b64 s[2:3], s[2:3], exec
	s_andn2_saveexec_b64 s[0:1], s[4:5]
	s_cbranch_execz .LBB4_272
.LBB4_297:
	s_or_b64 s[2:3], s[2:3], exec
	s_trap 2
	s_or_b64 exec, exec, s[0:1]
	s_and_saveexec_b64 s[0:1], s[2:3]
	s_cbranch_execnz .LBB4_273
	s_branch .LBB4_274
.LBB4_298:
	s_mov_b64 s[2:3], exec
	s_trap 2
	s_branch .LBB4_296
	.section	.rodata,"a",@progbits
	.p2align	6, 0x0
	.amdhsa_kernel _ZN2at6native12_GLOBAL__N_114gatherKthValueIhlLi1EEEvNS_4cuda6detail10TensorInfoIKT_T0_EES8_S8_S8_S8_NS5_IS6_S8_EENS5_IlS8_EE
		.amdhsa_group_segment_fixed_size 5144
		.amdhsa_private_segment_fixed_size 0
		.amdhsa_kernarg_size 1536
		.amdhsa_user_sgpr_count 6
		.amdhsa_user_sgpr_private_segment_buffer 1
		.amdhsa_user_sgpr_dispatch_ptr 0
		.amdhsa_user_sgpr_queue_ptr 0
		.amdhsa_user_sgpr_kernarg_segment_ptr 1
		.amdhsa_user_sgpr_dispatch_id 0
		.amdhsa_user_sgpr_flat_scratch_init 0
		.amdhsa_user_sgpr_private_segment_size 0
		.amdhsa_uses_dynamic_stack 0
		.amdhsa_system_sgpr_private_segment_wavefront_offset 0
		.amdhsa_system_sgpr_workgroup_id_x 1
		.amdhsa_system_sgpr_workgroup_id_y 1
		.amdhsa_system_sgpr_workgroup_id_z 1
		.amdhsa_system_sgpr_workgroup_info 0
		.amdhsa_system_vgpr_workitem_id 0
		.amdhsa_next_free_vgpr 63
		.amdhsa_next_free_sgpr 96
		.amdhsa_reserve_vcc 1
		.amdhsa_reserve_flat_scratch 0
		.amdhsa_float_round_mode_32 0
		.amdhsa_float_round_mode_16_64 0
		.amdhsa_float_denorm_mode_32 3
		.amdhsa_float_denorm_mode_16_64 3
		.amdhsa_dx10_clamp 1
		.amdhsa_ieee_mode 1
		.amdhsa_fp16_overflow 0
		.amdhsa_exception_fp_ieee_invalid_op 0
		.amdhsa_exception_fp_denorm_src 0
		.amdhsa_exception_fp_ieee_div_zero 0
		.amdhsa_exception_fp_ieee_overflow 0
		.amdhsa_exception_fp_ieee_underflow 0
		.amdhsa_exception_fp_ieee_inexact 0
		.amdhsa_exception_int_div_zero 0
	.end_amdhsa_kernel
	.section	.text._ZN2at6native12_GLOBAL__N_114gatherKthValueIhlLi1EEEvNS_4cuda6detail10TensorInfoIKT_T0_EES8_S8_S8_S8_NS5_IS6_S8_EENS5_IlS8_EE,"axG",@progbits,_ZN2at6native12_GLOBAL__N_114gatherKthValueIhlLi1EEEvNS_4cuda6detail10TensorInfoIKT_T0_EES8_S8_S8_S8_NS5_IS6_S8_EENS5_IlS8_EE,comdat
.Lfunc_end4:
	.size	_ZN2at6native12_GLOBAL__N_114gatherKthValueIhlLi1EEEvNS_4cuda6detail10TensorInfoIKT_T0_EES8_S8_S8_S8_NS5_IS6_S8_EENS5_IlS8_EE, .Lfunc_end4-_ZN2at6native12_GLOBAL__N_114gatherKthValueIhlLi1EEEvNS_4cuda6detail10TensorInfoIKT_T0_EES8_S8_S8_S8_NS5_IS6_S8_EENS5_IlS8_EE
                                        ; -- End function
	.set _ZN2at6native12_GLOBAL__N_114gatherKthValueIhlLi1EEEvNS_4cuda6detail10TensorInfoIKT_T0_EES8_S8_S8_S8_NS5_IS6_S8_EENS5_IlS8_EE.num_vgpr, 63
	.set _ZN2at6native12_GLOBAL__N_114gatherKthValueIhlLi1EEEvNS_4cuda6detail10TensorInfoIKT_T0_EES8_S8_S8_S8_NS5_IS6_S8_EENS5_IlS8_EE.num_agpr, 0
	.set _ZN2at6native12_GLOBAL__N_114gatherKthValueIhlLi1EEEvNS_4cuda6detail10TensorInfoIKT_T0_EES8_S8_S8_S8_NS5_IS6_S8_EENS5_IlS8_EE.numbered_sgpr, 96
	.set _ZN2at6native12_GLOBAL__N_114gatherKthValueIhlLi1EEEvNS_4cuda6detail10TensorInfoIKT_T0_EES8_S8_S8_S8_NS5_IS6_S8_EENS5_IlS8_EE.num_named_barrier, 0
	.set _ZN2at6native12_GLOBAL__N_114gatherKthValueIhlLi1EEEvNS_4cuda6detail10TensorInfoIKT_T0_EES8_S8_S8_S8_NS5_IS6_S8_EENS5_IlS8_EE.private_seg_size, 0
	.set _ZN2at6native12_GLOBAL__N_114gatherKthValueIhlLi1EEEvNS_4cuda6detail10TensorInfoIKT_T0_EES8_S8_S8_S8_NS5_IS6_S8_EENS5_IlS8_EE.uses_vcc, 1
	.set _ZN2at6native12_GLOBAL__N_114gatherKthValueIhlLi1EEEvNS_4cuda6detail10TensorInfoIKT_T0_EES8_S8_S8_S8_NS5_IS6_S8_EENS5_IlS8_EE.uses_flat_scratch, 0
	.set _ZN2at6native12_GLOBAL__N_114gatherKthValueIhlLi1EEEvNS_4cuda6detail10TensorInfoIKT_T0_EES8_S8_S8_S8_NS5_IS6_S8_EENS5_IlS8_EE.has_dyn_sized_stack, 0
	.set _ZN2at6native12_GLOBAL__N_114gatherKthValueIhlLi1EEEvNS_4cuda6detail10TensorInfoIKT_T0_EES8_S8_S8_S8_NS5_IS6_S8_EENS5_IlS8_EE.has_recursion, 0
	.set _ZN2at6native12_GLOBAL__N_114gatherKthValueIhlLi1EEEvNS_4cuda6detail10TensorInfoIKT_T0_EES8_S8_S8_S8_NS5_IS6_S8_EENS5_IlS8_EE.has_indirect_call, 0
	.section	.AMDGPU.csdata,"",@progbits
; Kernel info:
; codeLenInByte = 16100
; TotalNumSgprs: 100
; NumVgprs: 63
; ScratchSize: 0
; MemoryBound: 0
; FloatMode: 240
; IeeeMode: 1
; LDSByteSize: 5144 bytes/workgroup (compile time only)
; SGPRBlocks: 12
; VGPRBlocks: 15
; NumSGPRsForWavesPerEU: 100
; NumVGPRsForWavesPerEU: 63
; Occupancy: 4
; WaveLimiterHint : 1
; COMPUTE_PGM_RSRC2:SCRATCH_EN: 0
; COMPUTE_PGM_RSRC2:USER_SGPR: 6
; COMPUTE_PGM_RSRC2:TRAP_HANDLER: 0
; COMPUTE_PGM_RSRC2:TGID_X_EN: 1
; COMPUTE_PGM_RSRC2:TGID_Y_EN: 1
; COMPUTE_PGM_RSRC2:TGID_Z_EN: 1
; COMPUTE_PGM_RSRC2:TIDIG_COMP_CNT: 0
	.section	.text._ZN2at6native12_GLOBAL__N_114gatherKthValueIhlLi2EEEvNS_4cuda6detail10TensorInfoIKT_T0_EES8_S8_S8_S8_NS5_IS6_S8_EENS5_IlS8_EE,"axG",@progbits,_ZN2at6native12_GLOBAL__N_114gatherKthValueIhlLi2EEEvNS_4cuda6detail10TensorInfoIKT_T0_EES8_S8_S8_S8_NS5_IS6_S8_EENS5_IlS8_EE,comdat
	.globl	_ZN2at6native12_GLOBAL__N_114gatherKthValueIhlLi2EEEvNS_4cuda6detail10TensorInfoIKT_T0_EES8_S8_S8_S8_NS5_IS6_S8_EENS5_IlS8_EE ; -- Begin function _ZN2at6native12_GLOBAL__N_114gatherKthValueIhlLi2EEEvNS_4cuda6detail10TensorInfoIKT_T0_EES8_S8_S8_S8_NS5_IS6_S8_EENS5_IlS8_EE
	.p2align	8
	.type	_ZN2at6native12_GLOBAL__N_114gatherKthValueIhlLi2EEEvNS_4cuda6detail10TensorInfoIKT_T0_EES8_S8_S8_S8_NS5_IS6_S8_EENS5_IlS8_EE,@function
_ZN2at6native12_GLOBAL__N_114gatherKthValueIhlLi2EEEvNS_4cuda6detail10TensorInfoIKT_T0_EES8_S8_S8_S8_NS5_IS6_S8_EENS5_IlS8_EE: ; @_ZN2at6native12_GLOBAL__N_114gatherKthValueIhlLi2EEEvNS_4cuda6detail10TensorInfoIKT_T0_EES8_S8_S8_S8_NS5_IS6_S8_EENS5_IlS8_EE
; %bb.0:
	s_load_dwordx2 s[14:15], s[4:5], 0x500
	s_load_dwordx8 s[24:31], s[4:5], 0x1a0
	s_add_u32 s12, s4, 0x500
	s_addc_u32 s13, s5, 0
	s_mov_b32 s65, 0
	s_waitcnt lgkmcnt(0)
	s_mul_i32 s0, s15, s8
	s_add_i32 s0, s0, s7
	s_mul_i32 s0, s0, s14
	s_add_i32 s64, s0, s6
	v_mov_b32_e32 v1, s64
	v_mov_b32_e32 v2, s65
	v_cmp_le_i64_e32 vcc, s[28:29], v[1:2]
	s_cbranch_vccnz .LBB5_283
; %bb.1:
	s_load_dwordx2 s[2:3], s[4:5], 0x10
	s_load_dwordx2 s[66:67], s[4:5], 0x1d0
	s_mov_b32 s0, s65
	s_waitcnt lgkmcnt(0)
	s_mov_b32 s1, s3
	s_cmp_lg_u64 s[0:1], 0
	s_cbranch_scc0 .LBB5_296
; %bb.2:
	s_ashr_i32 s0, s3, 31
	s_add_u32 s8, s2, s0
	s_mov_b32 s1, s0
	s_addc_u32 s9, s3, s0
	s_xor_b64 s[10:11], s[8:9], s[0:1]
	v_cvt_f32_u32_e32 v1, s10
	v_cvt_f32_u32_e32 v2, s11
	s_sub_u32 s7, 0, s10
	s_subb_u32 s15, 0, s11
	v_madmk_f32 v1, v2, 0x4f800000, v1
	v_rcp_f32_e32 v1, v1
	v_mul_f32_e32 v1, 0x5f7ffffc, v1
	v_mul_f32_e32 v2, 0x2f800000, v1
	v_trunc_f32_e32 v2, v2
	v_madmk_f32 v1, v2, 0xcf800000, v1
	v_cvt_u32_f32_e32 v2, v2
	v_cvt_u32_f32_e32 v1, v1
	v_readfirstlane_b32 s18, v2
	v_readfirstlane_b32 s16, v1
	s_mul_i32 s17, s7, s18
	s_mul_hi_u32 s20, s7, s16
	s_mul_i32 s19, s15, s16
	s_add_i32 s17, s20, s17
	s_add_i32 s17, s17, s19
	s_mul_i32 s21, s7, s16
	s_mul_i32 s20, s16, s17
	s_mul_hi_u32 s22, s16, s21
	s_mul_hi_u32 s19, s16, s17
	s_add_u32 s20, s22, s20
	s_addc_u32 s19, 0, s19
	s_mul_hi_u32 s23, s18, s21
	s_mul_i32 s21, s18, s21
	s_add_u32 s20, s20, s21
	s_mul_hi_u32 s22, s18, s17
	s_addc_u32 s19, s19, s23
	s_addc_u32 s20, s22, 0
	s_mul_i32 s17, s18, s17
	s_add_u32 s17, s19, s17
	s_addc_u32 s19, 0, s20
	s_add_u32 s20, s16, s17
	s_cselect_b64 s[16:17], -1, 0
	s_cmp_lg_u64 s[16:17], 0
	s_addc_u32 s18, s18, s19
	s_mul_i32 s16, s7, s18
	s_mul_hi_u32 s17, s7, s20
	s_add_i32 s16, s17, s16
	s_mul_i32 s15, s15, s20
	s_add_i32 s16, s16, s15
	s_mul_i32 s7, s7, s20
	s_mul_hi_u32 s17, s18, s7
	s_mul_i32 s19, s18, s7
	s_mul_i32 s22, s20, s16
	s_mul_hi_u32 s7, s20, s7
	s_mul_hi_u32 s21, s20, s16
	s_add_u32 s7, s7, s22
	s_addc_u32 s21, 0, s21
	s_add_u32 s7, s7, s19
	s_mul_hi_u32 s15, s18, s16
	s_addc_u32 s7, s21, s17
	s_addc_u32 s15, s15, 0
	s_mul_i32 s16, s18, s16
	s_add_u32 s7, s7, s16
	s_addc_u32 s15, 0, s15
	s_add_u32 s7, s20, s7
	s_cselect_b64 s[16:17], -1, 0
	s_cmp_lg_u64 s[16:17], 0
	s_addc_u32 s15, s18, s15
	s_add_u32 s16, s64, 0
	s_addc_u32 s17, 0, 0
	s_xor_b64 s[16:17], s[16:17], 0
	s_mul_i32 s19, s16, s15
	s_mul_hi_u32 s20, s16, s7
	s_mul_hi_u32 s18, s16, s15
	s_add_u32 s19, s20, s19
	s_addc_u32 s18, 0, s18
	s_mul_hi_u32 s21, s17, s7
	s_mul_i32 s7, s17, s7
	s_add_u32 s7, s19, s7
	s_mul_hi_u32 s20, s17, s15
	s_addc_u32 s7, s18, s21
	s_addc_u32 s18, s20, 0
	s_mul_i32 s15, s17, s15
	s_add_u32 s7, s7, s15
	s_addc_u32 s15, 0, s18
	s_mul_i32 s18, s10, s15
	s_mul_hi_u32 s19, s10, s7
	s_add_i32 s18, s19, s18
	s_mul_i32 s19, s11, s7
	s_add_i32 s22, s18, s19
	s_sub_i32 s20, s17, s22
	s_mul_i32 s18, s10, s7
	s_sub_u32 s16, s16, s18
	s_cselect_b64 s[18:19], -1, 0
	s_cmp_lg_u64 s[18:19], 0
	s_subb_u32 s23, s20, s11
	s_sub_u32 s28, s16, s10
	s_cselect_b64 s[20:21], -1, 0
	s_cmp_lg_u64 s[20:21], 0
	s_subb_u32 s20, s23, 0
	s_cmp_ge_u32 s20, s11
	s_cselect_b32 s21, -1, 0
	s_cmp_ge_u32 s28, s10
	s_cselect_b32 s23, -1, 0
	s_cmp_eq_u32 s20, s11
	s_cselect_b32 s20, s23, s21
	s_add_u32 s21, s7, 1
	s_addc_u32 s23, s15, 0
	s_add_u32 s28, s7, 2
	s_addc_u32 s29, s15, 0
	s_cmp_lg_u32 s20, 0
	s_cselect_b32 s20, s28, s21
	s_cselect_b32 s21, s29, s23
	s_cmp_lg_u64 s[18:19], 0
	s_subb_u32 s17, s17, s22
	s_cmp_ge_u32 s17, s11
	s_cselect_b32 s18, -1, 0
	s_cmp_ge_u32 s16, s10
	s_cselect_b32 s10, -1, 0
	s_cmp_eq_u32 s17, s11
	s_cselect_b32 s10, s10, s18
	s_cmp_lg_u32 s10, 0
	s_cselect_b32 s11, s21, s15
	s_cselect_b32 s10, s20, s7
	s_xor_b64 s[0:1], 0, s[0:1]
	s_xor_b64 s[10:11], s[10:11], s[0:1]
	s_sub_u32 s16, s10, s0
	s_subb_u32 s17, s11, s1
	s_cbranch_execnz .LBB5_4
.LBB5_3:
	v_cvt_f32_u32_e32 v1, s2
	s_sub_i32 s0, 0, s2
	s_mov_b32 s17, 0
	v_rcp_iflag_f32_e32 v1, v1
	v_mul_f32_e32 v1, 0x4f7ffffe, v1
	v_cvt_u32_f32_e32 v1, v1
	v_readfirstlane_b32 s1, v1
	s_mul_i32 s0, s0, s1
	s_mul_hi_u32 s0, s1, s0
	s_add_i32 s1, s1, s0
	s_mul_hi_u32 s0, s64, s1
	s_mul_i32 s7, s0, s2
	s_sub_i32 s7, s64, s7
	s_add_i32 s1, s0, 1
	s_sub_i32 s8, s7, s2
	s_cmp_ge_u32 s7, s2
	s_cselect_b32 s0, s1, s0
	s_cselect_b32 s7, s8, s7
	s_add_i32 s1, s0, 1
	s_cmp_ge_u32 s7, s2
	s_cselect_b32 s16, s1, s0
.LBB5_4:
	s_load_dwordx2 s[10:11], s[4:5], 0x370
	s_mov_b32 s0, 0
	s_mov_b32 s1, s67
                                        ; implicit-def: $vgpr57 : SGPR spill to VGPR lane
	s_cmp_lg_u64 s[0:1], 0
	s_waitcnt lgkmcnt(0)
	v_writelane_b32 v57, s10, 0
	v_writelane_b32 v57, s11, 1
	s_cbranch_scc0 .LBB5_297
; %bb.5:
	s_ashr_i32 s0, s67, 31
	s_add_u32 s8, s66, s0
	s_mov_b32 s1, s0
	s_addc_u32 s9, s67, s0
	s_xor_b64 s[10:11], s[8:9], s[0:1]
	v_cvt_f32_u32_e32 v1, s10
	v_cvt_f32_u32_e32 v2, s11
	s_sub_u32 s7, 0, s10
	s_subb_u32 s15, 0, s11
	v_madmk_f32 v1, v2, 0x4f800000, v1
	v_rcp_f32_e32 v1, v1
	v_mul_f32_e32 v1, 0x5f7ffffc, v1
	v_mul_f32_e32 v2, 0x2f800000, v1
	v_trunc_f32_e32 v2, v2
	v_madmk_f32 v1, v2, 0xcf800000, v1
	v_cvt_u32_f32_e32 v2, v2
	v_cvt_u32_f32_e32 v1, v1
	v_readfirstlane_b32 s20, v2
	v_readfirstlane_b32 s18, v1
	s_mul_i32 s19, s7, s20
	s_mul_hi_u32 s22, s7, s18
	s_mul_i32 s21, s15, s18
	s_add_i32 s19, s22, s19
	s_add_i32 s19, s19, s21
	s_mul_i32 s23, s7, s18
	s_mul_i32 s22, s18, s19
	s_mul_hi_u32 s28, s18, s23
	s_mul_hi_u32 s21, s18, s19
	s_add_u32 s22, s28, s22
	s_addc_u32 s21, 0, s21
	s_mul_hi_u32 s29, s20, s23
	s_mul_i32 s23, s20, s23
	s_add_u32 s22, s22, s23
	s_mul_hi_u32 s28, s20, s19
	s_addc_u32 s21, s21, s29
	s_addc_u32 s22, s28, 0
	s_mul_i32 s19, s20, s19
	s_add_u32 s19, s21, s19
	s_addc_u32 s21, 0, s22
	s_add_u32 s22, s18, s19
	s_cselect_b64 s[18:19], -1, 0
	s_cmp_lg_u64 s[18:19], 0
	s_addc_u32 s20, s20, s21
	s_mul_i32 s18, s7, s20
	s_mul_hi_u32 s19, s7, s22
	s_add_i32 s18, s19, s18
	s_mul_i32 s15, s15, s22
	s_add_i32 s18, s18, s15
	s_mul_i32 s7, s7, s22
	s_mul_hi_u32 s19, s20, s7
	s_mul_i32 s21, s20, s7
	s_mul_i32 s28, s22, s18
	s_mul_hi_u32 s7, s22, s7
	s_mul_hi_u32 s23, s22, s18
	s_add_u32 s7, s7, s28
	s_addc_u32 s23, 0, s23
	s_add_u32 s7, s7, s21
	s_mul_hi_u32 s15, s20, s18
	s_addc_u32 s7, s23, s19
	s_addc_u32 s15, s15, 0
	s_mul_i32 s18, s20, s18
	s_add_u32 s7, s7, s18
	s_addc_u32 s15, 0, s15
	s_add_u32 s7, s22, s7
	s_cselect_b64 s[18:19], -1, 0
	s_cmp_lg_u64 s[18:19], 0
	s_addc_u32 s15, s20, s15
	s_add_u32 s18, s64, 0
	s_addc_u32 s19, 0, 0
	s_xor_b64 s[18:19], s[18:19], 0
	s_mul_i32 s21, s18, s15
	s_mul_hi_u32 s22, s18, s7
	s_mul_hi_u32 s20, s18, s15
	s_add_u32 s21, s22, s21
	s_addc_u32 s20, 0, s20
	s_mul_hi_u32 s23, s19, s7
	s_mul_i32 s7, s19, s7
	s_add_u32 s7, s21, s7
	s_mul_hi_u32 s22, s19, s15
	s_addc_u32 s7, s20, s23
	s_addc_u32 s20, s22, 0
	s_mul_i32 s15, s19, s15
	s_add_u32 s7, s7, s15
	s_addc_u32 s15, 0, s20
	s_mul_i32 s20, s10, s15
	s_mul_hi_u32 s21, s10, s7
	s_add_i32 s20, s21, s20
	s_mul_i32 s21, s11, s7
	s_add_i32 s28, s20, s21
	s_sub_i32 s22, s19, s28
	s_mul_i32 s20, s10, s7
	s_sub_u32 s18, s18, s20
	s_cselect_b64 s[20:21], -1, 0
	s_cmp_lg_u64 s[20:21], 0
	s_subb_u32 s29, s22, s11
	s_sub_u32 s33, s18, s10
	s_cselect_b64 s[22:23], -1, 0
	s_cmp_lg_u64 s[22:23], 0
	s_subb_u32 s22, s29, 0
	s_cmp_ge_u32 s22, s11
	s_cselect_b32 s23, -1, 0
	s_cmp_ge_u32 s33, s10
	s_cselect_b32 s29, -1, 0
	s_cmp_eq_u32 s22, s11
	s_cselect_b32 s22, s29, s23
	s_add_u32 s23, s7, 1
	s_addc_u32 s29, s15, 0
	s_add_u32 s33, s7, 2
	s_addc_u32 s34, s15, 0
	s_cmp_lg_u32 s22, 0
	s_cselect_b32 s22, s33, s23
	s_cselect_b32 s23, s34, s29
	s_cmp_lg_u64 s[20:21], 0
	s_subb_u32 s19, s19, s28
	s_cmp_ge_u32 s19, s11
	s_cselect_b32 s20, -1, 0
	s_cmp_ge_u32 s18, s10
	s_cselect_b32 s10, -1, 0
	s_cmp_eq_u32 s19, s11
	s_cselect_b32 s10, s10, s20
	s_cmp_lg_u32 s10, 0
	s_cselect_b32 s11, s23, s15
	s_cselect_b32 s10, s22, s7
	s_xor_b64 s[0:1], 0, s[0:1]
	s_xor_b64 s[10:11], s[10:11], s[0:1]
	s_sub_u32 s0, s10, s0
	s_subb_u32 s1, s11, s1
	s_load_dwordx2 s[10:11], s[4:5], 0x370
	v_writelane_b32 v57, s0, 2
	v_writelane_b32 v57, s1, 3
	s_cbranch_execnz .LBB5_7
.LBB5_6:
	v_cvt_f32_u32_e32 v1, s66
	s_sub_i32 s0, 0, s66
	s_mov_b32 s9, 0
	v_rcp_iflag_f32_e32 v1, v1
	v_mul_f32_e32 v1, 0x4f7ffffe, v1
	v_cvt_u32_f32_e32 v1, v1
	v_readfirstlane_b32 s1, v1
	s_mul_i32 s0, s0, s1
	s_mul_hi_u32 s0, s1, s0
	s_add_i32 s1, s1, s0
	s_mul_hi_u32 s0, s64, s1
	s_mul_i32 s7, s0, s66
	s_sub_i32 s7, s64, s7
	s_add_i32 s1, s0, 1
	s_sub_i32 s8, s7, s66
	s_cmp_ge_u32 s7, s66
	s_cselect_b32 s0, s1, s0
	s_cselect_b32 s7, s8, s7
	s_add_i32 s1, s0, 1
	s_cmp_ge_u32 s7, s66
	s_cselect_b32 s8, s1, s0
	v_writelane_b32 v57, s8, 2
	v_writelane_b32 v57, s9, 3
.LBB5_7:
	s_mov_b32 s0, 0
	s_waitcnt lgkmcnt(0)
	s_mov_b32 s1, s11
	s_cmp_lg_u64 s[0:1], 0
	s_cbranch_scc0 .LBB5_298
; %bb.8:
	s_ashr_i32 s8, s11, 31
	s_add_u32 s0, s10, s8
	s_mov_b32 s9, s8
	s_addc_u32 s1, s11, s8
	s_xor_b64 s[10:11], s[0:1], s[8:9]
	v_cvt_f32_u32_e32 v1, s10
	v_cvt_f32_u32_e32 v2, s11
	s_sub_u32 s7, 0, s10
	s_subb_u32 s15, 0, s11
	v_madmk_f32 v1, v2, 0x4f800000, v1
	v_rcp_f32_e32 v1, v1
	v_mul_f32_e32 v1, 0x5f7ffffc, v1
	v_mul_f32_e32 v2, 0x2f800000, v1
	v_trunc_f32_e32 v2, v2
	v_madmk_f32 v1, v2, 0xcf800000, v1
	v_cvt_u32_f32_e32 v2, v2
	v_cvt_u32_f32_e32 v1, v1
	v_readfirstlane_b32 s20, v2
	v_readfirstlane_b32 s18, v1
	s_mul_i32 s19, s7, s20
	s_mul_hi_u32 s22, s7, s18
	s_mul_i32 s21, s15, s18
	s_add_i32 s19, s22, s19
	s_add_i32 s19, s19, s21
	s_mul_i32 s23, s7, s18
	s_mul_i32 s22, s18, s19
	s_mul_hi_u32 s28, s18, s23
	s_mul_hi_u32 s21, s18, s19
	s_add_u32 s22, s28, s22
	s_addc_u32 s21, 0, s21
	s_mul_hi_u32 s29, s20, s23
	s_mul_i32 s23, s20, s23
	s_add_u32 s22, s22, s23
	s_mul_hi_u32 s28, s20, s19
	s_addc_u32 s21, s21, s29
	s_addc_u32 s22, s28, 0
	s_mul_i32 s19, s20, s19
	s_add_u32 s19, s21, s19
	s_addc_u32 s21, 0, s22
	s_add_u32 s22, s18, s19
	s_cselect_b64 s[18:19], -1, 0
	s_cmp_lg_u64 s[18:19], 0
	s_addc_u32 s20, s20, s21
	s_mul_i32 s18, s7, s20
	s_mul_hi_u32 s19, s7, s22
	s_add_i32 s18, s19, s18
	s_mul_i32 s15, s15, s22
	s_add_i32 s18, s18, s15
	s_mul_i32 s7, s7, s22
	s_mul_hi_u32 s19, s20, s7
	s_mul_i32 s21, s20, s7
	s_mul_i32 s28, s22, s18
	s_mul_hi_u32 s7, s22, s7
	s_mul_hi_u32 s23, s22, s18
	s_add_u32 s7, s7, s28
	s_addc_u32 s23, 0, s23
	s_add_u32 s7, s7, s21
	s_mul_hi_u32 s15, s20, s18
	s_addc_u32 s7, s23, s19
	s_addc_u32 s15, s15, 0
	s_mul_i32 s18, s20, s18
	s_add_u32 s7, s7, s18
	s_addc_u32 s15, 0, s15
	s_add_u32 s7, s22, s7
	s_cselect_b64 s[18:19], -1, 0
	s_cmp_lg_u64 s[18:19], 0
	s_addc_u32 s15, s20, s15
	s_add_u32 s18, s64, 0
	s_addc_u32 s19, 0, 0
	s_xor_b64 s[18:19], s[18:19], 0
	s_mul_i32 s21, s18, s15
	s_mul_hi_u32 s22, s18, s7
	s_mul_hi_u32 s20, s18, s15
	s_add_u32 s21, s22, s21
	s_addc_u32 s20, 0, s20
	s_mul_hi_u32 s23, s19, s7
	s_mul_i32 s7, s19, s7
	s_add_u32 s7, s21, s7
	s_mul_hi_u32 s22, s19, s15
	s_addc_u32 s7, s20, s23
	s_addc_u32 s20, s22, 0
	s_mul_i32 s15, s19, s15
	s_add_u32 s7, s7, s15
	s_addc_u32 s15, 0, s20
	s_mul_i32 s20, s10, s15
	s_mul_hi_u32 s21, s10, s7
	s_add_i32 s20, s21, s20
	s_mul_i32 s21, s11, s7
	s_add_i32 s28, s20, s21
	s_sub_i32 s22, s19, s28
	s_mul_i32 s20, s10, s7
	s_sub_u32 s18, s18, s20
	s_cselect_b64 s[20:21], -1, 0
	s_cmp_lg_u64 s[20:21], 0
	s_subb_u32 s29, s22, s11
	s_sub_u32 s33, s18, s10
	s_cselect_b64 s[22:23], -1, 0
	s_cmp_lg_u64 s[22:23], 0
	s_subb_u32 s22, s29, 0
	s_cmp_ge_u32 s22, s11
	s_cselect_b32 s23, -1, 0
	s_cmp_ge_u32 s33, s10
	s_cselect_b32 s29, -1, 0
	s_cmp_eq_u32 s22, s11
	s_cselect_b32 s22, s29, s23
	s_add_u32 s23, s7, 1
	s_addc_u32 s29, s15, 0
	s_add_u32 s33, s7, 2
	s_addc_u32 s34, s15, 0
	s_cmp_lg_u32 s22, 0
	s_cselect_b32 s22, s33, s23
	s_cselect_b32 s23, s34, s29
	s_cmp_lg_u64 s[20:21], 0
	s_subb_u32 s19, s19, s28
	s_cmp_ge_u32 s19, s11
	s_cselect_b32 s20, -1, 0
	s_cmp_ge_u32 s18, s10
	s_cselect_b32 s10, -1, 0
	s_cmp_eq_u32 s19, s11
	s_cselect_b32 s10, s10, s20
	s_cmp_lg_u32 s10, 0
	s_cselect_b32 s11, s23, s15
	s_cselect_b32 s10, s22, s7
	s_xor_b64 s[8:9], 0, s[8:9]
	s_xor_b64 s[10:11], s[10:11], s[8:9]
	s_sub_u32 s8, s10, s8
	s_subb_u32 s9, s11, s9
	s_load_dwordx2 s[10:11], s[4:5], 0x370
	v_writelane_b32 v57, s8, 4
	v_writelane_b32 v57, s9, 5
	s_load_dwordx2 s[18:19], s[4:5], 0x0
	s_cbranch_execnz .LBB5_10
.LBB5_9:
	s_waitcnt lgkmcnt(0)
	v_cvt_f32_u32_e32 v1, s10
	s_sub_i32 s0, 0, s10
	s_mov_b32 s9, 0
	v_rcp_iflag_f32_e32 v1, v1
	v_mul_f32_e32 v1, 0x4f7ffffe, v1
	v_cvt_u32_f32_e32 v1, v1
	v_readfirstlane_b32 s1, v1
	s_mul_i32 s0, s0, s1
	s_mul_hi_u32 s0, s1, s0
	s_add_i32 s1, s1, s0
	s_mul_hi_u32 s0, s64, s1
	s_mul_i32 s7, s0, s10
	s_sub_i32 s7, s64, s7
	s_add_i32 s1, s0, 1
	s_sub_i32 s8, s7, s10
	s_cmp_ge_u32 s7, s10
	s_cselect_b32 s0, s1, s0
	s_cselect_b32 s7, s8, s7
	s_add_i32 s1, s0, 1
	s_cmp_ge_u32 s7, s10
	s_cselect_b32 s8, s1, s0
	v_writelane_b32 v57, s8, 4
	v_writelane_b32 v57, s9, 5
.LBB5_10:
	s_load_dwordx2 s[0:1], s[4:5], 0x360
	s_mov_b32 s53, 0
	s_waitcnt lgkmcnt(0)
	s_load_dwordx4 s[8:11], s[4:5], 0xd0
	v_writelane_b32 v57, s0, 6
	v_writelane_b32 v57, s1, 7
	s_load_dwordx2 s[0:1], s[4:5], 0x1c0
	s_waitcnt lgkmcnt(0)
	v_writelane_b32 v57, s0, 8
	v_writelane_b32 v57, s1, 9
	v_cmp_eq_u32_e64 s[0:1], 0, v0
	s_mov_b64 s[20:21], exec
	v_writelane_b32 v57, s0, 10
	v_writelane_b32 v57, s1, 11
	s_and_b64 s[0:1], s[20:21], s[0:1]
	s_mov_b64 exec, s[0:1]
	s_cbranch_execz .LBB5_12
; %bb.11:
	v_mov_b32_e32 v1, 0
	v_mov_b32_e32 v3, s24
	;; [unrolled: 1-line block ×4, first 2 shown]
	ds_write_b32 v1, v1 offset:5136
	ds_write_b128 v1, v[1:4] offset:5120
.LBB5_12:
	s_or_b64 exec, exec, s[20:21]
	s_mul_i32 s0, s16, s3
	s_mul_hi_u32 s1, s16, s2
	s_add_i32 s0, s1, s0
	s_mul_i32 s1, s17, s2
	s_add_i32 s0, s0, s1
	s_mul_i32 s1, s16, s2
	s_sub_u32 s1, s64, s1
	s_subb_u32 s0, 0, s0
	s_mul_i32 s2, s1, s11
	s_mul_hi_u32 s3, s1, s10
	s_add_i32 s2, s3, s2
	s_mul_i32 s0, s0, s10
	s_add_i32 s7, s2, s0
	s_mul_i32 s10, s1, s10
	s_mul_i32 s0, s16, s9
	s_mul_hi_u32 s1, s16, s8
	s_add_i32 s0, s1, s0
	s_mul_i32 s1, s17, s8
	s_add_i32 s11, s0, s1
	s_mul_i32 s8, s16, s8
	s_add_u32 s0, s18, s8
	s_addc_u32 s1, s19, s11
	s_add_u32 s54, s0, s10
	s_addc_u32 s55, s1, s7
	v_mbcnt_lo_u32_b32 v1, -1, 0
	v_mad_u64_u32 v[4:5], s[0:1], s30, v0, 0
	v_mbcnt_hi_u32_b32 v32, -1, v1
	v_cmp_gt_u32_e32 vcc, 64, v0
	v_cmp_gt_i32_e64 s[2:3], 4, v32
	s_and_b64 s[0:1], vcc, s[2:3]
	v_writelane_b32 v57, s0, 12
	v_mov_b32_e32 v1, v5
	v_mov_b32_e32 v5, 0xc00
	v_writelane_b32 v57, s1, 13
	v_mad_u64_u32 v[1:2], s[0:1], s31, v0, v[1:2]
	v_mov_b32_e32 v6, 0
	v_cmp_gt_i64_e64 s[0:1], s[24:25], v[5:6]
	s_waitcnt lgkmcnt(0)
	v_writelane_b32 v57, s0, 14
	s_barrier
	v_writelane_b32 v57, s1, 15
	s_load_dword s0, s[12:13], 0xc
	v_mov_b32_e32 v2, s55
	v_add_co_u32_e32 v14, vcc, s54, v4
	v_mov_b32_e32 v3, 0
	v_addc_co_u32_e32 v15, vcc, v2, v1, vcc
	v_add_u32_e32 v2, 2, v0
	v_cmp_gt_i64_e32 vcc, s[24:25], v[2:3]
	s_waitcnt lgkmcnt(0)
	s_and_b32 s23, s0, 0xffff
	s_bfe_u32 s0, s0, 0xa0006
	v_mov_b32_e32 v6, s25
	s_cmp_gt_u32 s23, 63
	v_cndmask_b32_e32 v7, 0, v6, vcc
	v_mov_b32_e32 v6, s24
	s_cselect_b64 s[2:3], -1, 0
	s_add_u32 s57, s23, -1
	v_cndmask_b32_e32 v2, v2, v6, vcc
	v_not_b32_e32 v6, v0
	v_writelane_b32 v57, s2, 16
	s_addc_u32 s1, 0, -1
	v_add_co_u32_e32 v6, vcc, v2, v6
	v_writelane_b32 v57, s3, 17
	s_add_u32 s2, s57, s24
	v_addc_co_u32_e32 v7, vcc, -1, v7, vcc
	v_writelane_b32 v57, s2, 18
	v_cmp_lt_u64_e64 s[2:3], 3, v[6:7]
	v_writelane_b32 v57, s1, 19
	s_addc_u32 s61, s1, s25
	s_cmp_lt_u32 s6, s14
	v_writelane_b32 v57, s2, 20
	v_and_b32_e32 v18, -4, v6
	v_mov_b32_e32 v19, v7
	s_cselect_b32 s1, 12, 18
	v_writelane_b32 v57, s3, 21
	v_cmp_ne_u64_e64 s[2:3], v[6:7], v[18:19]
	s_add_u32 s62, s12, s1
	s_addc_u32 s63, s13, 0
	v_writelane_b32 v57, s2, 22
	s_add_i32 s1, s0, -1
	v_writelane_b32 v57, s3, 23
	s_bfe_u32 s2, s23, 0x30006
	s_and_b32 s1, s1, 0xffff
	s_cmp_gt_u32 s1, 6
	s_cselect_b64 s[12:13], -1, 0
	v_writelane_b32 v57, s12, 24
	s_and_b32 s9, s0, 0x3f8
	v_writelane_b32 v57, s13, 25
	s_cmp_lg_u32 s2, 0
	v_lshlrev_b32_e32 v16, 2, v0
	v_writelane_b32 v57, s2, 26
	s_cselect_b64 s[0:1], -1, 0
	v_writelane_b32 v57, s0, 27
	v_or_b32_e32 v6, 3, v16
	v_writelane_b32 v57, s1, 28
	v_mad_u64_u32 v[20:21], s[0:1], s30, v6, 0
	s_add_u32 s2, s8, s10
	s_addc_u32 s0, s11, s7
	s_add_u32 s2, s18, s2
	v_or_b32_e32 v11, 2, v16
	s_addc_u32 s3, s19, s0
	v_mov_b32_e32 v2, v21
	v_mad_u64_u32 v[21:22], s[0:1], s30, v11, 0
	v_mov_b32_e32 v9, s30
	v_mad_u64_u32 v[6:7], s[0:1], s31, v6, v[2:3]
	v_mov_b32_e32 v2, s3
	v_writelane_b32 v57, s2, 29
	v_add_co_u32_e32 v12, vcc, s2, v4
	v_mov_b32_e32 v10, s31
	v_mov_b32_e32 v5, v1
	v_addc_co_u32_e32 v13, vcc, v2, v1, vcc
	v_mov_b32_e32 v1, v22
	v_mad_u64_u32 v[22:23], s[0:1], s30, v16, v[9:10]
	v_lshlrev_b64 v[7:8], v32, -1
	v_mad_u64_u32 v[1:2], s[0:1], s31, v11, v[1:2]
	v_mov_b32_e32 v2, v23
	v_not_b32_e32 v33, v8
	v_mad_u64_u32 v[8:9], s[0:1], s31, v16, v[2:3]
	v_writelane_b32 v57, s3, 30
	s_load_dwordx4 s[0:3], s[4:5], 0x430
	v_lshlrev_b32_e32 v2, 2, v32
	v_mov_b32_e32 v36, v1
	v_mov_b32_e32 v1, v3
	v_and_b32_e32 v38, 0x100, v2
	s_waitcnt lgkmcnt(0)
	v_writelane_b32 v57, s0, 31
	v_writelane_b32 v57, s1, 32
	;; [unrolled: 1-line block ×4, first 2 shown]
	s_load_dwordx4 s[0:3], s[4:5], 0x290
	v_lshrrev_b32_e32 v2, 1, v0
	v_and_b32_e32 v2, 0x1e0, v2
	v_or_b32_e32 v39, 0xc00, v2
	v_mov_b32_e32 v2, s25
	s_waitcnt lgkmcnt(0)
	v_writelane_b32 v57, s0, 35
	v_writelane_b32 v57, s1, 36
	;; [unrolled: 1-line block ×4, first 2 shown]
	v_cmp_gt_u32_e64 s[0:1], 2, v0
	v_writelane_b32 v57, s0, 39
	v_writelane_b32 v57, s1, 40
	v_cmp_gt_i64_e64 s[0:1], s[24:25], v[0:1]
	v_add_co_u32_e32 v40, vcc, s24, v0
	v_writelane_b32 v57, s0, 41
	v_lshlrev_b64 v[23:24], 2, v[4:5]
	v_addc_co_u32_e32 v41, vcc, 0, v2, vcc
	v_mov_b32_e32 v2, 0xc00
	s_mul_i32 s4, s31, s23
	s_mul_hi_u32 s5, s30, s23
	v_mov_b32_e32 v26, s26
	v_not_b32_e32 v34, v7
	v_mov_b32_e32 v35, v6
	v_mov_b32_e32 v37, v8
	v_cmp_eq_u32_e64 s[10:11], 0, v32
	v_writelane_b32 v57, s1, 42
	v_mov_b32_e32 v17, v3
	s_mov_b32 s0, s30
	s_mov_b32 s1, s31
	;; [unrolled: 1-line block ×9, first 2 shown]
	s_lshl_b64 s[70:71], s[30:31], 2
	v_lshl_or_b32 v42, v32, 3, v2
	s_add_i32 s33, s5, s4
	s_mul_i32 s22, s30, s23
	s_mov_b64 s[72:73], 0
	s_mov_b32 s13, 0xc0c0004
	s_mov_b32 s8, 0
	v_mov_b32_e32 v44, 8
	v_mov_b32_e32 v46, 0
	;; [unrolled: 1-line block ×4, first 2 shown]
	v_add_co_u32_e32 v25, vcc, v18, v0
	v_mov_b32_e32 v27, s27
                                        ; implicit-def: $sgpr74_sgpr75
                                        ; implicit-def: $sgpr78_sgpr79
                                        ; implicit-def: $sgpr76_sgpr77
                                        ; implicit-def: $sgpr82_sgpr83
                                        ; implicit-def: $sgpr84_sgpr85
                                        ; implicit-def: $sgpr80_sgpr81
	s_branch .LBB5_16
.LBB5_13:                               ;   in Loop: Header=BB5_16 Depth=1
	s_or_b64 exec, exec, s[20:21]
	s_and_b64 s[14:15], s[14:15], exec
	s_andn2_b64 s[88:89], s[88:89], exec
	s_andn2_b64 s[4:5], s[4:5], exec
	s_orn2_b64 s[20:21], s[16:17], exec
.LBB5_14:                               ;   in Loop: Header=BB5_16 Depth=1
	s_or_b64 exec, exec, s[6:7]
	s_andn2_b64 s[6:7], s[80:81], exec
	s_and_b64 s[14:15], s[14:15], exec
	s_or_b64 s[80:81], s[6:7], s[14:15]
	s_andn2_b64 s[6:7], s[84:85], exec
	s_and_b64 s[14:15], s[88:89], exec
	s_or_b64 s[84:85], s[6:7], s[14:15]
	;; [unrolled: 3-line block ×3, first 2 shown]
	s_orn2_b64 s[4:5], s[20:21], exec
.LBB5_15:                               ;   in Loop: Header=BB5_16 Depth=1
	s_or_b64 exec, exec, s[18:19]
	s_and_b64 s[4:5], exec, s[4:5]
	s_or_b64 s[72:73], s[4:5], s[72:73]
	s_andn2_b64 s[4:5], s[76:77], exec
	s_and_b64 s[6:7], s[80:81], exec
	s_or_b64 s[76:77], s[4:5], s[6:7]
	s_andn2_b64 s[4:5], s[78:79], exec
	s_and_b64 s[6:7], s[84:85], exec
	;; [unrolled: 3-line block ×3, first 2 shown]
	v_mov_b32_e32 v27, v9
	s_or_b64 s[74:75], s[4:5], s[6:7]
	v_mov_b32_e32 v26, v8
	s_andn2_b64 exec, exec, s[72:73]
	s_cbranch_execz .LBB5_279
.LBB5_16:                               ; =>This Loop Header: Depth=1
                                        ;     Child Loop BB5_21 Depth 2
                                        ;     Child Loop BB5_35 Depth 2
	;; [unrolled: 1-line block ×17, first 2 shown]
	ds_read_b128 v[4:7], v3 offset:5120
	s_waitcnt lgkmcnt(0)
	v_readfirstlane_b32 s27, v5
	v_readfirstlane_b32 s26, v4
	v_cmp_gt_i64_e64 s[4:5], s[26:27], 0
	s_and_b64 vcc, exec, s[4:5]
	s_cbranch_vccnz .LBB5_48
; %bb.17:                               ;   in Loop: Header=BB5_16 Depth=1
	v_readlane_b32 s4, v57, 14
	v_readlane_b32 s5, v57, 15
	s_and_b64 vcc, exec, s[4:5]
	s_cbranch_vccz .LBB5_29
; %bb.18:                               ;   in Loop: Header=BB5_16 Depth=1
	s_mov_b64 s[4:5], 0xc01
	v_cmp_gt_i64_e32 vcc, s[4:5], v[6:7]
	s_mov_b64 s[6:7], 0
	s_mov_b64 s[4:5], 0
	s_cbranch_vccz .LBB5_30
; %bb.19:                               ;   in Loop: Header=BB5_16 Depth=1
	global_load_ubyte v8, v[14:15], off
	global_load_ushort v6, v3, s[62:63]
	s_waitcnt vmcnt(0)
	v_and_b32_e32 v2, 0xffff, v6
	v_add_co_u32_e32 v7, vcc, v0, v2
	v_addc_co_u32_e64 v4, s[4:5], 0, 0, vcc
	v_readlane_b32 s4, v57, 29
	v_mul_lo_u32 v9, s30, v4
	v_readlane_b32 s5, v57, 30
	v_mov_b32_e32 v4, s4
	v_mov_b32_e32 v5, s5
	v_mul_lo_u32 v10, s31, v7
	v_mad_u64_u32 v[4:5], s[4:5], s30, v7, v[4:5]
	v_readfirstlane_b32 s4, v6
	s_and_b32 s4, 0xffff, s4
	s_mul_i32 s5, s31, s4
	s_mul_hi_u32 s14, s30, s4
	v_mov_b32_e32 v7, v1
	v_add3_u32 v5, v10, v5, v9
	s_add_i32 s27, s14, s5
	s_mul_i32 s34, s30, s4
	s_mov_b64 s[14:15], 0
	v_mov_b32_e32 v6, v0
	s_branch .LBB5_21
.LBB5_20:                               ;   in Loop: Header=BB5_21 Depth=2
	s_or_b64 exec, exec, s[4:5]
	v_mov_b32_e32 v8, s27
	v_add_co_u32_e32 v4, vcc, s34, v4
	v_addc_co_u32_e32 v5, vcc, v5, v8, vcc
	s_waitcnt vmcnt(0)
	v_mov_b32_e32 v8, v9
	s_andn2_b64 exec, exec, s[14:15]
	s_cbranch_execz .LBB5_82
.LBB5_21:                               ;   Parent Loop BB5_16 Depth=1
                                        ; =>  This Inner Loop Header: Depth=2
	v_add_co_u32_e32 v6, vcc, v6, v2
	v_addc_co_u32_e32 v7, vcc, 0, v7, vcc
	v_cmp_gt_i64_e64 s[4:5], s[24:25], v[6:7]
	v_cmp_le_i64_e32 vcc, s[24:25], v[6:7]
	s_waitcnt lgkmcnt(0)
	v_mov_b32_e32 v10, 0
	v_mov_b32_e32 v9, 0
	s_and_saveexec_b64 s[16:17], s[4:5]
	s_cbranch_execz .LBB5_23
; %bb.22:                               ;   in Loop: Header=BB5_21 Depth=2
	global_load_ubyte v9, v[4:5], off
.LBB5_23:                               ;   in Loop: Header=BB5_21 Depth=2
	s_or_b64 exec, exec, s[16:17]
	v_and_b32_e32 v11, v8, v45
	v_cmp_eq_u32_sdwa s[16:17], v11, v43 src0_sel:BYTE_0 src1_sel:DWORD
	s_cmp_lg_u64 s[16:17], 0
	s_cselect_b64 s[4:5], -1, 0
	s_and_b64 s[4:5], s[10:11], s[4:5]
	s_and_saveexec_b64 s[18:19], s[4:5]
	s_cbranch_execz .LBB5_27
; %bb.24:                               ;   in Loop: Header=BB5_21 Depth=2
	s_mov_b64 s[28:29], exec
	v_mbcnt_lo_u32_b32 v10, s28, 0
	v_mbcnt_hi_u32_b32 v10, s29, v10
	s_bcnt1_i32_b64 s35, s[16:17]
	v_cmp_eq_u32_e64 s[4:5], 0, v10
                                        ; implicit-def: $vgpr11
	s_and_saveexec_b64 s[20:21], s[4:5]
; %bb.25:                               ;   in Loop: Header=BB5_21 Depth=2
	s_bcnt1_i32_b64 s4, s[28:29]
	s_mul_i32 s4, s35, s4
	v_mov_b32_e32 v11, s4
	ds_add_rtn_u32 v11, v3, v11 offset:5136
; %bb.26:                               ;   in Loop: Header=BB5_21 Depth=2
	s_or_b64 exec, exec, s[20:21]
	s_waitcnt lgkmcnt(0)
	v_readfirstlane_b32 s4, v11
	v_mov_b32_e32 v11, s4
	v_mad_u32_u24 v10, s35, v10, v11
.LBB5_27:                               ;   in Loop: Header=BB5_21 Depth=2
	s_or_b64 exec, exec, s[18:19]
	ds_bpermute_b32 v10, v38, v10
	s_and_b64 s[4:5], exec, vcc
	s_or_b64 s[14:15], s[4:5], s[14:15]
	s_and_saveexec_b64 s[4:5], s[16:17]
	s_cbranch_execz .LBB5_20
; %bb.28:                               ;   in Loop: Header=BB5_21 Depth=2
	v_and_b32_e32 v28, s16, v34
	v_and_b32_e32 v11, s17, v33
	v_bcnt_u32_b32 v28, v28, 0
	v_bcnt_u32_b32 v11, v11, v28
	s_waitcnt lgkmcnt(0)
	v_add_u32_e32 v10, v10, v11
	ds_write_b8 v10, v8
	s_branch .LBB5_20
.LBB5_29:                               ;   in Loop: Header=BB5_16 Depth=1
	s_mov_b64 s[6:7], -1
	s_mov_b64 s[4:5], 0
.LBB5_30:                               ;   in Loop: Header=BB5_16 Depth=1
	s_and_b64 vcc, exec, s[6:7]
	s_cbranch_vccz .LBB5_46
.LBB5_31:                               ;   in Loop: Header=BB5_16 Depth=1
	s_mov_b64 s[6:7], exec
	v_readlane_b32 s4, v57, 41
	v_readlane_b32 s5, v57, 42
	s_and_b64 s[4:5], s[6:7], s[4:5]
	s_mov_b64 exec, s[4:5]
	s_cbranch_execz .LBB5_43
; %bb.32:                               ;   in Loop: Header=BB5_16 Depth=1
	global_load_ushort v2, v3, s[62:63]
	global_load_ubyte v30, v[14:15], off
	v_mov_b32_e32 v8, v0
	s_waitcnt vmcnt(1)
	v_readfirstlane_b32 s4, v2
	v_add_u32_sdwa v2, v2, v0 dst_sel:DWORD dst_unused:UNUSED_PAD src0_sel:WORD_0 src1_sel:DWORD
	v_cmp_gt_i64_e32 vcc, s[24:25], v[2:3]
	s_and_saveexec_b64 s[16:17], vcc
	s_cbranch_execz .LBB5_42
; %bb.33:                               ;   in Loop: Header=BB5_16 Depth=1
	s_and_b32 s20, s4, 0xffff
	s_cmp_eq_u32 s20, 1
	v_readlane_b32 s14, v57, 20
                                        ; implicit-def: $vgpr8_vgpr9
	s_cselect_b64 s[4:5], -1, 0
	v_readlane_b32 s15, v57, 21
	v_mov_b32_e32 v10, v1
	v_mov_b32_e32 v5, v3
	s_and_b64 s[14:15], s[14:15], s[4:5]
	s_mov_b64 s[18:19], -1
	v_mov_b32_e32 v9, v0
	v_mov_b32_e32 v4, v2
	s_and_saveexec_b64 s[4:5], s[14:15]
	s_cbranch_execz .LBB5_37
; %bb.34:                               ;   in Loop: Header=BB5_16 Depth=1
	v_add_co_u32_e32 v8, vcc, 3, v2
	v_addc_co_u32_e64 v9, s[14:15], 0, 0, vcc
	v_add_co_u32_e32 v6, vcc, 2, v2
	v_addc_co_u32_e64 v7, s[14:15], 0, 0, vcc
	;; [unrolled: 2-line block ×3, first 2 shown]
	v_mov_b32_e32 v29, v19
	v_mov_b32_e32 v11, v9
	s_waitcnt vmcnt(0)
	v_lshlrev_b32_e32 v47, 24, v30
	s_mov_b64 s[14:15], 0
	v_mov_b32_e32 v28, v18
	v_mov_b32_e32 v31, v0
	;; [unrolled: 1-line block ×9, first 2 shown]
.LBB5_35:                               ;   Parent Loop BB5_16 Depth=1
                                        ; =>  This Inner Loop Header: Depth=2
	v_mul_lo_u32 v30, v9, s58
	v_mul_lo_u32 v50, v8, s59
	v_mad_u64_u32 v[48:49], s[18:19], v8, s58, 0
	v_mul_lo_u32 v51, v7, s2
	v_mul_lo_u32 v52, v6, s3
	v_add3_u32 v30, v49, v50, v30
	v_mad_u64_u32 v[49:50], s[18:19], v6, s2, 0
	v_mul_lo_u32 v54, v4, s1
	v_mul_lo_u32 v56, v11, s68
	v_add3_u32 v53, v50, v52, v51
	v_mul_lo_u32 v52, v5, s0
	v_mad_u64_u32 v[50:51], s[18:19], v4, s0, 0
	v_add3_u32 v51, v51, v54, v52
	v_add_co_u32_e32 v50, vcc, s54, v50
	v_mov_b32_e32 v54, s55
	v_addc_co_u32_e32 v51, vcc, v54, v51, vcc
	v_add_co_u32_e32 v52, vcc, s54, v49
	v_addc_co_u32_e32 v53, vcc, v54, v53, vcc
	v_add_co_u32_e32 v48, vcc, s54, v48
	v_addc_co_u32_e32 v49, vcc, v54, v30, vcc
	v_mov_b32_e32 v54, s54
	v_mov_b32_e32 v55, s55
	v_mad_u64_u32 v[54:55], s[18:19], v10, s68, v[54:55]
	v_mul_lo_u32 v30, v10, s69
	v_add_co_u32_e32 v10, vcc, 4, v10
	v_addc_co_u32_e32 v11, vcc, 0, v11, vcc
	v_add3_u32 v55, v56, v55, v30
	global_load_ubyte v30, v[54:55], off
	s_nop 0
	global_load_ubyte v52, v[52:53], off
	s_nop 0
	global_load_ubyte v50, v[50:51], off
	v_add_co_u32_e32 v8, vcc, 4, v8
	global_load_ubyte v48, v[48:49], off
	v_addc_co_u32_e32 v9, vcc, 0, v9, vcc
	v_add_co_u32_e32 v6, vcc, 4, v6
	v_addc_co_u32_e32 v7, vcc, 0, v7, vcc
	v_add_co_u32_e32 v4, vcc, 4, v4
	v_addc_co_u32_e32 v5, vcc, 0, v5, vcc
	v_add_co_u32_e32 v28, vcc, -4, v28
	s_mov_b32 s18, 0xc0c0007
	v_addc_co_u32_e32 v29, vcc, -1, v29, vcc
	v_cmp_eq_u64_e32 vcc, 0, v[28:29]
	s_or_b64 s[14:15], vcc, s[14:15]
	s_waitcnt vmcnt(1)
	v_perm_b32 v51, v50, v52, s13
	v_perm_b32 v47, v47, v50, s18
	s_waitcnt vmcnt(0)
	v_perm_b32 v49, v48, v30, s13
	v_perm_b32 v48, v52, v48, s13
	v_lshl_or_b32 v49, v49, 16, v51
	v_lshl_or_b32 v47, v48, 16, v47
	ds_write_b32 v31, v47
	v_add_u32_e32 v31, 4, v31
	v_mov_b32_e32 v47, v49
	s_andn2_b64 exec, exec, s[14:15]
	s_cbranch_execnz .LBB5_35
; %bb.36:                               ;   in Loop: Header=BB5_16 Depth=1
	s_or_b64 exec, exec, s[14:15]
	v_readlane_b32 s14, v57, 22
	v_add_co_u32_e32 v4, vcc, v2, v18
	v_readlane_b32 s15, v57, 23
	v_addc_co_u32_e32 v5, vcc, 0, v19, vcc
	v_add_co_u32_e32 v8, vcc, -1, v4
	s_orn2_b64 s[18:19], s[14:15], exec
	v_mov_b32_e32 v9, v25
	v_mov_b32_e32 v10, v26
.LBB5_37:                               ;   in Loop: Header=BB5_16 Depth=1
	s_or_b64 exec, exec, s[4:5]
	s_and_saveexec_b64 s[14:15], s[18:19]
	s_cbranch_execz .LBB5_41
; %bb.38:                               ;   in Loop: Header=BB5_16 Depth=1
	v_readlane_b32 s4, v57, 29
	v_readlane_b32 s5, v57, 30
	v_mov_b32_e32 v7, s5
	v_mov_b32_e32 v6, s4
	v_mad_u64_u32 v[6:7], s[4:5], s30, v4, v[6:7]
	v_mul_lo_u32 v2, s30, v5
	v_mul_lo_u32 v8, s31, v4
	s_mul_i32 s4, s31, s20
	s_mul_hi_u32 s5, s30, s20
	s_mov_b64 s[18:19], 0
	s_sub_u32 s21, 0, s20
	v_add3_u32 v7, v8, v7, v2
	s_add_i32 s27, s5, s4
.LBB5_39:                               ;   Parent Loop BB5_16 Depth=1
                                        ; =>  This Inner Loop Header: Depth=2
	global_load_ubyte v2, v[6:7], off
	v_mov_b32_e32 v11, v5
	v_mov_b32_e32 v10, v4
	v_add_co_u32_e32 v4, vcc, s20, v10
	v_addc_co_u32_e32 v5, vcc, 0, v11, vcc
	s_mul_i32 s4, s30, s20
	v_add_co_u32_e32 v6, vcc, s4, v6
	v_mov_b32_e32 v8, s27
	v_addc_co_u32_e32 v7, vcc, v7, v8, vcc
	v_cmp_le_i64_e32 vcc, s[24:25], v[4:5]
	s_waitcnt vmcnt(1)
	ds_write_b8 v9, v30
	v_add_co_u32_e64 v8, s[4:5], s21, v4
	s_or_b64 s[18:19], vcc, s[18:19]
	v_mov_b32_e32 v9, v10
	v_mov_b32_e32 v10, v11
	s_waitcnt vmcnt(0)
	v_mov_b32_e32 v30, v2
	s_andn2_b64 exec, exec, s[18:19]
	s_cbranch_execnz .LBB5_39
; %bb.40:                               ;   in Loop: Header=BB5_16 Depth=1
	s_or_b64 exec, exec, s[18:19]
	v_mov_b32_e32 v30, v2
.LBB5_41:                               ;   in Loop: Header=BB5_16 Depth=1
	s_or_b64 exec, exec, s[14:15]
.LBB5_42:                               ;   in Loop: Header=BB5_16 Depth=1
	s_or_b64 exec, exec, s[16:17]
	s_waitcnt vmcnt(0)
	ds_write_b8 v8, v30
.LBB5_43:                               ;   in Loop: Header=BB5_16 Depth=1
	s_or_b64 exec, exec, s[6:7]
	s_waitcnt lgkmcnt(0)
	s_barrier
	s_mov_b64 s[4:5], exec
	v_readlane_b32 s6, v57, 10
	v_readlane_b32 s7, v57, 11
	s_and_b64 s[6:7], s[4:5], s[6:7]
	s_mov_b64 exec, s[6:7]
; %bb.44:                               ;   in Loop: Header=BB5_16 Depth=1
	v_mov_b32_e32 v4, s24
	v_mov_b32_e32 v5, s25
	ds_write_b64 v3, v[4:5] offset:5120
; %bb.45:                               ;   in Loop: Header=BB5_16 Depth=1
	s_or_b64 exec, exec, s[4:5]
	s_mov_b64 s[4:5], -1
	s_waitcnt lgkmcnt(0)
	s_barrier
.LBB5_46:                               ;   in Loop: Header=BB5_16 Depth=1
	s_and_b64 vcc, exec, s[4:5]
	s_cbranch_vccz .LBB5_48
; %bb.47:                               ;   in Loop: Header=BB5_16 Depth=1
	ds_read_b64 v[4:5], v3 offset:5120
	s_waitcnt lgkmcnt(0)
	v_readfirstlane_b32 s26, v4
.LBB5_48:                               ;   in Loop: Header=BB5_16 Depth=1
	s_cmp_lt_i32 s26, 1
	s_mov_b64 s[4:5], -1
                                        ; implicit-def: $vgpr10_vgpr11
                                        ; implicit-def: $vgpr6_vgpr7
	s_cbranch_scc1 .LBB5_58
; %bb.49:                               ;   in Loop: Header=BB5_16 Depth=1
	s_and_b64 vcc, exec, s[4:5]
	s_cbranch_vccnz .LBB5_72
.LBB5_50:                               ;   in Loop: Header=BB5_16 Depth=1
	s_lshl_b32 s6, s8, 6
	s_and_saveexec_b64 s[4:5], s[10:11]
	s_cbranch_execz .LBB5_52
.LBB5_51:                               ;   in Loop: Header=BB5_16 Depth=1
	v_lshl_add_u32 v2, s6, 3, v39
	ds_write_b128 v2, v[4:7]
	ds_write_b128 v2, v[8:11] offset:16
.LBB5_52:                               ;   in Loop: Header=BB5_16 Depth=1
	s_or_b64 exec, exec, s[4:5]
	s_waitcnt lgkmcnt(0)
	s_barrier
	s_mov_b64 s[4:5], exec
	v_readlane_b32 s14, v57, 12
	v_readlane_b32 s15, v57, 13
	s_and_b64 s[14:15], s[4:5], s[14:15]
	s_mov_b64 exec, s[14:15]
	s_cbranch_execz .LBB5_90
; %bb.53:                               ;   in Loop: Header=BB5_16 Depth=1
	v_readlane_b32 s14, v57, 16
	v_mov_b32_e32 v4, 0
	v_readlane_b32 s15, v57, 17
	v_mov_b32_e32 v5, 0
	s_andn2_b64 vcc, exec, s[14:15]
	s_cbranch_vccnz .LBB5_89
; %bb.54:                               ;   in Loop: Header=BB5_16 Depth=1
	v_readlane_b32 s14, v57, 24
	v_readlane_b32 s15, v57, 25
	s_andn2_b64 vcc, exec, s[14:15]
	s_cbranch_vccnz .LBB5_85
; %bb.55:                               ;   in Loop: Header=BB5_16 Depth=1
	v_mov_b32_e32 v4, 0
	v_lshl_add_u32 v2, s8, 9, v42
	v_mov_b32_e32 v5, 0
	s_mov_b32 s7, 0
.LBB5_56:                               ;   Parent Loop BB5_16 Depth=1
                                        ; =>  This Inner Loop Header: Depth=2
	ds_read2_b64 v[6:9], v2 offset1:4
	ds_read2_b64 v[28:31], v2 offset0:8 offset1:12
	ds_read2_b64 v[47:50], v2 offset0:16 offset1:20
	;; [unrolled: 1-line block ×3, first 2 shown]
	s_add_i32 s7, s7, 8
	s_waitcnt lgkmcnt(3)
	v_add_co_u32_e32 v4, vcc, v6, v4
	v_addc_co_u32_e32 v5, vcc, v7, v5, vcc
	v_add_co_u32_e32 v4, vcc, v8, v4
	v_addc_co_u32_e32 v5, vcc, v9, v5, vcc
	s_waitcnt lgkmcnt(2)
	v_add_co_u32_e32 v4, vcc, v28, v4
	v_addc_co_u32_e32 v5, vcc, v29, v5, vcc
	v_add_co_u32_e32 v4, vcc, v30, v4
	v_addc_co_u32_e32 v5, vcc, v31, v5, vcc
	;; [unrolled: 5-line block ×3, first 2 shown]
	s_waitcnt lgkmcnt(0)
	v_add_co_u32_e32 v4, vcc, v51, v4
	v_addc_co_u32_e32 v5, vcc, v52, v5, vcc
	v_add_co_u32_e32 v4, vcc, v53, v4
	v_add_u32_e32 v2, 0x100, v2
	s_cmp_eq_u32 s9, s7
	v_addc_co_u32_e32 v5, vcc, v54, v5, vcc
	s_cbranch_scc0 .LBB5_56
; %bb.57:                               ;   in Loop: Header=BB5_16 Depth=1
	s_mov_b32 s7, s9
	s_branch .LBB5_86
.LBB5_58:                               ;   in Loop: Header=BB5_16 Depth=1
	global_load_ushort v2, v3, s[62:63]
	s_mov_b32 s4, s53
	s_waitcnt vmcnt(0)
	v_readfirstlane_b32 s5, v2
	s_and_b32 s27, s5, 0xffff
	s_lshl_b32 s6, s27, 2
	s_mov_b32 s5, s25
	s_cmp_lg_u64 s[4:5], 0
	s_cbranch_scc0 .LBB5_81
; %bb.59:                               ;   in Loop: Header=BB5_16 Depth=1
	s_add_u32 s4, s6, 0
	s_addc_u32 s5, 0, 0
	s_xor_b64 s[4:5], s[4:5], 0
	v_cvt_f32_u32_e32 v2, s4
	v_cvt_f32_u32_e32 v4, s5
	s_sub_u32 s7, 0, s4
	s_subb_u32 s16, 0, s5
	v_mac_f32_e32 v2, 0x4f800000, v4
	v_rcp_f32_e32 v2, v2
	v_mul_f32_e32 v2, 0x5f7ffffc, v2
	v_mul_f32_e32 v4, 0x2f800000, v2
	v_trunc_f32_e32 v4, v4
	v_mac_f32_e32 v2, 0xcf800000, v4
	v_cvt_u32_f32_e32 v4, v4
	v_cvt_u32_f32_e32 v2, v2
	v_readfirstlane_b32 s17, v4
	v_readfirstlane_b32 s14, v2
	s_mul_i32 s15, s7, s17
	s_mul_hi_u32 s19, s7, s14
	s_mul_i32 s18, s16, s14
	s_add_i32 s15, s19, s15
	s_mul_i32 s20, s7, s14
	s_add_i32 s15, s15, s18
	s_mul_i32 s19, s14, s15
	s_mul_hi_u32 s21, s14, s20
	s_mul_hi_u32 s18, s14, s15
	s_add_u32 s19, s21, s19
	s_addc_u32 s18, 0, s18
	s_mul_hi_u32 s28, s17, s20
	s_mul_i32 s20, s17, s20
	s_add_u32 s19, s19, s20
	s_mul_hi_u32 s21, s17, s15
	s_addc_u32 s18, s18, s28
	s_addc_u32 s19, s21, 0
	s_mul_i32 s15, s17, s15
	s_add_u32 s15, s18, s15
	s_addc_u32 s18, 0, s19
	s_add_u32 s19, s14, s15
	s_cselect_b64 s[14:15], -1, 0
	s_cmp_lg_u64 s[14:15], 0
	s_addc_u32 s17, s17, s18
	s_mul_i32 s14, s7, s17
	s_mul_hi_u32 s15, s7, s19
	s_add_i32 s14, s15, s14
	s_mul_i32 s16, s16, s19
	s_add_i32 s14, s14, s16
	s_mul_i32 s7, s7, s19
	s_mul_hi_u32 s16, s17, s7
	s_mul_i32 s18, s17, s7
	s_mul_i32 s21, s19, s14
	s_mul_hi_u32 s7, s19, s7
	s_mul_hi_u32 s20, s19, s14
	s_add_u32 s7, s7, s21
	s_addc_u32 s20, 0, s20
	s_add_u32 s7, s7, s18
	s_mul_hi_u32 s15, s17, s14
	s_addc_u32 s7, s20, s16
	s_addc_u32 s15, s15, 0
	s_mul_i32 s14, s17, s14
	s_add_u32 s7, s7, s14
	s_addc_u32 s16, 0, s15
	s_add_u32 s7, s19, s7
	s_cselect_b64 s[14:15], -1, 0
	s_cmp_lg_u64 s[14:15], 0
	s_addc_u32 s18, s17, s16
	s_ashr_i32 s14, s25, 31
	s_add_u32 s16, s24, s14
	s_mov_b32 s15, s14
	s_addc_u32 s17, s25, s14
	s_xor_b64 s[16:17], s[16:17], s[14:15]
	s_mul_i32 s20, s16, s18
	s_mul_hi_u32 s21, s16, s7
	s_mul_hi_u32 s19, s16, s18
	s_add_u32 s20, s21, s20
	s_addc_u32 s19, 0, s19
	s_mul_hi_u32 s28, s17, s7
	s_mul_i32 s7, s17, s7
	s_add_u32 s7, s20, s7
	s_mul_hi_u32 s21, s17, s18
	s_addc_u32 s7, s19, s28
	s_addc_u32 s19, s21, 0
	s_mul_i32 s18, s17, s18
	s_add_u32 s7, s7, s18
	s_addc_u32 s18, 0, s19
	s_mul_i32 s18, s4, s18
	s_mul_hi_u32 s19, s4, s7
	s_add_i32 s18, s19, s18
	s_mul_i32 s19, s5, s7
	s_add_i32 s28, s18, s19
	s_sub_i32 s20, s17, s28
	s_mul_i32 s7, s4, s7
	s_sub_u32 s7, s16, s7
	s_cselect_b64 s[18:19], -1, 0
	s_cmp_lg_u64 s[18:19], 0
	s_subb_u32 s16, s20, s5
	s_sub_u32 s29, s7, s4
	s_cselect_b64 s[20:21], -1, 0
	s_cmp_lg_u64 s[20:21], 0
	s_subb_u32 s34, s16, 0
	s_cmp_ge_u32 s34, s5
	s_cselect_b32 s35, -1, 0
	s_cmp_ge_u32 s29, s4
	s_cselect_b32 s36, -1, 0
	s_cmp_eq_u32 s34, s5
	s_cselect_b32 s35, s36, s35
	s_cmp_lg_u64 s[20:21], 0
	s_subb_u32 s16, s16, s5
	s_sub_u32 s36, s29, s4
	s_cselect_b64 s[20:21], -1, 0
	s_cmp_lg_u64 s[20:21], 0
	s_subb_u32 s16, s16, 0
	s_cmp_lg_u32 s35, 0
	s_cselect_b32 s20, s36, s29
	s_cselect_b32 s16, s16, s34
	s_cmp_lg_u64 s[18:19], 0
	s_subb_u32 s17, s17, s28
	s_cmp_ge_u32 s17, s5
	s_cselect_b32 s18, -1, 0
	s_cmp_ge_u32 s7, s4
	s_cselect_b32 s4, -1, 0
	s_cmp_eq_u32 s17, s5
	s_cselect_b32 s4, s4, s18
	s_cmp_lg_u32 s4, 0
	s_cselect_b32 s5, s16, s17
	s_cselect_b32 s4, s20, s7
	s_xor_b64 s[4:5], s[4:5], s[14:15]
	s_sub_u32 s48, s4, s14
	s_subb_u32 s49, s5, s14
	s_cbranch_execnz .LBB5_61
.LBB5_60:                               ;   in Loop: Header=BB5_16 Depth=1
	v_cvt_f32_u32_e32 v2, s6
	s_sub_i32 s4, 0, s6
	v_rcp_iflag_f32_e32 v2, v2
	v_mul_f32_e32 v2, 0x4f7ffffe, v2
	v_cvt_u32_f32_e32 v2, v2
	v_readfirstlane_b32 s5, v2
	s_mul_i32 s4, s4, s5
	s_mul_hi_u32 s4, s5, s4
	s_add_i32 s5, s5, s4
	s_mul_hi_u32 s4, s24, s5
	s_mul_i32 s4, s4, s6
	s_sub_i32 s4, s24, s4
	s_sub_i32 s5, s4, s6
	s_cmp_ge_u32 s4, s6
	s_cselect_b32 s4, s5, s4
	s_sub_i32 s5, s4, s6
	s_cmp_ge_u32 s4, s6
	s_cselect_b32 s52, s5, s4
	s_mov_b64 s[48:49], s[52:53]
.LBB5_61:                               ;   in Loop: Header=BB5_16 Depth=1
	s_sub_u32 s86, s24, s48
	s_subb_u32 s87, s25, s49
	v_cmp_gt_i64_e32 vcc, s[86:87], v[16:17]
	v_mov_b32_e32 v4, 0
	v_mov_b32_e32 v6, 0
	;; [unrolled: 1-line block ×8, first 2 shown]
	s_and_saveexec_b64 s[88:89], vcc
	s_cbranch_execz .LBB5_65
; %bb.62:                               ;   in Loop: Header=BB5_16 Depth=1
	s_mul_i32 s4, s71, s27
	s_mul_hi_u32 s5, s70, s27
	v_mov_b32_e32 v29, v17
	s_add_i32 s7, s5, s4
	s_mov_b64 s[90:91], 0
	s_mov_b64 s[92:93], s[54:55]
	;; [unrolled: 1-line block ×6, first 2 shown]
	v_mov_b32_e32 v28, v16
.LBB5_63:                               ;   Parent Loop BB5_16 Depth=1
                                        ; =>  This Inner Loop Header: Depth=2
	v_add_co_u32_e32 v4, vcc, s92, v23
	v_mov_b32_e32 v2, s93
	v_addc_co_u32_e32 v5, vcc, v2, v24, vcc
	global_load_ubyte v6, v[4:5], off
	v_add_co_u32_e32 v4, vcc, s92, v22
	v_addc_co_u32_e32 v5, vcc, v2, v37, vcc
	global_load_ubyte v7, v[4:5], off
	v_add_co_u32_e32 v4, vcc, s92, v21
	;; [unrolled: 3-line block ×3, first 2 shown]
	v_addc_co_u32_e32 v5, vcc, v2, v35, vcc
	global_load_ubyte v2, v[4:5], off
	s_waitcnt vmcnt(3)
	v_and_b32_e32 v4, v45, v6
	v_cmp_eq_u32_e32 vcc, v4, v43
	s_waitcnt vmcnt(2)
	v_and_b32_e32 v4, v45, v7
	v_cmp_eq_u32_e64 s[4:5], v4, v43
	v_bfe_u32 v5, v7, s12, 2
	s_waitcnt vmcnt(1)
	v_and_b32_e32 v4, v45, v8
	v_cmp_eq_u32_e64 s[16:17], v4, v43
	s_waitcnt vmcnt(0)
	v_and_b32_e32 v4, v45, v2
	v_cmp_eq_u32_e64 s[18:19], v4, v43
	v_bfe_u32 v4, v6, s12, 2
	v_cmp_eq_u32_e64 s[20:21], 0, v4
	v_bfe_u32 v6, v8, s12, 2
	s_and_b64 s[14:15], vcc, s[20:21]
	v_cmp_eq_u32_e64 s[20:21], 0, v5
	v_bfe_u32 v2, v2, s12, 2
	s_and_b64 s[28:29], s[4:5], s[20:21]
	v_cmp_eq_u32_e64 s[20:21], 0, v6
	s_and_b64 s[34:35], s[16:17], s[20:21]
	v_cmp_eq_u32_e64 s[20:21], 0, v2
	v_cndmask_b32_e64 v7, 0, 1, s[14:15]
	s_and_b64 s[40:41], s[18:19], s[20:21]
	v_cmp_ne_u32_e64 s[20:21], 0, v7
	v_cndmask_b32_e64 v7, 0, 1, s[28:29]
	s_bcnt1_i32_b64 s14, s[20:21]
	v_cmp_ne_u32_e64 s[20:21], 0, v7
	v_cndmask_b32_e64 v7, 0, 1, s[34:35]
	s_bcnt1_i32_b64 s15, s[20:21]
	;; [unrolled: 3-line block ×3, first 2 shown]
	v_cmp_ne_u32_e64 s[20:21], 0, v7
	s_bcnt1_i32_b64 s20, s[20:21]
	s_add_u32 s14, s14, s38
	s_addc_u32 s21, 0, s39
	s_add_u32 s14, s14, s15
	s_addc_u32 s15, s21, 0
	;; [unrolled: 2-line block ×3, first 2 shown]
	s_add_u32 s38, s14, s20
	v_cmp_eq_u32_e64 s[20:21], 1, v4
	s_addc_u32 s39, s15, 0
	s_and_b64 s[14:15], vcc, s[20:21]
	v_cmp_eq_u32_e64 s[20:21], 1, v5
	s_and_b64 s[28:29], s[4:5], s[20:21]
	v_cmp_eq_u32_e64 s[20:21], 1, v6
	s_and_b64 s[34:35], s[16:17], s[20:21]
	v_cmp_eq_u32_e64 s[20:21], 1, v2
	v_cndmask_b32_e64 v7, 0, 1, s[14:15]
	s_and_b64 s[40:41], s[18:19], s[20:21]
	v_cmp_ne_u32_e64 s[20:21], 0, v7
	v_cndmask_b32_e64 v7, 0, 1, s[28:29]
	s_bcnt1_i32_b64 s14, s[20:21]
	v_cmp_ne_u32_e64 s[20:21], 0, v7
	v_cndmask_b32_e64 v7, 0, 1, s[34:35]
	s_bcnt1_i32_b64 s15, s[20:21]
	;; [unrolled: 3-line block ×3, first 2 shown]
	v_cmp_ne_u32_e64 s[20:21], 0, v7
	s_bcnt1_i32_b64 s20, s[20:21]
	s_add_u32 s14, s14, s36
	s_addc_u32 s21, 0, s37
	s_add_u32 s14, s14, s15
	s_addc_u32 s15, s21, 0
	s_add_u32 s14, s14, s28
	s_addc_u32 s15, s15, 0
	s_add_u32 s36, s14, s20
	v_cmp_eq_u32_e64 s[20:21], 2, v4
	s_addc_u32 s37, s15, 0
	s_and_b64 s[14:15], vcc, s[20:21]
	v_cmp_eq_u32_e64 s[20:21], 2, v5
	s_and_b64 s[28:29], s[4:5], s[20:21]
	v_cmp_eq_u32_e64 s[20:21], 2, v6
	s_and_b64 s[34:35], s[16:17], s[20:21]
	v_cmp_eq_u32_e64 s[20:21], 2, v2
	v_cndmask_b32_e64 v7, 0, 1, s[14:15]
	s_and_b64 s[40:41], s[18:19], s[20:21]
	v_cmp_ne_u32_e64 s[20:21], 0, v7
	v_cndmask_b32_e64 v7, 0, 1, s[28:29]
	s_bcnt1_i32_b64 s14, s[20:21]
	v_cmp_ne_u32_e64 s[20:21], 0, v7
	v_cndmask_b32_e64 v7, 0, 1, s[34:35]
	s_bcnt1_i32_b64 s15, s[20:21]
	;; [unrolled: 3-line block ×3, first 2 shown]
	v_cmp_ne_u32_e64 s[20:21], 0, v7
	s_bcnt1_i32_b64 s20, s[20:21]
	s_add_u32 s14, s14, s50
	s_addc_u32 s21, 0, s51
	s_add_u32 s14, s14, s15
	s_addc_u32 s15, s21, 0
	;; [unrolled: 2-line block ×3, first 2 shown]
	s_add_u32 s50, s14, s20
	v_cmp_eq_u32_e64 s[20:21], 3, v4
	s_addc_u32 s51, s15, 0
	s_and_b64 s[14:15], vcc, s[20:21]
	v_cmp_eq_u32_e32 vcc, 3, v5
	s_and_b64 s[4:5], s[4:5], vcc
	v_cmp_eq_u32_e32 vcc, 3, v6
	s_and_b64 s[16:17], s[16:17], vcc
	v_cmp_eq_u32_e32 vcc, 3, v2
	v_cndmask_b32_e64 v2, 0, 1, s[14:15]
	s_and_b64 s[18:19], s[18:19], vcc
	v_cmp_ne_u32_e32 vcc, 0, v2
	v_cndmask_b32_e64 v2, 0, 1, s[4:5]
	s_bcnt1_i32_b64 s14, vcc
	v_cmp_ne_u32_e32 vcc, 0, v2
	v_cndmask_b32_e64 v2, 0, 1, s[16:17]
	s_bcnt1_i32_b64 s4, vcc
	;; [unrolled: 3-line block ×3, first 2 shown]
	v_cmp_ne_u32_e32 vcc, 0, v2
	s_bcnt1_i32_b64 s15, vcc
	s_add_u32 s14, s14, s94
	s_addc_u32 s16, 0, s95
	s_add_u32 s4, s14, s4
	s_addc_u32 s14, s16, 0
	;; [unrolled: 2-line block ×3, first 2 shown]
	s_add_u32 s94, s4, s15
	v_add_co_u32_e32 v28, vcc, s6, v28
	s_addc_u32 s95, s5, 0
	v_addc_co_u32_e32 v29, vcc, 0, v29, vcc
	s_mul_i32 s4, s70, s27
	s_add_u32 s92, s92, s4
	v_cmp_le_i64_e32 vcc, s[86:87], v[28:29]
	s_addc_u32 s93, s93, s7
	v_mov_b32_e32 v4, s38
	v_mov_b32_e32 v6, s36
	;; [unrolled: 1-line block ×4, first 2 shown]
	s_or_b64 s[90:91], vcc, s[90:91]
	v_mov_b32_e32 v5, s39
	v_mov_b32_e32 v7, s37
	;; [unrolled: 1-line block ×4, first 2 shown]
	s_andn2_b64 exec, exec, s[90:91]
	s_cbranch_execnz .LBB5_63
; %bb.64:                               ;   in Loop: Header=BB5_16 Depth=1
	s_or_b64 exec, exec, s[90:91]
.LBB5_65:                               ;   in Loop: Header=BB5_16 Depth=1
	s_or_b64 exec, exec, s[88:89]
	v_mov_b32_e32 v2, s87
	v_add_co_u32_e32 v28, vcc, s86, v0
	v_addc_co_u32_e32 v29, vcc, 0, v2, vcc
	v_cmp_gt_i64_e32 vcc, s[24:25], v[28:29]
	s_and_saveexec_b64 s[6:7], vcc
	s_cbranch_execz .LBB5_71
; %bb.66:                               ;   in Loop: Header=BB5_16 Depth=1
	v_mov_b32_e32 v30, s54
	v_mov_b32_e32 v31, s55
	v_mad_u64_u32 v[30:31], s[4:5], v28, s30, v[30:31]
	v_mul_lo_u32 v2, v28, s31
	v_mul_lo_u32 v47, v29, s30
	v_readlane_b32 s4, v57, 29
	v_readlane_b32 s5, v57, 30
	s_mov_b64 s[14:15], 0
	v_add3_u32 v31, v47, v31, v2
	global_load_ubyte v2, v[30:31], off
	v_add_co_u32_e32 v30, vcc, s27, v40
	v_addc_co_u32_e32 v31, vcc, 0, v41, vcc
	v_mov_b32_e32 v47, s49
	v_subrev_co_u32_e32 v48, vcc, s48, v30
	v_subb_co_u32_e32 v30, vcc, v31, v47, vcc
	v_mul_lo_u32 v47, s30, v30
	v_mov_b32_e32 v31, s5
	v_mov_b32_e32 v30, s4
	v_mul_lo_u32 v49, s31, v48
	v_mad_u64_u32 v[30:31], s[4:5], s30, v48, v[30:31]
	s_mul_i32 s4, s31, s27
	s_mul_hi_u32 s5, s30, s27
	v_add3_u32 v31, v49, v31, v47
	s_add_i32 s18, s5, s4
	s_branch .LBB5_68
.LBB5_67:                               ;   in Loop: Header=BB5_68 Depth=2
	s_or_b64 exec, exec, s[16:17]
	s_waitcnt vmcnt(0)
	v_and_b32_e32 v2, 0xff, v2
	s_and_b64 s[4:5], exec, vcc
	v_and_b32_e32 v48, v45, v2
	v_bfe_u32 v2, v2, s12, 2
	s_or_b64 s[14:15], s[4:5], s[14:15]
	v_cmp_eq_u32_e32 vcc, v48, v43
	v_cmp_eq_u32_e64 s[4:5], 0, v2
	s_and_b64 s[4:5], vcc, s[4:5]
	v_cndmask_b32_e64 v48, 0, 1, s[4:5]
	v_cmp_ne_u32_e64 s[4:5], 0, v48
	s_bcnt1_i32_b64 s4, s[4:5]
	v_add_co_u32_e64 v4, s[4:5], s4, v4
	v_addc_co_u32_e64 v5, s[4:5], 0, v5, s[4:5]
	v_cmp_eq_u32_e64 s[4:5], 1, v2
	s_and_b64 s[4:5], vcc, s[4:5]
	v_cndmask_b32_e64 v48, 0, 1, s[4:5]
	v_cmp_ne_u32_e64 s[4:5], 0, v48
	s_bcnt1_i32_b64 s4, s[4:5]
	v_add_co_u32_e64 v6, s[4:5], s4, v6
	v_addc_co_u32_e64 v7, s[4:5], 0, v7, s[4:5]
	;; [unrolled: 7-line block ×3, first 2 shown]
	v_cmp_eq_u32_e64 s[4:5], 3, v2
	s_and_b64 s[4:5], vcc, s[4:5]
	v_cndmask_b32_e64 v2, 0, 1, s[4:5]
	v_cmp_ne_u32_e32 vcc, 0, v2
	s_bcnt1_i32_b64 s4, vcc
	v_add_co_u32_e32 v10, vcc, s4, v10
	v_addc_co_u32_e32 v11, vcc, 0, v11, vcc
	s_mul_i32 s4, s30, s27
	v_mov_b32_e32 v2, s18
	v_add_co_u32_e32 v30, vcc, s4, v30
	v_addc_co_u32_e32 v31, vcc, v31, v2, vcc
	v_mov_b32_e32 v2, v47
	s_andn2_b64 exec, exec, s[14:15]
	s_cbranch_execz .LBB5_70
.LBB5_68:                               ;   Parent Loop BB5_16 Depth=1
                                        ; =>  This Inner Loop Header: Depth=2
	v_add_co_u32_e32 v28, vcc, s27, v28
	v_addc_co_u32_e32 v29, vcc, 0, v29, vcc
	v_cmp_gt_i64_e64 s[4:5], s[24:25], v[28:29]
	v_cmp_le_i64_e32 vcc, s[24:25], v[28:29]
	v_mov_b32_e32 v47, 0
	s_and_saveexec_b64 s[16:17], s[4:5]
	s_cbranch_execz .LBB5_67
; %bb.69:                               ;   in Loop: Header=BB5_68 Depth=2
	global_load_ubyte v47, v[30:31], off
	s_branch .LBB5_67
.LBB5_70:                               ;   in Loop: Header=BB5_16 Depth=1
	s_or_b64 exec, exec, s[14:15]
.LBB5_71:                               ;   in Loop: Header=BB5_16 Depth=1
	s_or_b64 exec, exec, s[6:7]
	s_branch .LBB5_50
.LBB5_72:                               ;   in Loop: Header=BB5_16 Depth=1
	global_load_ushort v2, v3, s[62:63]
	v_mov_b32_e32 v8, 0
	v_mov_b32_e32 v9, 0
	s_waitcnt vmcnt(0)
	v_readfirstlane_b32 s4, v2
	s_and_b32 s27, 0xffff, s4
	s_lshl_b32 s6, s27, 2
	v_cvt_f32_u32_e32 v4, s6
	s_sub_i32 s4, 0, s6
	v_rcp_iflag_f32_e32 v6, v4
	v_mov_b32_e32 v4, 0
	v_mov_b32_e32 v5, 0
	v_mul_f32_e32 v6, 0x4f7ffffe, v6
	v_cvt_u32_f32_e32 v10, v6
	v_mov_b32_e32 v6, 0
	v_mov_b32_e32 v7, 0
	v_readfirstlane_b32 s5, v10
	s_mul_i32 s4, s4, s5
	s_mul_hi_u32 s4, s5, s4
	s_add_i32 s5, s5, s4
	s_mul_hi_u32 s4, s26, s5
	s_mul_i32 s5, s4, s6
	s_sub_i32 s5, s26, s5
	s_add_i32 s7, s4, 1
	s_sub_i32 s14, s5, s6
	s_cmp_ge_u32 s5, s6
	s_cselect_b32 s4, s7, s4
	s_cselect_b32 s5, s14, s5
	s_add_i32 s7, s4, 1
	s_cmp_ge_u32 s5, s6
	s_cselect_b32 s4, s7, s4
	s_mul_hi_u32 s37, s27, s4
	s_mul_i32 s36, s27, s4
	s_lshl_b64 s[38:39], s[36:37], 2
	v_cmp_gt_u64_e32 vcc, s[38:39], v[16:17]
	v_mov_b32_e32 v10, 0
	v_mov_b32_e32 v11, 0
	s_and_saveexec_b64 s[48:49], vcc
	s_cbranch_execz .LBB5_76
; %bb.73:                               ;   in Loop: Header=BB5_16 Depth=1
	v_mov_b32_e32 v29, v17
	s_mov_b64 s[50:51], 0
	v_mov_b32_e32 v30, v16
	s_mov_b64 s[86:87], 0
	s_mov_b64 s[88:89], 0
	;; [unrolled: 1-line block ×4, first 2 shown]
	v_mov_b32_e32 v28, v16
.LBB5_74:                               ;   Parent Loop BB5_16 Depth=1
                                        ; =>  This Inner Loop Header: Depth=2
	ds_read_b32 v4, v30
	v_add_u32_e32 v30, s6, v30
	s_waitcnt lgkmcnt(0)
	v_and_b32_e32 v6, 0xff, v4
	v_bfe_u32 v7, v4, 8, 8
	v_and_b32_e32 v8, v45, v6
	v_bfe_u32 v6, v6, s12, 2
	v_lshrrev_b32_e32 v5, 24, v4
	v_bfe_u32 v4, v4, 16, 8
	v_cmp_eq_u32_e32 vcc, v8, v43
	v_and_b32_e32 v8, v45, v7
	v_bfe_u32 v7, v7, s12, 2
	v_cmp_eq_u32_e64 s[20:21], 0, v6
	v_cmp_eq_u32_e64 s[4:5], v8, v43
	v_and_b32_e32 v8, v45, v4
	v_bfe_u32 v4, v4, s12, 2
	s_and_b64 s[14:15], vcc, s[20:21]
	v_cmp_eq_u32_e64 s[20:21], 0, v7
	v_cmp_eq_u32_e64 s[16:17], v8, v43
	v_and_b32_e32 v8, v45, v5
	v_bfe_u32 v5, v5, s12, 2
	s_and_b64 s[28:29], s[4:5], s[20:21]
	v_cmp_eq_u32_e64 s[20:21], 0, v4
	v_cmp_eq_u32_e64 s[18:19], v8, v43
	s_and_b64 s[34:35], s[16:17], s[20:21]
	v_cmp_eq_u32_e64 s[20:21], 0, v5
	v_cndmask_b32_e64 v8, 0, 1, s[14:15]
	s_and_b64 s[40:41], s[18:19], s[20:21]
	v_cmp_ne_u32_e64 s[20:21], 0, v8
	v_cndmask_b32_e64 v8, 0, 1, s[28:29]
	s_bcnt1_i32_b64 s7, s[20:21]
	v_cmp_ne_u32_e64 s[20:21], 0, v8
	v_cndmask_b32_e64 v8, 0, 1, s[34:35]
	s_bcnt1_i32_b64 s14, s[20:21]
	;; [unrolled: 3-line block ×3, first 2 shown]
	v_cmp_ne_u32_e64 s[20:21], 0, v8
	s_bcnt1_i32_b64 s20, s[20:21]
	s_add_u32 s7, s7, s92
	s_addc_u32 s21, 0, s93
	s_add_u32 s7, s7, s14
	s_addc_u32 s14, s21, 0
	;; [unrolled: 2-line block ×3, first 2 shown]
	s_add_u32 s92, s7, s20
	v_cmp_eq_u32_e64 s[20:21], 1, v6
	s_addc_u32 s93, s14, 0
	s_and_b64 s[14:15], vcc, s[20:21]
	v_cmp_eq_u32_e64 s[20:21], 1, v7
	s_and_b64 s[28:29], s[4:5], s[20:21]
	v_cmp_eq_u32_e64 s[20:21], 1, v4
	s_and_b64 s[34:35], s[16:17], s[20:21]
	v_cmp_eq_u32_e64 s[20:21], 1, v5
	v_cndmask_b32_e64 v8, 0, 1, s[14:15]
	s_and_b64 s[40:41], s[18:19], s[20:21]
	v_cmp_ne_u32_e64 s[20:21], 0, v8
	v_cndmask_b32_e64 v8, 0, 1, s[28:29]
	s_bcnt1_i32_b64 s7, s[20:21]
	v_cmp_ne_u32_e64 s[20:21], 0, v8
	v_cndmask_b32_e64 v8, 0, 1, s[34:35]
	s_bcnt1_i32_b64 s14, s[20:21]
	;; [unrolled: 3-line block ×3, first 2 shown]
	v_cmp_ne_u32_e64 s[20:21], 0, v8
	s_bcnt1_i32_b64 s20, s[20:21]
	s_add_u32 s7, s7, s90
	s_addc_u32 s21, 0, s91
	s_add_u32 s7, s7, s14
	s_addc_u32 s14, s21, 0
	;; [unrolled: 2-line block ×3, first 2 shown]
	s_add_u32 s90, s7, s20
	v_cmp_eq_u32_e64 s[20:21], 2, v6
	s_addc_u32 s91, s14, 0
	s_and_b64 s[14:15], vcc, s[20:21]
	v_cmp_eq_u32_e64 s[20:21], 2, v7
	s_and_b64 s[28:29], s[4:5], s[20:21]
	v_cmp_eq_u32_e64 s[20:21], 2, v4
	s_and_b64 s[34:35], s[16:17], s[20:21]
	v_cmp_eq_u32_e64 s[20:21], 2, v5
	v_cndmask_b32_e64 v8, 0, 1, s[14:15]
	s_and_b64 s[40:41], s[18:19], s[20:21]
	v_cmp_ne_u32_e64 s[20:21], 0, v8
	v_cndmask_b32_e64 v8, 0, 1, s[28:29]
	s_bcnt1_i32_b64 s7, s[20:21]
	v_cmp_ne_u32_e64 s[20:21], 0, v8
	v_cndmask_b32_e64 v8, 0, 1, s[34:35]
	s_bcnt1_i32_b64 s14, s[20:21]
	;; [unrolled: 3-line block ×3, first 2 shown]
	v_cmp_ne_u32_e64 s[20:21], 0, v8
	s_bcnt1_i32_b64 s20, s[20:21]
	s_add_u32 s7, s7, s88
	s_addc_u32 s21, 0, s89
	s_add_u32 s7, s7, s14
	s_addc_u32 s14, s21, 0
	;; [unrolled: 2-line block ×3, first 2 shown]
	s_add_u32 s88, s7, s20
	v_cmp_eq_u32_e64 s[20:21], 3, v6
	s_addc_u32 s89, s14, 0
	s_and_b64 s[14:15], vcc, s[20:21]
	v_cmp_eq_u32_e32 vcc, 3, v7
	s_and_b64 s[4:5], s[4:5], vcc
	v_cmp_eq_u32_e32 vcc, 3, v4
	s_and_b64 s[16:17], s[16:17], vcc
	v_cmp_eq_u32_e32 vcc, 3, v5
	v_cndmask_b32_e64 v4, 0, 1, s[14:15]
	s_and_b64 s[18:19], s[18:19], vcc
	v_cmp_ne_u32_e32 vcc, 0, v4
	v_cndmask_b32_e64 v4, 0, 1, s[4:5]
	s_bcnt1_i32_b64 s7, vcc
	v_cmp_ne_u32_e32 vcc, 0, v4
	v_cndmask_b32_e64 v4, 0, 1, s[16:17]
	s_bcnt1_i32_b64 s4, vcc
	;; [unrolled: 3-line block ×3, first 2 shown]
	v_cmp_ne_u32_e32 vcc, 0, v4
	s_bcnt1_i32_b64 s14, vcc
	s_add_u32 s7, s7, s86
	s_addc_u32 s15, 0, s87
	s_add_u32 s4, s7, s4
	s_addc_u32 s7, s15, 0
	s_add_u32 s4, s4, s5
	v_add_co_u32_e32 v28, vcc, s6, v28
	s_addc_u32 s5, s7, 0
	v_addc_co_u32_e32 v29, vcc, 0, v29, vcc
	s_add_u32 s86, s4, s14
	v_cmp_le_u64_e32 vcc, s[38:39], v[28:29]
	s_addc_u32 s87, s5, 0
	v_mov_b32_e32 v4, s92
	v_mov_b32_e32 v6, s90
	;; [unrolled: 1-line block ×4, first 2 shown]
	s_or_b64 s[50:51], vcc, s[50:51]
	v_mov_b32_e32 v5, s93
	v_mov_b32_e32 v7, s91
	;; [unrolled: 1-line block ×4, first 2 shown]
	s_andn2_b64 exec, exec, s[50:51]
	s_cbranch_execnz .LBB5_74
; %bb.75:                               ;   in Loop: Header=BB5_16 Depth=1
	s_or_b64 exec, exec, s[50:51]
.LBB5_76:                               ;   in Loop: Header=BB5_16 Depth=1
	s_or_b64 exec, exec, s[48:49]
	v_mov_b32_e32 v29, s39
	v_add_co_u32_e32 v28, vcc, s38, v0
	s_and_b32 s52, s26, 0x7fffffff
	v_addc_co_u32_e32 v29, vcc, 0, v29, vcc
	v_cmp_gt_u64_e32 vcc, s[52:53], v[28:29]
	s_and_saveexec_b64 s[6:7], vcc
	s_cbranch_execz .LBB5_80
; %bb.77:                               ;   in Loop: Header=BB5_16 Depth=1
	v_lshl_add_u32 v30, s36, 2, v0
	s_mov_b64 s[14:15], 0
.LBB5_78:                               ;   Parent Loop BB5_16 Depth=1
                                        ; =>  This Inner Loop Header: Depth=2
	ds_read_u8 v31, v30
	v_add_u32_e32 v30, s27, v30
	s_waitcnt lgkmcnt(0)
	v_and_b32_e32 v47, v45, v31
	v_bfe_u32 v31, v31, s12, 2
	v_cmp_eq_u32_e32 vcc, v47, v43
	v_cmp_eq_u32_e64 s[4:5], 0, v31
	s_and_b64 s[4:5], vcc, s[4:5]
	v_cndmask_b32_e64 v47, 0, 1, s[4:5]
	v_cmp_ne_u32_e64 s[4:5], 0, v47
	s_bcnt1_i32_b64 s4, s[4:5]
	v_add_co_u32_e64 v4, s[4:5], s4, v4
	v_addc_co_u32_e64 v5, s[4:5], 0, v5, s[4:5]
	v_cmp_eq_u32_e64 s[4:5], 1, v31
	s_and_b64 s[4:5], vcc, s[4:5]
	v_cndmask_b32_e64 v47, 0, 1, s[4:5]
	v_cmp_ne_u32_e64 s[4:5], 0, v47
	s_bcnt1_i32_b64 s4, s[4:5]
	v_add_co_u32_e64 v6, s[4:5], s4, v6
	v_addc_co_u32_e64 v7, s[4:5], 0, v7, s[4:5]
	;; [unrolled: 7-line block ×3, first 2 shown]
	v_cmp_eq_u32_e64 s[4:5], 3, v31
	s_and_b64 s[4:5], vcc, s[4:5]
	v_cndmask_b32_e64 v31, 0, 1, s[4:5]
	v_cmp_ne_u32_e32 vcc, 0, v31
	s_bcnt1_i32_b64 s4, vcc
	v_add_co_u32_e32 v10, vcc, s4, v10
	v_addc_co_u32_e32 v11, vcc, 0, v11, vcc
	v_add_co_u32_sdwa v28, vcc, v28, v2 dst_sel:DWORD dst_unused:UNUSED_PAD src0_sel:DWORD src1_sel:WORD_0
	v_addc_co_u32_e32 v29, vcc, 0, v29, vcc
	v_cmp_le_u64_e32 vcc, s[52:53], v[28:29]
	s_or_b64 s[14:15], vcc, s[14:15]
	s_andn2_b64 exec, exec, s[14:15]
	s_cbranch_execnz .LBB5_78
; %bb.79:                               ;   in Loop: Header=BB5_16 Depth=1
	s_or_b64 exec, exec, s[14:15]
.LBB5_80:                               ;   in Loop: Header=BB5_16 Depth=1
	s_or_b64 exec, exec, s[6:7]
	s_lshl_b32 s6, s8, 6
	s_and_saveexec_b64 s[4:5], s[10:11]
	s_cbranch_execnz .LBB5_51
	s_branch .LBB5_52
.LBB5_81:                               ;   in Loop: Header=BB5_16 Depth=1
                                        ; implicit-def: $sgpr48_sgpr49
	s_branch .LBB5_60
.LBB5_82:                               ;   in Loop: Header=BB5_16 Depth=1
	s_or_b64 exec, exec, s[14:15]
	s_waitcnt lgkmcnt(0)
	s_barrier
	s_mov_b64 s[4:5], exec
	v_readlane_b32 s14, v57, 10
	v_readlane_b32 s15, v57, 11
	s_and_b64 s[14:15], s[4:5], s[14:15]
	s_mov_b64 exec, s[14:15]
	s_cbranch_execz .LBB5_84
; %bb.83:                               ;   in Loop: Header=BB5_16 Depth=1
	ds_read_b32 v4, v3 offset:5136
	s_waitcnt lgkmcnt(0)
	v_ashrrev_i32_e32 v5, 31, v4
	ds_write_b64 v3, v[4:5] offset:5120
.LBB5_84:                               ;   in Loop: Header=BB5_16 Depth=1
	s_or_b64 exec, exec, s[4:5]
	s_waitcnt lgkmcnt(0)
	s_barrier
	s_mov_b64 s[4:5], -1
	s_and_b64 vcc, exec, s[6:7]
	s_cbranch_vccnz .LBB5_31
	s_branch .LBB5_46
.LBB5_85:                               ;   in Loop: Header=BB5_16 Depth=1
	v_mov_b32_e32 v4, 0
	v_mov_b32_e32 v5, 0
	s_mov_b32 s7, 0
.LBB5_86:                               ;   in Loop: Header=BB5_16 Depth=1
	v_readlane_b32 s14, v57, 27
	v_readlane_b32 s15, v57, 28
	s_andn2_b64 vcc, exec, s[14:15]
	s_cbranch_vccnz .LBB5_89
; %bb.87:                               ;   in Loop: Header=BB5_16 Depth=1
	s_lshl_b32 s14, s8, 9
	s_lshl_b32 s7, s7, 5
	s_add_i32 s14, s14, s7
	v_add_u32_e32 v2, s14, v42
	v_readlane_b32 s7, v57, 26
.LBB5_88:                               ;   Parent Loop BB5_16 Depth=1
                                        ; =>  This Inner Loop Header: Depth=2
	ds_read_b64 v[6:7], v2
	s_add_i32 s7, s7, -1
	v_add_u32_e32 v2, 32, v2
	s_cmp_lg_u32 s7, 0
	s_waitcnt lgkmcnt(0)
	v_add_co_u32_e32 v4, vcc, v6, v4
	v_addc_co_u32_e32 v5, vcc, v7, v5, vcc
	s_cbranch_scc1 .LBB5_88
.LBB5_89:                               ;   in Loop: Header=BB5_16 Depth=1
	v_add_lshl_u32 v2, s6, v32, 3
	ds_write_b64 v2, v[4:5] offset:3072
.LBB5_90:                               ;   in Loop: Header=BB5_16 Depth=1
	s_or_b64 exec, exec, s[4:5]
	s_lshl_b32 s4, s6, 3
	v_mov_b32_e32 v2, s4
	s_waitcnt lgkmcnt(0)
	s_barrier
	ds_read_b128 v[8:11], v2 offset:3088
	ds_read_b128 v[4:7], v2 offset:3072
	v_cmp_eq_u64_e64 s[4:5], 1, v[26:27]
	s_lshl_b32 s56, 3, s12
	s_not_b32 s46, s56
	s_waitcnt lgkmcnt(1)
	v_readfirstlane_b32 s86, v8
	s_waitcnt lgkmcnt(0)
	v_cmp_eq_u64_e32 vcc, 1, v[4:5]
	v_readfirstlane_b32 s87, v9
	v_readfirstlane_b32 s16, v10
	;; [unrolled: 1-line block ×3, first 2 shown]
	s_and_b64 s[20:21], vcc, s[4:5]
	s_mov_b64 s[4:5], -1
	s_mov_b64 s[14:15], -1
                                        ; implicit-def: $sgpr36_sgpr37
                                        ; implicit-def: $sgpr6_sgpr7
	s_and_saveexec_b64 s[18:19], s[20:21]
	s_cbranch_execz .LBB5_122
; %bb.91:                               ;   in Loop: Header=BB5_16 Depth=1
	ds_read_b64 v[8:9], v3 offset:5120
	s_waitcnt lgkmcnt(0)
	s_barrier
	v_readfirstlane_b32 s26, v8
	v_readfirstlane_b32 s27, v9
	s_mov_b64 s[6:7], exec
	v_readlane_b32 s14, v57, 39
	v_readlane_b32 s15, v57, 40
	s_and_b64 s[14:15], s[6:7], s[14:15]
	s_mov_b64 exec, s[14:15]
; %bb.92:                               ;   in Loop: Header=BB5_16 Depth=1
	ds_write_b8 v0, v3 offset:3072
; %bb.93:                               ;   in Loop: Header=BB5_16 Depth=1
	s_or_b64 exec, exec, s[6:7]
	v_cmp_lt_i64_e64 s[14:15], s[26:27], 1
	v_and_b32_e32 v43, s46, v43
	v_or_b32_e32 v45, s56, v45
	s_mov_b64 s[6:7], -1
	s_mov_b64 s[36:37], 0
	s_and_b64 vcc, exec, s[14:15]
	s_mov_b64 s[14:15], 0
	s_mov_b64 s[38:39], -1
	s_waitcnt lgkmcnt(0)
	s_barrier
                                        ; implicit-def: $vgpr46
	s_cbranch_vccz .LBB5_107
; %bb.94:                               ;   in Loop: Header=BB5_16 Depth=1
	s_mov_b32 s60, s53
	s_cmp_lg_u64 s[60:61], 0
	s_cbranch_scc0 .LBB5_148
; %bb.95:                               ;   in Loop: Header=BB5_16 Depth=1
	s_add_u32 s14, s23, 0
	s_addc_u32 s15, 0, 0
	s_xor_b64 s[14:15], s[14:15], 0
	v_cvt_f32_u32_e32 v2, s14
	v_cvt_f32_u32_e32 v8, s15
	s_sub_u32 s34, 0, s14
	s_subb_u32 s35, 0, s15
	v_readlane_b32 s49, v57, 18
	v_mac_f32_e32 v2, 0x4f800000, v8
	v_rcp_f32_e32 v2, v2
	v_mul_f32_e32 v2, 0x5f7ffffc, v2
	v_mul_f32_e32 v8, 0x2f800000, v2
	v_trunc_f32_e32 v8, v8
	v_mac_f32_e32 v2, 0xcf800000, v8
	v_cvt_u32_f32_e32 v8, v8
	v_cvt_u32_f32_e32 v2, v2
	v_readfirstlane_b32 s38, v8
	v_readfirstlane_b32 s28, v2
	s_mul_i32 s29, s34, s38
	s_mul_hi_u32 s40, s34, s28
	s_mul_i32 s39, s35, s28
	s_add_i32 s29, s40, s29
	s_mul_i32 s41, s34, s28
	s_add_i32 s29, s29, s39
	s_mul_i32 s40, s28, s29
	s_mul_hi_u32 s42, s28, s41
	s_mul_hi_u32 s39, s28, s29
	s_add_u32 s40, s42, s40
	s_addc_u32 s39, 0, s39
	s_mul_hi_u32 s43, s38, s41
	s_mul_i32 s41, s38, s41
	s_add_u32 s40, s40, s41
	s_mul_hi_u32 s42, s38, s29
	s_addc_u32 s39, s39, s43
	s_addc_u32 s40, s42, 0
	s_mul_i32 s29, s38, s29
	s_add_u32 s29, s39, s29
	s_addc_u32 s39, 0, s40
	s_add_u32 s40, s28, s29
	s_cselect_b64 s[28:29], -1, 0
	s_cmp_lg_u64 s[28:29], 0
	s_addc_u32 s38, s38, s39
	s_mul_i32 s28, s34, s38
	s_mul_hi_u32 s29, s34, s40
	s_add_i32 s28, s29, s28
	s_mul_i32 s35, s35, s40
	s_add_i32 s28, s28, s35
	s_mul_i32 s34, s34, s40
	s_mul_hi_u32 s35, s38, s34
	s_mul_i32 s39, s38, s34
	s_mul_i32 s42, s40, s28
	s_mul_hi_u32 s34, s40, s34
	s_mul_hi_u32 s41, s40, s28
	s_add_u32 s34, s34, s42
	s_addc_u32 s41, 0, s41
	s_add_u32 s34, s34, s39
	s_mul_hi_u32 s29, s38, s28
	s_addc_u32 s34, s41, s35
	s_addc_u32 s29, s29, 0
	s_mul_i32 s28, s38, s28
	s_add_u32 s28, s34, s28
	s_addc_u32 s34, 0, s29
	s_add_u32 s39, s40, s28
	s_cselect_b64 s[28:29], -1, 0
	s_cmp_lg_u64 s[28:29], 0
	s_addc_u32 s38, s38, s34
	s_ashr_i32 s28, s61, 31
	s_add_u32 s34, s49, s28
	s_mov_b32 s29, s28
	s_addc_u32 s35, s61, s28
	s_xor_b64 s[34:35], s[34:35], s[28:29]
	s_mul_i32 s41, s34, s38
	s_mul_hi_u32 s42, s34, s39
	s_mul_hi_u32 s40, s34, s38
	s_add_u32 s41, s42, s41
	s_addc_u32 s40, 0, s40
	s_mul_hi_u32 s43, s35, s39
	s_mul_i32 s39, s35, s39
	s_add_u32 s39, s41, s39
	s_mul_hi_u32 s42, s35, s38
	s_addc_u32 s39, s40, s43
	s_addc_u32 s40, s42, 0
	s_mul_i32 s38, s35, s38
	s_add_u32 s38, s39, s38
	s_addc_u32 s39, 0, s40
	s_mul_i32 s39, s14, s39
	s_mul_hi_u32 s40, s14, s38
	s_add_i32 s39, s40, s39
	s_mul_i32 s40, s15, s38
	s_add_i32 s42, s39, s40
	s_sub_i32 s40, s35, s42
	s_mul_i32 s38, s14, s38
	s_sub_u32 s34, s34, s38
	s_cselect_b64 s[38:39], -1, 0
	s_cmp_lg_u64 s[38:39], 0
	s_subb_u32 s43, s40, s15
	s_sub_u32 s44, s34, s14
	s_cselect_b64 s[40:41], -1, 0
	s_cmp_lg_u64 s[40:41], 0
	s_subb_u32 s45, s43, 0
	s_cmp_ge_u32 s45, s15
	s_cselect_b32 s47, -1, 0
	s_cmp_ge_u32 s44, s14
	s_cselect_b32 s48, -1, 0
	s_cmp_eq_u32 s45, s15
	s_cselect_b32 s47, s48, s47
	s_cmp_lg_u64 s[40:41], 0
	s_subb_u32 s43, s43, s15
	s_sub_u32 s48, s44, s14
	s_cselect_b64 s[40:41], -1, 0
	s_cmp_lg_u64 s[40:41], 0
	s_subb_u32 s40, s43, 0
	s_cmp_lg_u32 s47, 0
	s_cselect_b32 s41, s48, s44
	s_cselect_b32 s40, s40, s45
	s_cmp_lg_u64 s[38:39], 0
	s_subb_u32 s35, s35, s42
	s_cmp_ge_u32 s35, s15
	s_cselect_b32 s38, -1, 0
	s_cmp_ge_u32 s34, s14
	s_cselect_b32 s14, -1, 0
	s_cmp_eq_u32 s35, s15
	s_cselect_b32 s14, s14, s38
	s_cmp_lg_u32 s14, 0
	s_cselect_b32 s15, s40, s35
	s_cselect_b32 s14, s41, s34
	s_xor_b64 s[14:15], s[14:15], s[28:29]
	s_sub_u32 s14, s14, s28
	s_subb_u32 s15, s15, s28
	s_cbranch_execnz .LBB5_97
.LBB5_96:                               ;   in Loop: Header=BB5_16 Depth=1
	v_cvt_f32_u32_e32 v2, s23
	s_sub_i32 s14, 0, s23
	v_rcp_iflag_f32_e32 v2, v2
	v_mul_f32_e32 v2, 0x4f7ffffe, v2
	v_cvt_u32_f32_e32 v2, v2
	v_readfirstlane_b32 s15, v2
	s_mul_i32 s14, s14, s15
	s_mul_hi_u32 s14, s15, s14
	s_add_i32 s15, s15, s14
	s_mul_hi_u32 s14, s49, s15
	s_mul_i32 s14, s14, s23
	s_sub_i32 s14, s49, s14
	s_sub_i32 s15, s14, s23
	s_cmp_ge_u32 s14, s23
	s_cselect_b32 s14, s15, s14
	s_sub_i32 s15, s14, s23
	s_cmp_ge_u32 s14, s23
	s_cselect_b32 s52, s15, s14
	s_mov_b64 s[14:15], s[52:53]
.LBB5_97:                               ;   in Loop: Header=BB5_16 Depth=1
	s_sub_u32 s28, s49, s14
	s_subb_u32 s29, s61, s15
	v_cmp_gt_i64_e32 vcc, s[28:29], v[0:1]
	s_mov_b64 s[38:39], 0
	s_mov_b64 s[14:15], 0
                                        ; implicit-def: $vgpr46
	s_and_saveexec_b64 s[40:41], vcc
	s_cbranch_execz .LBB5_106
; %bb.98:                               ;   in Loop: Header=BB5_16 Depth=1
	v_mov_b32_e32 v8, v12
	v_mov_b32_e32 v11, v1
	;; [unrolled: 1-line block ×4, first 2 shown]
                                        ; implicit-def: $sgpr34_sgpr35
	s_branch .LBB5_101
.LBB5_99:                               ;   in Loop: Header=BB5_101 Depth=2
	s_or_b64 exec, exec, s[42:43]
	s_waitcnt lgkmcnt(0)
	s_barrier
	ds_read_u16 v2, v3 offset:3072
	s_mov_b64 s[42:43], -1
	s_waitcnt lgkmcnt(0)
	s_barrier
	v_cmp_ne_u32_sdwa s[44:45], v2, v3 src0_sel:BYTE_0 src1_sel:DWORD
	s_and_b64 vcc, exec, s[44:45]
	s_mov_b64 s[44:45], -1
	s_cbranch_vccz .LBB5_104
.LBB5_100:                              ;   in Loop: Header=BB5_101 Depth=2
	s_and_b64 s[42:43], exec, s[42:43]
	s_or_b64 s[14:15], s[42:43], s[14:15]
	s_andn2_b64 s[34:35], s[34:35], exec
	s_and_b64 s[42:43], s[44:45], exec
	s_or_b64 s[34:35], s[34:35], s[42:43]
	s_andn2_b64 exec, exec, s[14:15]
	s_cbranch_execz .LBB5_105
.LBB5_101:                              ;   Parent Loop BB5_16 Depth=1
                                        ; =>  This Inner Loop Header: Depth=2
	v_cmp_gt_i64_e32 vcc, s[24:25], v[10:11]
	s_and_saveexec_b64 s[42:43], vcc
	s_cbranch_execz .LBB5_99
; %bb.102:                              ;   in Loop: Header=BB5_101 Depth=2
	global_load_ubyte v2, v[8:9], off
	s_waitcnt vmcnt(0)
	v_and_b32_e32 v28, v2, v45
	v_cmp_eq_u32_sdwa s[44:45], v28, v43 src0_sel:BYTE_0 src1_sel:DWORD
	s_and_b64 exec, exec, s[44:45]
	s_cbranch_execz .LBB5_99
; %bb.103:                              ;   in Loop: Header=BB5_101 Depth=2
	v_lshlrev_b16_e32 v2, 8, v2
	v_or_b32_e32 v2, 1, v2
	ds_write_b16 v3, v2 offset:3072
	s_branch .LBB5_99
.LBB5_104:                              ;   in Loop: Header=BB5_101 Depth=2
	v_add_co_u32_e32 v10, vcc, s23, v10
	v_addc_co_u32_e32 v11, vcc, 0, v11, vcc
	v_mov_b32_e32 v28, s33
	v_add_co_u32_e32 v8, vcc, s22, v8
	v_addc_co_u32_e32 v9, vcc, v9, v28, vcc
	v_cmp_le_i64_e32 vcc, s[28:29], v[10:11]
	s_mov_b64 s[44:45], 0
	s_orn2_b64 s[42:43], vcc, exec
	s_branch .LBB5_100
.LBB5_105:                              ;   in Loop: Header=BB5_16 Depth=1
	s_or_b64 exec, exec, s[14:15]
	v_lshrrev_b32_sdwa v46, v44, v2 dst_sel:DWORD dst_unused:UNUSED_PAD src0_sel:DWORD src1_sel:WORD_0
	s_and_b64 s[14:15], s[34:35], exec
.LBB5_106:                              ;   in Loop: Header=BB5_16 Depth=1
	s_or_b64 exec, exec, s[40:41]
.LBB5_107:                              ;   in Loop: Header=BB5_16 Depth=1
	s_and_b64 vcc, exec, s[38:39]
	s_cbranch_vccz .LBB5_121
; %bb.108:                              ;   in Loop: Header=BB5_16 Depth=1
	s_add_u32 s38, s26, s57
	v_readlane_b32 s6, v57, 19
	s_addc_u32 s7, s27, s6
	s_mov_b32 s6, s53
	s_cmp_lg_u64 s[6:7], 0
	s_cbranch_scc0 .LBB5_149
; %bb.109:                              ;   in Loop: Header=BB5_16 Depth=1
	s_add_u32 s28, s23, 0
	s_addc_u32 s29, 0, 0
	s_xor_b64 s[36:37], s[28:29], 0
	v_cvt_f32_u32_e32 v2, s36
	v_cvt_f32_u32_e32 v8, s37
	s_sub_u32 s6, 0, s36
	s_subb_u32 s34, 0, s37
	v_mac_f32_e32 v2, 0x4f800000, v8
	v_rcp_f32_e32 v2, v2
	v_mul_f32_e32 v2, 0x5f7ffffc, v2
	v_mul_f32_e32 v8, 0x2f800000, v2
	v_trunc_f32_e32 v8, v8
	v_mac_f32_e32 v2, 0xcf800000, v8
	v_cvt_u32_f32_e32 v8, v8
	v_cvt_u32_f32_e32 v2, v2
	v_readfirstlane_b32 s35, v8
	v_readfirstlane_b32 s28, v2
	s_mul_i32 s29, s6, s35
	s_mul_hi_u32 s40, s6, s28
	s_mul_i32 s39, s34, s28
	s_add_i32 s29, s40, s29
	s_mul_i32 s41, s6, s28
	s_add_i32 s29, s29, s39
	s_mul_i32 s40, s28, s29
	s_mul_hi_u32 s42, s28, s41
	s_mul_hi_u32 s39, s28, s29
	s_add_u32 s40, s42, s40
	s_addc_u32 s39, 0, s39
	s_mul_hi_u32 s43, s35, s41
	s_mul_i32 s41, s35, s41
	s_add_u32 s40, s40, s41
	s_mul_hi_u32 s42, s35, s29
	s_addc_u32 s39, s39, s43
	s_addc_u32 s40, s42, 0
	s_mul_i32 s29, s35, s29
	s_add_u32 s29, s39, s29
	s_addc_u32 s39, 0, s40
	s_add_u32 s40, s28, s29
	s_cselect_b64 s[28:29], -1, 0
	s_cmp_lg_u64 s[28:29], 0
	s_addc_u32 s35, s35, s39
	s_mul_i32 s28, s6, s35
	s_mul_hi_u32 s29, s6, s40
	s_add_i32 s28, s29, s28
	s_mul_i32 s34, s34, s40
	s_add_i32 s28, s28, s34
	s_mul_i32 s6, s6, s40
	s_mul_hi_u32 s34, s35, s6
	s_mul_i32 s39, s35, s6
	s_mul_i32 s42, s40, s28
	s_mul_hi_u32 s6, s40, s6
	s_mul_hi_u32 s41, s40, s28
	s_add_u32 s6, s6, s42
	s_addc_u32 s41, 0, s41
	s_add_u32 s6, s6, s39
	s_mul_hi_u32 s29, s35, s28
	s_addc_u32 s6, s41, s34
	s_addc_u32 s29, s29, 0
	s_mul_i32 s28, s35, s28
	s_add_u32 s6, s6, s28
	s_addc_u32 s34, 0, s29
	s_add_u32 s6, s40, s6
	s_cselect_b64 s[28:29], -1, 0
	s_cmp_lg_u64 s[28:29], 0
	s_addc_u32 s39, s35, s34
	s_ashr_i32 s34, s7, 31
	s_add_u32 s28, s38, s34
	s_mov_b32 s35, s34
	s_addc_u32 s29, s7, s34
	s_xor_b64 s[28:29], s[28:29], s[34:35]
	s_mul_i32 s41, s28, s39
	s_mul_hi_u32 s42, s28, s6
	s_mul_hi_u32 s40, s28, s39
	s_add_u32 s41, s42, s41
	s_addc_u32 s40, 0, s40
	s_mul_hi_u32 s43, s29, s6
	s_mul_i32 s6, s29, s6
	s_add_u32 s6, s41, s6
	s_mul_hi_u32 s42, s29, s39
	s_addc_u32 s6, s40, s43
	s_addc_u32 s40, s42, 0
	s_mul_i32 s39, s29, s39
	s_add_u32 s6, s6, s39
	s_addc_u32 s39, 0, s40
	s_mul_i32 s39, s36, s39
	s_mul_hi_u32 s40, s36, s6
	s_add_i32 s39, s40, s39
	s_mul_i32 s40, s37, s6
	s_add_i32 s39, s39, s40
	s_sub_i32 s42, s29, s39
	s_mul_i32 s6, s36, s6
	s_sub_u32 s6, s28, s6
	s_cselect_b64 s[40:41], -1, 0
	s_cmp_lg_u64 s[40:41], 0
	s_subb_u32 s28, s42, s37
	s_sub_u32 s44, s6, s36
	s_cselect_b64 s[42:43], -1, 0
	s_cmp_lg_u64 s[42:43], 0
	s_subb_u32 s45, s28, 0
	s_cmp_ge_u32 s45, s37
	s_cselect_b32 s47, -1, 0
	s_cmp_ge_u32 s44, s36
	s_cselect_b32 s48, -1, 0
	s_cmp_eq_u32 s45, s37
	s_cselect_b32 s47, s48, s47
	s_cmp_lg_u64 s[42:43], 0
	s_subb_u32 s28, s28, s37
	s_sub_u32 s48, s44, s36
	s_cselect_b64 s[42:43], -1, 0
	s_cmp_lg_u64 s[42:43], 0
	s_subb_u32 s28, s28, 0
	s_cmp_lg_u32 s47, 0
	s_cselect_b32 s42, s48, s44
	s_cselect_b32 s28, s28, s45
	s_cmp_lg_u64 s[40:41], 0
	s_subb_u32 s29, s29, s39
	s_cmp_ge_u32 s29, s37
	s_cselect_b32 s39, -1, 0
	s_cmp_ge_u32 s6, s36
	s_cselect_b32 s36, -1, 0
	s_cmp_eq_u32 s29, s37
	s_cselect_b32 s36, s36, s39
	s_cmp_lg_u32 s36, 0
	s_cselect_b32 s29, s28, s29
	s_cselect_b32 s28, s42, s6
	s_xor_b64 s[28:29], s[28:29], s[34:35]
	s_sub_u32 s28, s28, s34
	s_subb_u32 s29, s29, s34
	s_cbranch_execnz .LBB5_111
.LBB5_110:                              ;   in Loop: Header=BB5_16 Depth=1
	v_cvt_f32_u32_e32 v2, s23
	s_sub_i32 s6, 0, s23
	v_rcp_iflag_f32_e32 v2, v2
	v_mul_f32_e32 v2, 0x4f7ffffe, v2
	v_cvt_u32_f32_e32 v2, v2
	v_readfirstlane_b32 s28, v2
	s_mul_i32 s6, s6, s28
	s_mul_hi_u32 s6, s28, s6
	s_add_i32 s28, s28, s6
	s_mul_hi_u32 s6, s38, s28
	s_mul_i32 s6, s6, s23
	s_sub_i32 s6, s38, s6
	s_sub_i32 s28, s6, s23
	s_cmp_ge_u32 s6, s23
	s_cselect_b32 s6, s28, s6
	s_sub_i32 s28, s6, s23
	s_cmp_ge_u32 s6, s23
	s_cselect_b32 s52, s28, s6
	s_mov_b64 s[28:29], s[52:53]
.LBB5_111:                              ;   in Loop: Header=BB5_16 Depth=1
	s_sub_u32 s28, s38, s28
	s_subb_u32 s29, s7, s29
	v_cmp_gt_i64_e32 vcc, s[28:29], v[0:1]
                                        ; implicit-def: $vgpr46
	s_and_saveexec_b64 s[6:7], vcc
	s_cbranch_execz .LBB5_120
; %bb.112:                              ;   in Loop: Header=BB5_16 Depth=1
	v_mov_b32_e32 v9, v1
	s_mov_b64 s[34:35], 0
	v_mov_b32_e32 v2, v0
	v_mov_b32_e32 v8, v0
                                        ; implicit-def: $sgpr36_sgpr37
	s_branch .LBB5_115
.LBB5_113:                              ;   in Loop: Header=BB5_115 Depth=2
	s_or_b64 exec, exec, s[38:39]
	s_waitcnt lgkmcnt(0)
	s_barrier
	ds_read_u16 v10, v3 offset:3072
	s_mov_b64 s[38:39], -1
	s_waitcnt lgkmcnt(0)
	s_barrier
	v_cmp_ne_u32_sdwa s[40:41], v10, v3 src0_sel:BYTE_0 src1_sel:DWORD
	s_and_b64 vcc, exec, s[40:41]
	s_mov_b64 s[40:41], -1
	s_cbranch_vccz .LBB5_118
.LBB5_114:                              ;   in Loop: Header=BB5_115 Depth=2
	s_and_b64 s[38:39], exec, s[38:39]
	s_or_b64 s[34:35], s[38:39], s[34:35]
	s_andn2_b64 s[36:37], s[36:37], exec
	s_and_b64 s[38:39], s[40:41], exec
	s_or_b64 s[36:37], s[36:37], s[38:39]
	s_andn2_b64 exec, exec, s[34:35]
	s_cbranch_execz .LBB5_119
.LBB5_115:                              ;   Parent Loop BB5_16 Depth=1
                                        ; =>  This Inner Loop Header: Depth=2
	v_cmp_gt_u64_e32 vcc, s[26:27], v[8:9]
	s_and_saveexec_b64 s[38:39], vcc
	s_cbranch_execz .LBB5_113
; %bb.116:                              ;   in Loop: Header=BB5_115 Depth=2
	ds_read_u8 v10, v2
	s_waitcnt lgkmcnt(0)
	v_and_b32_e32 v11, v10, v45
	v_cmp_eq_u32_sdwa s[40:41], v11, v43 src0_sel:BYTE_0 src1_sel:DWORD
	s_and_b64 exec, exec, s[40:41]
	s_cbranch_execz .LBB5_113
; %bb.117:                              ;   in Loop: Header=BB5_115 Depth=2
	v_lshlrev_b16_e32 v10, 8, v10
	v_or_b32_e32 v10, 1, v10
	ds_write_b16 v3, v10 offset:3072
	s_branch .LBB5_113
.LBB5_118:                              ;   in Loop: Header=BB5_115 Depth=2
	v_add_co_u32_e32 v8, vcc, s23, v8
	v_addc_co_u32_e32 v9, vcc, 0, v9, vcc
	v_cmp_le_i64_e32 vcc, s[28:29], v[8:9]
	v_add_u32_e32 v2, s23, v2
	s_mov_b64 s[40:41], 0
	s_orn2_b64 s[38:39], vcc, exec
	s_branch .LBB5_114
.LBB5_119:                              ;   in Loop: Header=BB5_16 Depth=1
	s_or_b64 exec, exec, s[34:35]
	s_andn2_b64 s[14:15], s[14:15], exec
	s_and_b64 s[26:27], s[36:37], exec
	v_lshrrev_b32_sdwa v46, v44, v10 dst_sel:DWORD dst_unused:UNUSED_PAD src0_sel:DWORD src1_sel:WORD_0
	s_or_b64 s[14:15], s[14:15], s[26:27]
.LBB5_120:                              ;   in Loop: Header=BB5_16 Depth=1
	s_or_b64 exec, exec, s[6:7]
	s_mov_b64 s[6:7], 0
	s_mov_b64 s[36:37], -1
.LBB5_121:                              ;   in Loop: Header=BB5_16 Depth=1
	s_orn2_b64 s[14:15], s[14:15], exec
.LBB5_122:                              ;   in Loop: Header=BB5_16 Depth=1
	s_or_b64 exec, exec, s[18:19]
	s_andn2_b64 s[18:19], s[84:85], exec
	s_and_b64 s[26:27], s[36:37], exec
	s_or_b64 s[84:85], s[18:19], s[26:27]
	s_andn2_b64 s[18:19], s[82:83], exec
	s_and_b64 s[6:7], s[6:7], exec
	s_andn2_b64 s[80:81], s[80:81], exec
	s_or_b64 s[82:83], s[18:19], s[6:7]
                                        ; implicit-def: $vgpr8_vgpr9
	s_and_saveexec_b64 s[18:19], s[14:15]
	s_cbranch_execz .LBB5_15
; %bb.123:                              ;   in Loop: Header=BB5_16 Depth=1
	v_mov_b32_e32 v8, 1
	s_xor_b64 s[6:7], s[20:21], -1
	v_mov_b32_e32 v2, 1
	v_mov_b32_e32 v9, 0
	s_mov_b64 s[14:15], 0
	s_and_saveexec_b64 s[4:5], s[6:7]
	s_cbranch_execz .LBB5_132
; %bb.124:                              ;   in Loop: Header=BB5_16 Depth=1
	v_cmp_le_i64_e32 vcc, v[26:27], v[4:5]
	s_and_saveexec_b64 s[6:7], vcc
	s_xor_b64 s[6:7], exec, s[6:7]
	s_cbranch_execz .LBB5_129
; %bb.125:                              ;   in Loop: Header=BB5_16 Depth=1
	ds_read_b64 v[8:9], v3 offset:5120
	v_and_b32_e32 v43, s46, v43
	v_or_b32_e32 v45, s56, v45
	s_waitcnt lgkmcnt(0)
	v_cmp_ne_u64_e32 vcc, 0, v[8:9]
	s_cbranch_vccnz .LBB5_129
; %bb.126:                              ;   in Loop: Header=BB5_16 Depth=1
	s_mov_b64 s[14:15], exec
	v_readlane_b32 s20, v57, 10
	v_readlane_b32 s21, v57, 11
	s_and_b64 s[20:21], s[14:15], s[20:21]
	s_mov_b64 exec, s[20:21]
; %bb.127:                              ;   in Loop: Header=BB5_16 Depth=1
	ds_write_b64 v3, v[4:5] offset:5128
; %bb.128:                              ;   in Loop: Header=BB5_16 Depth=1
	s_or_b64 exec, exec, s[14:15]
	s_waitcnt lgkmcnt(0)
	s_barrier
.LBB5_129:                              ;   in Loop: Header=BB5_16 Depth=1
	s_or_saveexec_b64 s[6:7], s[6:7]
	s_mov_b64 s[14:15], 0
	v_mov_b32_e32 v2, 8
	s_xor_b64 exec, exec, s[6:7]
; %bb.130:                              ;   in Loop: Header=BB5_16 Depth=1
	v_sub_co_u32_e32 v26, vcc, v26, v4
	v_subb_co_u32_e32 v27, vcc, v27, v5, vcc
	v_mov_b32_e32 v2, 0
	s_mov_b64 s[14:15], exec
; %bb.131:                              ;   in Loop: Header=BB5_16 Depth=1
	s_or_b64 exec, exec, s[6:7]
	v_mov_b32_e32 v8, v26
	s_and_b64 s[14:15], s[14:15], exec
	v_mov_b32_e32 v9, v27
.LBB5_132:                              ;   in Loop: Header=BB5_16 Depth=1
	s_or_b64 exec, exec, s[4:5]
	s_mov_b64 s[20:21], -1
	s_mov_b64 s[6:7], -1
                                        ; implicit-def: $sgpr4_sgpr5
                                        ; implicit-def: $sgpr88_sgpr89
	s_and_saveexec_b64 s[26:27], s[14:15]
	s_xor_b64 s[26:27], exec, s[26:27]
	s_cbranch_execz .LBB5_274
; %bb.133:                              ;   in Loop: Header=BB5_16 Depth=1
	v_cmp_eq_u64_e32 vcc, 1, v[6:7]
	v_cmp_eq_u64_e64 s[4:5], 1, v[8:9]
                                        ; implicit-def: $sgpr88_sgpr89
	s_and_b64 s[36:37], vcc, s[4:5]
                                        ; implicit-def: $sgpr4_sgpr5
	s_and_saveexec_b64 s[38:39], s[36:37]
	s_cbranch_execz .LBB5_167
; %bb.134:                              ;   in Loop: Header=BB5_16 Depth=1
	ds_read_b64 v[4:5], v3 offset:5120
	s_waitcnt lgkmcnt(0)
	s_barrier
	v_readfirstlane_b32 s48, v4
	v_readfirstlane_b32 s49, v5
	s_mov_b64 s[4:5], exec
	v_readlane_b32 s6, v57, 39
	v_readlane_b32 s7, v57, 40
	s_and_b64 s[6:7], s[4:5], s[6:7]
	s_mov_b64 exec, s[6:7]
; %bb.135:                              ;   in Loop: Header=BB5_16 Depth=1
	ds_write_b8 v0, v3 offset:3072
; %bb.136:                              ;   in Loop: Header=BB5_16 Depth=1
	s_or_b64 exec, exec, s[4:5]
	v_cmp_gt_i64_e64 s[6:7], s[48:49], 0
	v_and_b32_e32 v4, s46, v43
	v_lshl_or_b32 v43, 1, s12, v4
	v_or_b32_e32 v45, s56, v45
	s_mov_b64 s[4:5], -1
	s_mov_b64 s[88:89], 0
	s_and_b64 vcc, exec, s[6:7]
	s_mov_b64 s[6:7], 0
	s_mov_b64 s[14:15], -1
	s_waitcnt lgkmcnt(0)
	s_barrier
                                        ; implicit-def: $vgpr46
	s_cbranch_vccnz .LBB5_152
; %bb.137:                              ;   in Loop: Header=BB5_16 Depth=1
	s_mov_b32 s60, s53
	s_cmp_lg_u64 s[60:61], 0
	s_cbranch_scc0 .LBB5_194
; %bb.138:                              ;   in Loop: Header=BB5_16 Depth=1
	s_add_u32 s6, s23, 0
	s_addc_u32 s7, 0, 0
	s_xor_b64 s[6:7], s[6:7], 0
	v_cvt_f32_u32_e32 v4, s6
	v_cvt_f32_u32_e32 v5, s7
	s_sub_u32 s28, 0, s6
	s_subb_u32 s29, 0, s7
	v_readlane_b32 s51, v57, 18
	v_mac_f32_e32 v4, 0x4f800000, v5
	v_rcp_f32_e32 v4, v4
	v_mul_f32_e32 v4, 0x5f7ffffc, v4
	v_mul_f32_e32 v5, 0x2f800000, v4
	v_trunc_f32_e32 v5, v5
	v_mac_f32_e32 v4, 0xcf800000, v5
	v_cvt_u32_f32_e32 v5, v5
	v_cvt_u32_f32_e32 v4, v4
	v_readfirstlane_b32 s34, v5
	v_readfirstlane_b32 s14, v4
	s_mul_i32 s15, s28, s34
	s_mul_hi_u32 s40, s28, s14
	s_mul_i32 s35, s29, s14
	s_add_i32 s15, s40, s15
	s_mul_i32 s41, s28, s14
	s_add_i32 s15, s15, s35
	s_mul_i32 s40, s14, s15
	s_mul_hi_u32 s42, s14, s41
	s_mul_hi_u32 s35, s14, s15
	s_add_u32 s40, s42, s40
	s_addc_u32 s35, 0, s35
	s_mul_hi_u32 s43, s34, s41
	s_mul_i32 s41, s34, s41
	s_add_u32 s40, s40, s41
	s_mul_hi_u32 s42, s34, s15
	s_addc_u32 s35, s35, s43
	s_addc_u32 s40, s42, 0
	s_mul_i32 s15, s34, s15
	s_add_u32 s15, s35, s15
	s_addc_u32 s35, 0, s40
	s_add_u32 s40, s14, s15
	s_cselect_b64 s[14:15], -1, 0
	s_cmp_lg_u64 s[14:15], 0
	s_addc_u32 s34, s34, s35
	s_mul_i32 s14, s28, s34
	s_mul_hi_u32 s15, s28, s40
	s_add_i32 s14, s15, s14
	s_mul_i32 s29, s29, s40
	s_add_i32 s14, s14, s29
	s_mul_i32 s28, s28, s40
	s_mul_hi_u32 s29, s34, s28
	s_mul_i32 s35, s34, s28
	s_mul_i32 s42, s40, s14
	s_mul_hi_u32 s28, s40, s28
	s_mul_hi_u32 s41, s40, s14
	s_add_u32 s28, s28, s42
	s_addc_u32 s41, 0, s41
	s_add_u32 s28, s28, s35
	s_mul_hi_u32 s15, s34, s14
	s_addc_u32 s28, s41, s29
	s_addc_u32 s15, s15, 0
	s_mul_i32 s14, s34, s14
	s_add_u32 s14, s28, s14
	s_addc_u32 s28, 0, s15
	s_add_u32 s35, s40, s14
	s_cselect_b64 s[14:15], -1, 0
	s_cmp_lg_u64 s[14:15], 0
	s_addc_u32 s34, s34, s28
	s_ashr_i32 s14, s61, 31
	s_add_u32 s28, s51, s14
	s_mov_b32 s15, s14
	s_addc_u32 s29, s61, s14
	s_xor_b64 s[28:29], s[28:29], s[14:15]
	s_mul_i32 s41, s28, s34
	s_mul_hi_u32 s42, s28, s35
	s_mul_hi_u32 s40, s28, s34
	s_add_u32 s41, s42, s41
	s_addc_u32 s40, 0, s40
	s_mul_hi_u32 s43, s29, s35
	s_mul_i32 s35, s29, s35
	s_add_u32 s35, s41, s35
	s_mul_hi_u32 s42, s29, s34
	s_addc_u32 s35, s40, s43
	s_addc_u32 s40, s42, 0
	s_mul_i32 s34, s29, s34
	s_add_u32 s34, s35, s34
	s_addc_u32 s35, 0, s40
	s_mul_i32 s35, s6, s35
	s_mul_hi_u32 s40, s6, s34
	s_add_i32 s35, s40, s35
	s_mul_i32 s40, s7, s34
	s_add_i32 s42, s35, s40
	s_sub_i32 s40, s29, s42
	s_mul_i32 s34, s6, s34
	s_sub_u32 s28, s28, s34
	s_cselect_b64 s[34:35], -1, 0
	s_cmp_lg_u64 s[34:35], 0
	s_subb_u32 s43, s40, s7
	s_sub_u32 s44, s28, s6
	s_cselect_b64 s[40:41], -1, 0
	s_cmp_lg_u64 s[40:41], 0
	s_subb_u32 s45, s43, 0
	s_cmp_ge_u32 s45, s7
	s_cselect_b32 s47, -1, 0
	s_cmp_ge_u32 s44, s6
	s_cselect_b32 s50, -1, 0
	s_cmp_eq_u32 s45, s7
	s_cselect_b32 s47, s50, s47
	s_cmp_lg_u64 s[40:41], 0
	s_subb_u32 s43, s43, s7
	s_sub_u32 s50, s44, s6
	s_cselect_b64 s[40:41], -1, 0
	s_cmp_lg_u64 s[40:41], 0
	s_subb_u32 s40, s43, 0
	s_cmp_lg_u32 s47, 0
	s_cselect_b32 s41, s50, s44
	s_cselect_b32 s40, s40, s45
	s_cmp_lg_u64 s[34:35], 0
	s_subb_u32 s29, s29, s42
	s_cmp_ge_u32 s29, s7
	s_cselect_b32 s34, -1, 0
	s_cmp_ge_u32 s28, s6
	s_cselect_b32 s6, -1, 0
	s_cmp_eq_u32 s29, s7
	s_cselect_b32 s6, s6, s34
	s_cmp_lg_u32 s6, 0
	s_cselect_b32 s7, s40, s29
	s_cselect_b32 s6, s41, s28
	s_xor_b64 s[6:7], s[6:7], s[14:15]
	s_sub_u32 s6, s6, s14
	s_subb_u32 s7, s7, s14
	s_cbranch_execnz .LBB5_140
.LBB5_139:                              ;   in Loop: Header=BB5_16 Depth=1
	v_cvt_f32_u32_e32 v4, s23
	s_sub_i32 s6, 0, s23
	v_rcp_iflag_f32_e32 v4, v4
	v_mul_f32_e32 v4, 0x4f7ffffe, v4
	v_cvt_u32_f32_e32 v4, v4
	v_readfirstlane_b32 s7, v4
	s_mul_i32 s6, s6, s7
	s_mul_hi_u32 s6, s7, s6
	s_add_i32 s7, s7, s6
	s_mul_hi_u32 s6, s51, s7
	s_mul_i32 s6, s6, s23
	s_sub_i32 s6, s51, s6
	s_sub_i32 s7, s6, s23
	s_cmp_ge_u32 s6, s23
	s_cselect_b32 s6, s7, s6
	s_sub_i32 s7, s6, s23
	s_cmp_ge_u32 s6, s23
	s_cselect_b32 s52, s7, s6
	s_mov_b64 s[6:7], s[52:53]
.LBB5_140:                              ;   in Loop: Header=BB5_16 Depth=1
	s_sub_u32 s42, s51, s6
	s_subb_u32 s43, s61, s7
	v_cmp_gt_i64_e32 vcc, s[42:43], v[0:1]
	s_mov_b64 s[14:15], 0
	s_mov_b64 s[6:7], 0
                                        ; implicit-def: $vgpr46
	s_and_saveexec_b64 s[40:41], vcc
	s_cbranch_execz .LBB5_151
; %bb.141:                              ;   in Loop: Header=BB5_16 Depth=1
	v_mov_b32_e32 v4, v12
	v_mov_b32_e32 v11, v1
	v_mov_b32_e32 v5, v13
	v_mov_b32_e32 v10, v0
                                        ; implicit-def: $sgpr28_sgpr29
	s_branch .LBB5_144
.LBB5_142:                              ;   in Loop: Header=BB5_144 Depth=2
	s_or_b64 exec, exec, s[34:35]
	s_waitcnt lgkmcnt(0)
	s_barrier
	ds_read_u16 v26, v3 offset:3072
	s_mov_b64 s[34:35], -1
	s_waitcnt lgkmcnt(0)
	s_barrier
	v_cmp_ne_u32_sdwa s[44:45], v26, v3 src0_sel:BYTE_0 src1_sel:DWORD
	s_and_b64 vcc, exec, s[44:45]
	s_mov_b64 s[44:45], -1
	s_cbranch_vccz .LBB5_147
.LBB5_143:                              ;   in Loop: Header=BB5_144 Depth=2
	s_and_b64 s[34:35], exec, s[34:35]
	s_or_b64 s[6:7], s[34:35], s[6:7]
	s_andn2_b64 s[28:29], s[28:29], exec
	s_and_b64 s[34:35], s[44:45], exec
	s_or_b64 s[28:29], s[28:29], s[34:35]
	s_andn2_b64 exec, exec, s[6:7]
	s_cbranch_execz .LBB5_150
.LBB5_144:                              ;   Parent Loop BB5_16 Depth=1
                                        ; =>  This Inner Loop Header: Depth=2
	v_cmp_gt_i64_e32 vcc, s[24:25], v[10:11]
	s_and_saveexec_b64 s[34:35], vcc
	s_cbranch_execz .LBB5_142
; %bb.145:                              ;   in Loop: Header=BB5_144 Depth=2
	global_load_ubyte v26, v[4:5], off
	s_waitcnt vmcnt(0)
	v_and_b32_e32 v27, v26, v45
	v_cmp_eq_u32_sdwa s[44:45], v27, v43 src0_sel:BYTE_0 src1_sel:DWORD
	s_and_b64 exec, exec, s[44:45]
	s_cbranch_execz .LBB5_142
; %bb.146:                              ;   in Loop: Header=BB5_144 Depth=2
	v_lshlrev_b16_e32 v26, 8, v26
	v_or_b32_e32 v26, 1, v26
	ds_write_b16 v3, v26 offset:3072
	s_branch .LBB5_142
.LBB5_147:                              ;   in Loop: Header=BB5_144 Depth=2
	v_add_co_u32_e32 v10, vcc, s23, v10
	v_addc_co_u32_e32 v11, vcc, 0, v11, vcc
	v_mov_b32_e32 v27, s33
	v_add_co_u32_e32 v4, vcc, s22, v4
	v_addc_co_u32_e32 v5, vcc, v5, v27, vcc
	v_cmp_le_i64_e32 vcc, s[42:43], v[10:11]
	s_mov_b64 s[44:45], 0
	s_orn2_b64 s[34:35], vcc, exec
	s_branch .LBB5_143
.LBB5_148:                              ;   in Loop: Header=BB5_16 Depth=1
	v_readlane_b32 s49, v57, 18
                                        ; implicit-def: $sgpr14_sgpr15
	s_branch .LBB5_96
.LBB5_149:                              ;   in Loop: Header=BB5_16 Depth=1
                                        ; implicit-def: $sgpr28_sgpr29
	s_branch .LBB5_110
.LBB5_150:                              ;   in Loop: Header=BB5_16 Depth=1
	s_or_b64 exec, exec, s[6:7]
	v_lshrrev_b32_sdwa v46, v44, v26 dst_sel:DWORD dst_unused:UNUSED_PAD src0_sel:DWORD src1_sel:WORD_0
	s_and_b64 s[6:7], s[28:29], exec
.LBB5_151:                              ;   in Loop: Header=BB5_16 Depth=1
	s_or_b64 exec, exec, s[40:41]
.LBB5_152:                              ;   in Loop: Header=BB5_16 Depth=1
	s_and_b64 vcc, exec, s[14:15]
	s_cbranch_vccz .LBB5_166
; %bb.153:                              ;   in Loop: Header=BB5_16 Depth=1
	s_add_u32 s34, s48, s57
	v_readlane_b32 s4, v57, 19
	s_addc_u32 s5, s49, s4
	s_mov_b32 s4, s53
	s_cmp_lg_u64 s[4:5], 0
	s_cbranch_scc0 .LBB5_195
; %bb.154:                              ;   in Loop: Header=BB5_16 Depth=1
	s_add_u32 s14, s23, 0
	s_addc_u32 s15, 0, 0
	s_xor_b64 s[14:15], s[14:15], 0
	v_cvt_f32_u32_e32 v4, s14
	v_cvt_f32_u32_e32 v5, s15
	s_sub_u32 s4, 0, s14
	s_subb_u32 s35, 0, s15
	v_mac_f32_e32 v4, 0x4f800000, v5
	v_rcp_f32_e32 v4, v4
	v_mul_f32_e32 v4, 0x5f7ffffc, v4
	v_mul_f32_e32 v5, 0x2f800000, v4
	v_trunc_f32_e32 v5, v5
	v_mac_f32_e32 v4, 0xcf800000, v5
	v_cvt_u32_f32_e32 v5, v5
	v_cvt_u32_f32_e32 v4, v4
	v_readfirstlane_b32 s40, v5
	v_readfirstlane_b32 s28, v4
	s_mul_i32 s29, s4, s40
	s_mul_hi_u32 s42, s4, s28
	s_mul_i32 s41, s35, s28
	s_add_i32 s29, s42, s29
	s_mul_i32 s43, s4, s28
	s_add_i32 s29, s29, s41
	s_mul_i32 s42, s28, s29
	s_mul_hi_u32 s44, s28, s43
	s_mul_hi_u32 s41, s28, s29
	s_add_u32 s42, s44, s42
	s_addc_u32 s41, 0, s41
	s_mul_hi_u32 s45, s40, s43
	s_mul_i32 s43, s40, s43
	s_add_u32 s42, s42, s43
	s_mul_hi_u32 s44, s40, s29
	s_addc_u32 s41, s41, s45
	s_addc_u32 s42, s44, 0
	s_mul_i32 s29, s40, s29
	s_add_u32 s29, s41, s29
	s_addc_u32 s41, 0, s42
	s_add_u32 s42, s28, s29
	s_cselect_b64 s[28:29], -1, 0
	s_cmp_lg_u64 s[28:29], 0
	s_addc_u32 s40, s40, s41
	s_mul_i32 s28, s4, s40
	s_mul_hi_u32 s29, s4, s42
	s_add_i32 s28, s29, s28
	s_mul_i32 s35, s35, s42
	s_add_i32 s28, s28, s35
	s_mul_i32 s4, s4, s42
	s_mul_hi_u32 s35, s40, s4
	s_mul_i32 s41, s40, s4
	s_mul_i32 s44, s42, s28
	s_mul_hi_u32 s4, s42, s4
	s_mul_hi_u32 s43, s42, s28
	s_add_u32 s4, s4, s44
	s_addc_u32 s43, 0, s43
	s_add_u32 s4, s4, s41
	s_mul_hi_u32 s29, s40, s28
	s_addc_u32 s4, s43, s35
	s_addc_u32 s29, s29, 0
	s_mul_i32 s28, s40, s28
	s_add_u32 s4, s4, s28
	s_addc_u32 s35, 0, s29
	s_add_u32 s4, s42, s4
	s_cselect_b64 s[28:29], -1, 0
	s_cmp_lg_u64 s[28:29], 0
	s_addc_u32 s35, s40, s35
	s_ashr_i32 s28, s5, 31
	s_add_u32 s40, s34, s28
	s_mov_b32 s29, s28
	s_addc_u32 s41, s5, s28
	s_xor_b64 s[40:41], s[40:41], s[28:29]
	s_mul_i32 s43, s40, s35
	s_mul_hi_u32 s44, s40, s4
	s_mul_hi_u32 s42, s40, s35
	s_add_u32 s43, s44, s43
	s_addc_u32 s42, 0, s42
	s_mul_hi_u32 s45, s41, s4
	s_mul_i32 s4, s41, s4
	s_add_u32 s4, s43, s4
	s_mul_hi_u32 s44, s41, s35
	s_addc_u32 s4, s42, s45
	s_addc_u32 s42, s44, 0
	s_mul_i32 s35, s41, s35
	s_add_u32 s4, s4, s35
	s_addc_u32 s35, 0, s42
	s_mul_i32 s35, s14, s35
	s_mul_hi_u32 s42, s14, s4
	s_add_i32 s35, s42, s35
	s_mul_i32 s42, s15, s4
	s_add_i32 s35, s35, s42
	s_sub_i32 s44, s41, s35
	s_mul_i32 s4, s14, s4
	s_sub_u32 s4, s40, s4
	s_cselect_b64 s[42:43], -1, 0
	s_cmp_lg_u64 s[42:43], 0
	s_subb_u32 s40, s44, s15
	s_sub_u32 s47, s4, s14
	s_cselect_b64 s[44:45], -1, 0
	s_cmp_lg_u64 s[44:45], 0
	s_subb_u32 s50, s40, 0
	s_cmp_ge_u32 s50, s15
	s_cselect_b32 s51, -1, 0
	s_cmp_ge_u32 s47, s14
	s_cselect_b32 s52, -1, 0
	s_cmp_eq_u32 s50, s15
	s_cselect_b32 s51, s52, s51
	s_cmp_lg_u64 s[44:45], 0
	s_subb_u32 s40, s40, s15
	s_sub_u32 s52, s47, s14
	s_cselect_b64 s[44:45], -1, 0
	s_cmp_lg_u64 s[44:45], 0
	s_subb_u32 s40, s40, 0
	s_cmp_lg_u32 s51, 0
	s_cselect_b32 s44, s52, s47
	s_cselect_b32 s40, s40, s50
	s_cmp_lg_u64 s[42:43], 0
	s_subb_u32 s35, s41, s35
	s_cmp_ge_u32 s35, s15
	s_cselect_b32 s41, -1, 0
	s_cmp_ge_u32 s4, s14
	s_cselect_b32 s14, -1, 0
	s_cmp_eq_u32 s35, s15
	s_cselect_b32 s14, s14, s41
	s_cmp_lg_u32 s14, 0
	s_cselect_b32 s15, s40, s35
	s_cselect_b32 s14, s44, s4
	s_xor_b64 s[14:15], s[14:15], s[28:29]
	s_sub_u32 s14, s14, s28
	s_subb_u32 s15, s15, s28
	s_cbranch_execnz .LBB5_156
.LBB5_155:                              ;   in Loop: Header=BB5_16 Depth=1
	v_cvt_f32_u32_e32 v4, s23
	s_sub_i32 s4, 0, s23
	v_rcp_iflag_f32_e32 v4, v4
	v_mul_f32_e32 v4, 0x4f7ffffe, v4
	v_cvt_u32_f32_e32 v4, v4
	v_readfirstlane_b32 s14, v4
	s_mul_i32 s4, s4, s14
	s_mul_hi_u32 s4, s14, s4
	s_add_i32 s14, s14, s4
	s_mul_hi_u32 s4, s34, s14
	s_mul_i32 s4, s4, s23
	s_sub_i32 s4, s34, s4
	s_sub_i32 s14, s4, s23
	s_cmp_ge_u32 s4, s23
	s_cselect_b32 s4, s14, s4
	s_sub_i32 s14, s4, s23
	s_cmp_ge_u32 s4, s23
	s_cselect_b32 s52, s14, s4
	s_mov_b64 s[14:15], s[52:53]
.LBB5_156:                              ;   in Loop: Header=BB5_16 Depth=1
	s_sub_u32 s14, s34, s14
	s_subb_u32 s15, s5, s15
	v_cmp_gt_i64_e32 vcc, s[14:15], v[0:1]
                                        ; implicit-def: $vgpr46
	s_and_saveexec_b64 s[4:5], vcc
	s_cbranch_execz .LBB5_165
; %bb.157:                              ;   in Loop: Header=BB5_16 Depth=1
	v_mov_b32_e32 v5, v1
	s_mov_b64 s[28:29], 0
	v_mov_b32_e32 v10, v0
	v_mov_b32_e32 v4, v0
                                        ; implicit-def: $sgpr34_sgpr35
	s_branch .LBB5_160
.LBB5_158:                              ;   in Loop: Header=BB5_160 Depth=2
	s_or_b64 exec, exec, s[40:41]
	s_waitcnt lgkmcnt(0)
	s_barrier
	ds_read_u16 v11, v3 offset:3072
	s_mov_b64 s[40:41], -1
	s_waitcnt lgkmcnt(0)
	s_barrier
	v_cmp_eq_u32_sdwa s[42:43], v11, v3 src0_sel:BYTE_0 src1_sel:DWORD
	s_and_b64 vcc, exec, s[42:43]
	s_mov_b64 s[42:43], -1
	s_cbranch_vccnz .LBB5_163
.LBB5_159:                              ;   in Loop: Header=BB5_160 Depth=2
	s_and_b64 s[40:41], exec, s[40:41]
	s_or_b64 s[28:29], s[40:41], s[28:29]
	s_andn2_b64 s[34:35], s[34:35], exec
	s_and_b64 s[40:41], s[42:43], exec
	s_or_b64 s[34:35], s[34:35], s[40:41]
	s_andn2_b64 exec, exec, s[28:29]
	s_cbranch_execz .LBB5_164
.LBB5_160:                              ;   Parent Loop BB5_16 Depth=1
                                        ; =>  This Inner Loop Header: Depth=2
	v_cmp_gt_u64_e32 vcc, s[48:49], v[4:5]
	s_and_saveexec_b64 s[40:41], vcc
	s_cbranch_execz .LBB5_158
; %bb.161:                              ;   in Loop: Header=BB5_160 Depth=2
	ds_read_u8 v11, v10
	s_waitcnt lgkmcnt(0)
	v_and_b32_e32 v26, v11, v45
	v_cmp_eq_u32_sdwa s[42:43], v26, v43 src0_sel:BYTE_0 src1_sel:DWORD
	s_and_b64 exec, exec, s[42:43]
	s_cbranch_execz .LBB5_158
; %bb.162:                              ;   in Loop: Header=BB5_160 Depth=2
	v_lshlrev_b16_e32 v11, 8, v11
	v_or_b32_e32 v11, 1, v11
	ds_write_b16 v3, v11 offset:3072
	s_branch .LBB5_158
.LBB5_163:                              ;   in Loop: Header=BB5_160 Depth=2
	v_add_co_u32_e32 v4, vcc, s23, v4
	v_addc_co_u32_e32 v5, vcc, 0, v5, vcc
	v_cmp_le_i64_e32 vcc, s[14:15], v[4:5]
	v_add_u32_e32 v10, s23, v10
	s_mov_b64 s[42:43], 0
	s_orn2_b64 s[40:41], vcc, exec
	s_branch .LBB5_159
.LBB5_164:                              ;   in Loop: Header=BB5_16 Depth=1
	s_or_b64 exec, exec, s[28:29]
	s_andn2_b64 s[6:7], s[6:7], exec
	s_and_b64 s[14:15], s[34:35], exec
	v_lshrrev_b32_sdwa v46, v44, v11 dst_sel:DWORD dst_unused:UNUSED_PAD src0_sel:DWORD src1_sel:WORD_0
	s_or_b64 s[6:7], s[6:7], s[14:15]
.LBB5_165:                              ;   in Loop: Header=BB5_16 Depth=1
	s_or_b64 exec, exec, s[4:5]
	s_mov_b64 s[4:5], 0
	s_mov_b64 s[88:89], -1
.LBB5_166:                              ;   in Loop: Header=BB5_16 Depth=1
	s_orn2_b64 s[6:7], s[6:7], exec
.LBB5_167:                              ;   in Loop: Header=BB5_16 Depth=1
	s_or_b64 exec, exec, s[38:39]
	s_mov_b64 s[14:15], 0
	s_and_saveexec_b64 s[90:91], s[6:7]
	s_cbranch_execz .LBB5_273
; %bb.168:                              ;   in Loop: Header=BB5_16 Depth=1
	v_mov_b32_e32 v4, 1
	s_xor_b64 s[28:29], s[36:37], -1
	v_mov_b32_e32 v2, 1
	v_mov_b32_e32 v5, 0
	s_and_saveexec_b64 s[6:7], s[28:29]
	s_cbranch_execz .LBB5_178
; %bb.169:                              ;   in Loop: Header=BB5_16 Depth=1
	v_cmp_le_i64_e32 vcc, v[8:9], v[6:7]
	s_and_saveexec_b64 s[14:15], vcc
	s_xor_b64 s[14:15], exec, s[14:15]
	s_cbranch_execz .LBB5_175
; %bb.170:                              ;   in Loop: Header=BB5_16 Depth=1
	ds_read_b64 v[4:5], v3 offset:5120
	v_and_b32_e32 v2, s46, v43
	v_lshl_or_b32 v43, 1, s12, v2
	v_or_b32_e32 v45, s56, v45
	s_waitcnt lgkmcnt(0)
	v_cmp_ne_u64_e32 vcc, 0, v[4:5]
	s_cbranch_vccnz .LBB5_174
; %bb.171:                              ;   in Loop: Header=BB5_16 Depth=1
	s_mov_b64 s[28:29], exec
	v_readlane_b32 s34, v57, 10
	v_readlane_b32 s35, v57, 11
	s_and_b64 s[34:35], s[28:29], s[34:35]
	s_mov_b64 exec, s[34:35]
; %bb.172:                              ;   in Loop: Header=BB5_16 Depth=1
	ds_write_b64 v3, v[6:7] offset:5128
; %bb.173:                              ;   in Loop: Header=BB5_16 Depth=1
	s_or_b64 exec, exec, s[28:29]
	s_waitcnt lgkmcnt(0)
	s_barrier
.LBB5_174:                              ;   in Loop: Header=BB5_16 Depth=1
                                        ; implicit-def: $vgpr4_vgpr5_vgpr6_vgpr7
.LBB5_175:                              ;   in Loop: Header=BB5_16 Depth=1
	s_or_saveexec_b64 s[14:15], s[14:15]
	s_mov_b64 s[28:29], 0
	v_mov_b32_e32 v2, 8
	s_xor_b64 exec, exec, s[14:15]
; %bb.176:                              ;   in Loop: Header=BB5_16 Depth=1
	v_sub_co_u32_e32 v8, vcc, v8, v6
	v_subb_co_u32_e32 v9, vcc, v9, v7, vcc
	v_mov_b32_e32 v2, 0
	s_mov_b64 s[28:29], exec
; %bb.177:                              ;   in Loop: Header=BB5_16 Depth=1
	s_or_b64 exec, exec, s[14:15]
	v_mov_b32_e32 v4, v8
	s_and_b64 s[14:15], s[28:29], exec
	v_mov_b32_e32 v5, v9
.LBB5_178:                              ;   in Loop: Header=BB5_16 Depth=1
	s_or_b64 exec, exec, s[6:7]
	s_mov_b64 s[6:7], -1
                                        ; implicit-def: $sgpr94_sgpr95
                                        ; implicit-def: $sgpr48_sgpr49
	s_and_saveexec_b64 s[92:93], s[14:15]
	s_cbranch_execz .LBB5_272
; %bb.179:                              ;   in Loop: Header=BB5_16 Depth=1
	s_cmp_eq_u64 s[86:87], 1
	v_cmp_eq_u64_e32 vcc, 1, v[4:5]
	s_cselect_b64 s[6:7], -1, 0
	s_and_b64 s[38:39], s[6:7], vcc
	s_mov_b64 s[6:7], -1
                                        ; implicit-def: $sgpr48_sgpr49
                                        ; implicit-def: $sgpr94_sgpr95
	s_and_saveexec_b64 s[36:37], s[38:39]
	s_cbranch_execz .LBB5_213
; %bb.180:                              ;   in Loop: Header=BB5_16 Depth=1
	ds_read_b64 v[6:7], v3 offset:5120
	s_waitcnt lgkmcnt(0)
	s_barrier
	v_readfirstlane_b32 s50, v6
	v_readfirstlane_b32 s51, v7
	s_mov_b64 s[6:7], exec
	v_readlane_b32 s14, v57, 39
	v_readlane_b32 s15, v57, 40
	s_and_b64 s[14:15], s[6:7], s[14:15]
	s_mov_b64 exec, s[14:15]
; %bb.181:                              ;   in Loop: Header=BB5_16 Depth=1
	ds_write_b8 v0, v3 offset:3072
; %bb.182:                              ;   in Loop: Header=BB5_16 Depth=1
	s_or_b64 exec, exec, s[6:7]
	v_cmp_gt_i64_e64 s[6:7], s[50:51], 0
	v_and_b32_e32 v6, s46, v43
	v_lshl_or_b32 v43, 2, s12, v6
	v_or_b32_e32 v45, s56, v45
	s_mov_b64 s[94:95], -1
	s_mov_b64 s[48:49], 0
	s_and_b64 vcc, exec, s[6:7]
	s_mov_b64 s[6:7], 0
	s_mov_b64 s[14:15], -1
	s_waitcnt lgkmcnt(0)
	s_barrier
                                        ; implicit-def: $vgpr46
	s_cbranch_vccnz .LBB5_198
; %bb.183:                              ;   in Loop: Header=BB5_16 Depth=1
	s_mov_b32 s60, s53
	s_cmp_lg_u64 s[60:61], 0
	s_cbranch_scc0 .LBB5_239
; %bb.184:                              ;   in Loop: Header=BB5_16 Depth=1
	s_add_u32 s6, s23, 0
	s_addc_u32 s7, 0, 0
	s_xor_b64 s[6:7], s[6:7], 0
	v_cvt_f32_u32_e32 v6, s6
	v_cvt_f32_u32_e32 v7, s7
	s_sub_u32 s28, 0, s6
	s_subb_u32 s29, 0, s7
	v_readlane_b32 s60, v57, 18
	v_mac_f32_e32 v6, 0x4f800000, v7
	v_rcp_f32_e32 v6, v6
	v_mul_f32_e32 v6, 0x5f7ffffc, v6
	v_mul_f32_e32 v7, 0x2f800000, v6
	v_trunc_f32_e32 v7, v7
	v_mac_f32_e32 v6, 0xcf800000, v7
	v_cvt_u32_f32_e32 v7, v7
	v_cvt_u32_f32_e32 v6, v6
	v_readfirstlane_b32 s34, v7
	v_readfirstlane_b32 s14, v6
	s_mul_i32 s15, s28, s34
	s_mul_hi_u32 s40, s28, s14
	s_mul_i32 s35, s29, s14
	s_add_i32 s15, s40, s15
	s_mul_i32 s41, s28, s14
	s_add_i32 s15, s15, s35
	s_mul_i32 s40, s14, s15
	s_mul_hi_u32 s42, s14, s41
	s_mul_hi_u32 s35, s14, s15
	s_add_u32 s40, s42, s40
	s_addc_u32 s35, 0, s35
	s_mul_hi_u32 s43, s34, s41
	s_mul_i32 s41, s34, s41
	s_add_u32 s40, s40, s41
	s_mul_hi_u32 s42, s34, s15
	s_addc_u32 s35, s35, s43
	s_addc_u32 s40, s42, 0
	s_mul_i32 s15, s34, s15
	s_add_u32 s15, s35, s15
	s_addc_u32 s35, 0, s40
	s_add_u32 s40, s14, s15
	s_cselect_b64 s[14:15], -1, 0
	s_cmp_lg_u64 s[14:15], 0
	s_addc_u32 s34, s34, s35
	s_mul_i32 s14, s28, s34
	s_mul_hi_u32 s15, s28, s40
	s_add_i32 s14, s15, s14
	s_mul_i32 s29, s29, s40
	s_add_i32 s14, s14, s29
	s_mul_i32 s28, s28, s40
	s_mul_hi_u32 s29, s34, s28
	s_mul_i32 s35, s34, s28
	s_mul_i32 s42, s40, s14
	s_mul_hi_u32 s28, s40, s28
	s_mul_hi_u32 s41, s40, s14
	s_add_u32 s28, s28, s42
	s_addc_u32 s41, 0, s41
	s_add_u32 s28, s28, s35
	s_mul_hi_u32 s15, s34, s14
	s_addc_u32 s28, s41, s29
	s_addc_u32 s15, s15, 0
	s_mul_i32 s14, s34, s14
	s_add_u32 s14, s28, s14
	s_addc_u32 s28, 0, s15
	s_add_u32 s35, s40, s14
	s_cselect_b64 s[14:15], -1, 0
	s_cmp_lg_u64 s[14:15], 0
	s_addc_u32 s34, s34, s28
	s_ashr_i32 s14, s61, 31
	s_add_u32 s28, s60, s14
	s_mov_b32 s15, s14
	s_addc_u32 s29, s61, s14
	s_xor_b64 s[28:29], s[28:29], s[14:15]
	s_mul_i32 s41, s28, s34
	s_mul_hi_u32 s42, s28, s35
	s_mul_hi_u32 s40, s28, s34
	s_add_u32 s41, s42, s41
	s_addc_u32 s40, 0, s40
	s_mul_hi_u32 s43, s29, s35
	s_mul_i32 s35, s29, s35
	s_add_u32 s35, s41, s35
	s_mul_hi_u32 s42, s29, s34
	s_addc_u32 s35, s40, s43
	s_addc_u32 s40, s42, 0
	s_mul_i32 s34, s29, s34
	s_add_u32 s34, s35, s34
	s_addc_u32 s35, 0, s40
	s_mul_i32 s35, s6, s35
	s_mul_hi_u32 s40, s6, s34
	s_add_i32 s35, s40, s35
	s_mul_i32 s40, s7, s34
	s_add_i32 s42, s35, s40
	s_sub_i32 s40, s29, s42
	s_mul_i32 s34, s6, s34
	s_sub_u32 s28, s28, s34
	s_cselect_b64 s[34:35], -1, 0
	s_cmp_lg_u64 s[34:35], 0
	s_subb_u32 s43, s40, s7
	s_sub_u32 s44, s28, s6
	s_cselect_b64 s[40:41], -1, 0
	s_cmp_lg_u64 s[40:41], 0
	s_subb_u32 s45, s43, 0
	s_cmp_ge_u32 s45, s7
	s_cselect_b32 s47, -1, 0
	s_cmp_ge_u32 s44, s6
	s_cselect_b32 s52, -1, 0
	s_cmp_eq_u32 s45, s7
	s_cselect_b32 s47, s52, s47
	s_cmp_lg_u64 s[40:41], 0
	s_subb_u32 s43, s43, s7
	s_sub_u32 s52, s44, s6
	s_cselect_b64 s[40:41], -1, 0
	s_cmp_lg_u64 s[40:41], 0
	s_subb_u32 s40, s43, 0
	s_cmp_lg_u32 s47, 0
	s_cselect_b32 s41, s52, s44
	s_cselect_b32 s40, s40, s45
	s_cmp_lg_u64 s[34:35], 0
	s_subb_u32 s29, s29, s42
	s_cmp_ge_u32 s29, s7
	s_cselect_b32 s34, -1, 0
	s_cmp_ge_u32 s28, s6
	s_cselect_b32 s6, -1, 0
	s_cmp_eq_u32 s29, s7
	s_cselect_b32 s6, s6, s34
	s_cmp_lg_u32 s6, 0
	s_cselect_b32 s7, s40, s29
	s_cselect_b32 s6, s41, s28
	s_xor_b64 s[6:7], s[6:7], s[14:15]
	s_sub_u32 s6, s6, s14
	s_subb_u32 s7, s7, s14
	s_cbranch_execnz .LBB5_186
.LBB5_185:                              ;   in Loop: Header=BB5_16 Depth=1
	v_cvt_f32_u32_e32 v6, s23
	s_sub_i32 s6, 0, s23
	v_rcp_iflag_f32_e32 v6, v6
	v_mul_f32_e32 v6, 0x4f7ffffe, v6
	v_cvt_u32_f32_e32 v6, v6
	v_readfirstlane_b32 s7, v6
	s_mul_i32 s6, s6, s7
	s_mul_hi_u32 s6, s7, s6
	s_add_i32 s7, s7, s6
	s_mul_hi_u32 s6, s60, s7
	s_mul_i32 s6, s6, s23
	s_sub_i32 s6, s60, s6
	s_sub_i32 s7, s6, s23
	s_cmp_ge_u32 s6, s23
	s_cselect_b32 s6, s7, s6
	s_sub_i32 s7, s6, s23
	s_cmp_ge_u32 s6, s23
	s_cselect_b32 s52, s7, s6
	s_mov_b64 s[6:7], s[52:53]
.LBB5_186:                              ;   in Loop: Header=BB5_16 Depth=1
	s_sub_u32 s42, s60, s6
	s_subb_u32 s43, s61, s7
	v_cmp_gt_i64_e32 vcc, s[42:43], v[0:1]
	s_mov_b64 s[14:15], 0
	s_mov_b64 s[6:7], 0
                                        ; implicit-def: $vgpr46
	s_and_saveexec_b64 s[40:41], vcc
	s_cbranch_execz .LBB5_197
; %bb.187:                              ;   in Loop: Header=BB5_16 Depth=1
	v_mov_b32_e32 v6, v12
	v_mov_b32_e32 v9, v1
	;; [unrolled: 1-line block ×4, first 2 shown]
                                        ; implicit-def: $sgpr28_sgpr29
	s_branch .LBB5_190
.LBB5_188:                              ;   in Loop: Header=BB5_190 Depth=2
	s_or_b64 exec, exec, s[34:35]
	s_waitcnt lgkmcnt(0)
	s_barrier
	ds_read_u16 v10, v3 offset:3072
	s_mov_b64 s[34:35], -1
	s_waitcnt lgkmcnt(0)
	s_barrier
	v_cmp_ne_u32_sdwa s[44:45], v10, v3 src0_sel:BYTE_0 src1_sel:DWORD
	s_and_b64 vcc, exec, s[44:45]
	s_mov_b64 s[44:45], -1
	s_cbranch_vccz .LBB5_193
.LBB5_189:                              ;   in Loop: Header=BB5_190 Depth=2
	s_and_b64 s[34:35], exec, s[34:35]
	s_or_b64 s[6:7], s[34:35], s[6:7]
	s_andn2_b64 s[28:29], s[28:29], exec
	s_and_b64 s[34:35], s[44:45], exec
	s_or_b64 s[28:29], s[28:29], s[34:35]
	s_andn2_b64 exec, exec, s[6:7]
	s_cbranch_execz .LBB5_196
.LBB5_190:                              ;   Parent Loop BB5_16 Depth=1
                                        ; =>  This Inner Loop Header: Depth=2
	v_cmp_gt_i64_e32 vcc, s[24:25], v[8:9]
	s_and_saveexec_b64 s[34:35], vcc
	s_cbranch_execz .LBB5_188
; %bb.191:                              ;   in Loop: Header=BB5_190 Depth=2
	global_load_ubyte v10, v[6:7], off
	s_waitcnt vmcnt(0)
	v_and_b32_e32 v11, v10, v45
	v_cmp_eq_u32_sdwa s[44:45], v11, v43 src0_sel:BYTE_0 src1_sel:DWORD
	s_and_b64 exec, exec, s[44:45]
	s_cbranch_execz .LBB5_188
; %bb.192:                              ;   in Loop: Header=BB5_190 Depth=2
	v_lshlrev_b16_e32 v10, 8, v10
	v_or_b32_e32 v10, 1, v10
	ds_write_b16 v3, v10 offset:3072
	s_branch .LBB5_188
.LBB5_193:                              ;   in Loop: Header=BB5_190 Depth=2
	v_add_co_u32_e32 v8, vcc, s23, v8
	v_addc_co_u32_e32 v9, vcc, 0, v9, vcc
	v_mov_b32_e32 v11, s33
	v_add_co_u32_e32 v6, vcc, s22, v6
	v_addc_co_u32_e32 v7, vcc, v7, v11, vcc
	v_cmp_le_i64_e32 vcc, s[42:43], v[8:9]
	s_mov_b64 s[44:45], 0
	s_orn2_b64 s[34:35], vcc, exec
	s_branch .LBB5_189
.LBB5_194:                              ;   in Loop: Header=BB5_16 Depth=1
                                        ; implicit-def: $sgpr6_sgpr7
	v_readlane_b32 s51, v57, 18
	s_andn2_b64 vcc, exec, s[14:15]
	s_cbranch_vccz .LBB5_139
	s_branch .LBB5_140
.LBB5_195:                              ;   in Loop: Header=BB5_16 Depth=1
                                        ; implicit-def: $sgpr14_sgpr15
	s_branch .LBB5_155
.LBB5_196:                              ;   in Loop: Header=BB5_16 Depth=1
	s_or_b64 exec, exec, s[6:7]
	v_lshrrev_b32_sdwa v46, v44, v10 dst_sel:DWORD dst_unused:UNUSED_PAD src0_sel:DWORD src1_sel:WORD_0
	s_and_b64 s[6:7], s[28:29], exec
.LBB5_197:                              ;   in Loop: Header=BB5_16 Depth=1
	s_or_b64 exec, exec, s[40:41]
.LBB5_198:                              ;   in Loop: Header=BB5_16 Depth=1
	s_and_b64 vcc, exec, s[14:15]
	s_cbranch_vccz .LBB5_212
; %bb.199:                              ;   in Loop: Header=BB5_16 Depth=1
	s_add_u32 s42, s50, s57
	v_readlane_b32 s14, v57, 19
	s_addc_u32 s15, s51, s14
	s_mov_b32 s14, s53
	s_mov_b32 s65, s57
	s_cmp_lg_u64 s[14:15], 0
	s_cbranch_scc0 .LBB5_240
; %bb.200:                              ;   in Loop: Header=BB5_16 Depth=1
	s_add_u32 s28, s23, 0
	s_addc_u32 s29, 0, 0
	s_xor_b64 s[40:41], s[28:29], 0
	v_cvt_f32_u32_e32 v6, s40
	v_cvt_f32_u32_e32 v7, s41
	s_sub_u32 s14, 0, s40
	s_subb_u32 s34, 0, s41
	v_mac_f32_e32 v6, 0x4f800000, v7
	v_rcp_f32_e32 v6, v6
	v_mul_f32_e32 v6, 0x5f7ffffc, v6
	v_mul_f32_e32 v7, 0x2f800000, v6
	v_trunc_f32_e32 v7, v7
	v_mac_f32_e32 v6, 0xcf800000, v7
	v_cvt_u32_f32_e32 v7, v7
	v_cvt_u32_f32_e32 v6, v6
	v_readfirstlane_b32 s35, v7
	v_readfirstlane_b32 s28, v6
	s_mul_i32 s29, s14, s35
	s_mul_hi_u32 s44, s14, s28
	s_mul_i32 s43, s34, s28
	s_add_i32 s29, s44, s29
	s_mul_i32 s45, s14, s28
	s_add_i32 s29, s29, s43
	s_mul_i32 s44, s28, s29
	s_mul_hi_u32 s47, s28, s45
	s_mul_hi_u32 s43, s28, s29
	s_add_u32 s44, s47, s44
	s_addc_u32 s43, 0, s43
	s_mul_hi_u32 s48, s35, s45
	s_mul_i32 s45, s35, s45
	s_add_u32 s44, s44, s45
	s_mul_hi_u32 s47, s35, s29
	s_addc_u32 s43, s43, s48
	s_addc_u32 s44, s47, 0
	s_mul_i32 s29, s35, s29
	s_add_u32 s29, s43, s29
	s_addc_u32 s43, 0, s44
	s_add_u32 s44, s28, s29
	s_cselect_b64 s[28:29], -1, 0
	s_cmp_lg_u64 s[28:29], 0
	s_addc_u32 s35, s35, s43
	s_mul_i32 s28, s14, s35
	s_mul_hi_u32 s29, s14, s44
	s_add_i32 s28, s29, s28
	s_mul_i32 s34, s34, s44
	s_add_i32 s28, s28, s34
	s_mul_i32 s14, s14, s44
	s_mul_hi_u32 s34, s35, s14
	s_mul_i32 s43, s35, s14
	s_mul_i32 s47, s44, s28
	s_mul_hi_u32 s14, s44, s14
	s_mul_hi_u32 s45, s44, s28
	s_add_u32 s14, s14, s47
	s_addc_u32 s45, 0, s45
	s_add_u32 s14, s14, s43
	s_mul_hi_u32 s29, s35, s28
	s_addc_u32 s14, s45, s34
	s_addc_u32 s29, s29, 0
	s_mul_i32 s28, s35, s28
	s_add_u32 s14, s14, s28
	s_addc_u32 s34, 0, s29
	s_add_u32 s14, s44, s14
	s_cselect_b64 s[28:29], -1, 0
	s_cmp_lg_u64 s[28:29], 0
	s_addc_u32 s43, s35, s34
	s_ashr_i32 s34, s15, 31
	s_add_u32 s28, s42, s34
	s_mov_b32 s35, s34
	s_addc_u32 s29, s15, s34
	s_xor_b64 s[28:29], s[28:29], s[34:35]
	s_mul_i32 s45, s28, s43
	s_mul_hi_u32 s47, s28, s14
	s_mul_hi_u32 s44, s28, s43
	s_add_u32 s45, s47, s45
	s_addc_u32 s44, 0, s44
	s_mul_hi_u32 s48, s29, s14
	s_mul_i32 s14, s29, s14
	s_add_u32 s14, s45, s14
	s_mul_hi_u32 s47, s29, s43
	s_addc_u32 s14, s44, s48
	s_addc_u32 s44, s47, 0
	s_mul_i32 s43, s29, s43
	s_add_u32 s14, s14, s43
	s_addc_u32 s43, 0, s44
	s_mul_i32 s43, s40, s43
	s_mul_hi_u32 s44, s40, s14
	s_add_i32 s43, s44, s43
	s_mul_i32 s44, s41, s14
	s_add_i32 s43, s43, s44
	s_sub_i32 s47, s29, s43
	s_mul_i32 s14, s40, s14
	s_sub_u32 s14, s28, s14
	s_cselect_b64 s[44:45], -1, 0
	s_cmp_lg_u64 s[44:45], 0
	s_subb_u32 s28, s47, s41
	s_sub_u32 s47, s14, s40
	s_cselect_b64 s[48:49], -1, 0
	s_cmp_lg_u64 s[48:49], 0
	s_subb_u32 s52, s28, 0
	s_cmp_ge_u32 s52, s41
	s_cselect_b32 s57, -1, 0
	s_cmp_ge_u32 s47, s40
	s_cselect_b32 s60, -1, 0
	s_cmp_eq_u32 s52, s41
	s_cselect_b32 s57, s60, s57
	s_cmp_lg_u64 s[48:49], 0
	s_subb_u32 s28, s28, s41
	s_sub_u32 s60, s47, s40
	s_cselect_b64 s[48:49], -1, 0
	s_cmp_lg_u64 s[48:49], 0
	s_subb_u32 s28, s28, 0
	s_cmp_lg_u32 s57, 0
	s_cselect_b32 s47, s60, s47
	s_cselect_b32 s28, s28, s52
	s_cmp_lg_u64 s[44:45], 0
	s_subb_u32 s29, s29, s43
	s_cmp_ge_u32 s29, s41
	s_cselect_b32 s43, -1, 0
	s_cmp_ge_u32 s14, s40
	s_cselect_b32 s40, -1, 0
	s_cmp_eq_u32 s29, s41
	s_cselect_b32 s40, s40, s43
	s_cmp_lg_u32 s40, 0
	s_cselect_b32 s29, s28, s29
	s_cselect_b32 s28, s47, s14
	s_xor_b64 s[28:29], s[28:29], s[34:35]
	s_sub_u32 s28, s28, s34
	s_subb_u32 s29, s29, s34
	s_cbranch_execnz .LBB5_202
.LBB5_201:                              ;   in Loop: Header=BB5_16 Depth=1
	v_cvt_f32_u32_e32 v6, s23
	s_sub_i32 s14, 0, s23
	v_rcp_iflag_f32_e32 v6, v6
	v_mul_f32_e32 v6, 0x4f7ffffe, v6
	v_cvt_u32_f32_e32 v6, v6
	v_readfirstlane_b32 s28, v6
	s_mul_i32 s14, s14, s28
	s_mul_hi_u32 s14, s28, s14
	s_add_i32 s28, s28, s14
	s_mul_hi_u32 s14, s42, s28
	s_mul_i32 s14, s14, s23
	s_sub_i32 s14, s42, s14
	s_sub_i32 s28, s14, s23
	s_cmp_ge_u32 s14, s23
	s_cselect_b32 s14, s28, s14
	s_sub_i32 s28, s14, s23
	s_cmp_ge_u32 s14, s23
	s_cselect_b32 s52, s28, s14
	s_mov_b64 s[28:29], s[52:53]
.LBB5_202:                              ;   in Loop: Header=BB5_16 Depth=1
	s_sub_u32 s28, s42, s28
	s_subb_u32 s29, s15, s29
	v_cmp_gt_i64_e32 vcc, s[28:29], v[0:1]
                                        ; implicit-def: $vgpr46
	s_and_saveexec_b64 s[14:15], vcc
	s_mov_b32 s57, s65
	s_cbranch_execz .LBB5_211
; %bb.203:                              ;   in Loop: Header=BB5_16 Depth=1
	v_mov_b32_e32 v7, v1
	s_mov_b64 s[34:35], 0
	v_mov_b32_e32 v8, v0
	v_mov_b32_e32 v6, v0
                                        ; implicit-def: $sgpr40_sgpr41
	s_branch .LBB5_206
.LBB5_204:                              ;   in Loop: Header=BB5_206 Depth=2
	s_or_b64 exec, exec, s[42:43]
	s_waitcnt lgkmcnt(0)
	s_barrier
	ds_read_u16 v9, v3 offset:3072
	s_mov_b64 s[42:43], -1
	s_waitcnt lgkmcnt(0)
	s_barrier
	v_cmp_eq_u32_sdwa s[44:45], v9, v3 src0_sel:BYTE_0 src1_sel:DWORD
	s_and_b64 vcc, exec, s[44:45]
	s_mov_b64 s[44:45], -1
	s_cbranch_vccnz .LBB5_209
.LBB5_205:                              ;   in Loop: Header=BB5_206 Depth=2
	s_and_b64 s[42:43], exec, s[42:43]
	s_or_b64 s[34:35], s[42:43], s[34:35]
	s_andn2_b64 s[40:41], s[40:41], exec
	s_and_b64 s[42:43], s[44:45], exec
	s_or_b64 s[40:41], s[40:41], s[42:43]
	s_andn2_b64 exec, exec, s[34:35]
	s_cbranch_execz .LBB5_210
.LBB5_206:                              ;   Parent Loop BB5_16 Depth=1
                                        ; =>  This Inner Loop Header: Depth=2
	v_cmp_gt_u64_e32 vcc, s[50:51], v[6:7]
	s_and_saveexec_b64 s[42:43], vcc
	s_cbranch_execz .LBB5_204
; %bb.207:                              ;   in Loop: Header=BB5_206 Depth=2
	ds_read_u8 v9, v8
	s_waitcnt lgkmcnt(0)
	v_and_b32_e32 v10, v9, v45
	v_cmp_eq_u32_sdwa s[44:45], v10, v43 src0_sel:BYTE_0 src1_sel:DWORD
	s_and_b64 exec, exec, s[44:45]
	s_cbranch_execz .LBB5_204
; %bb.208:                              ;   in Loop: Header=BB5_206 Depth=2
	v_lshlrev_b16_e32 v9, 8, v9
	v_or_b32_e32 v9, 1, v9
	ds_write_b16 v3, v9 offset:3072
	s_branch .LBB5_204
.LBB5_209:                              ;   in Loop: Header=BB5_206 Depth=2
	v_add_co_u32_e32 v6, vcc, s23, v6
	v_addc_co_u32_e32 v7, vcc, 0, v7, vcc
	v_cmp_le_i64_e32 vcc, s[28:29], v[6:7]
	v_add_u32_e32 v8, s23, v8
	s_mov_b64 s[44:45], 0
	s_orn2_b64 s[42:43], vcc, exec
	s_branch .LBB5_205
.LBB5_210:                              ;   in Loop: Header=BB5_16 Depth=1
	s_or_b64 exec, exec, s[34:35]
	s_andn2_b64 s[6:7], s[6:7], exec
	s_and_b64 s[28:29], s[40:41], exec
	v_lshrrev_b32_sdwa v46, v44, v9 dst_sel:DWORD dst_unused:UNUSED_PAD src0_sel:DWORD src1_sel:WORD_0
	s_or_b64 s[6:7], s[6:7], s[28:29]
.LBB5_211:                              ;   in Loop: Header=BB5_16 Depth=1
	s_or_b64 exec, exec, s[14:15]
	s_mov_b64 s[94:95], 0
	s_mov_b64 s[48:49], -1
.LBB5_212:                              ;   in Loop: Header=BB5_16 Depth=1
	s_orn2_b64 s[6:7], s[6:7], exec
.LBB5_213:                              ;   in Loop: Header=BB5_16 Depth=1
	s_or_b64 exec, exec, s[36:37]
	s_mov_b64 s[14:15], 0
	s_and_saveexec_b64 s[36:37], s[6:7]
	s_cbranch_execz .LBB5_271
; %bb.214:                              ;   in Loop: Header=BB5_16 Depth=1
	v_mov_b32_e32 v6, 1
	s_xor_b64 s[14:15], s[38:39], -1
	v_mov_b32_e32 v2, 1
	v_mov_b32_e32 v7, 0
	s_mov_b64 s[28:29], 0
	s_and_saveexec_b64 s[6:7], s[14:15]
	s_cbranch_execz .LBB5_223
; %bb.215:                              ;   in Loop: Header=BB5_16 Depth=1
	v_cmp_ge_i64_e32 vcc, s[86:87], v[4:5]
	s_and_saveexec_b64 s[14:15], vcc
	s_xor_b64 s[14:15], exec, s[14:15]
	s_cbranch_execz .LBB5_220
; %bb.216:                              ;   in Loop: Header=BB5_16 Depth=1
	ds_read_b64 v[6:7], v3 offset:5120
	v_and_b32_e32 v2, s46, v43
	v_lshl_or_b32 v43, 2, s12, v2
	v_or_b32_e32 v45, s56, v45
	s_waitcnt lgkmcnt(0)
	v_cmp_ne_u64_e32 vcc, 0, v[6:7]
	s_cbranch_vccnz .LBB5_220
; %bb.217:                              ;   in Loop: Header=BB5_16 Depth=1
	s_mov_b64 s[28:29], exec
	v_readlane_b32 s34, v57, 10
	v_readlane_b32 s35, v57, 11
	s_and_b64 s[34:35], s[28:29], s[34:35]
	s_mov_b64 exec, s[34:35]
; %bb.218:                              ;   in Loop: Header=BB5_16 Depth=1
	v_mov_b32_e32 v6, s86
	v_mov_b32_e32 v7, s87
	ds_write_b64 v3, v[6:7] offset:5128
; %bb.219:                              ;   in Loop: Header=BB5_16 Depth=1
	s_or_b64 exec, exec, s[28:29]
	s_waitcnt lgkmcnt(0)
	s_barrier
.LBB5_220:                              ;   in Loop: Header=BB5_16 Depth=1
	s_or_saveexec_b64 s[14:15], s[14:15]
	s_mov_b64 s[28:29], 0
	v_mov_b32_e32 v2, 8
	s_xor_b64 exec, exec, s[14:15]
; %bb.221:                              ;   in Loop: Header=BB5_16 Depth=1
	v_subrev_co_u32_e32 v4, vcc, s86, v4
	v_mov_b32_e32 v2, s87
	v_subb_co_u32_e32 v5, vcc, v5, v2, vcc
	v_mov_b32_e32 v2, 0
	s_mov_b64 s[28:29], exec
; %bb.222:                              ;   in Loop: Header=BB5_16 Depth=1
	s_or_b64 exec, exec, s[14:15]
	v_mov_b32_e32 v7, v5
	s_and_b64 s[28:29], s[28:29], exec
	v_mov_b32_e32 v6, v4
.LBB5_223:                              ;   in Loop: Header=BB5_16 Depth=1
	s_or_b64 exec, exec, s[6:7]
	s_mov_b64 s[14:15], -1
                                        ; implicit-def: $sgpr6_sgpr7
                                        ; implicit-def: $sgpr42_sgpr43
	s_and_saveexec_b64 s[38:39], s[28:29]
	s_cbranch_execz .LBB5_270
; %bb.224:                              ;   in Loop: Header=BB5_16 Depth=1
	s_cmp_eq_u64 s[16:17], 1
	v_cmp_eq_u64_e32 vcc, 1, v[6:7]
	s_cselect_b64 s[6:7], -1, 0
	s_and_b64 s[40:41], s[6:7], vcc
	s_mov_b64 s[28:29], -1
                                        ; implicit-def: $sgpr6_sgpr7
                                        ; implicit-def: $sgpr42_sgpr43
	s_and_saveexec_b64 s[86:87], s[40:41]
	s_cbranch_execz .LBB5_258
; %bb.225:                              ;   in Loop: Header=BB5_16 Depth=1
	ds_read_b64 v[4:5], v3 offset:5120
	v_writelane_b32 v57, s40, 43
	v_writelane_b32 v57, s41, 44
	s_waitcnt lgkmcnt(0)
	s_barrier
	v_readfirstlane_b32 s40, v4
	v_readfirstlane_b32 s41, v5
	s_mov_b64 s[6:7], exec
	v_readlane_b32 s14, v57, 39
	v_readlane_b32 s15, v57, 40
	s_and_b64 s[14:15], s[6:7], s[14:15]
	s_mov_b64 exec, s[14:15]
; %bb.226:                              ;   in Loop: Header=BB5_16 Depth=1
	ds_write_b8 v0, v3 offset:3072
; %bb.227:                              ;   in Loop: Header=BB5_16 Depth=1
	s_or_b64 exec, exec, s[6:7]
	v_cmp_gt_i64_e64 s[14:15], s[40:41], 0
	v_or_b32_e32 v43, s56, v43
	v_or_b32_e32 v45, s56, v45
	s_mov_b64 s[42:43], -1
	s_mov_b64 s[6:7], 0
	s_and_b64 vcc, exec, s[14:15]
	s_mov_b64 s[14:15], 0
	s_mov_b64 s[44:45], -1
	s_waitcnt lgkmcnt(0)
	s_barrier
                                        ; implicit-def: $vgpr46
	s_cbranch_vccnz .LBB5_243
; %bb.228:                              ;   in Loop: Header=BB5_16 Depth=1
	v_writelane_b32 v57, s66, 45
	v_writelane_b32 v57, s67, 46
	s_mov_b32 s60, s53
	s_mov_b32 s50, s57
	v_writelane_b32 v57, s64, 47
	s_cmp_lg_u64 s[60:61], 0
	v_writelane_b32 v57, s65, 48
	s_cbranch_scc0 .LBB5_277
; %bb.229:                              ;   in Loop: Header=BB5_16 Depth=1
	s_add_u32 s14, s23, 0
	s_addc_u32 s15, 0, 0
	s_xor_b64 s[14:15], s[14:15], 0
	v_cvt_f32_u32_e32 v4, s14
	v_cvt_f32_u32_e32 v5, s15
	s_sub_u32 s34, 0, s14
	s_subb_u32 s35, 0, s15
	v_readlane_b32 s51, v57, 18
	v_mac_f32_e32 v4, 0x4f800000, v5
	v_rcp_f32_e32 v4, v4
	v_mul_f32_e32 v4, 0x5f7ffffc, v4
	v_mul_f32_e32 v5, 0x2f800000, v4
	v_trunc_f32_e32 v5, v5
	v_mac_f32_e32 v4, 0xcf800000, v5
	v_cvt_u32_f32_e32 v5, v5
	v_cvt_u32_f32_e32 v4, v4
	v_readfirstlane_b32 s44, v5
	v_readfirstlane_b32 s28, v4
	s_mul_i32 s29, s34, s44
	s_mul_hi_u32 s46, s34, s28
	s_mul_i32 s45, s35, s28
	s_add_i32 s29, s46, s29
	s_mul_i32 s47, s34, s28
	s_add_i32 s29, s29, s45
	s_mul_i32 s46, s28, s29
	s_mul_hi_u32 s52, s28, s47
	s_mul_hi_u32 s45, s28, s29
	s_add_u32 s46, s52, s46
	s_addc_u32 s45, 0, s45
	s_mul_hi_u32 s57, s44, s47
	s_mul_i32 s47, s44, s47
	s_add_u32 s46, s46, s47
	s_mul_hi_u32 s52, s44, s29
	s_addc_u32 s45, s45, s57
	s_addc_u32 s46, s52, 0
	s_mul_i32 s29, s44, s29
	s_add_u32 s29, s45, s29
	s_addc_u32 s45, 0, s46
	s_add_u32 s46, s28, s29
	s_cselect_b64 s[28:29], -1, 0
	s_cmp_lg_u64 s[28:29], 0
	s_addc_u32 s44, s44, s45
	s_mul_i32 s28, s34, s44
	s_mul_hi_u32 s29, s34, s46
	s_add_i32 s28, s29, s28
	s_mul_i32 s35, s35, s46
	s_add_i32 s28, s28, s35
	s_mul_i32 s34, s34, s46
	s_mul_hi_u32 s35, s44, s34
	s_mul_i32 s45, s44, s34
	s_mul_i32 s52, s46, s28
	s_mul_hi_u32 s34, s46, s34
	s_mul_hi_u32 s47, s46, s28
	s_add_u32 s34, s34, s52
	s_addc_u32 s47, 0, s47
	s_add_u32 s34, s34, s45
	s_mul_hi_u32 s29, s44, s28
	s_addc_u32 s34, s47, s35
	s_addc_u32 s29, s29, 0
	s_mul_i32 s28, s44, s28
	s_add_u32 s28, s34, s28
	s_addc_u32 s34, 0, s29
	s_add_u32 s45, s46, s28
	s_cselect_b64 s[28:29], -1, 0
	s_cmp_lg_u64 s[28:29], 0
	s_addc_u32 s44, s44, s34
	s_ashr_i32 s28, s61, 31
	s_add_u32 s34, s51, s28
	s_mov_b32 s29, s28
	s_addc_u32 s35, s61, s28
	s_xor_b64 s[34:35], s[34:35], s[28:29]
	s_mul_i32 s47, s34, s44
	s_mul_hi_u32 s52, s34, s45
	s_mul_hi_u32 s46, s34, s44
	s_add_u32 s47, s52, s47
	s_addc_u32 s46, 0, s46
	s_mul_hi_u32 s57, s35, s45
	s_mul_i32 s45, s35, s45
	s_add_u32 s45, s47, s45
	s_mul_hi_u32 s52, s35, s44
	s_addc_u32 s45, s46, s57
	s_addc_u32 s46, s52, 0
	s_mul_i32 s44, s35, s44
	s_add_u32 s44, s45, s44
	s_addc_u32 s45, 0, s46
	s_mul_i32 s45, s14, s45
	s_mul_hi_u32 s46, s14, s44
	s_add_i32 s45, s46, s45
	s_mul_i32 s46, s15, s44
	s_add_i32 s52, s45, s46
	s_sub_i32 s46, s35, s52
	s_mul_i32 s44, s14, s44
	s_sub_u32 s34, s34, s44
	s_cselect_b64 s[44:45], -1, 0
	s_cmp_lg_u64 s[44:45], 0
	s_subb_u32 s57, s46, s15
	s_sub_u32 s60, s34, s14
	s_cselect_b64 s[46:47], -1, 0
	s_cmp_lg_u64 s[46:47], 0
	s_subb_u32 s64, s57, 0
	s_cmp_ge_u32 s64, s15
	s_cselect_b32 s65, -1, 0
	s_cmp_ge_u32 s60, s14
	s_cselect_b32 s66, -1, 0
	s_cmp_eq_u32 s64, s15
	s_cselect_b32 s65, s66, s65
	s_cmp_lg_u64 s[46:47], 0
	s_subb_u32 s57, s57, s15
	s_sub_u32 s66, s60, s14
	s_cselect_b64 s[46:47], -1, 0
	s_cmp_lg_u64 s[46:47], 0
	s_subb_u32 s46, s57, 0
	s_cmp_lg_u32 s65, 0
	s_cselect_b32 s47, s66, s60
	s_cselect_b32 s46, s46, s64
	s_cmp_lg_u64 s[44:45], 0
	s_subb_u32 s35, s35, s52
	s_cmp_ge_u32 s35, s15
	s_cselect_b32 s44, -1, 0
	s_cmp_ge_u32 s34, s14
	s_cselect_b32 s14, -1, 0
	s_cmp_eq_u32 s35, s15
	s_cselect_b32 s14, s14, s44
	s_cmp_lg_u32 s14, 0
	s_cselect_b32 s15, s46, s35
	s_cselect_b32 s14, s47, s34
	s_xor_b64 s[14:15], s[14:15], s[28:29]
	s_sub_u32 s14, s14, s28
	s_subb_u32 s15, s15, s28
	s_cbranch_execnz .LBB5_231
.LBB5_230:                              ;   in Loop: Header=BB5_16 Depth=1
	v_cvt_f32_u32_e32 v4, s23
	s_sub_i32 s14, 0, s23
	v_rcp_iflag_f32_e32 v4, v4
	v_mul_f32_e32 v4, 0x4f7ffffe, v4
	v_cvt_u32_f32_e32 v4, v4
	v_readfirstlane_b32 s15, v4
	s_mul_i32 s14, s14, s15
	s_mul_hi_u32 s14, s15, s14
	s_add_i32 s15, s15, s14
	s_mul_hi_u32 s14, s51, s15
	s_mul_i32 s14, s14, s23
	s_sub_i32 s14, s51, s14
	s_sub_i32 s15, s14, s23
	s_cmp_ge_u32 s14, s23
	s_cselect_b32 s14, s15, s14
	s_sub_i32 s15, s14, s23
	s_cmp_ge_u32 s14, s23
	s_cselect_b32 s52, s15, s14
	s_mov_b64 s[14:15], s[52:53]
.LBB5_231:                              ;   in Loop: Header=BB5_16 Depth=1
	s_sub_u32 s28, s51, s14
	s_subb_u32 s29, s61, s15
	v_cmp_gt_i64_e32 vcc, s[28:29], v[0:1]
	s_mov_b64 s[44:45], 0
	s_mov_b64 s[14:15], 0
                                        ; implicit-def: $vgpr46
	s_and_saveexec_b64 s[46:47], vcc
	s_mov_b32 s57, s50
	s_cbranch_execz .LBB5_242
; %bb.232:                              ;   in Loop: Header=BB5_16 Depth=1
	v_mov_b32_e32 v4, v12
	v_mov_b32_e32 v9, v1
	;; [unrolled: 1-line block ×4, first 2 shown]
                                        ; implicit-def: $sgpr34_sgpr35
	s_branch .LBB5_235
.LBB5_233:                              ;   in Loop: Header=BB5_235 Depth=2
	s_or_b64 exec, exec, s[64:65]
	s_waitcnt lgkmcnt(0)
	s_barrier
	ds_read_u16 v10, v3 offset:3072
	s_mov_b64 s[64:65], -1
	s_waitcnt lgkmcnt(0)
	s_barrier
	v_cmp_ne_u32_sdwa s[66:67], v10, v3 src0_sel:BYTE_0 src1_sel:DWORD
	s_and_b64 vcc, exec, s[66:67]
	s_mov_b64 s[66:67], -1
	s_cbranch_vccz .LBB5_238
.LBB5_234:                              ;   in Loop: Header=BB5_235 Depth=2
	s_and_b64 s[64:65], exec, s[64:65]
	s_or_b64 s[14:15], s[64:65], s[14:15]
	s_andn2_b64 s[34:35], s[34:35], exec
	s_and_b64 s[64:65], s[66:67], exec
	s_or_b64 s[34:35], s[34:35], s[64:65]
	s_andn2_b64 exec, exec, s[14:15]
	s_cbranch_execz .LBB5_241
.LBB5_235:                              ;   Parent Loop BB5_16 Depth=1
                                        ; =>  This Inner Loop Header: Depth=2
	v_cmp_gt_i64_e32 vcc, s[24:25], v[8:9]
	s_and_saveexec_b64 s[64:65], vcc
	s_cbranch_execz .LBB5_233
; %bb.236:                              ;   in Loop: Header=BB5_235 Depth=2
	global_load_ubyte v10, v[4:5], off
	s_waitcnt vmcnt(0)
	v_and_b32_e32 v11, v10, v45
	v_cmp_eq_u32_sdwa s[66:67], v11, v43 src0_sel:BYTE_0 src1_sel:DWORD
	s_and_b64 exec, exec, s[66:67]
	s_cbranch_execz .LBB5_233
; %bb.237:                              ;   in Loop: Header=BB5_235 Depth=2
	v_lshlrev_b16_e32 v10, 8, v10
	v_or_b32_e32 v10, 1, v10
	ds_write_b16 v3, v10 offset:3072
	s_branch .LBB5_233
.LBB5_238:                              ;   in Loop: Header=BB5_235 Depth=2
	v_add_co_u32_e32 v8, vcc, s23, v8
	v_addc_co_u32_e32 v9, vcc, 0, v9, vcc
	v_mov_b32_e32 v11, s33
	v_add_co_u32_e32 v4, vcc, s22, v4
	v_addc_co_u32_e32 v5, vcc, v5, v11, vcc
	v_cmp_le_i64_e32 vcc, s[28:29], v[8:9]
	s_mov_b64 s[66:67], 0
	s_orn2_b64 s[64:65], vcc, exec
	s_branch .LBB5_234
.LBB5_239:                              ;   in Loop: Header=BB5_16 Depth=1
	v_readlane_b32 s60, v57, 18
                                        ; implicit-def: $sgpr6_sgpr7
	s_andn2_b64 vcc, exec, s[14:15]
	s_cbranch_vccz .LBB5_185
	s_branch .LBB5_186
.LBB5_240:                              ;   in Loop: Header=BB5_16 Depth=1
                                        ; implicit-def: $sgpr28_sgpr29
	s_branch .LBB5_201
.LBB5_241:                              ;   in Loop: Header=BB5_16 Depth=1
	s_or_b64 exec, exec, s[14:15]
	v_lshrrev_b32_sdwa v46, v44, v10 dst_sel:DWORD dst_unused:UNUSED_PAD src0_sel:DWORD src1_sel:WORD_0
	s_and_b64 s[14:15], s[34:35], exec
.LBB5_242:                              ;   in Loop: Header=BB5_16 Depth=1
	s_or_b64 exec, exec, s[46:47]
	v_readlane_b32 s66, v57, 45
	v_readlane_b32 s64, v57, 47
	;; [unrolled: 1-line block ×4, first 2 shown]
.LBB5_243:                              ;   in Loop: Header=BB5_16 Depth=1
	s_and_b64 vcc, exec, s[44:45]
	s_cbranch_vccz .LBB5_257
; %bb.244:                              ;   in Loop: Header=BB5_16 Depth=1
	s_add_u32 s44, s40, s57
	v_readlane_b32 s6, v57, 19
	s_addc_u32 s7, s41, s6
	s_mov_b32 s6, s53
	s_mov_b64 s[50:51], s[66:67]
	s_mov_b32 s67, s57
	s_cmp_lg_u64 s[6:7], 0
	s_cbranch_scc0 .LBB5_278
; %bb.245:                              ;   in Loop: Header=BB5_16 Depth=1
	s_add_u32 s28, s23, 0
	s_addc_u32 s29, 0, 0
	s_xor_b64 s[42:43], s[28:29], 0
	v_cvt_f32_u32_e32 v4, s42
	v_cvt_f32_u32_e32 v5, s43
	s_sub_u32 s6, 0, s42
	s_subb_u32 s34, 0, s43
	s_mov_b32 vcc_lo, s64
	v_mac_f32_e32 v4, 0x4f800000, v5
	v_rcp_f32_e32 v4, v4
	v_mul_f32_e32 v4, 0x5f7ffffc, v4
	v_mul_f32_e32 v5, 0x2f800000, v4
	v_trunc_f32_e32 v5, v5
	v_mac_f32_e32 v4, 0xcf800000, v5
	v_cvt_u32_f32_e32 v5, v5
	v_cvt_u32_f32_e32 v4, v4
	v_readfirstlane_b32 s35, v5
	v_readfirstlane_b32 s28, v4
	s_mul_i32 s29, s6, s35
	s_mul_hi_u32 s46, s6, s28
	s_mul_i32 s45, s34, s28
	s_add_i32 s29, s46, s29
	s_mul_i32 s47, s6, s28
	s_add_i32 s29, s29, s45
	s_mul_i32 s46, s28, s29
	s_mul_hi_u32 s52, s28, s47
	s_mul_hi_u32 s45, s28, s29
	s_add_u32 s46, s52, s46
	s_addc_u32 s45, 0, s45
	s_mul_hi_u32 s57, s35, s47
	s_mul_i32 s47, s35, s47
	s_add_u32 s46, s46, s47
	s_mul_hi_u32 s52, s35, s29
	s_addc_u32 s45, s45, s57
	s_addc_u32 s46, s52, 0
	s_mul_i32 s29, s35, s29
	s_add_u32 s29, s45, s29
	s_addc_u32 s45, 0, s46
	s_add_u32 s46, s28, s29
	s_cselect_b64 s[28:29], -1, 0
	s_cmp_lg_u64 s[28:29], 0
	s_addc_u32 s35, s35, s45
	s_mul_i32 s28, s6, s35
	s_mul_hi_u32 s29, s6, s46
	s_add_i32 s28, s29, s28
	s_mul_i32 s34, s34, s46
	s_add_i32 s28, s28, s34
	s_mul_i32 s6, s6, s46
	s_mul_hi_u32 s34, s35, s6
	s_mul_i32 s45, s35, s6
	s_mul_i32 s52, s46, s28
	s_mul_hi_u32 s6, s46, s6
	s_mul_hi_u32 s47, s46, s28
	s_add_u32 s6, s6, s52
	s_addc_u32 s47, 0, s47
	s_add_u32 s6, s6, s45
	s_mul_hi_u32 s29, s35, s28
	s_addc_u32 s6, s47, s34
	s_addc_u32 s29, s29, 0
	s_mul_i32 s28, s35, s28
	s_add_u32 s6, s6, s28
	s_addc_u32 s34, 0, s29
	s_add_u32 s6, s46, s6
	s_cselect_b64 s[28:29], -1, 0
	s_cmp_lg_u64 s[28:29], 0
	s_addc_u32 s45, s35, s34
	s_ashr_i32 s34, s7, 31
	s_add_u32 s28, s44, s34
	s_mov_b32 s35, s34
	s_addc_u32 s29, s7, s34
	s_xor_b64 s[28:29], s[28:29], s[34:35]
	s_mul_i32 s47, s28, s45
	s_mul_hi_u32 s52, s28, s6
	s_mul_hi_u32 s46, s28, s45
	s_add_u32 s47, s52, s47
	s_addc_u32 s46, 0, s46
	s_mul_hi_u32 s57, s29, s6
	s_mul_i32 s6, s29, s6
	s_add_u32 s6, s47, s6
	s_mul_hi_u32 s52, s29, s45
	s_addc_u32 s6, s46, s57
	s_addc_u32 s46, s52, 0
	s_mul_i32 s45, s29, s45
	s_add_u32 s6, s6, s45
	s_addc_u32 s45, 0, s46
	s_mul_i32 s45, s42, s45
	s_mul_hi_u32 s46, s42, s6
	s_add_i32 s45, s46, s45
	s_mul_i32 s46, s43, s6
	s_add_i32 s45, s45, s46
	s_sub_i32 s52, s29, s45
	s_mul_i32 s6, s42, s6
	s_sub_u32 s6, s28, s6
	s_cselect_b64 s[46:47], -1, 0
	s_cmp_lg_u64 s[46:47], 0
	s_subb_u32 s28, s52, s43
	s_sub_u32 s52, s6, s42
	s_cselect_b64 s[64:65], -1, 0
	s_cmp_lg_u64 s[64:65], 0
	s_subb_u32 s57, s28, 0
	s_cmp_ge_u32 s57, s43
	s_cselect_b32 s60, -1, 0
	s_cmp_ge_u32 s52, s42
	s_cselect_b32 s66, -1, 0
	s_cmp_eq_u32 s57, s43
	s_cselect_b32 s60, s66, s60
	s_cmp_lg_u64 s[64:65], 0
	s_subb_u32 s28, s28, s43
	s_sub_u32 s66, s52, s42
	s_cselect_b64 s[64:65], -1, 0
	s_cmp_lg_u64 s[64:65], 0
	s_subb_u32 s28, s28, 0
	s_cmp_lg_u32 s60, 0
	s_cselect_b32 s52, s66, s52
	s_cselect_b32 s28, s28, s57
	s_cmp_lg_u64 s[46:47], 0
	s_subb_u32 s29, s29, s45
	s_cmp_ge_u32 s29, s43
	s_cselect_b32 s45, -1, 0
	s_cmp_ge_u32 s6, s42
	s_cselect_b32 s42, -1, 0
	s_cmp_eq_u32 s29, s43
	s_cselect_b32 s42, s42, s45
	s_cmp_lg_u32 s42, 0
	s_cselect_b32 s29, s28, s29
	s_cselect_b32 s28, s52, s6
	s_xor_b64 s[28:29], s[28:29], s[34:35]
	s_sub_u32 s28, s28, s34
	s_mov_b32 s64, vcc_lo
	s_subb_u32 s29, s29, s34
	s_cbranch_execnz .LBB5_247
.LBB5_246:                              ;   in Loop: Header=BB5_16 Depth=1
	v_cvt_f32_u32_e32 v4, s23
	s_sub_i32 s6, 0, s23
	v_rcp_iflag_f32_e32 v4, v4
	v_mul_f32_e32 v4, 0x4f7ffffe, v4
	v_cvt_u32_f32_e32 v4, v4
	v_readfirstlane_b32 s28, v4
	s_mul_i32 s6, s6, s28
	s_mul_hi_u32 s6, s28, s6
	s_add_i32 s28, s28, s6
	s_mul_hi_u32 s6, s44, s28
	s_mul_i32 s6, s6, s23
	s_sub_i32 s6, s44, s6
	s_sub_i32 s28, s6, s23
	s_cmp_ge_u32 s6, s23
	s_cselect_b32 s6, s28, s6
	s_sub_i32 s28, s6, s23
	s_cmp_ge_u32 s6, s23
	s_cselect_b32 s52, s28, s6
	s_mov_b64 s[28:29], s[52:53]
.LBB5_247:                              ;   in Loop: Header=BB5_16 Depth=1
	s_sub_u32 s28, s44, s28
	s_subb_u32 s29, s7, s29
	v_cmp_gt_i64_e32 vcc, s[28:29], v[0:1]
                                        ; implicit-def: $vgpr46
	s_and_saveexec_b64 s[6:7], vcc
	s_mov_b32 s57, s67
	s_mov_b64 s[66:67], s[50:51]
	s_cbranch_execz .LBB5_256
; %bb.248:                              ;   in Loop: Header=BB5_16 Depth=1
	v_mov_b32_e32 v5, v1
	s_mov_b64 s[34:35], 0
	v_mov_b32_e32 v8, v0
	v_mov_b32_e32 v4, v0
                                        ; implicit-def: $sgpr42_sgpr43
	s_branch .LBB5_251
.LBB5_249:                              ;   in Loop: Header=BB5_251 Depth=2
	s_or_b64 exec, exec, s[44:45]
	s_waitcnt lgkmcnt(0)
	s_barrier
	ds_read_u16 v9, v3 offset:3072
	s_mov_b64 s[44:45], -1
	s_waitcnt lgkmcnt(0)
	s_barrier
	v_cmp_eq_u32_sdwa s[46:47], v9, v3 src0_sel:BYTE_0 src1_sel:DWORD
	s_and_b64 vcc, exec, s[46:47]
	s_mov_b64 s[46:47], -1
	s_cbranch_vccnz .LBB5_254
.LBB5_250:                              ;   in Loop: Header=BB5_251 Depth=2
	s_and_b64 s[44:45], exec, s[44:45]
	s_or_b64 s[34:35], s[44:45], s[34:35]
	s_andn2_b64 s[42:43], s[42:43], exec
	s_and_b64 s[44:45], s[46:47], exec
	s_or_b64 s[42:43], s[42:43], s[44:45]
	s_andn2_b64 exec, exec, s[34:35]
	s_cbranch_execz .LBB5_255
.LBB5_251:                              ;   Parent Loop BB5_16 Depth=1
                                        ; =>  This Inner Loop Header: Depth=2
	v_cmp_gt_u64_e32 vcc, s[40:41], v[4:5]
	s_and_saveexec_b64 s[44:45], vcc
	s_cbranch_execz .LBB5_249
; %bb.252:                              ;   in Loop: Header=BB5_251 Depth=2
	ds_read_u8 v9, v8
	s_waitcnt lgkmcnt(0)
	v_and_b32_e32 v10, v9, v45
	v_cmp_eq_u32_sdwa s[46:47], v10, v43 src0_sel:BYTE_0 src1_sel:DWORD
	s_and_b64 exec, exec, s[46:47]
	s_cbranch_execz .LBB5_249
; %bb.253:                              ;   in Loop: Header=BB5_251 Depth=2
	v_lshlrev_b16_e32 v9, 8, v9
	v_or_b32_e32 v9, 1, v9
	ds_write_b16 v3, v9 offset:3072
	s_branch .LBB5_249
.LBB5_254:                              ;   in Loop: Header=BB5_251 Depth=2
	v_add_co_u32_e32 v4, vcc, s23, v4
	v_addc_co_u32_e32 v5, vcc, 0, v5, vcc
	v_cmp_le_i64_e32 vcc, s[28:29], v[4:5]
	v_add_u32_e32 v8, s23, v8
	s_mov_b64 s[46:47], 0
	s_orn2_b64 s[44:45], vcc, exec
	s_branch .LBB5_250
.LBB5_255:                              ;   in Loop: Header=BB5_16 Depth=1
	s_or_b64 exec, exec, s[34:35]
	s_andn2_b64 s[14:15], s[14:15], exec
	s_and_b64 s[28:29], s[42:43], exec
	v_lshrrev_b32_sdwa v46, v44, v9 dst_sel:DWORD dst_unused:UNUSED_PAD src0_sel:DWORD src1_sel:WORD_0
	s_or_b64 s[14:15], s[14:15], s[28:29]
.LBB5_256:                              ;   in Loop: Header=BB5_16 Depth=1
	s_or_b64 exec, exec, s[6:7]
	s_mov_b64 s[42:43], 0
	s_mov_b64 s[6:7], -1
.LBB5_257:                              ;   in Loop: Header=BB5_16 Depth=1
	v_readlane_b32 s40, v57, 43
	s_orn2_b64 s[28:29], s[14:15], exec
	v_readlane_b32 s41, v57, 44
.LBB5_258:                              ;   in Loop: Header=BB5_16 Depth=1
	s_or_b64 exec, exec, s[86:87]
	s_mov_b64 s[34:35], 0
	s_and_saveexec_b64 s[14:15], s[28:29]
	s_cbranch_execz .LBB5_269
; %bb.259:                              ;   in Loop: Header=BB5_16 Depth=1
	v_mov_b32_e32 v4, 1
	s_xor_b64 s[28:29], s[40:41], -1
	v_mov_b32_e32 v5, 0
	v_mov_b32_e32 v2, 1
	s_and_saveexec_b64 s[40:41], s[28:29]
	s_cbranch_execz .LBB5_268
; %bb.260:                              ;   in Loop: Header=BB5_16 Depth=1
	v_cmp_ge_i64_e32 vcc, s[16:17], v[6:7]
	s_and_saveexec_b64 s[28:29], vcc
	s_xor_b64 s[28:29], exec, s[28:29]
	s_cbranch_execz .LBB5_265
; %bb.261:                              ;   in Loop: Header=BB5_16 Depth=1
	ds_read_b64 v[4:5], v3 offset:5120
	v_or_b32_e32 v43, s56, v43
	v_or_b32_e32 v45, s56, v45
	s_waitcnt lgkmcnt(0)
	v_cmp_ne_u64_e32 vcc, 0, v[4:5]
	s_cbranch_vccnz .LBB5_265
; %bb.262:                              ;   in Loop: Header=BB5_16 Depth=1
	s_mov_b64 s[34:35], exec
	v_readlane_b32 s44, v57, 10
	v_readlane_b32 s45, v57, 11
	s_and_b64 s[44:45], s[34:35], s[44:45]
	s_mov_b64 exec, s[44:45]
; %bb.263:                              ;   in Loop: Header=BB5_16 Depth=1
	v_mov_b32_e32 v4, s16
	v_mov_b32_e32 v5, s17
	ds_write_b64 v3, v[4:5] offset:5128
; %bb.264:                              ;   in Loop: Header=BB5_16 Depth=1
	s_or_b64 exec, exec, s[34:35]
	s_waitcnt lgkmcnt(0)
	s_barrier
.LBB5_265:                              ;   in Loop: Header=BB5_16 Depth=1
	s_andn2_saveexec_b64 s[28:29], s[28:29]
; %bb.266:                              ;   in Loop: Header=BB5_16 Depth=1
	v_mov_b32_e32 v2, s17
	v_subrev_co_u32_e32 v6, vcc, s16, v6
	v_subb_co_u32_e32 v7, vcc, v7, v2, vcc
; %bb.267:                              ;   in Loop: Header=BB5_16 Depth=1
	s_or_b64 exec, exec, s[28:29]
	v_mov_b32_e32 v4, v6
	v_mov_b32_e32 v2, 8
	;; [unrolled: 1-line block ×3, first 2 shown]
.LBB5_268:                              ;   in Loop: Header=BB5_16 Depth=1
	s_or_b64 exec, exec, s[40:41]
	v_mov_b32_e32 v7, v5
	s_mov_b64 s[34:35], exec
	v_mov_b32_e32 v6, v4
.LBB5_269:                              ;   in Loop: Header=BB5_16 Depth=1
	s_or_b64 exec, exec, s[14:15]
	s_orn2_b64 s[14:15], s[34:35], exec
.LBB5_270:                              ;   in Loop: Header=BB5_16 Depth=1
	s_or_b64 exec, exec, s[38:39]
	s_andn2_b64 s[16:17], s[48:49], exec
	s_and_b64 s[6:7], s[6:7], exec
	s_or_b64 s[48:49], s[16:17], s[6:7]
	s_andn2_b64 s[6:7], s[94:95], exec
	s_and_b64 s[16:17], s[42:43], exec
	v_mov_b32_e32 v4, v6
	s_or_b64 s[94:95], s[6:7], s[16:17]
	s_and_b64 s[14:15], s[14:15], exec
	v_mov_b32_e32 v5, v7
.LBB5_271:                              ;   in Loop: Header=BB5_16 Depth=1
	s_or_b64 exec, exec, s[36:37]
	s_orn2_b64 s[6:7], s[14:15], exec
.LBB5_272:                              ;   in Loop: Header=BB5_16 Depth=1
	s_or_b64 exec, exec, s[92:93]
	s_andn2_b64 s[14:15], s[88:89], exec
	s_and_b64 s[16:17], s[48:49], exec
	s_or_b64 s[88:89], s[14:15], s[16:17]
	s_andn2_b64 s[4:5], s[4:5], exec
	s_and_b64 s[14:15], s[94:95], exec
	v_mov_b32_e32 v9, v5
	s_or_b64 s[4:5], s[4:5], s[14:15]
	s_and_b64 s[14:15], s[6:7], exec
	v_mov_b32_e32 v8, v4
.LBB5_273:                              ;   in Loop: Header=BB5_16 Depth=1
	s_or_b64 exec, exec, s[90:91]
	s_orn2_b64 s[6:7], s[14:15], exec
.LBB5_274:                              ;   in Loop: Header=BB5_16 Depth=1
	s_or_b64 exec, exec, s[26:27]
	s_mov_b64 s[14:15], 0
	s_and_saveexec_b64 s[16:17], s[6:7]
	s_xor_b64 s[6:7], exec, s[16:17]
	s_cbranch_execz .LBB5_14
; %bb.275:                              ;   in Loop: Header=BB5_16 Depth=1
	v_and_b32_e32 v2, 7, v2
	v_cmp_eq_u32_e32 vcc, 0, v2
	s_mov_b64 s[16:17], -1
	s_mov_b64 s[14:15], -1
	s_and_saveexec_b64 s[20:21], vcc
	s_cbranch_execz .LBB5_13
; %bb.276:                              ;   in Loop: Header=BB5_16 Depth=1
	s_xor_b32 s8, s8, 1
	s_add_i32 s26, s12, -2
	s_cmp_eq_u32 s12, 0
	s_cselect_b64 s[16:17], -1, 0
	s_xor_b64 s[14:15], exec, -1
	s_orn2_b64 s[16:17], s[16:17], exec
	s_mov_b32 s12, s26
	s_branch .LBB5_13
.LBB5_277:                              ;   in Loop: Header=BB5_16 Depth=1
	v_readlane_b32 s51, v57, 18
                                        ; implicit-def: $sgpr14_sgpr15
	s_andn2_b64 vcc, exec, s[28:29]
	s_cbranch_vccz .LBB5_230
	s_branch .LBB5_231
.LBB5_278:                              ;   in Loop: Header=BB5_16 Depth=1
                                        ; implicit-def: $sgpr28_sgpr29
	s_branch .LBB5_246
.LBB5_279:
	s_or_b64 exec, exec, s[72:73]
	s_xor_b64 s[6:7], s[78:79], -1
	s_xor_b64 s[0:1], s[74:75], -1
	;; [unrolled: 1-line block ×3, first 2 shown]
	s_mov_b64 s[2:3], 0
	s_and_saveexec_b64 s[4:5], s[0:1]
	s_xor_b64 s[4:5], exec, s[4:5]
	s_cbranch_execnz .LBB5_284
; %bb.280:
	s_andn2_saveexec_b64 s[0:1], s[4:5]
	s_cbranch_execnz .LBB5_309
.LBB5_281:
	s_or_b64 exec, exec, s[0:1]
	s_and_saveexec_b64 s[0:1], s[2:3]
.LBB5_282:
	; divergent unreachable
.LBB5_283:
	s_endpgm
.LBB5_284:
	s_and_saveexec_b64 s[0:1], s[6:7]
	s_xor_b64 s[6:7], exec, s[0:1]
	s_cbranch_execz .LBB5_307
; %bb.285:
	s_and_saveexec_b64 s[0:1], s[10:11]
	s_xor_b64 s[2:3], exec, s[0:1]
; %bb.286:
	v_mov_b32_e32 v46, v43
; %bb.287:
	s_or_b64 exec, exec, s[2:3]
	s_mov_b64 s[2:3], exec
	v_readlane_b32 s0, v57, 10
	v_readlane_b32 s1, v57, 11
	s_and_b64 s[0:1], s[2:3], s[0:1]
	s_mov_b64 exec, s[0:1]
; %bb.288:
	v_mov_b32_e32 v2, 0
	v_mov_b32_e32 v3, s24
	ds_write_b32 v2, v3 offset:5140
; %bb.289:
	s_or_b64 exec, exec, s[2:3]
	s_waitcnt lgkmcnt(0)
	s_barrier
	s_mov_b64 s[10:11], exec
	v_readlane_b32 s0, v57, 41
	v_readlane_b32 s1, v57, 42
	s_and_b64 s[0:1], s[10:11], s[0:1]
	s_mov_b64 exec, s[0:1]
	s_cbranch_execz .LBB5_304
; %bb.290:
	v_mov_b32_e32 v2, 0
	ds_read_b32 v4, v2 offset:5140
	s_mov_b64 s[8:9], 0
                                        ; implicit-def: $sgpr12_sgpr13
                                        ; implicit-def: $sgpr14_sgpr15
                                        ; implicit-def: $sgpr16_sgpr17
	s_waitcnt lgkmcnt(0)
	v_ashrrev_i32_e32 v5, 31, v4
	s_branch .LBB5_293
.LBB5_291:                              ;   in Loop: Header=BB5_293 Depth=1
	s_or_b64 exec, exec, s[26:27]
	s_andn2_b64 s[0:1], s[16:17], exec
	s_and_b64 s[16:17], s[20:21], exec
	s_or_b64 s[16:17], s[0:1], s[16:17]
	s_andn2_b64 s[0:1], s[14:15], exec
	s_and_b64 s[2:3], s[2:3], exec
	s_or_b64 s[14:15], s[0:1], s[2:3]
.LBB5_292:                              ;   in Loop: Header=BB5_293 Depth=1
	s_or_b64 exec, exec, s[18:19]
	s_and_b64 s[0:1], exec, s[14:15]
	s_or_b64 s[8:9], s[0:1], s[8:9]
	s_andn2_b64 s[0:1], s[12:13], exec
	s_and_b64 s[2:3], s[16:17], exec
	s_or_b64 s[12:13], s[0:1], s[2:3]
	s_andn2_b64 exec, exec, s[8:9]
	s_cbranch_execz .LBB5_299
.LBB5_293:                              ; =>This Inner Loop Header: Depth=1
	v_mov_b32_e32 v3, v1
	v_mov_b32_e32 v2, v0
	v_cmp_lt_i64_e32 vcc, v[2:3], v[4:5]
	s_or_b64 s[16:17], s[16:17], exec
	s_or_b64 s[14:15], s[14:15], exec
                                        ; implicit-def: $vgpr0_vgpr1
	s_and_saveexec_b64 s[18:19], vcc
	s_cbranch_execz .LBB5_292
; %bb.294:                              ;   in Loop: Header=BB5_293 Depth=1
	global_load_ubyte v0, v[12:13], off
	s_mov_b64 s[2:3], -1
	s_mov_b64 s[20:21], 0
	s_waitcnt vmcnt(0)
	v_cmp_ne_u16_sdwa s[0:1], v0, v46 src0_sel:DWORD src1_sel:BYTE_0
                                        ; implicit-def: $vgpr0_vgpr1
	s_and_saveexec_b64 s[26:27], s[0:1]
	s_cbranch_execz .LBB5_291
; %bb.295:                              ;   in Loop: Header=BB5_293 Depth=1
	v_add_co_u32_e32 v0, vcc, s23, v2
	v_addc_co_u32_e32 v1, vcc, 0, v3, vcc
	v_mov_b32_e32 v3, s33
	v_cmp_le_i64_e32 vcc, s[24:25], v[0:1]
	v_add_co_u32_e64 v12, s[2:3], s22, v12
	v_addc_co_u32_e64 v13, s[2:3], v13, v3, s[2:3]
	s_mov_b64 s[20:21], exec
	s_orn2_b64 s[2:3], vcc, exec
	s_branch .LBB5_291
.LBB5_296:
                                        ; implicit-def: $sgpr16_sgpr17
	s_branch .LBB5_3
.LBB5_297:
                                        ; implicit-def: $sgpr0_sgpr1
                                        ; kill: killed $sgpr0_sgpr1
	s_branch .LBB5_6
.LBB5_298:
                                        ; implicit-def: $sgpr8_sgpr9
                                        ; kill: killed $sgpr8_sgpr9
	s_load_dwordx2 s[18:19], s[4:5], 0x0
	s_branch .LBB5_9
.LBB5_299:
	s_or_b64 exec, exec, s[8:9]
	s_xor_b64 s[0:1], s[12:13], -1
	s_and_saveexec_b64 s[2:3], s[0:1]
	s_xor_b64 s[2:3], exec, s[2:3]
	s_cbranch_execz .LBB5_304
; %bb.300:
	s_mov_b64 s[2:3], exec
	s_brev_b32 s0, -2
.LBB5_301:                              ; =>This Inner Loop Header: Depth=1
	s_ff1_i32_b64 s1, s[2:3]
	v_readlane_b32 s12, v2, s1
	s_lshl_b64 s[8:9], 1, s1
	s_min_i32 s0, s0, s12
	s_andn2_b64 s[2:3], s[2:3], s[8:9]
	s_cmp_lg_u64 s[2:3], 0
	s_cbranch_scc1 .LBB5_301
; %bb.302:
	v_mbcnt_lo_u32_b32 v0, exec_lo, 0
	v_mbcnt_hi_u32_b32 v0, exec_hi, v0
	v_cmp_eq_u32_e32 vcc, 0, v0
	s_and_saveexec_b64 s[2:3], vcc
	s_xor_b64 s[2:3], exec, s[2:3]
; %bb.303:
	v_mov_b32_e32 v0, 0
	v_mov_b32_e32 v1, s0
	ds_min_i32 v0, v1 offset:5140
.LBB5_304:
	s_or_b64 exec, exec, s[10:11]
	s_waitcnt lgkmcnt(0)
	s_barrier
	s_mov_b64 s[2:3], exec
	v_readlane_b32 s0, v57, 10
	v_readlane_b32 s1, v57, 11
	s_and_b64 s[0:1], s[2:3], s[0:1]
	s_mov_b64 exec, s[0:1]
	s_cbranch_execz .LBB5_306
; %bb.305:
	v_readlane_b32 s14, v57, 2
	v_readlane_b32 s15, v57, 3
	s_mul_i32 s0, s14, s67
	s_mul_hi_u32 s1, s14, s66
	s_add_i32 s0, s1, s0
	s_mul_i32 s1, s15, s66
	s_add_i32 s0, s0, s1
	s_mul_i32 s1, s14, s66
	v_readlane_b32 s16, v57, 35
	s_sub_u32 s1, s64, s1
	v_readlane_b32 s18, v57, 37
	v_readlane_b32 s19, v57, 38
	s_subb_u32 s0, 0, s0
	s_mul_i32 s8, s1, s19
	s_mul_hi_u32 s9, s1, s18
	v_readlane_b32 s17, v57, 36
	s_add_i32 s8, s9, s8
	s_mul_i32 s0, s0, s18
	s_add_i32 s11, s8, s0
	s_mul_i32 s10, s1, s18
	s_mul_i32 s0, s14, s17
	s_mul_hi_u32 s1, s14, s16
	v_readlane_b32 s8, v57, 0
	s_add_i32 s0, s1, s0
	s_mul_i32 s1, s15, s16
	s_mul_i32 s13, s14, s16
	v_readlane_b32 s9, v57, 1
	v_readlane_b32 s14, v57, 4
	s_add_i32 s12, s0, s1
	v_readlane_b32 s15, v57, 5
	s_mul_i32 s0, s14, s9
	s_mul_hi_u32 s1, s14, s8
	s_add_i32 s0, s1, s0
	s_mul_i32 s1, s15, s8
	s_add_i32 s0, s0, s1
	s_mul_i32 s1, s14, s8
	v_readlane_b32 s16, v57, 31
	s_sub_u32 s8, s64, s1
	v_readlane_b32 s18, v57, 33
	v_readlane_b32 s19, v57, 34
	s_subb_u32 s0, 0, s0
	s_mul_i32 s1, s8, s19
	s_mul_hi_u32 s9, s8, s18
	v_readlane_b32 s17, v57, 32
	s_add_i32 s1, s9, s1
	s_mul_i32 s0, s0, s18
	s_add_i32 s1, s1, s0
	s_mul_i32 s0, s8, s18
	s_mul_i32 s8, s14, s17
	s_mul_hi_u32 s9, s14, s16
	s_add_i32 s8, s9, s8
	s_mul_i32 s9, s15, s16
	s_add_i32 s9, s8, s9
	s_mul_i32 s8, s14, s16
	v_readlane_b32 s14, v57, 8
	v_readlane_b32 s15, v57, 9
	s_add_u32 s13, s14, s13
	s_addc_u32 s12, s15, s12
	v_mov_b32_e32 v2, 0
	s_add_u32 s10, s13, s10
	ds_read_b32 v0, v2 offset:5140
	s_addc_u32 s11, s12, s11
	s_lshl_b64 s[8:9], s[8:9], 3
	v_readlane_b32 s12, v57, 6
	v_readlane_b32 s13, v57, 7
	s_add_u32 s8, s12, s8
	s_addc_u32 s9, s13, s9
	s_lshl_b64 s[0:1], s[0:1], 3
	s_add_u32 s0, s8, s0
	s_addc_u32 s1, s9, s1
	s_waitcnt lgkmcnt(0)
	v_ashrrev_i32_e32 v1, 31, v0
	global_store_dwordx2 v2, v[0:1], s[0:1]
	global_store_byte v2, v46, s[10:11]
.LBB5_306:
	s_or_b64 exec, exec, s[2:3]
.LBB5_307:
	s_or_saveexec_b64 s[0:1], s[6:7]
	s_mov_b64 s[2:3], 0
	s_xor_b64 exec, exec, s[0:1]
	s_cbranch_execnz .LBB5_310
.LBB5_308:
	s_or_b64 exec, exec, s[0:1]
	s_and_b64 s[2:3], s[2:3], exec
	s_andn2_saveexec_b64 s[0:1], s[4:5]
	s_cbranch_execz .LBB5_281
.LBB5_309:
	s_or_b64 s[2:3], s[2:3], exec
	s_trap 2
	s_or_b64 exec, exec, s[0:1]
	s_and_saveexec_b64 s[0:1], s[2:3]
	s_cbranch_execnz .LBB5_282
	s_branch .LBB5_283
.LBB5_310:
	s_mov_b64 s[2:3], exec
	s_trap 2
	s_branch .LBB5_308
	.section	.rodata,"a",@progbits
	.p2align	6, 0x0
	.amdhsa_kernel _ZN2at6native12_GLOBAL__N_114gatherKthValueIhlLi2EEEvNS_4cuda6detail10TensorInfoIKT_T0_EES8_S8_S8_S8_NS5_IS6_S8_EENS5_IlS8_EE
		.amdhsa_group_segment_fixed_size 5144
		.amdhsa_private_segment_fixed_size 0
		.amdhsa_kernarg_size 1536
		.amdhsa_user_sgpr_count 6
		.amdhsa_user_sgpr_private_segment_buffer 1
		.amdhsa_user_sgpr_dispatch_ptr 0
		.amdhsa_user_sgpr_queue_ptr 0
		.amdhsa_user_sgpr_kernarg_segment_ptr 1
		.amdhsa_user_sgpr_dispatch_id 0
		.amdhsa_user_sgpr_flat_scratch_init 0
		.amdhsa_user_sgpr_private_segment_size 0
		.amdhsa_uses_dynamic_stack 0
		.amdhsa_system_sgpr_private_segment_wavefront_offset 0
		.amdhsa_system_sgpr_workgroup_id_x 1
		.amdhsa_system_sgpr_workgroup_id_y 1
		.amdhsa_system_sgpr_workgroup_id_z 1
		.amdhsa_system_sgpr_workgroup_info 0
		.amdhsa_system_vgpr_workitem_id 0
		.amdhsa_next_free_vgpr 58
		.amdhsa_next_free_sgpr 96
		.amdhsa_reserve_vcc 1
		.amdhsa_reserve_flat_scratch 0
		.amdhsa_float_round_mode_32 0
		.amdhsa_float_round_mode_16_64 0
		.amdhsa_float_denorm_mode_32 3
		.amdhsa_float_denorm_mode_16_64 3
		.amdhsa_dx10_clamp 1
		.amdhsa_ieee_mode 1
		.amdhsa_fp16_overflow 0
		.amdhsa_exception_fp_ieee_invalid_op 0
		.amdhsa_exception_fp_denorm_src 0
		.amdhsa_exception_fp_ieee_div_zero 0
		.amdhsa_exception_fp_ieee_overflow 0
		.amdhsa_exception_fp_ieee_underflow 0
		.amdhsa_exception_fp_ieee_inexact 0
		.amdhsa_exception_int_div_zero 0
	.end_amdhsa_kernel
	.section	.text._ZN2at6native12_GLOBAL__N_114gatherKthValueIhlLi2EEEvNS_4cuda6detail10TensorInfoIKT_T0_EES8_S8_S8_S8_NS5_IS6_S8_EENS5_IlS8_EE,"axG",@progbits,_ZN2at6native12_GLOBAL__N_114gatherKthValueIhlLi2EEEvNS_4cuda6detail10TensorInfoIKT_T0_EES8_S8_S8_S8_NS5_IS6_S8_EENS5_IlS8_EE,comdat
.Lfunc_end5:
	.size	_ZN2at6native12_GLOBAL__N_114gatherKthValueIhlLi2EEEvNS_4cuda6detail10TensorInfoIKT_T0_EES8_S8_S8_S8_NS5_IS6_S8_EENS5_IlS8_EE, .Lfunc_end5-_ZN2at6native12_GLOBAL__N_114gatherKthValueIhlLi2EEEvNS_4cuda6detail10TensorInfoIKT_T0_EES8_S8_S8_S8_NS5_IS6_S8_EENS5_IlS8_EE
                                        ; -- End function
	.set _ZN2at6native12_GLOBAL__N_114gatherKthValueIhlLi2EEEvNS_4cuda6detail10TensorInfoIKT_T0_EES8_S8_S8_S8_NS5_IS6_S8_EENS5_IlS8_EE.num_vgpr, 58
	.set _ZN2at6native12_GLOBAL__N_114gatherKthValueIhlLi2EEEvNS_4cuda6detail10TensorInfoIKT_T0_EES8_S8_S8_S8_NS5_IS6_S8_EENS5_IlS8_EE.num_agpr, 0
	.set _ZN2at6native12_GLOBAL__N_114gatherKthValueIhlLi2EEEvNS_4cuda6detail10TensorInfoIKT_T0_EES8_S8_S8_S8_NS5_IS6_S8_EENS5_IlS8_EE.numbered_sgpr, 96
	.set _ZN2at6native12_GLOBAL__N_114gatherKthValueIhlLi2EEEvNS_4cuda6detail10TensorInfoIKT_T0_EES8_S8_S8_S8_NS5_IS6_S8_EENS5_IlS8_EE.num_named_barrier, 0
	.set _ZN2at6native12_GLOBAL__N_114gatherKthValueIhlLi2EEEvNS_4cuda6detail10TensorInfoIKT_T0_EES8_S8_S8_S8_NS5_IS6_S8_EENS5_IlS8_EE.private_seg_size, 0
	.set _ZN2at6native12_GLOBAL__N_114gatherKthValueIhlLi2EEEvNS_4cuda6detail10TensorInfoIKT_T0_EES8_S8_S8_S8_NS5_IS6_S8_EENS5_IlS8_EE.uses_vcc, 1
	.set _ZN2at6native12_GLOBAL__N_114gatherKthValueIhlLi2EEEvNS_4cuda6detail10TensorInfoIKT_T0_EES8_S8_S8_S8_NS5_IS6_S8_EENS5_IlS8_EE.uses_flat_scratch, 0
	.set _ZN2at6native12_GLOBAL__N_114gatherKthValueIhlLi2EEEvNS_4cuda6detail10TensorInfoIKT_T0_EES8_S8_S8_S8_NS5_IS6_S8_EENS5_IlS8_EE.has_dyn_sized_stack, 0
	.set _ZN2at6native12_GLOBAL__N_114gatherKthValueIhlLi2EEEvNS_4cuda6detail10TensorInfoIKT_T0_EES8_S8_S8_S8_NS5_IS6_S8_EENS5_IlS8_EE.has_recursion, 0
	.set _ZN2at6native12_GLOBAL__N_114gatherKthValueIhlLi2EEEvNS_4cuda6detail10TensorInfoIKT_T0_EES8_S8_S8_S8_NS5_IS6_S8_EENS5_IlS8_EE.has_indirect_call, 0
	.section	.AMDGPU.csdata,"",@progbits
; Kernel info:
; codeLenInByte = 18716
; TotalNumSgprs: 100
; NumVgprs: 58
; ScratchSize: 0
; MemoryBound: 0
; FloatMode: 240
; IeeeMode: 1
; LDSByteSize: 5144 bytes/workgroup (compile time only)
; SGPRBlocks: 12
; VGPRBlocks: 14
; NumSGPRsForWavesPerEU: 100
; NumVGPRsForWavesPerEU: 58
; Occupancy: 4
; WaveLimiterHint : 1
; COMPUTE_PGM_RSRC2:SCRATCH_EN: 0
; COMPUTE_PGM_RSRC2:USER_SGPR: 6
; COMPUTE_PGM_RSRC2:TRAP_HANDLER: 0
; COMPUTE_PGM_RSRC2:TGID_X_EN: 1
; COMPUTE_PGM_RSRC2:TGID_Y_EN: 1
; COMPUTE_PGM_RSRC2:TGID_Z_EN: 1
; COMPUTE_PGM_RSRC2:TIDIG_COMP_CNT: 0
	.section	.text._ZN2at6native12_GLOBAL__N_114gatherKthValueIhlLi3EEEvNS_4cuda6detail10TensorInfoIKT_T0_EES8_S8_S8_S8_NS5_IS6_S8_EENS5_IlS8_EE,"axG",@progbits,_ZN2at6native12_GLOBAL__N_114gatherKthValueIhlLi3EEEvNS_4cuda6detail10TensorInfoIKT_T0_EES8_S8_S8_S8_NS5_IS6_S8_EENS5_IlS8_EE,comdat
	.globl	_ZN2at6native12_GLOBAL__N_114gatherKthValueIhlLi3EEEvNS_4cuda6detail10TensorInfoIKT_T0_EES8_S8_S8_S8_NS5_IS6_S8_EENS5_IlS8_EE ; -- Begin function _ZN2at6native12_GLOBAL__N_114gatherKthValueIhlLi3EEEvNS_4cuda6detail10TensorInfoIKT_T0_EES8_S8_S8_S8_NS5_IS6_S8_EENS5_IlS8_EE
	.p2align	8
	.type	_ZN2at6native12_GLOBAL__N_114gatherKthValueIhlLi3EEEvNS_4cuda6detail10TensorInfoIKT_T0_EES8_S8_S8_S8_NS5_IS6_S8_EENS5_IlS8_EE,@function
_ZN2at6native12_GLOBAL__N_114gatherKthValueIhlLi3EEEvNS_4cuda6detail10TensorInfoIKT_T0_EES8_S8_S8_S8_NS5_IS6_S8_EENS5_IlS8_EE: ; @_ZN2at6native12_GLOBAL__N_114gatherKthValueIhlLi3EEEvNS_4cuda6detail10TensorInfoIKT_T0_EES8_S8_S8_S8_NS5_IS6_S8_EENS5_IlS8_EE
; %bb.0:
	s_load_dwordx2 s[18:19], s[4:5], 0x500
	s_load_dwordx8 s[24:31], s[4:5], 0x1a0
	s_add_u32 s16, s4, 0x500
	s_addc_u32 s17, s5, 0
	s_mov_b32 s49, 0
	s_waitcnt lgkmcnt(0)
	s_mul_i32 s0, s19, s8
	s_add_i32 s0, s0, s7
	s_mul_i32 s0, s0, s18
	s_add_i32 s48, s0, s6
	v_mov_b32_e32 v1, s48
	v_mov_b32_e32 v2, s49
	v_cmp_le_i64_e32 vcc, s[28:29], v[1:2]
	s_cbranch_vccnz .LBB6_301
; %bb.1:
	s_load_dwordx4 s[8:11], s[4:5], 0x10
	s_mov_b32 s0, s49
	s_waitcnt lgkmcnt(0)
	s_mov_b32 s1, s11
	s_cmp_lg_u64 s[0:1], 0
	s_cbranch_scc0 .LBB6_6
; %bb.2:
	s_ashr_i32 s0, s11, 31
	s_add_u32 s2, s10, s0
	s_mov_b32 s1, s0
	s_addc_u32 s3, s11, s0
	s_xor_b64 s[2:3], s[2:3], s[0:1]
	v_cvt_f32_u32_e32 v1, s2
	v_cvt_f32_u32_e32 v2, s3
	s_sub_u32 s7, 0, s2
	s_subb_u32 s19, 0, s3
	v_madmk_f32 v1, v2, 0x4f800000, v1
	v_rcp_f32_e32 v1, v1
	v_mul_f32_e32 v1, 0x5f7ffffc, v1
	v_mul_f32_e32 v2, 0x2f800000, v1
	v_trunc_f32_e32 v2, v2
	v_madmk_f32 v1, v2, 0xcf800000, v1
	v_cvt_u32_f32_e32 v2, v2
	v_cvt_u32_f32_e32 v1, v1
	v_readfirstlane_b32 s20, v2
	v_readfirstlane_b32 s14, v1
	s_mul_i32 s15, s7, s20
	s_mul_hi_u32 s22, s7, s14
	s_mul_i32 s21, s19, s14
	s_add_i32 s15, s22, s15
	s_add_i32 s15, s15, s21
	s_mul_i32 s23, s7, s14
	s_mul_i32 s22, s14, s15
	s_mul_hi_u32 s28, s14, s23
	s_mul_hi_u32 s21, s14, s15
	s_add_u32 s22, s28, s22
	s_addc_u32 s21, 0, s21
	s_mul_hi_u32 s29, s20, s23
	s_mul_i32 s23, s20, s23
	s_add_u32 s22, s22, s23
	s_mul_hi_u32 s28, s20, s15
	s_addc_u32 s21, s21, s29
	s_addc_u32 s22, s28, 0
	s_mul_i32 s15, s20, s15
	s_add_u32 s15, s21, s15
	s_addc_u32 s21, 0, s22
	s_add_u32 s22, s14, s15
	s_cselect_b64 s[14:15], -1, 0
	s_cmp_lg_u64 s[14:15], 0
	s_addc_u32 s20, s20, s21
	s_mul_i32 s14, s7, s20
	s_mul_hi_u32 s15, s7, s22
	s_add_i32 s14, s15, s14
	s_mul_i32 s19, s19, s22
	s_add_i32 s14, s14, s19
	s_mul_i32 s7, s7, s22
	s_mul_hi_u32 s19, s20, s7
	s_mul_i32 s21, s20, s7
	s_mul_i32 s28, s22, s14
	s_mul_hi_u32 s7, s22, s7
	s_mul_hi_u32 s23, s22, s14
	s_add_u32 s7, s7, s28
	s_addc_u32 s23, 0, s23
	s_add_u32 s7, s7, s21
	s_mul_hi_u32 s15, s20, s14
	s_addc_u32 s7, s23, s19
	s_addc_u32 s15, s15, 0
	s_mul_i32 s14, s20, s14
	s_add_u32 s7, s7, s14
	s_addc_u32 s19, 0, s15
	s_add_u32 s7, s22, s7
	s_cselect_b64 s[14:15], -1, 0
	s_cmp_lg_u64 s[14:15], 0
	s_addc_u32 s19, s20, s19
	s_add_u32 s14, s48, 0
	s_addc_u32 s15, 0, 0
	s_xor_b64 s[14:15], s[14:15], 0
	s_mul_i32 s21, s14, s19
	s_mul_hi_u32 s22, s14, s7
	s_mul_hi_u32 s20, s14, s19
	s_add_u32 s21, s22, s21
	s_addc_u32 s20, 0, s20
	s_mul_hi_u32 s23, s15, s7
	s_mul_i32 s7, s15, s7
	s_add_u32 s7, s21, s7
	s_mul_hi_u32 s22, s15, s19
	s_addc_u32 s7, s20, s23
	s_addc_u32 s20, s22, 0
	s_mul_i32 s19, s15, s19
	s_add_u32 s7, s7, s19
	s_addc_u32 s19, 0, s20
	s_mul_i32 s20, s2, s19
	s_mul_hi_u32 s21, s2, s7
	s_add_i32 s20, s21, s20
	s_mul_i32 s21, s3, s7
	s_add_i32 s28, s20, s21
	s_sub_i32 s22, s15, s28
	s_mul_i32 s20, s2, s7
	s_sub_u32 s14, s14, s20
	s_cselect_b64 s[20:21], -1, 0
	s_cmp_lg_u64 s[20:21], 0
	s_subb_u32 s29, s22, s3
	s_sub_u32 s33, s14, s2
	s_cselect_b64 s[22:23], -1, 0
	s_cmp_lg_u64 s[22:23], 0
	s_subb_u32 s22, s29, 0
	s_cmp_ge_u32 s22, s3
	s_cselect_b32 s23, -1, 0
	s_cmp_ge_u32 s33, s2
	s_cselect_b32 s29, -1, 0
	s_cmp_eq_u32 s22, s3
	s_cselect_b32 s22, s29, s23
	s_add_u32 s23, s7, 1
	s_addc_u32 s29, s19, 0
	s_add_u32 s33, s7, 2
	s_addc_u32 s34, s19, 0
	s_cmp_lg_u32 s22, 0
	s_cselect_b32 s22, s33, s23
	s_cselect_b32 s23, s34, s29
	s_cmp_lg_u64 s[20:21], 0
	s_subb_u32 s15, s15, s28
	s_cmp_ge_u32 s15, s3
	s_cselect_b32 s20, -1, 0
	s_cmp_ge_u32 s14, s2
	s_cselect_b32 s2, -1, 0
	s_cmp_eq_u32 s15, s3
	s_cselect_b32 s2, s2, s20
	s_cmp_lg_u32 s2, 0
	s_cselect_b32 s3, s23, s19
	s_cselect_b32 s2, s22, s7
	s_xor_b64 s[0:1], 0, s[0:1]
	s_xor_b64 s[2:3], s[2:3], s[0:1]
	s_sub_u32 s2, s2, s0
	s_subb_u32 s3, s3, s1
	s_cbranch_execnz .LBB6_4
.LBB6_3:
	v_cvt_f32_u32_e32 v1, s10
	s_sub_i32 s0, 0, s10
	s_mov_b32 s3, 0
	v_rcp_iflag_f32_e32 v1, v1
	v_mul_f32_e32 v1, 0x4f7ffffe, v1
	v_cvt_u32_f32_e32 v1, v1
	v_readfirstlane_b32 s1, v1
	s_mul_i32 s0, s0, s1
	s_mul_hi_u32 s0, s1, s0
	s_add_i32 s1, s1, s0
	s_mul_hi_u32 s0, s48, s1
	s_mul_i32 s2, s0, s10
	s_sub_i32 s2, s48, s2
	s_add_i32 s1, s0, 1
	s_sub_i32 s7, s2, s10
	s_cmp_ge_u32 s2, s10
	s_cselect_b32 s0, s1, s0
	s_cselect_b32 s2, s7, s2
	s_add_i32 s1, s0, 1
	s_cmp_ge_u32 s2, s10
	s_cselect_b32 s2, s1, s0
.LBB6_4:
	s_or_b64 s[0:1], s[2:3], s[8:9]
	s_mov_b32 s0, 0
	s_cmp_lg_u64 s[0:1], 0
	s_cbranch_scc0 .LBB6_7
; %bb.5:
	s_ashr_i32 s12, s9, 31
	s_add_u32 s0, s8, s12
	s_mov_b32 s13, s12
	s_addc_u32 s1, s9, s12
	s_xor_b64 s[14:15], s[0:1], s[12:13]
	v_cvt_f32_u32_e32 v1, s14
	v_cvt_f32_u32_e32 v2, s15
	s_sub_u32 s7, 0, s14
	s_subb_u32 s19, 0, s15
	s_mov_b64 s[0:1], 0
	v_madmk_f32 v1, v2, 0x4f800000, v1
	v_rcp_f32_e32 v1, v1
	v_mul_f32_e32 v1, 0x5f7ffffc, v1
	v_mul_f32_e32 v2, 0x2f800000, v1
	v_trunc_f32_e32 v2, v2
	v_madmk_f32 v1, v2, 0xcf800000, v1
	v_cvt_u32_f32_e32 v2, v2
	v_cvt_u32_f32_e32 v1, v1
	v_readfirstlane_b32 s22, v2
	v_readfirstlane_b32 s20, v1
	s_mul_i32 s21, s7, s22
	s_mul_hi_u32 s28, s7, s20
	s_mul_i32 s23, s19, s20
	s_add_i32 s21, s28, s21
	s_add_i32 s21, s21, s23
	s_mul_i32 s29, s7, s20
	s_mul_i32 s28, s20, s21
	s_mul_hi_u32 s33, s20, s29
	s_mul_hi_u32 s23, s20, s21
	s_add_u32 s28, s33, s28
	s_addc_u32 s23, 0, s23
	s_mul_hi_u32 s34, s22, s29
	s_mul_i32 s29, s22, s29
	s_add_u32 s28, s28, s29
	s_mul_hi_u32 s33, s22, s21
	s_addc_u32 s23, s23, s34
	s_addc_u32 s28, s33, 0
	s_mul_i32 s21, s22, s21
	s_add_u32 s21, s23, s21
	s_addc_u32 s23, 0, s28
	s_add_u32 s28, s20, s21
	s_cselect_b64 s[20:21], -1, 0
	s_cmp_lg_u64 s[20:21], 0
	s_addc_u32 s22, s22, s23
	s_mul_i32 s20, s7, s22
	s_mul_hi_u32 s21, s7, s28
	s_add_i32 s20, s21, s20
	s_mul_i32 s19, s19, s28
	s_add_i32 s20, s20, s19
	s_mul_i32 s7, s7, s28
	s_mul_hi_u32 s21, s22, s7
	s_mul_i32 s23, s22, s7
	s_mul_i32 s33, s28, s20
	s_mul_hi_u32 s7, s28, s7
	s_mul_hi_u32 s29, s28, s20
	s_add_u32 s7, s7, s33
	s_addc_u32 s29, 0, s29
	s_add_u32 s7, s7, s23
	s_mul_hi_u32 s19, s22, s20
	s_addc_u32 s7, s29, s21
	s_addc_u32 s19, s19, 0
	s_mul_i32 s20, s22, s20
	s_add_u32 s7, s7, s20
	s_addc_u32 s19, 0, s19
	s_add_u32 s7, s28, s7
	s_cselect_b64 s[20:21], -1, 0
	s_cmp_lg_u64 s[20:21], 0
	s_addc_u32 s19, s22, s19
	s_ashr_i32 s20, s3, 31
	s_add_u32 s22, s2, s20
	s_mov_b32 s21, s20
	s_addc_u32 s23, s3, s20
	s_xor_b64 s[22:23], s[22:23], s[20:21]
	s_mul_i32 s29, s22, s19
	s_mul_hi_u32 s33, s22, s7
	s_mul_hi_u32 s28, s22, s19
	s_add_u32 s29, s33, s29
	s_addc_u32 s28, 0, s28
	s_mul_hi_u32 s34, s23, s7
	s_mul_i32 s7, s23, s7
	s_add_u32 s7, s29, s7
	s_mul_hi_u32 s33, s23, s19
	s_addc_u32 s7, s28, s34
	s_addc_u32 s28, s33, 0
	s_mul_i32 s19, s23, s19
	s_add_u32 s7, s7, s19
	s_addc_u32 s19, 0, s28
	s_mul_i32 s28, s14, s19
	s_mul_hi_u32 s29, s14, s7
	s_add_i32 s28, s29, s28
	s_mul_i32 s29, s15, s7
	s_add_i32 s33, s28, s29
	s_sub_i32 s34, s23, s33
	s_mul_i32 s28, s14, s7
	s_sub_u32 s22, s22, s28
	s_cselect_b64 s[28:29], -1, 0
	s_cmp_lg_u64 s[28:29], 0
	s_subb_u32 s36, s34, s15
	s_sub_u32 s37, s22, s14
	s_cselect_b64 s[34:35], -1, 0
	s_cmp_lg_u64 s[34:35], 0
	s_subb_u32 s34, s36, 0
	s_cmp_ge_u32 s34, s15
	s_cselect_b32 s35, -1, 0
	s_cmp_ge_u32 s37, s14
	s_cselect_b32 s36, -1, 0
	s_cmp_eq_u32 s34, s15
	s_cselect_b32 s34, s36, s35
	s_add_u32 s35, s7, 1
	s_addc_u32 s36, s19, 0
	s_add_u32 s37, s7, 2
	s_addc_u32 s38, s19, 0
	s_cmp_lg_u32 s34, 0
	s_cselect_b32 s34, s37, s35
	s_cselect_b32 s35, s38, s36
	s_cmp_lg_u64 s[28:29], 0
	s_subb_u32 s23, s23, s33
	s_cmp_ge_u32 s23, s15
	s_cselect_b32 s28, -1, 0
	s_cmp_ge_u32 s22, s14
	s_cselect_b32 s14, -1, 0
	s_cmp_eq_u32 s23, s15
	s_cselect_b32 s14, s14, s28
	s_cmp_lg_u32 s14, 0
	s_cselect_b32 s15, s35, s19
	s_cselect_b32 s14, s34, s7
	s_xor_b64 s[12:13], s[20:21], s[12:13]
	s_xor_b64 s[14:15], s[14:15], s[12:13]
	s_sub_u32 s20, s14, s12
	s_subb_u32 s21, s15, s13
	s_branch .LBB6_8
.LBB6_6:
                                        ; implicit-def: $sgpr2_sgpr3
	s_branch .LBB6_3
.LBB6_7:
	s_mov_b64 s[0:1], -1
                                        ; implicit-def: $sgpr20_sgpr21
.LBB6_8:
	s_load_dwordx4 s[12:15], s[4:5], 0x1d0
                                        ; implicit-def: $vgpr57 : SGPR spill to VGPR lane
	s_andn2_b64 vcc, exec, s[0:1]
	s_waitcnt lgkmcnt(0)
	v_writelane_b32 v57, s12, 0
	v_writelane_b32 v57, s13, 1
	;; [unrolled: 1-line block ×4, first 2 shown]
	s_cbranch_vccnz .LBB6_10
; %bb.9:
	v_cvt_f32_u32_e32 v1, s8
	s_sub_i32 s0, 0, s8
	s_mov_b32 s21, 0
	v_rcp_iflag_f32_e32 v1, v1
	v_mul_f32_e32 v1, 0x4f7ffffe, v1
	v_cvt_u32_f32_e32 v1, v1
	v_readfirstlane_b32 s1, v1
	s_mul_i32 s0, s0, s1
	s_mul_hi_u32 s0, s1, s0
	s_add_i32 s1, s1, s0
	s_mul_hi_u32 s0, s2, s1
	s_mul_i32 s7, s0, s8
	s_sub_i32 s7, s2, s7
	s_add_i32 s1, s0, 1
	s_sub_i32 s12, s7, s8
	s_cmp_ge_u32 s7, s8
	s_cselect_b32 s0, s1, s0
	s_cselect_b32 s7, s12, s7
	s_add_i32 s1, s0, 1
	s_cmp_ge_u32 s7, s8
	s_cselect_b32 s20, s1, s0
.LBB6_10:
	s_load_dwordx4 s[12:15], s[4:5], 0x1d0
	s_mov_b32 s0, 0
	s_waitcnt lgkmcnt(0)
	s_mov_b32 s1, s15
	s_cmp_lg_u64 s[0:1], 0
	s_cbranch_scc0 .LBB6_15
; %bb.11:
	s_ashr_i32 s0, s15, 31
	s_add_u32 s12, s14, s0
	s_mov_b32 s1, s0
	s_addc_u32 s13, s15, s0
	s_xor_b64 s[14:15], s[12:13], s[0:1]
	v_cvt_f32_u32_e32 v1, s14
	v_cvt_f32_u32_e32 v2, s15
	s_sub_u32 s7, 0, s14
	s_subb_u32 s19, 0, s15
	v_madmk_f32 v1, v2, 0x4f800000, v1
	v_rcp_f32_e32 v1, v1
	v_mul_f32_e32 v1, 0x5f7ffffc, v1
	v_mul_f32_e32 v2, 0x2f800000, v1
	v_trunc_f32_e32 v2, v2
	v_madmk_f32 v1, v2, 0xcf800000, v1
	v_cvt_u32_f32_e32 v2, v2
	v_cvt_u32_f32_e32 v1, v1
	v_readfirstlane_b32 s28, v2
	v_readfirstlane_b32 s22, v1
	s_mul_i32 s23, s7, s28
	s_mul_hi_u32 s33, s7, s22
	s_mul_i32 s29, s19, s22
	s_add_i32 s23, s33, s23
	s_add_i32 s23, s23, s29
	s_mul_i32 s34, s7, s22
	s_mul_i32 s33, s22, s23
	s_mul_hi_u32 s35, s22, s34
	s_mul_hi_u32 s29, s22, s23
	s_add_u32 s33, s35, s33
	s_addc_u32 s29, 0, s29
	s_mul_hi_u32 s36, s28, s34
	s_mul_i32 s34, s28, s34
	s_add_u32 s33, s33, s34
	s_mul_hi_u32 s35, s28, s23
	s_addc_u32 s29, s29, s36
	s_addc_u32 s33, s35, 0
	s_mul_i32 s23, s28, s23
	s_add_u32 s23, s29, s23
	s_addc_u32 s29, 0, s33
	s_add_u32 s33, s22, s23
	s_cselect_b64 s[22:23], -1, 0
	s_cmp_lg_u64 s[22:23], 0
	s_addc_u32 s28, s28, s29
	s_mul_i32 s22, s7, s28
	s_mul_hi_u32 s23, s7, s33
	s_add_i32 s22, s23, s22
	s_mul_i32 s19, s19, s33
	s_add_i32 s22, s22, s19
	s_mul_i32 s7, s7, s33
	s_mul_hi_u32 s23, s28, s7
	s_mul_i32 s29, s28, s7
	s_mul_i32 s35, s33, s22
	s_mul_hi_u32 s7, s33, s7
	s_mul_hi_u32 s34, s33, s22
	s_add_u32 s7, s7, s35
	s_addc_u32 s34, 0, s34
	s_add_u32 s7, s7, s29
	s_mul_hi_u32 s19, s28, s22
	s_addc_u32 s7, s34, s23
	s_addc_u32 s19, s19, 0
	s_mul_i32 s22, s28, s22
	s_add_u32 s7, s7, s22
	s_addc_u32 s19, 0, s19
	s_add_u32 s7, s33, s7
	s_cselect_b64 s[22:23], -1, 0
	s_cmp_lg_u64 s[22:23], 0
	s_addc_u32 s19, s28, s19
	s_add_u32 s22, s48, 0
	s_addc_u32 s23, 0, 0
	s_xor_b64 s[22:23], s[22:23], 0
	s_mul_i32 s29, s22, s19
	s_mul_hi_u32 s33, s22, s7
	s_mul_hi_u32 s28, s22, s19
	s_add_u32 s29, s33, s29
	s_addc_u32 s28, 0, s28
	s_mul_hi_u32 s34, s23, s7
	s_mul_i32 s7, s23, s7
	s_add_u32 s7, s29, s7
	s_mul_hi_u32 s33, s23, s19
	s_addc_u32 s7, s28, s34
	s_addc_u32 s28, s33, 0
	s_mul_i32 s19, s23, s19
	s_add_u32 s7, s7, s19
	s_addc_u32 s19, 0, s28
	s_mul_i32 s28, s14, s19
	s_mul_hi_u32 s29, s14, s7
	s_add_i32 s28, s29, s28
	s_mul_i32 s29, s15, s7
	s_add_i32 s33, s28, s29
	s_sub_i32 s34, s23, s33
	s_mul_i32 s28, s14, s7
	s_sub_u32 s22, s22, s28
	s_cselect_b64 s[28:29], -1, 0
	s_cmp_lg_u64 s[28:29], 0
	s_subb_u32 s36, s34, s15
	s_sub_u32 s37, s22, s14
	s_cselect_b64 s[34:35], -1, 0
	s_cmp_lg_u64 s[34:35], 0
	s_subb_u32 s34, s36, 0
	s_cmp_ge_u32 s34, s15
	s_cselect_b32 s35, -1, 0
	s_cmp_ge_u32 s37, s14
	s_cselect_b32 s36, -1, 0
	s_cmp_eq_u32 s34, s15
	s_cselect_b32 s34, s36, s35
	s_add_u32 s35, s7, 1
	s_addc_u32 s36, s19, 0
	s_add_u32 s37, s7, 2
	s_addc_u32 s38, s19, 0
	s_cmp_lg_u32 s34, 0
	s_cselect_b32 s34, s37, s35
	s_cselect_b32 s35, s38, s36
	s_cmp_lg_u64 s[28:29], 0
	s_subb_u32 s23, s23, s33
	s_cmp_ge_u32 s23, s15
	s_cselect_b32 s28, -1, 0
	s_cmp_ge_u32 s22, s14
	s_cselect_b32 s14, -1, 0
	s_cmp_eq_u32 s23, s15
	s_cselect_b32 s14, s14, s28
	s_cmp_lg_u32 s14, 0
	s_cselect_b32 s15, s35, s19
	s_cselect_b32 s14, s34, s7
	s_xor_b64 s[0:1], 0, s[0:1]
	s_xor_b64 s[14:15], s[14:15], s[0:1]
	s_sub_u32 s22, s14, s0
	s_subb_u32 s23, s15, s1
	s_cbranch_execnz .LBB6_13
.LBB6_12:
	s_load_dwordx4 s[12:15], s[4:5], 0x1d0
	s_mov_b32 s23, 0
	s_waitcnt lgkmcnt(0)
	v_cvt_f32_u32_e32 v1, s14
	s_sub_i32 s0, 0, s14
	v_rcp_iflag_f32_e32 v1, v1
	v_mul_f32_e32 v1, 0x4f7ffffe, v1
	v_cvt_u32_f32_e32 v1, v1
	v_readfirstlane_b32 s1, v1
	s_mul_i32 s0, s0, s1
	s_mul_hi_u32 s0, s1, s0
	s_add_i32 s1, s1, s0
	s_mul_hi_u32 s0, s48, s1
	s_mul_i32 s7, s0, s14
	s_sub_i32 s7, s48, s7
	s_add_i32 s1, s0, 1
	s_sub_i32 s12, s7, s14
	s_cmp_ge_u32 s7, s14
	s_cselect_b32 s0, s1, s0
	s_cselect_b32 s7, s12, s7
	s_add_i32 s1, s0, 1
	s_cmp_ge_u32 s7, s14
	s_cselect_b32 s22, s1, s0
.LBB6_13:
	s_load_dwordx4 s[36:39], s[4:5], 0x1d0
	s_waitcnt lgkmcnt(0)
	s_or_b64 s[0:1], s[22:23], s[36:37]
	s_mov_b32 s0, 0
	s_cmp_lg_u64 s[0:1], 0
	v_writelane_b32 v57, s22, 4
	v_writelane_b32 v57, s23, 5
	s_cbranch_scc0 .LBB6_16
; %bb.14:
	s_ashr_i32 s12, s37, 31
	s_add_u32 s0, s36, s12
	s_mov_b32 s13, s12
	s_addc_u32 s1, s37, s12
	s_xor_b64 s[14:15], s[0:1], s[12:13]
	v_cvt_f32_u32_e32 v1, s14
	v_cvt_f32_u32_e32 v2, s15
	s_sub_u32 s7, 0, s14
	s_subb_u32 s19, 0, s15
	s_mov_b64 s[0:1], 0
	v_madmk_f32 v1, v2, 0x4f800000, v1
	v_rcp_f32_e32 v1, v1
	v_mul_f32_e32 v1, 0x5f7ffffc, v1
	v_mul_f32_e32 v2, 0x2f800000, v1
	v_trunc_f32_e32 v2, v2
	v_madmk_f32 v1, v2, 0xcf800000, v1
	v_cvt_u32_f32_e32 v2, v2
	v_cvt_u32_f32_e32 v1, v1
	v_readfirstlane_b32 s28, v2
	v_readfirstlane_b32 s22, v1
	s_mul_i32 s23, s7, s28
	s_mul_hi_u32 s33, s7, s22
	s_mul_i32 s29, s19, s22
	s_add_i32 s23, s33, s23
	s_add_i32 s23, s23, s29
	s_mul_i32 s34, s7, s22
	s_mul_i32 s33, s22, s23
	s_mul_hi_u32 s35, s22, s34
	s_mul_hi_u32 s29, s22, s23
	s_add_u32 s33, s35, s33
	s_addc_u32 s29, 0, s29
	s_mul_hi_u32 s36, s28, s34
	s_mul_i32 s34, s28, s34
	s_add_u32 s33, s33, s34
	s_mul_hi_u32 s35, s28, s23
	s_addc_u32 s29, s29, s36
	s_addc_u32 s33, s35, 0
	s_mul_i32 s23, s28, s23
	s_add_u32 s23, s29, s23
	s_addc_u32 s29, 0, s33
	s_add_u32 s33, s22, s23
	s_cselect_b64 s[22:23], -1, 0
	s_cmp_lg_u64 s[22:23], 0
	s_addc_u32 s28, s28, s29
	s_mul_i32 s22, s7, s28
	s_mul_hi_u32 s23, s7, s33
	s_add_i32 s22, s23, s22
	s_mul_i32 s19, s19, s33
	s_add_i32 s22, s22, s19
	s_mul_i32 s7, s7, s33
	s_mul_hi_u32 s23, s28, s7
	s_mul_i32 s29, s28, s7
	s_mul_i32 s35, s33, s22
	s_mul_hi_u32 s7, s33, s7
	s_mul_hi_u32 s34, s33, s22
	s_add_u32 s7, s7, s35
	s_addc_u32 s34, 0, s34
	s_add_u32 s7, s7, s29
	s_mul_hi_u32 s19, s28, s22
	s_addc_u32 s7, s34, s23
	s_addc_u32 s19, s19, 0
	s_mul_i32 s22, s28, s22
	s_add_u32 s7, s7, s22
	s_addc_u32 s19, 0, s19
	s_add_u32 s7, s33, s7
	s_cselect_b64 s[22:23], -1, 0
	s_cmp_lg_u64 s[22:23], 0
	v_readlane_b32 s22, v57, 4
	v_readlane_b32 s23, v57, 5
	s_addc_u32 s19, s28, s19
	s_ashr_i32 s22, s23, 31
	v_readlane_b32 s28, v57, 4
	v_readlane_b32 s34, v57, 4
	;; [unrolled: 1-line block ×3, first 2 shown]
	s_add_u32 s28, s28, s22
	v_readlane_b32 s35, v57, 5
	s_mov_b32 s23, s22
	s_addc_u32 s29, s35, s22
	s_xor_b64 s[28:29], s[28:29], s[22:23]
	s_mul_i32 s34, s28, s19
	s_mul_hi_u32 s35, s28, s7
	s_mul_hi_u32 s33, s28, s19
	s_add_u32 s34, s35, s34
	s_addc_u32 s33, 0, s33
	s_mul_hi_u32 s36, s29, s7
	s_mul_i32 s7, s29, s7
	s_add_u32 s7, s34, s7
	s_mul_hi_u32 s35, s29, s19
	s_addc_u32 s7, s33, s36
	s_addc_u32 s33, s35, 0
	s_mul_i32 s19, s29, s19
	s_add_u32 s7, s7, s19
	s_addc_u32 s19, 0, s33
	s_mul_i32 s33, s14, s19
	s_mul_hi_u32 s34, s14, s7
	s_add_i32 s33, s34, s33
	s_mul_i32 s34, s15, s7
	s_add_i32 s33, s33, s34
	s_sub_i32 s36, s29, s33
	s_mul_i32 s34, s14, s7
	s_sub_u32 s28, s28, s34
	s_cselect_b64 s[34:35], -1, 0
	s_cmp_lg_u64 s[34:35], 0
	s_subb_u32 s38, s36, s15
	s_sub_u32 s39, s28, s14
	s_cselect_b64 s[36:37], -1, 0
	s_cmp_lg_u64 s[36:37], 0
	s_subb_u32 s36, s38, 0
	s_cmp_ge_u32 s36, s15
	s_cselect_b32 s37, -1, 0
	s_cmp_ge_u32 s39, s14
	s_cselect_b32 s38, -1, 0
	s_cmp_eq_u32 s36, s15
	s_cselect_b32 s36, s38, s37
	s_add_u32 s37, s7, 1
	s_addc_u32 s38, s19, 0
	s_add_u32 s39, s7, 2
	s_addc_u32 s40, s19, 0
	s_cmp_lg_u32 s36, 0
	s_cselect_b32 s36, s39, s37
	s_cselect_b32 s37, s40, s38
	s_cmp_lg_u64 s[34:35], 0
	s_subb_u32 s29, s29, s33
	s_cmp_ge_u32 s29, s15
	s_cselect_b32 s33, -1, 0
	s_cmp_ge_u32 s28, s14
	s_cselect_b32 s14, -1, 0
	s_cmp_eq_u32 s29, s15
	s_cselect_b32 s14, s14, s33
	s_cmp_lg_u32 s14, 0
	s_cselect_b32 s15, s37, s19
	s_cselect_b32 s14, s36, s7
	s_xor_b64 s[12:13], s[22:23], s[12:13]
	s_xor_b64 s[14:15], s[14:15], s[12:13]
	s_sub_u32 s12, s14, s12
	v_readlane_b32 s22, v57, 4
	s_subb_u32 s13, s15, s13
	v_readlane_b32 s23, v57, 5
	v_writelane_b32 v57, s12, 10
	v_writelane_b32 v57, s13, 11
	s_branch .LBB6_17
.LBB6_15:
                                        ; implicit-def: $sgpr22_sgpr23
	s_branch .LBB6_12
.LBB6_16:
	s_mov_b64 s[0:1], -1
                                        ; implicit-def: $sgpr12_sgpr13
                                        ; kill: killed $sgpr12_sgpr13
.LBB6_17:
	s_load_dwordx4 s[12:15], s[4:5], 0x370
	s_andn2_b64 vcc, exec, s[0:1]
	s_waitcnt lgkmcnt(0)
	v_writelane_b32 v57, s12, 6
	v_writelane_b32 v57, s13, 7
	;; [unrolled: 1-line block ×4, first 2 shown]
	s_cbranch_vccnz .LBB6_19
; %bb.18:
	s_load_dwordx4 s[12:15], s[4:5], 0x1d0
	s_waitcnt lgkmcnt(0)
	s_mov_b64 s[38:39], s[14:15]
	s_mov_b64 s[36:37], s[12:13]
	v_cvt_f32_u32_e32 v1, s36
	s_sub_i32 s0, 0, s36
	s_mov_b32 s13, 0
	v_rcp_iflag_f32_e32 v1, v1
	v_mul_f32_e32 v1, 0x4f7ffffe, v1
	v_cvt_u32_f32_e32 v1, v1
	v_readfirstlane_b32 s1, v1
	s_mul_i32 s0, s0, s1
	s_mul_hi_u32 s0, s1, s0
	s_add_i32 s1, s1, s0
	s_mul_hi_u32 s0, s22, s1
	s_mul_i32 s7, s0, s36
	s_sub_i32 s7, s22, s7
	s_add_i32 s1, s0, 1
	s_sub_i32 s12, s7, s36
	s_cmp_ge_u32 s7, s36
	s_cselect_b32 s0, s1, s0
	s_cselect_b32 s7, s12, s7
	s_add_i32 s1, s0, 1
	s_cmp_ge_u32 s7, s36
	s_cselect_b32 s12, s1, s0
	v_writelane_b32 v57, s12, 10
	v_writelane_b32 v57, s13, 11
.LBB6_19:
	s_load_dwordx4 s[12:15], s[4:5], 0x370
	s_mov_b32 s0, 0
	s_waitcnt lgkmcnt(0)
	s_mov_b32 s1, s15
	s_cmp_lg_u64 s[0:1], 0
	s_cbranch_scc0 .LBB6_24
; %bb.20:
	s_ashr_i32 s0, s15, 31
	s_add_u32 s12, s14, s0
	s_mov_b32 s1, s0
	s_addc_u32 s13, s15, s0
	s_xor_b64 s[14:15], s[12:13], s[0:1]
	v_cvt_f32_u32_e32 v1, s14
	v_cvt_f32_u32_e32 v2, s15
	s_sub_u32 s7, 0, s14
	s_subb_u32 s19, 0, s15
	v_madmk_f32 v1, v2, 0x4f800000, v1
	v_rcp_f32_e32 v1, v1
	v_mul_f32_e32 v1, 0x5f7ffffc, v1
	v_mul_f32_e32 v2, 0x2f800000, v1
	v_trunc_f32_e32 v2, v2
	v_madmk_f32 v1, v2, 0xcf800000, v1
	v_cvt_u32_f32_e32 v2, v2
	v_cvt_u32_f32_e32 v1, v1
	v_readfirstlane_b32 s28, v2
	v_readfirstlane_b32 s22, v1
	s_mul_i32 s23, s7, s28
	s_mul_hi_u32 s33, s7, s22
	s_mul_i32 s29, s19, s22
	s_add_i32 s23, s33, s23
	s_add_i32 s23, s23, s29
	s_mul_i32 s34, s7, s22
	s_mul_i32 s33, s22, s23
	s_mul_hi_u32 s35, s22, s34
	s_mul_hi_u32 s29, s22, s23
	s_add_u32 s33, s35, s33
	s_addc_u32 s29, 0, s29
	s_mul_hi_u32 s36, s28, s34
	s_mul_i32 s34, s28, s34
	s_add_u32 s33, s33, s34
	s_mul_hi_u32 s35, s28, s23
	s_addc_u32 s29, s29, s36
	s_addc_u32 s33, s35, 0
	s_mul_i32 s23, s28, s23
	s_add_u32 s23, s29, s23
	s_addc_u32 s29, 0, s33
	s_add_u32 s33, s22, s23
	s_cselect_b64 s[22:23], -1, 0
	s_cmp_lg_u64 s[22:23], 0
	s_addc_u32 s28, s28, s29
	s_mul_i32 s22, s7, s28
	s_mul_hi_u32 s23, s7, s33
	s_add_i32 s22, s23, s22
	s_mul_i32 s19, s19, s33
	s_add_i32 s22, s22, s19
	s_mul_i32 s7, s7, s33
	s_mul_hi_u32 s23, s28, s7
	s_mul_i32 s29, s28, s7
	s_mul_i32 s35, s33, s22
	s_mul_hi_u32 s7, s33, s7
	s_mul_hi_u32 s34, s33, s22
	s_add_u32 s7, s7, s35
	s_addc_u32 s34, 0, s34
	s_add_u32 s7, s7, s29
	s_mul_hi_u32 s19, s28, s22
	s_addc_u32 s7, s34, s23
	s_addc_u32 s19, s19, 0
	s_mul_i32 s22, s28, s22
	s_add_u32 s7, s7, s22
	s_addc_u32 s19, 0, s19
	s_add_u32 s7, s33, s7
	s_cselect_b64 s[22:23], -1, 0
	s_cmp_lg_u64 s[22:23], 0
	s_addc_u32 s19, s28, s19
	s_add_u32 s22, s48, 0
	s_addc_u32 s23, 0, 0
	s_xor_b64 s[22:23], s[22:23], 0
	s_mul_i32 s29, s22, s19
	s_mul_hi_u32 s33, s22, s7
	s_mul_hi_u32 s28, s22, s19
	s_add_u32 s29, s33, s29
	s_addc_u32 s28, 0, s28
	s_mul_hi_u32 s34, s23, s7
	s_mul_i32 s7, s23, s7
	s_add_u32 s7, s29, s7
	s_mul_hi_u32 s33, s23, s19
	s_addc_u32 s7, s28, s34
	s_addc_u32 s28, s33, 0
	s_mul_i32 s19, s23, s19
	s_add_u32 s7, s7, s19
	s_addc_u32 s19, 0, s28
	s_mul_i32 s28, s14, s19
	s_mul_hi_u32 s29, s14, s7
	s_add_i32 s28, s29, s28
	s_mul_i32 s29, s15, s7
	s_add_i32 s33, s28, s29
	s_sub_i32 s34, s23, s33
	s_mul_i32 s28, s14, s7
	s_sub_u32 s22, s22, s28
	s_cselect_b64 s[28:29], -1, 0
	s_cmp_lg_u64 s[28:29], 0
	s_subb_u32 s36, s34, s15
	s_sub_u32 s37, s22, s14
	s_cselect_b64 s[34:35], -1, 0
	s_cmp_lg_u64 s[34:35], 0
	s_subb_u32 s34, s36, 0
	s_cmp_ge_u32 s34, s15
	s_cselect_b32 s35, -1, 0
	s_cmp_ge_u32 s37, s14
	s_cselect_b32 s36, -1, 0
	s_cmp_eq_u32 s34, s15
	s_cselect_b32 s34, s36, s35
	s_add_u32 s35, s7, 1
	s_addc_u32 s36, s19, 0
	s_add_u32 s37, s7, 2
	s_addc_u32 s38, s19, 0
	s_cmp_lg_u32 s34, 0
	s_cselect_b32 s34, s37, s35
	s_cselect_b32 s35, s38, s36
	s_cmp_lg_u64 s[28:29], 0
	s_subb_u32 s23, s23, s33
	s_cmp_ge_u32 s23, s15
	s_cselect_b32 s28, -1, 0
	s_cmp_ge_u32 s22, s14
	s_cselect_b32 s14, -1, 0
	s_cmp_eq_u32 s23, s15
	s_cselect_b32 s14, s14, s28
	s_cmp_lg_u32 s14, 0
	s_cselect_b32 s15, s35, s19
	s_cselect_b32 s14, s34, s7
	s_xor_b64 s[0:1], 0, s[0:1]
	s_xor_b64 s[14:15], s[14:15], s[0:1]
	s_sub_u32 s42, s14, s0
	s_subb_u32 s43, s15, s1
	s_cbranch_execnz .LBB6_22
.LBB6_21:
	s_load_dwordx4 s[12:15], s[4:5], 0x370
	s_mov_b32 s43, 0
	s_waitcnt lgkmcnt(0)
	v_cvt_f32_u32_e32 v1, s14
	s_sub_i32 s0, 0, s14
	v_rcp_iflag_f32_e32 v1, v1
	v_mul_f32_e32 v1, 0x4f7ffffe, v1
	v_cvt_u32_f32_e32 v1, v1
	v_readfirstlane_b32 s1, v1
	s_mul_i32 s0, s0, s1
	s_mul_hi_u32 s0, s1, s0
	s_add_i32 s1, s1, s0
	s_mul_hi_u32 s0, s48, s1
	s_mul_i32 s7, s0, s14
	s_sub_i32 s7, s48, s7
	s_add_i32 s1, s0, 1
	s_sub_i32 s12, s7, s14
	s_cmp_ge_u32 s7, s14
	s_cselect_b32 s0, s1, s0
	s_cselect_b32 s7, s12, s7
	s_add_i32 s1, s0, 1
	s_cmp_ge_u32 s7, s14
	s_cselect_b32 s42, s1, s0
.LBB6_22:
	s_load_dwordx2 s[28:29], s[4:5], 0xe0
	s_load_dwordx4 s[12:15], s[4:5], 0xd0
	s_load_dwordx4 s[36:39], s[4:5], 0x370
	s_waitcnt lgkmcnt(0)
	s_or_b64 s[0:1], s[42:43], s[36:37]
	s_mov_b32 s0, 0
	s_cmp_lg_u64 s[0:1], 0
	v_writelane_b32 v57, s42, 12
	v_writelane_b32 v57, s43, 13
	s_cbranch_scc0 .LBB6_25
; %bb.23:
	s_ashr_i32 s34, s37, 31
	s_add_u32 s0, s36, s34
	s_mov_b32 s35, s34
	s_addc_u32 s1, s37, s34
	s_xor_b64 s[44:45], s[0:1], s[34:35]
	v_cvt_f32_u32_e32 v1, s44
	v_cvt_f32_u32_e32 v2, s45
	s_sub_u32 s7, 0, s44
	s_subb_u32 s19, 0, s45
	s_mov_b64 s[0:1], 0
	v_madmk_f32 v1, v2, 0x4f800000, v1
	v_rcp_f32_e32 v1, v1
	v_mul_f32_e32 v1, 0x5f7ffffc, v1
	v_mul_f32_e32 v2, 0x2f800000, v1
	v_trunc_f32_e32 v2, v2
	v_madmk_f32 v1, v2, 0xcf800000, v1
	v_cvt_u32_f32_e32 v2, v2
	v_cvt_u32_f32_e32 v1, v1
	v_readfirstlane_b32 s33, v2
	v_readfirstlane_b32 s22, v1
	s_mul_i32 s23, s7, s33
	s_mul_hi_u32 s37, s7, s22
	s_mul_i32 s36, s19, s22
	s_add_i32 s23, s37, s23
	s_add_i32 s23, s23, s36
	s_mul_i32 s38, s7, s22
	s_mul_i32 s37, s22, s23
	s_mul_hi_u32 s39, s22, s38
	s_mul_hi_u32 s36, s22, s23
	s_add_u32 s37, s39, s37
	s_addc_u32 s36, 0, s36
	s_mul_hi_u32 s40, s33, s38
	s_mul_i32 s38, s33, s38
	s_add_u32 s37, s37, s38
	s_mul_hi_u32 s39, s33, s23
	s_addc_u32 s36, s36, s40
	s_addc_u32 s37, s39, 0
	s_mul_i32 s23, s33, s23
	s_add_u32 s23, s36, s23
	s_addc_u32 s36, 0, s37
	s_add_u32 s37, s22, s23
	s_cselect_b64 s[22:23], -1, 0
	s_cmp_lg_u64 s[22:23], 0
	s_addc_u32 s33, s33, s36
	s_mul_i32 s22, s7, s33
	s_mul_hi_u32 s23, s7, s37
	s_add_i32 s22, s23, s22
	s_mul_i32 s19, s19, s37
	s_add_i32 s22, s22, s19
	s_mul_i32 s7, s7, s37
	s_mul_hi_u32 s23, s33, s7
	s_mul_i32 s36, s33, s7
	s_mul_i32 s39, s37, s22
	s_mul_hi_u32 s7, s37, s7
	s_mul_hi_u32 s38, s37, s22
	s_add_u32 s7, s7, s39
	s_addc_u32 s38, 0, s38
	s_add_u32 s7, s7, s36
	s_mul_hi_u32 s19, s33, s22
	s_addc_u32 s7, s38, s23
	s_addc_u32 s19, s19, 0
	s_mul_i32 s22, s33, s22
	s_add_u32 s7, s7, s22
	s_addc_u32 s19, 0, s19
	s_add_u32 s7, s37, s7
	s_cselect_b64 s[22:23], -1, 0
	s_cmp_lg_u64 s[22:23], 0
	s_addc_u32 s19, s33, s19
	s_ashr_i32 s22, s43, 31
	s_add_u32 s36, s42, s22
	s_mov_b32 s23, s22
	s_addc_u32 s37, s43, s22
	s_xor_b64 s[36:37], s[36:37], s[22:23]
	s_mul_i32 s38, s36, s19
	s_mul_hi_u32 s39, s36, s7
	s_mul_hi_u32 s33, s36, s19
	s_add_u32 s38, s39, s38
	s_addc_u32 s33, 0, s33
	s_mul_hi_u32 s40, s37, s7
	s_mul_i32 s7, s37, s7
	s_add_u32 s7, s38, s7
	s_mul_hi_u32 s39, s37, s19
	s_addc_u32 s7, s33, s40
	s_addc_u32 s33, s39, 0
	s_mul_i32 s19, s37, s19
	s_add_u32 s7, s7, s19
	s_addc_u32 s19, 0, s33
	s_mul_i32 s33, s44, s19
	s_mul_hi_u32 s38, s44, s7
	s_add_i32 s33, s38, s33
	s_mul_i32 s38, s45, s7
	s_add_i32 s33, s33, s38
	s_sub_i32 s40, s37, s33
	s_mul_i32 s38, s44, s7
	s_sub_u32 s36, s36, s38
	s_cselect_b64 s[38:39], -1, 0
	s_cmp_lg_u64 s[38:39], 0
	s_subb_u32 s42, s40, s45
	s_sub_u32 s43, s36, s44
	s_cselect_b64 s[40:41], -1, 0
	s_cmp_lg_u64 s[40:41], 0
	s_subb_u32 s40, s42, 0
	s_cmp_ge_u32 s40, s45
	s_cselect_b32 s41, -1, 0
	s_cmp_ge_u32 s43, s44
	s_cselect_b32 s42, -1, 0
	s_cmp_eq_u32 s40, s45
	s_cselect_b32 s40, s42, s41
	s_add_u32 s41, s7, 1
	s_addc_u32 s42, s19, 0
	s_add_u32 s43, s7, 2
	s_addc_u32 s46, s19, 0
	s_cmp_lg_u32 s40, 0
	s_cselect_b32 s40, s43, s41
	s_cselect_b32 s41, s46, s42
	s_cmp_lg_u64 s[38:39], 0
	s_subb_u32 s33, s37, s33
	s_cmp_ge_u32 s33, s45
	s_cselect_b32 s37, -1, 0
	s_cmp_ge_u32 s36, s44
	s_cselect_b32 s36, -1, 0
	s_cmp_eq_u32 s33, s45
	s_cselect_b32 s33, s36, s37
	s_cmp_lg_u32 s33, 0
	s_cselect_b32 s37, s41, s19
	s_cselect_b32 s36, s40, s7
	s_xor_b64 s[22:23], s[22:23], s[34:35]
	s_xor_b64 s[34:35], s[36:37], s[22:23]
	s_sub_u32 s22, s34, s22
	s_subb_u32 s23, s35, s23
	v_writelane_b32 v57, s22, 26
	v_writelane_b32 v57, s23, 27
	s_branch .LBB6_26
.LBB6_24:
                                        ; implicit-def: $sgpr42_sgpr43
	s_branch .LBB6_21
.LBB6_25:
	s_mov_b64 s[0:1], -1
                                        ; implicit-def: $sgpr22_sgpr23
                                        ; kill: killed $sgpr22_sgpr23
.LBB6_26:
	s_load_dwordx2 s[22:23], s[4:5], 0x440
	s_load_dwordx4 s[36:39], s[4:5], 0x430
	s_andn2_b64 vcc, exec, s[0:1]
	s_load_dwordx2 s[34:35], s[4:5], 0x0
	s_waitcnt lgkmcnt(0)
	v_writelane_b32 v57, s22, 14
	v_writelane_b32 v57, s23, 15
	s_load_dwordx2 s[22:23], s[4:5], 0x2a0
	v_writelane_b32 v57, s36, 16
	v_writelane_b32 v57, s37, 17
	;; [unrolled: 1-line block ×4, first 2 shown]
	s_load_dwordx4 s[36:39], s[4:5], 0x290
	s_waitcnt lgkmcnt(0)
	v_writelane_b32 v57, s22, 20
	v_writelane_b32 v57, s23, 21
	;; [unrolled: 1-line block ×6, first 2 shown]
	s_cbranch_vccnz .LBB6_28
; %bb.27:
	s_load_dwordx4 s[36:39], s[4:5], 0x370
	v_readlane_b32 s22, v57, 12
	s_waitcnt lgkmcnt(0)
	s_mov_b32 s37, 0
	v_readlane_b32 s23, v57, 13
	v_cvt_f32_u32_e32 v1, s36
	s_sub_i32 s0, 0, s36
	v_rcp_iflag_f32_e32 v1, v1
	v_mul_f32_e32 v1, 0x4f7ffffe, v1
	v_cvt_u32_f32_e32 v1, v1
	v_readfirstlane_b32 s1, v1
	s_mul_i32 s0, s0, s1
	s_mul_hi_u32 s0, s1, s0
	s_add_i32 s1, s1, s0
	s_mul_hi_u32 s0, s22, s1
	s_mul_i32 s7, s0, s36
	s_sub_i32 s7, s22, s7
	s_add_i32 s1, s0, 1
	s_sub_i32 s19, s7, s36
	s_cmp_ge_u32 s7, s36
	s_cselect_b32 s0, s1, s0
	s_cselect_b32 s7, s19, s7
	s_add_i32 s1, s0, 1
	s_cmp_ge_u32 s7, s36
	s_cselect_b32 s36, s1, s0
	v_writelane_b32 v57, s36, 26
	v_writelane_b32 v57, s37, 27
.LBB6_28:
	s_load_dwordx2 s[0:1], s[4:5], 0x360
	s_mov_b32 s65, 0
	s_waitcnt lgkmcnt(0)
	v_writelane_b32 v57, s0, 28
	v_writelane_b32 v57, s1, 29
	s_load_dwordx2 s[0:1], s[4:5], 0x1c0
	s_waitcnt lgkmcnt(0)
	v_writelane_b32 v57, s0, 30
	v_writelane_b32 v57, s1, 31
	v_cmp_eq_u32_e64 s[0:1], 0, v0
	s_mov_b64 s[4:5], exec
	v_writelane_b32 v57, s0, 32
	v_writelane_b32 v57, s1, 33
	s_and_b64 s[0:1], s[4:5], s[0:1]
	s_mov_b64 exec, s[0:1]
	s_cbranch_execz .LBB6_30
; %bb.29:
	v_mov_b32_e32 v1, 0
	v_mov_b32_e32 v3, s24
	;; [unrolled: 1-line block ×4, first 2 shown]
	ds_write_b32 v1, v1 offset:5136
	ds_write_b128 v1, v[1:4] offset:5120
.LBB6_30:
	s_or_b64 exec, exec, s[4:5]
	s_mul_i32 s0, s20, s9
	s_mul_hi_u32 s1, s20, s8
	s_add_i32 s0, s1, s0
	s_mul_i32 s1, s21, s8
	s_add_i32 s0, s0, s1
	s_mul_i32 s1, s20, s8
	s_sub_u32 s1, s2, s1
	s_subb_u32 s0, s3, s0
	s_mul_i32 s4, s1, s15
	s_mul_hi_u32 s5, s1, s14
	s_add_i32 s4, s5, s4
	s_mul_i32 s0, s0, s14
	s_add_i32 s4, s4, s0
	s_mul_i32 s5, s1, s14
	s_mul_i32 s0, s20, s13
	s_mul_hi_u32 s1, s20, s12
	s_add_i32 s0, s1, s0
	s_mul_i32 s1, s21, s12
	s_add_i32 s7, s0, s1
	s_mul_i32 s0, s2, s11
	s_mul_hi_u32 s1, s2, s10
	s_add_i32 s0, s1, s0
	s_mul_i32 s1, s3, s10
	s_add_i32 s0, s0, s1
	s_mul_i32 s1, s2, s10
	s_mov_b32 s2, s48
	v_writelane_b32 v57, s2, 34
	s_sub_u32 s1, s48, s1
	v_writelane_b32 v57, s3, 35
	s_subb_u32 s0, 0, s0
	s_mul_i32 s2, s1, s29
	s_mul_hi_u32 s3, s1, s28
	s_add_i32 s2, s3, s2
	s_mul_i32 s0, s0, s28
	s_mul_i32 s8, s20, s12
	s_add_i32 s9, s2, s0
	s_add_u32 s0, s34, s8
	s_mul_i32 s10, s1, s28
	s_addc_u32 s1, s35, s7
	s_add_u32 s0, s0, s5
	s_addc_u32 s1, s1, s4
	s_add_u32 s66, s0, s10
	s_addc_u32 s67, s1, s9
	v_mad_u64_u32 v[4:5], s[0:1], s30, v0, 0
	v_mbcnt_lo_u32_b32 v1, -1, 0
	v_mbcnt_hi_u32_b32 v32, -1, v1
	v_mov_b32_e32 v1, v5
	v_mov_b32_e32 v5, 0xc00
	v_mad_u64_u32 v[1:2], s[0:1], s31, v0, v[1:2]
	v_mov_b32_e32 v6, 0
	v_cmp_gt_i64_e64 s[0:1], s[24:25], v[5:6]
	s_waitcnt lgkmcnt(0)
	v_writelane_b32 v57, s0, 36
	s_barrier
	v_writelane_b32 v57, s1, 37
	s_load_dword s0, s[16:17], 0xc
	v_cmp_gt_u32_e32 vcc, 64, v0
	v_cmp_gt_i32_e64 s[2:3], 4, v32
	s_and_b64 s[68:69], vcc, s[2:3]
	v_mov_b32_e32 v2, s67
	v_add_co_u32_e32 v14, vcc, s66, v4
	v_mov_b32_e32 v3, 0
	v_addc_co_u32_e32 v15, vcc, v2, v1, vcc
	v_add_u32_e32 v2, 2, v0
	s_waitcnt lgkmcnt(0)
	s_and_b32 s23, s0, 0xffff
	s_bfe_u32 s0, s0, 0xa0006
	v_cmp_gt_i64_e32 vcc, s[24:25], v[2:3]
	s_cmp_gt_u32 s23, 63
	v_mov_b32_e32 v6, s25
	s_cselect_b64 s[2:3], -1, 0
	v_cndmask_b32_e32 v7, 0, v6, vcc
	v_mov_b32_e32 v6, s24
	v_writelane_b32 v57, s2, 38
	s_add_u32 s1, s23, -1
	v_cndmask_b32_e32 v2, v2, v6, vcc
	v_not_b32_e32 v6, v0
	v_writelane_b32 v57, s3, 39
	s_addc_u32 s2, 0, -1
	v_add_co_u32_e32 v6, vcc, v2, v6
	v_writelane_b32 v57, s1, 40
	s_add_u32 s43, s1, s24
	v_addc_co_u32_e32 v7, vcc, -1, v7, vcc
	v_writelane_b32 v57, s2, 41
	s_addc_u32 s73, s2, s25
	v_cmp_lt_u64_e64 s[2:3], 3, v[6:7]
	s_cmp_lt_u32 s6, s18
	v_writelane_b32 v57, s2, 42
	v_and_b32_e32 v18, -4, v6
	v_mov_b32_e32 v19, v7
	s_cselect_b32 s1, 12, 18
	v_writelane_b32 v57, s3, 43
	v_cmp_ne_u64_e64 s[2:3], v[6:7], v[18:19]
	s_add_u32 s74, s16, s1
	s_addc_u32 s75, s17, 0
	v_writelane_b32 v57, s2, 44
	s_add_i32 s1, s0, -1
	v_writelane_b32 v57, s3, 45
	s_bfe_u32 s2, s23, 0x30006
	s_and_b32 s1, s1, 0xffff
	s_cmp_gt_u32 s1, 6
	s_cselect_b64 s[12:13], -1, 0
	v_writelane_b32 v57, s12, 46
	s_and_b32 s22, s0, 0x3f8
	v_writelane_b32 v57, s13, 47
	s_cmp_lg_u32 s2, 0
	v_writelane_b32 v57, s2, 48
	s_cselect_b64 s[0:1], -1, 0
	v_writelane_b32 v57, s0, 49
	v_lshlrev_b32_e32 v16, 2, v0
	v_writelane_b32 v57, s1, 50
	s_add_u32 s0, s8, s10
	s_addc_u32 s2, s7, s9
	v_or_b32_e32 v6, 3, v16
	s_add_u32 s3, s0, s5
	v_mad_u64_u32 v[20:21], s[0:1], s30, v6, 0
	s_addc_u32 s0, s2, s4
	s_add_u32 s2, s34, s3
	v_or_b32_e32 v11, 2, v16
	s_addc_u32 s3, s35, s0
	v_mov_b32_e32 v2, v21
	v_mad_u64_u32 v[21:22], s[0:1], s30, v11, 0
	v_mov_b32_e32 v9, s30
	v_mad_u64_u32 v[6:7], s[0:1], s31, v6, v[2:3]
	v_mov_b32_e32 v2, s3
	v_writelane_b32 v57, s2, 51
	v_add_co_u32_e32 v12, vcc, s2, v4
	v_mov_b32_e32 v10, s31
	v_mov_b32_e32 v5, v1
	v_addc_co_u32_e32 v13, vcc, v2, v1, vcc
	v_mov_b32_e32 v1, v22
	v_mad_u64_u32 v[22:23], s[0:1], s30, v16, v[9:10]
	v_lshlrev_b64 v[7:8], v32, -1
	v_mad_u64_u32 v[1:2], s[0:1], s31, v11, v[1:2]
	v_mov_b32_e32 v2, v23
	v_not_b32_e32 v33, v8
	v_mad_u64_u32 v[8:9], s[0:1], s31, v16, v[2:3]
	v_writelane_b32 v57, s3, 52
	v_cmp_gt_u32_e64 s[0:1], 2, v0
	v_lshlrev_b32_e32 v2, 2, v32
	v_mov_b32_e32 v36, v1
	v_writelane_b32 v57, s0, 53
	v_mov_b32_e32 v1, v3
	v_and_b32_e32 v38, 0x100, v2
	v_lshrrev_b32_e32 v2, 1, v0
	v_writelane_b32 v57, s1, 54
	v_cmp_gt_i64_e64 s[0:1], s[24:25], v[0:1]
	v_and_b32_e32 v2, 0x1e0, v2
	v_or_b32_e32 v39, 0xc00, v2
	v_mov_b32_e32 v2, s25
	v_add_co_u32_e32 v40, vcc, s24, v0
	v_writelane_b32 v57, s0, 55
	v_lshlrev_b64 v[23:24], 2, v[4:5]
	v_addc_co_u32_e32 v41, vcc, 0, v2, vcc
	v_mov_b32_e32 v2, 0xc00
	s_mul_i32 s4, s31, s23
	s_mul_hi_u32 s5, s30, s23
	v_mov_b32_e32 v26, s26
	v_not_b32_e32 v34, v7
	v_mov_b32_e32 v35, v6
	v_mov_b32_e32 v37, v8
	v_cmp_eq_u32_e64 s[10:11], 0, v32
	v_writelane_b32 v57, s1, 56
	v_mov_b32_e32 v17, v3
	s_mov_b32 s0, s30
	s_mov_b32 s1, s31
	;; [unrolled: 1-line block ×9, first 2 shown]
	s_lshl_b64 s[82:83], s[30:31], 2
	v_lshl_or_b32 v42, v32, 3, v2
	s_add_i32 s33, s5, s4
	s_mul_i32 s42, s30, s23
	s_mov_b64 s[84:85], 0
	s_mov_b32 s13, 0xc0c0004
	s_mov_b32 s78, 0
	v_mov_b32_e32 v44, 8
	v_mov_b32_e32 v46, 0
	;; [unrolled: 1-line block ×4, first 2 shown]
	v_add_co_u32_e32 v25, vcc, v18, v0
	v_mov_b32_e32 v27, s27
                                        ; implicit-def: $sgpr86_sgpr87
                                        ; implicit-def: $sgpr90_sgpr91
                                        ; implicit-def: $sgpr88_sgpr89
                                        ; implicit-def: $sgpr94_sgpr95
                                        ; implicit-def: $sgpr58_sgpr59
                                        ; implicit-def: $sgpr92_sgpr93
	s_branch .LBB6_34
.LBB6_31:                               ;   in Loop: Header=BB6_34 Depth=1
	s_or_b64 exec, exec, s[16:17]
	s_and_b64 s[6:7], s[6:7], exec
	s_andn2_b64 s[56:57], s[56:57], exec
	s_andn2_b64 s[14:15], s[14:15], exec
	s_orn2_b64 s[20:21], s[8:9], exec
.LBB6_32:                               ;   in Loop: Header=BB6_34 Depth=1
	s_or_b64 exec, exec, s[4:5]
	s_andn2_b64 s[4:5], s[92:93], exec
	s_and_b64 s[6:7], s[6:7], exec
	s_or_b64 s[92:93], s[4:5], s[6:7]
	s_andn2_b64 s[4:5], s[58:59], exec
	s_and_b64 s[6:7], s[56:57], exec
	s_or_b64 s[58:59], s[4:5], s[6:7]
	;; [unrolled: 3-line block ×3, first 2 shown]
	s_orn2_b64 s[4:5], s[20:21], exec
.LBB6_33:                               ;   in Loop: Header=BB6_34 Depth=1
	s_or_b64 exec, exec, s[18:19]
	s_and_b64 s[4:5], exec, s[4:5]
	s_or_b64 s[84:85], s[4:5], s[84:85]
	s_andn2_b64 s[4:5], s[88:89], exec
	s_and_b64 s[6:7], s[92:93], exec
	s_or_b64 s[88:89], s[4:5], s[6:7]
	s_andn2_b64 s[4:5], s[90:91], exec
	s_and_b64 s[6:7], s[58:59], exec
	;; [unrolled: 3-line block ×3, first 2 shown]
	v_mov_b32_e32 v27, v9
	s_or_b64 s[86:87], s[4:5], s[6:7]
	v_mov_b32_e32 v26, v8
	s_andn2_b64 exec, exec, s[84:85]
	s_cbranch_execz .LBB6_297
.LBB6_34:                               ; =>This Loop Header: Depth=1
                                        ;     Child Loop BB6_39 Depth 2
                                        ;     Child Loop BB6_53 Depth 2
	;; [unrolled: 1-line block ×17, first 2 shown]
	ds_read_b128 v[4:7], v3 offset:5120
	s_waitcnt lgkmcnt(0)
	v_readfirstlane_b32 s27, v5
	v_readfirstlane_b32 s26, v4
	v_cmp_gt_i64_e64 s[4:5], s[26:27], 0
	s_and_b64 vcc, exec, s[4:5]
	s_cbranch_vccnz .LBB6_66
; %bb.35:                               ;   in Loop: Header=BB6_34 Depth=1
	v_readlane_b32 s4, v57, 36
	v_readlane_b32 s5, v57, 37
	s_and_b64 vcc, exec, s[4:5]
	s_cbranch_vccz .LBB6_47
; %bb.36:                               ;   in Loop: Header=BB6_34 Depth=1
	s_mov_b64 s[4:5], 0xc01
	v_cmp_gt_i64_e32 vcc, s[4:5], v[6:7]
	s_mov_b64 s[4:5], 0
	s_mov_b64 s[6:7], 0
	s_cbranch_vccz .LBB6_48
; %bb.37:                               ;   in Loop: Header=BB6_34 Depth=1
	global_load_ubyte v8, v[14:15], off
	global_load_ushort v6, v3, s[74:75]
	s_waitcnt vmcnt(0)
	v_and_b32_e32 v2, 0xffff, v6
	v_add_co_u32_e32 v7, vcc, v0, v2
	v_addc_co_u32_e64 v4, s[6:7], 0, 0, vcc
	v_readlane_b32 s6, v57, 51
	v_mul_lo_u32 v9, s30, v4
	v_readlane_b32 s7, v57, 52
	v_mov_b32_e32 v4, s6
	v_mov_b32_e32 v5, s7
	v_mul_lo_u32 v10, s31, v7
	v_mad_u64_u32 v[4:5], s[6:7], s30, v7, v[4:5]
	v_readfirstlane_b32 s6, v6
	s_and_b32 s6, 0xffff, s6
	s_mul_i32 s7, s31, s6
	s_mul_hi_u32 s8, s30, s6
	v_mov_b32_e32 v7, v1
	v_add3_u32 v5, v10, v5, v9
	s_add_i32 s27, s8, s7
	s_mul_i32 s28, s30, s6
	s_mov_b64 s[6:7], 0
	v_mov_b32_e32 v6, v0
	s_branch .LBB6_39
.LBB6_38:                               ;   in Loop: Header=BB6_39 Depth=2
	s_or_b64 exec, exec, s[14:15]
	v_mov_b32_e32 v8, s27
	v_add_co_u32_e32 v4, vcc, s28, v4
	v_addc_co_u32_e32 v5, vcc, v5, v8, vcc
	s_waitcnt vmcnt(0)
	v_mov_b32_e32 v8, v9
	s_andn2_b64 exec, exec, s[6:7]
	s_cbranch_execz .LBB6_100
.LBB6_39:                               ;   Parent Loop BB6_34 Depth=1
                                        ; =>  This Inner Loop Header: Depth=2
	v_add_co_u32_e32 v6, vcc, v6, v2
	v_addc_co_u32_e32 v7, vcc, 0, v7, vcc
	v_cmp_gt_i64_e64 s[14:15], s[24:25], v[6:7]
	v_cmp_le_i64_e32 vcc, s[24:25], v[6:7]
	s_waitcnt lgkmcnt(0)
	v_mov_b32_e32 v10, 0
	v_mov_b32_e32 v9, 0
	s_and_saveexec_b64 s[8:9], s[14:15]
	s_cbranch_execz .LBB6_41
; %bb.40:                               ;   in Loop: Header=BB6_39 Depth=2
	global_load_ubyte v9, v[4:5], off
.LBB6_41:                               ;   in Loop: Header=BB6_39 Depth=2
	s_or_b64 exec, exec, s[8:9]
	v_and_b32_e32 v11, v8, v45
	v_cmp_eq_u32_sdwa s[8:9], v11, v43 src0_sel:BYTE_0 src1_sel:DWORD
	s_cmp_lg_u64 s[8:9], 0
	s_cselect_b64 s[14:15], -1, 0
	s_and_b64 s[14:15], s[10:11], s[14:15]
	s_and_saveexec_b64 s[16:17], s[14:15]
	s_cbranch_execz .LBB6_45
; %bb.42:                               ;   in Loop: Header=BB6_39 Depth=2
	s_mov_b64 s[20:21], exec
	v_mbcnt_lo_u32_b32 v10, s20, 0
	v_mbcnt_hi_u32_b32 v10, s21, v10
	s_bcnt1_i32_b64 s29, s[8:9]
	v_cmp_eq_u32_e64 s[14:15], 0, v10
                                        ; implicit-def: $vgpr11
	s_and_saveexec_b64 s[18:19], s[14:15]
; %bb.43:                               ;   in Loop: Header=BB6_39 Depth=2
	s_bcnt1_i32_b64 s14, s[20:21]
	s_mul_i32 s14, s29, s14
	v_mov_b32_e32 v11, s14
	ds_add_rtn_u32 v11, v3, v11 offset:5136
; %bb.44:                               ;   in Loop: Header=BB6_39 Depth=2
	s_or_b64 exec, exec, s[18:19]
	s_waitcnt lgkmcnt(0)
	v_readfirstlane_b32 s14, v11
	v_mov_b32_e32 v11, s14
	v_mad_u32_u24 v10, s29, v10, v11
.LBB6_45:                               ;   in Loop: Header=BB6_39 Depth=2
	s_or_b64 exec, exec, s[16:17]
	ds_bpermute_b32 v10, v38, v10
	s_and_b64 s[14:15], exec, vcc
	s_or_b64 s[6:7], s[14:15], s[6:7]
	s_and_saveexec_b64 s[14:15], s[8:9]
	s_cbranch_execz .LBB6_38
; %bb.46:                               ;   in Loop: Header=BB6_39 Depth=2
	v_and_b32_e32 v28, s8, v34
	v_and_b32_e32 v11, s9, v33
	v_bcnt_u32_b32 v28, v28, 0
	v_bcnt_u32_b32 v11, v11, v28
	s_waitcnt lgkmcnt(0)
	v_add_u32_e32 v10, v10, v11
	ds_write_b8 v10, v8
	s_branch .LBB6_38
.LBB6_47:                               ;   in Loop: Header=BB6_34 Depth=1
	s_mov_b64 s[4:5], -1
	s_mov_b64 s[6:7], 0
.LBB6_48:                               ;   in Loop: Header=BB6_34 Depth=1
	s_and_b64 vcc, exec, s[4:5]
	s_cbranch_vccz .LBB6_64
.LBB6_49:                               ;   in Loop: Header=BB6_34 Depth=1
	s_mov_b64 s[4:5], exec
	v_readlane_b32 s6, v57, 55
	v_readlane_b32 s7, v57, 56
	s_and_b64 s[6:7], s[4:5], s[6:7]
	s_mov_b64 exec, s[6:7]
	s_cbranch_execz .LBB6_61
; %bb.50:                               ;   in Loop: Header=BB6_34 Depth=1
	global_load_ushort v2, v3, s[74:75]
	global_load_ubyte v30, v[14:15], off
	v_mov_b32_e32 v8, v0
	s_waitcnt vmcnt(1)
	v_readfirstlane_b32 s8, v2
	v_add_u32_sdwa v2, v2, v0 dst_sel:DWORD dst_unused:UNUSED_PAD src0_sel:WORD_0 src1_sel:DWORD
	v_cmp_gt_i64_e32 vcc, s[24:25], v[2:3]
	s_and_saveexec_b64 s[6:7], vcc
	s_cbranch_execz .LBB6_60
; %bb.51:                               ;   in Loop: Header=BB6_34 Depth=1
	s_and_b32 s20, s8, 0xffff
	s_cmp_eq_u32 s20, 1
	v_readlane_b32 s14, v57, 42
                                        ; implicit-def: $vgpr8_vgpr9
	s_cselect_b64 s[8:9], -1, 0
	v_readlane_b32 s15, v57, 43
	v_mov_b32_e32 v10, v1
	v_mov_b32_e32 v5, v3
	s_and_b64 s[16:17], s[14:15], s[8:9]
	s_mov_b64 s[8:9], -1
	v_mov_b32_e32 v9, v0
	v_mov_b32_e32 v4, v2
	s_and_saveexec_b64 s[14:15], s[16:17]
	s_cbranch_execz .LBB6_55
; %bb.52:                               ;   in Loop: Header=BB6_34 Depth=1
	v_add_co_u32_e32 v8, vcc, 3, v2
	v_addc_co_u32_e64 v9, s[8:9], 0, 0, vcc
	v_add_co_u32_e32 v6, vcc, 2, v2
	v_addc_co_u32_e64 v7, s[8:9], 0, 0, vcc
	;; [unrolled: 2-line block ×3, first 2 shown]
	v_mov_b32_e32 v29, v19
	v_mov_b32_e32 v11, v9
	s_waitcnt vmcnt(0)
	v_lshlrev_b32_e32 v47, 24, v30
	s_mov_b64 s[16:17], 0
	v_mov_b32_e32 v28, v18
	v_mov_b32_e32 v31, v0
	;; [unrolled: 1-line block ×9, first 2 shown]
.LBB6_53:                               ;   Parent Loop BB6_34 Depth=1
                                        ; =>  This Inner Loop Header: Depth=2
	v_mul_lo_u32 v30, v9, s70
	v_mul_lo_u32 v50, v8, s71
	v_mad_u64_u32 v[48:49], s[8:9], v8, s70, 0
	v_mul_lo_u32 v51, v7, s2
	v_mul_lo_u32 v52, v6, s3
	v_add3_u32 v30, v49, v50, v30
	v_mad_u64_u32 v[49:50], s[8:9], v6, s2, 0
	v_mul_lo_u32 v54, v4, s1
	v_mul_lo_u32 v56, v11, s80
	v_add3_u32 v53, v50, v52, v51
	v_mul_lo_u32 v52, v5, s0
	v_mad_u64_u32 v[50:51], s[8:9], v4, s0, 0
	v_add3_u32 v51, v51, v54, v52
	v_add_co_u32_e32 v50, vcc, s66, v50
	v_mov_b32_e32 v54, s67
	v_addc_co_u32_e32 v51, vcc, v54, v51, vcc
	v_add_co_u32_e32 v52, vcc, s66, v49
	v_addc_co_u32_e32 v53, vcc, v54, v53, vcc
	v_add_co_u32_e32 v48, vcc, s66, v48
	v_addc_co_u32_e32 v49, vcc, v54, v30, vcc
	v_mov_b32_e32 v54, s66
	v_mov_b32_e32 v55, s67
	v_mad_u64_u32 v[54:55], s[8:9], v10, s80, v[54:55]
	v_mul_lo_u32 v30, v10, s81
	v_add_co_u32_e32 v10, vcc, 4, v10
	v_addc_co_u32_e32 v11, vcc, 0, v11, vcc
	v_add3_u32 v55, v56, v55, v30
	global_load_ubyte v30, v[54:55], off
	s_nop 0
	global_load_ubyte v52, v[52:53], off
	s_nop 0
	global_load_ubyte v50, v[50:51], off
	v_add_co_u32_e32 v8, vcc, 4, v8
	global_load_ubyte v48, v[48:49], off
	v_addc_co_u32_e32 v9, vcc, 0, v9, vcc
	v_add_co_u32_e32 v6, vcc, 4, v6
	v_addc_co_u32_e32 v7, vcc, 0, v7, vcc
	v_add_co_u32_e32 v4, vcc, 4, v4
	v_addc_co_u32_e32 v5, vcc, 0, v5, vcc
	v_add_co_u32_e32 v28, vcc, -4, v28
	s_mov_b32 s8, 0xc0c0007
	v_addc_co_u32_e32 v29, vcc, -1, v29, vcc
	v_cmp_eq_u64_e32 vcc, 0, v[28:29]
	s_or_b64 s[16:17], vcc, s[16:17]
	s_waitcnt vmcnt(1)
	v_perm_b32 v51, v50, v52, s13
	v_perm_b32 v47, v47, v50, s8
	s_waitcnt vmcnt(0)
	v_perm_b32 v49, v48, v30, s13
	v_perm_b32 v48, v52, v48, s13
	v_lshl_or_b32 v49, v49, 16, v51
	v_lshl_or_b32 v47, v48, 16, v47
	ds_write_b32 v31, v47
	v_add_u32_e32 v31, 4, v31
	v_mov_b32_e32 v47, v49
	s_andn2_b64 exec, exec, s[16:17]
	s_cbranch_execnz .LBB6_53
; %bb.54:                               ;   in Loop: Header=BB6_34 Depth=1
	s_or_b64 exec, exec, s[16:17]
	v_readlane_b32 s8, v57, 44
	v_add_co_u32_e32 v4, vcc, v2, v18
	v_readlane_b32 s9, v57, 45
	v_addc_co_u32_e32 v5, vcc, 0, v19, vcc
	v_add_co_u32_e32 v8, vcc, -1, v4
	s_orn2_b64 s[8:9], s[8:9], exec
	v_mov_b32_e32 v9, v25
	v_mov_b32_e32 v10, v26
.LBB6_55:                               ;   in Loop: Header=BB6_34 Depth=1
	s_or_b64 exec, exec, s[14:15]
	s_and_saveexec_b64 s[16:17], s[8:9]
	s_cbranch_execz .LBB6_59
; %bb.56:                               ;   in Loop: Header=BB6_34 Depth=1
	v_readlane_b32 s8, v57, 51
	v_readlane_b32 s9, v57, 52
	v_mov_b32_e32 v6, s8
	v_mov_b32_e32 v7, s9
	v_mad_u64_u32 v[6:7], s[8:9], s30, v4, v[6:7]
	v_mul_lo_u32 v2, s30, v5
	v_mul_lo_u32 v8, s31, v4
	s_mul_i32 s9, s31, s20
	s_mul_hi_u32 s14, s30, s20
	s_mov_b64 s[18:19], 0
	s_sub_u32 s8, 0, s20
	v_add3_u32 v7, v8, v7, v2
	s_add_i32 s9, s14, s9
.LBB6_57:                               ;   Parent Loop BB6_34 Depth=1
                                        ; =>  This Inner Loop Header: Depth=2
	global_load_ubyte v2, v[6:7], off
	v_mov_b32_e32 v11, v5
	v_mov_b32_e32 v10, v4
	v_add_co_u32_e32 v4, vcc, s20, v10
	v_addc_co_u32_e32 v5, vcc, 0, v11, vcc
	s_mul_i32 s14, s30, s20
	v_add_co_u32_e32 v6, vcc, s14, v6
	v_mov_b32_e32 v8, s9
	v_addc_co_u32_e32 v7, vcc, v7, v8, vcc
	v_cmp_le_i64_e32 vcc, s[24:25], v[4:5]
	s_waitcnt vmcnt(1)
	ds_write_b8 v9, v30
	v_add_co_u32_e64 v8, s[14:15], s8, v4
	s_or_b64 s[18:19], vcc, s[18:19]
	v_mov_b32_e32 v9, v10
	v_mov_b32_e32 v10, v11
	s_waitcnt vmcnt(0)
	v_mov_b32_e32 v30, v2
	s_andn2_b64 exec, exec, s[18:19]
	s_cbranch_execnz .LBB6_57
; %bb.58:                               ;   in Loop: Header=BB6_34 Depth=1
	s_or_b64 exec, exec, s[18:19]
	v_mov_b32_e32 v30, v2
.LBB6_59:                               ;   in Loop: Header=BB6_34 Depth=1
	s_or_b64 exec, exec, s[16:17]
.LBB6_60:                               ;   in Loop: Header=BB6_34 Depth=1
	s_or_b64 exec, exec, s[6:7]
	s_waitcnt vmcnt(0)
	ds_write_b8 v8, v30
.LBB6_61:                               ;   in Loop: Header=BB6_34 Depth=1
	s_or_b64 exec, exec, s[4:5]
	s_waitcnt lgkmcnt(0)
	s_barrier
	s_mov_b64 s[4:5], exec
	v_readlane_b32 s6, v57, 32
	v_readlane_b32 s7, v57, 33
	s_and_b64 s[6:7], s[4:5], s[6:7]
	s_mov_b64 exec, s[6:7]
; %bb.62:                               ;   in Loop: Header=BB6_34 Depth=1
	v_mov_b32_e32 v4, s24
	v_mov_b32_e32 v5, s25
	ds_write_b64 v3, v[4:5] offset:5120
; %bb.63:                               ;   in Loop: Header=BB6_34 Depth=1
	s_or_b64 exec, exec, s[4:5]
	s_mov_b64 s[6:7], -1
	s_waitcnt lgkmcnt(0)
	s_barrier
.LBB6_64:                               ;   in Loop: Header=BB6_34 Depth=1
	s_and_b64 vcc, exec, s[6:7]
	s_cbranch_vccz .LBB6_66
; %bb.65:                               ;   in Loop: Header=BB6_34 Depth=1
	ds_read_b64 v[4:5], v3 offset:5120
	s_waitcnt lgkmcnt(0)
	v_readfirstlane_b32 s26, v4
.LBB6_66:                               ;   in Loop: Header=BB6_34 Depth=1
	s_cmp_lt_i32 s26, 1
	s_mov_b64 s[4:5], -1
                                        ; implicit-def: $vgpr10_vgpr11
                                        ; implicit-def: $vgpr6_vgpr7
	s_cbranch_scc1 .LBB6_76
; %bb.67:                               ;   in Loop: Header=BB6_34 Depth=1
	s_and_b64 vcc, exec, s[4:5]
	s_cbranch_vccnz .LBB6_90
.LBB6_68:                               ;   in Loop: Header=BB6_34 Depth=1
	s_lshl_b32 s6, s78, 6
	s_and_saveexec_b64 s[4:5], s[10:11]
	s_cbranch_execz .LBB6_70
.LBB6_69:                               ;   in Loop: Header=BB6_34 Depth=1
	v_lshl_add_u32 v2, s6, 3, v39
	ds_write_b128 v2, v[4:7]
	ds_write_b128 v2, v[8:11] offset:16
.LBB6_70:                               ;   in Loop: Header=BB6_34 Depth=1
	s_or_b64 exec, exec, s[4:5]
	s_waitcnt lgkmcnt(0)
	s_barrier
	s_and_saveexec_b64 s[4:5], s[68:69]
	s_cbranch_execz .LBB6_108
; %bb.71:                               ;   in Loop: Header=BB6_34 Depth=1
	v_readlane_b32 s8, v57, 38
	v_mov_b32_e32 v4, 0
	v_readlane_b32 s9, v57, 39
	v_mov_b32_e32 v5, 0
	s_andn2_b64 vcc, exec, s[8:9]
	s_cbranch_vccnz .LBB6_107
; %bb.72:                               ;   in Loop: Header=BB6_34 Depth=1
	v_readlane_b32 s8, v57, 46
	v_readlane_b32 s9, v57, 47
	s_andn2_b64 vcc, exec, s[8:9]
	s_cbranch_vccnz .LBB6_103
; %bb.73:                               ;   in Loop: Header=BB6_34 Depth=1
	v_mov_b32_e32 v4, 0
	v_lshl_add_u32 v2, s78, 9, v42
	v_mov_b32_e32 v5, 0
	s_mov_b32 s7, 0
.LBB6_74:                               ;   Parent Loop BB6_34 Depth=1
                                        ; =>  This Inner Loop Header: Depth=2
	ds_read2_b64 v[6:9], v2 offset1:4
	s_add_i32 s7, s7, 8
	s_cmp_eq_u32 s22, s7
	s_waitcnt lgkmcnt(0)
	v_add_co_u32_e32 v4, vcc, v6, v4
	v_addc_co_u32_e32 v5, vcc, v7, v5, vcc
	v_add_co_u32_e32 v8, vcc, v8, v4
	v_addc_co_u32_e32 v9, vcc, v9, v5, vcc
	ds_read2_b64 v[4:7], v2 offset0:8 offset1:12
	s_waitcnt lgkmcnt(0)
	v_add_co_u32_e32 v4, vcc, v4, v8
	v_addc_co_u32_e32 v5, vcc, v5, v9, vcc
	v_add_co_u32_e32 v8, vcc, v6, v4
	v_addc_co_u32_e32 v9, vcc, v7, v5, vcc
	ds_read2_b64 v[4:7], v2 offset0:16 offset1:20
	;; [unrolled: 6-line block ×3, first 2 shown]
	v_add_u32_e32 v2, 0x100, v2
	s_waitcnt lgkmcnt(0)
	v_add_co_u32_e32 v4, vcc, v4, v8
	v_addc_co_u32_e32 v5, vcc, v5, v9, vcc
	v_add_co_u32_e32 v4, vcc, v6, v4
	v_addc_co_u32_e32 v5, vcc, v7, v5, vcc
	s_cbranch_scc0 .LBB6_74
; %bb.75:                               ;   in Loop: Header=BB6_34 Depth=1
	s_mov_b32 s7, s22
	s_branch .LBB6_104
.LBB6_76:                               ;   in Loop: Header=BB6_34 Depth=1
	global_load_ushort v2, v3, s[74:75]
	s_mov_b32 s4, s65
	s_waitcnt vmcnt(0)
	v_readfirstlane_b32 s5, v2
	s_and_b32 s27, s5, 0xffff
	s_lshl_b32 s8, s27, 2
	s_mov_b32 s5, s25
	s_cmp_lg_u64 s[4:5], 0
	s_cbranch_scc0 .LBB6_99
; %bb.77:                               ;   in Loop: Header=BB6_34 Depth=1
	s_add_u32 s4, s8, 0
	s_addc_u32 s5, 0, 0
	s_xor_b64 s[4:5], s[4:5], 0
	v_cvt_f32_u32_e32 v2, s4
	v_cvt_f32_u32_e32 v4, s5
	s_sub_u32 s9, 0, s4
	s_subb_u32 s14, 0, s5
	v_mac_f32_e32 v2, 0x4f800000, v4
	v_rcp_f32_e32 v2, v2
	v_mul_f32_e32 v2, 0x5f7ffffc, v2
	v_mul_f32_e32 v4, 0x2f800000, v2
	v_trunc_f32_e32 v4, v4
	v_mac_f32_e32 v2, 0xcf800000, v4
	v_cvt_u32_f32_e32 v4, v4
	v_cvt_u32_f32_e32 v2, v2
	v_readfirstlane_b32 s15, v4
	v_readfirstlane_b32 s6, v2
	s_mul_i32 s7, s9, s15
	s_mul_hi_u32 s17, s9, s6
	s_mul_i32 s16, s14, s6
	s_add_i32 s7, s17, s7
	s_mul_i32 s18, s9, s6
	s_add_i32 s7, s7, s16
	s_mul_i32 s17, s6, s7
	s_mul_hi_u32 s19, s6, s18
	s_mul_hi_u32 s16, s6, s7
	s_add_u32 s17, s19, s17
	s_addc_u32 s16, 0, s16
	s_mul_hi_u32 s20, s15, s18
	s_mul_i32 s18, s15, s18
	s_add_u32 s17, s17, s18
	s_mul_hi_u32 s19, s15, s7
	s_addc_u32 s16, s16, s20
	s_addc_u32 s17, s19, 0
	s_mul_i32 s7, s15, s7
	s_add_u32 s7, s16, s7
	s_addc_u32 s16, 0, s17
	s_add_u32 s17, s6, s7
	s_cselect_b64 s[6:7], -1, 0
	s_cmp_lg_u64 s[6:7], 0
	s_addc_u32 s15, s15, s16
	s_mul_i32 s6, s9, s15
	s_mul_hi_u32 s7, s9, s17
	s_add_i32 s6, s7, s6
	s_mul_i32 s14, s14, s17
	s_add_i32 s6, s6, s14
	s_mul_i32 s9, s9, s17
	s_mul_hi_u32 s14, s15, s9
	s_mul_i32 s16, s15, s9
	s_mul_i32 s19, s17, s6
	s_mul_hi_u32 s9, s17, s9
	s_mul_hi_u32 s18, s17, s6
	s_add_u32 s9, s9, s19
	s_addc_u32 s18, 0, s18
	s_add_u32 s9, s9, s16
	s_mul_hi_u32 s7, s15, s6
	s_addc_u32 s9, s18, s14
	s_addc_u32 s7, s7, 0
	s_mul_i32 s6, s15, s6
	s_add_u32 s6, s9, s6
	s_addc_u32 s9, 0, s7
	s_add_u32 s16, s17, s6
	s_cselect_b64 s[6:7], -1, 0
	s_cmp_lg_u64 s[6:7], 0
	s_addc_u32 s9, s15, s9
	s_ashr_i32 s6, s25, 31
	s_add_u32 s14, s24, s6
	s_mov_b32 s7, s6
	s_addc_u32 s15, s25, s6
	s_xor_b64 s[14:15], s[14:15], s[6:7]
	s_mul_i32 s18, s14, s9
	s_mul_hi_u32 s19, s14, s16
	s_mul_hi_u32 s17, s14, s9
	s_add_u32 s18, s19, s18
	s_addc_u32 s17, 0, s17
	s_mul_hi_u32 s20, s15, s16
	s_mul_i32 s16, s15, s16
	s_add_u32 s16, s18, s16
	s_mul_hi_u32 s19, s15, s9
	s_addc_u32 s16, s17, s20
	s_addc_u32 s17, s19, 0
	s_mul_i32 s9, s15, s9
	s_add_u32 s9, s16, s9
	s_addc_u32 s16, 0, s17
	s_mul_i32 s16, s4, s16
	s_mul_hi_u32 s17, s4, s9
	s_add_i32 s16, s17, s16
	s_mul_i32 s17, s5, s9
	s_add_i32 s20, s16, s17
	s_sub_i32 s18, s15, s20
	s_mul_i32 s9, s4, s9
	s_sub_u32 s9, s14, s9
	s_cselect_b64 s[16:17], -1, 0
	s_cmp_lg_u64 s[16:17], 0
	s_subb_u32 s14, s18, s5
	s_sub_u32 s21, s9, s4
	s_cselect_b64 s[18:19], -1, 0
	s_cmp_lg_u64 s[18:19], 0
	s_subb_u32 s28, s14, 0
	s_cmp_ge_u32 s28, s5
	s_cselect_b32 s29, -1, 0
	s_cmp_ge_u32 s21, s4
	s_cselect_b32 s34, -1, 0
	s_cmp_eq_u32 s28, s5
	s_cselect_b32 s29, s34, s29
	s_cmp_lg_u64 s[18:19], 0
	s_subb_u32 s14, s14, s5
	s_sub_u32 s34, s21, s4
	s_cselect_b64 s[18:19], -1, 0
	s_cmp_lg_u64 s[18:19], 0
	s_subb_u32 s14, s14, 0
	s_cmp_lg_u32 s29, 0
	s_cselect_b32 s18, s34, s21
	s_cselect_b32 s14, s14, s28
	s_cmp_lg_u64 s[16:17], 0
	s_subb_u32 s15, s15, s20
	s_cmp_ge_u32 s15, s5
	s_cselect_b32 s16, -1, 0
	s_cmp_ge_u32 s9, s4
	s_cselect_b32 s4, -1, 0
	s_cmp_eq_u32 s15, s5
	s_cselect_b32 s4, s4, s16
	s_cmp_lg_u32 s4, 0
	s_cselect_b32 s5, s14, s15
	s_cselect_b32 s4, s18, s9
	s_xor_b64 s[4:5], s[4:5], s[6:7]
	s_sub_u32 s44, s4, s6
	s_subb_u32 s45, s5, s6
	s_cbranch_execnz .LBB6_79
.LBB6_78:                               ;   in Loop: Header=BB6_34 Depth=1
	v_cvt_f32_u32_e32 v2, s8
	s_sub_i32 s4, 0, s8
	v_rcp_iflag_f32_e32 v2, v2
	v_mul_f32_e32 v2, 0x4f7ffffe, v2
	v_cvt_u32_f32_e32 v2, v2
	v_readfirstlane_b32 s5, v2
	s_mul_i32 s4, s4, s5
	s_mul_hi_u32 s4, s5, s4
	s_add_i32 s5, s5, s4
	s_mul_hi_u32 s4, s24, s5
	s_mul_i32 s4, s4, s8
	s_sub_i32 s4, s24, s4
	s_sub_i32 s5, s4, s8
	s_cmp_ge_u32 s4, s8
	s_cselect_b32 s4, s5, s4
	s_sub_i32 s5, s4, s8
	s_cmp_ge_u32 s4, s8
	s_cselect_b32 s64, s5, s4
	s_mov_b64 s[44:45], s[64:65]
.LBB6_79:                               ;   in Loop: Header=BB6_34 Depth=1
	s_sub_u32 s46, s24, s44
	s_subb_u32 s47, s25, s45
	v_cmp_gt_i64_e32 vcc, s[46:47], v[16:17]
	v_mov_b32_e32 v4, 0
	v_mov_b32_e32 v6, 0
	;; [unrolled: 1-line block ×8, first 2 shown]
	s_and_saveexec_b64 s[48:49], vcc
	s_cbranch_execz .LBB6_83
; %bb.80:                               ;   in Loop: Header=BB6_34 Depth=1
	s_mul_i32 s4, s83, s27
	s_mul_hi_u32 s5, s82, s27
	v_mov_b32_e32 v29, v17
	s_add_i32 s9, s5, s4
	s_mov_b64 s[50:51], 0
	s_mov_b64 s[56:57], s[66:67]
	;; [unrolled: 1-line block ×6, first 2 shown]
	v_mov_b32_e32 v28, v16
.LBB6_81:                               ;   Parent Loop BB6_34 Depth=1
                                        ; =>  This Inner Loop Header: Depth=2
	v_add_co_u32_e32 v4, vcc, s56, v23
	v_mov_b32_e32 v2, s57
	v_addc_co_u32_e32 v5, vcc, v2, v24, vcc
	global_load_ubyte v6, v[4:5], off
	v_add_co_u32_e32 v4, vcc, s56, v22
	v_addc_co_u32_e32 v5, vcc, v2, v37, vcc
	global_load_ubyte v7, v[4:5], off
	v_add_co_u32_e32 v4, vcc, s56, v21
	v_addc_co_u32_e32 v5, vcc, v2, v36, vcc
	global_load_ubyte v8, v[4:5], off
	v_add_co_u32_e32 v4, vcc, s56, v20
	v_addc_co_u32_e32 v5, vcc, v2, v35, vcc
	global_load_ubyte v2, v[4:5], off
	s_waitcnt vmcnt(3)
	v_and_b32_e32 v4, v45, v6
	v_cmp_eq_u32_e32 vcc, v4, v43
	s_waitcnt vmcnt(2)
	v_and_b32_e32 v4, v45, v7
	v_cmp_eq_u32_e64 s[14:15], v4, v43
	v_bfe_u32 v5, v7, s12, 2
	s_waitcnt vmcnt(1)
	v_and_b32_e32 v4, v45, v8
	v_cmp_eq_u32_e64 s[16:17], v4, v43
	s_waitcnt vmcnt(0)
	v_and_b32_e32 v4, v45, v2
	v_cmp_eq_u32_e64 s[18:19], v4, v43
	v_bfe_u32 v4, v6, s12, 2
	v_cmp_eq_u32_e64 s[20:21], 0, v4
	v_bfe_u32 v6, v8, s12, 2
	s_and_b64 s[28:29], vcc, s[20:21]
	v_cmp_eq_u32_e64 s[20:21], 0, v5
	v_bfe_u32 v2, v2, s12, 2
	s_and_b64 s[34:35], s[14:15], s[20:21]
	v_cmp_eq_u32_e64 s[20:21], 0, v6
	s_and_b64 s[36:37], s[16:17], s[20:21]
	v_cmp_eq_u32_e64 s[20:21], 0, v2
	v_cndmask_b32_e64 v7, 0, 1, s[28:29]
	s_and_b64 s[38:39], s[18:19], s[20:21]
	v_cmp_ne_u32_e64 s[20:21], 0, v7
	v_cndmask_b32_e64 v7, 0, 1, s[34:35]
	s_bcnt1_i32_b64 s28, s[20:21]
	v_cmp_ne_u32_e64 s[20:21], 0, v7
	v_cndmask_b32_e64 v7, 0, 1, s[36:37]
	s_bcnt1_i32_b64 s29, s[20:21]
	;; [unrolled: 3-line block ×3, first 2 shown]
	v_cmp_ne_u32_e64 s[20:21], 0, v7
	s_bcnt1_i32_b64 s20, s[20:21]
	s_add_u32 s4, s28, s4
	s_addc_u32 s5, 0, s5
	s_add_u32 s4, s4, s29
	s_addc_u32 s5, s5, 0
	;; [unrolled: 2-line block ×3, first 2 shown]
	s_add_u32 s4, s4, s20
	v_cmp_eq_u32_e64 s[20:21], 1, v4
	s_addc_u32 s5, s5, 0
	s_and_b64 s[28:29], vcc, s[20:21]
	v_cmp_eq_u32_e64 s[20:21], 1, v5
	s_and_b64 s[34:35], s[14:15], s[20:21]
	v_cmp_eq_u32_e64 s[20:21], 1, v6
	s_and_b64 s[36:37], s[16:17], s[20:21]
	v_cmp_eq_u32_e64 s[20:21], 1, v2
	v_cndmask_b32_e64 v7, 0, 1, s[28:29]
	s_and_b64 s[38:39], s[18:19], s[20:21]
	v_cmp_ne_u32_e64 s[20:21], 0, v7
	v_cndmask_b32_e64 v7, 0, 1, s[34:35]
	s_bcnt1_i32_b64 s28, s[20:21]
	v_cmp_ne_u32_e64 s[20:21], 0, v7
	v_cndmask_b32_e64 v7, 0, 1, s[36:37]
	s_bcnt1_i32_b64 s29, s[20:21]
	;; [unrolled: 3-line block ×3, first 2 shown]
	v_cmp_ne_u32_e64 s[20:21], 0, v7
	s_bcnt1_i32_b64 s20, s[20:21]
	s_add_u32 s6, s28, s6
	s_addc_u32 s7, 0, s7
	s_add_u32 s6, s6, s29
	s_addc_u32 s7, s7, 0
	;; [unrolled: 2-line block ×3, first 2 shown]
	s_add_u32 s6, s6, s20
	v_cmp_eq_u32_e64 s[20:21], 2, v4
	s_addc_u32 s7, s7, 0
	s_and_b64 s[28:29], vcc, s[20:21]
	v_cmp_eq_u32_e64 s[20:21], 2, v5
	s_and_b64 s[34:35], s[14:15], s[20:21]
	v_cmp_eq_u32_e64 s[20:21], 2, v6
	s_and_b64 s[36:37], s[16:17], s[20:21]
	v_cmp_eq_u32_e64 s[20:21], 2, v2
	v_cndmask_b32_e64 v7, 0, 1, s[28:29]
	s_and_b64 s[38:39], s[18:19], s[20:21]
	v_cmp_ne_u32_e64 s[20:21], 0, v7
	v_cndmask_b32_e64 v7, 0, 1, s[34:35]
	s_bcnt1_i32_b64 s28, s[20:21]
	v_cmp_ne_u32_e64 s[20:21], 0, v7
	v_cndmask_b32_e64 v7, 0, 1, s[36:37]
	s_bcnt1_i32_b64 s29, s[20:21]
	;; [unrolled: 3-line block ×3, first 2 shown]
	v_cmp_ne_u32_e64 s[20:21], 0, v7
	s_bcnt1_i32_b64 s20, s[20:21]
	s_add_u32 s21, s28, s62
	s_addc_u32 s28, 0, s63
	s_add_u32 s21, s21, s29
	s_addc_u32 s28, s28, 0
	;; [unrolled: 2-line block ×3, first 2 shown]
	s_add_u32 s62, s21, s20
	v_cmp_eq_u32_e64 s[20:21], 3, v4
	s_addc_u32 s63, s28, 0
	s_and_b64 s[20:21], vcc, s[20:21]
	v_cmp_eq_u32_e32 vcc, 3, v5
	s_and_b64 s[14:15], s[14:15], vcc
	v_cmp_eq_u32_e32 vcc, 3, v6
	s_and_b64 s[16:17], s[16:17], vcc
	v_cmp_eq_u32_e32 vcc, 3, v2
	v_cndmask_b32_e64 v2, 0, 1, s[20:21]
	s_and_b64 s[18:19], s[18:19], vcc
	v_cmp_ne_u32_e32 vcc, 0, v2
	v_cndmask_b32_e64 v2, 0, 1, s[14:15]
	s_bcnt1_i32_b64 s20, vcc
	v_cmp_ne_u32_e32 vcc, 0, v2
	v_cndmask_b32_e64 v2, 0, 1, s[16:17]
	s_bcnt1_i32_b64 s14, vcc
	;; [unrolled: 3-line block ×3, first 2 shown]
	v_cmp_ne_u32_e32 vcc, 0, v2
	s_bcnt1_i32_b64 s16, vcc
	s_add_u32 s17, s20, s60
	s_addc_u32 s18, 0, s61
	s_add_u32 s14, s17, s14
	s_addc_u32 s17, s18, 0
	;; [unrolled: 2-line block ×3, first 2 shown]
	s_add_u32 s60, s14, s16
	v_add_co_u32_e32 v28, vcc, s8, v28
	s_addc_u32 s61, s15, 0
	v_addc_co_u32_e32 v29, vcc, 0, v29, vcc
	s_mul_i32 s14, s82, s27
	s_add_u32 s56, s56, s14
	v_cmp_le_i64_e32 vcc, s[46:47], v[28:29]
	s_addc_u32 s57, s57, s9
	v_mov_b32_e32 v4, s4
	v_mov_b32_e32 v6, s6
	;; [unrolled: 1-line block ×4, first 2 shown]
	s_or_b64 s[50:51], vcc, s[50:51]
	v_mov_b32_e32 v5, s5
	v_mov_b32_e32 v7, s7
	;; [unrolled: 1-line block ×4, first 2 shown]
	s_andn2_b64 exec, exec, s[50:51]
	s_cbranch_execnz .LBB6_81
; %bb.82:                               ;   in Loop: Header=BB6_34 Depth=1
	s_or_b64 exec, exec, s[50:51]
.LBB6_83:                               ;   in Loop: Header=BB6_34 Depth=1
	s_or_b64 exec, exec, s[48:49]
	v_mov_b32_e32 v2, s47
	v_add_co_u32_e32 v28, vcc, s46, v0
	v_addc_co_u32_e32 v29, vcc, 0, v2, vcc
	v_cmp_gt_i64_e32 vcc, s[24:25], v[28:29]
	s_and_saveexec_b64 s[4:5], vcc
	s_cbranch_execz .LBB6_89
; %bb.84:                               ;   in Loop: Header=BB6_34 Depth=1
	v_mov_b32_e32 v30, s66
	v_mov_b32_e32 v31, s67
	v_mad_u64_u32 v[30:31], s[6:7], v28, s30, v[30:31]
	v_mul_lo_u32 v2, v28, s31
	v_mul_lo_u32 v47, v29, s30
	v_readlane_b32 s6, v57, 51
	v_readlane_b32 s7, v57, 52
	v_add3_u32 v31, v47, v31, v2
	global_load_ubyte v2, v[30:31], off
	v_add_co_u32_e32 v30, vcc, s27, v40
	v_addc_co_u32_e32 v31, vcc, 0, v41, vcc
	v_mov_b32_e32 v47, s45
	v_subrev_co_u32_e32 v48, vcc, s44, v30
	v_subb_co_u32_e32 v30, vcc, v31, v47, vcc
	v_mul_lo_u32 v47, s30, v30
	v_mov_b32_e32 v31, s7
	v_mov_b32_e32 v30, s6
	v_mul_lo_u32 v49, s31, v48
	v_mad_u64_u32 v[30:31], s[6:7], s30, v48, v[30:31]
	s_mul_i32 s6, s31, s27
	s_mul_hi_u32 s7, s30, s27
	v_add3_u32 v31, v49, v31, v47
	s_add_i32 s16, s7, s6
	s_mov_b64 s[6:7], 0
	s_branch .LBB6_86
.LBB6_85:                               ;   in Loop: Header=BB6_86 Depth=2
	s_or_b64 exec, exec, s[8:9]
	s_waitcnt vmcnt(0)
	v_and_b32_e32 v2, 0xff, v2
	s_and_b64 s[8:9], exec, vcc
	v_and_b32_e32 v48, v45, v2
	v_bfe_u32 v2, v2, s12, 2
	s_or_b64 s[6:7], s[8:9], s[6:7]
	v_cmp_eq_u32_e32 vcc, v48, v43
	v_cmp_eq_u32_e64 s[14:15], 0, v2
	s_and_b64 s[8:9], vcc, s[14:15]
	v_cndmask_b32_e64 v48, 0, 1, s[8:9]
	v_cmp_ne_u32_e64 s[14:15], 0, v48
	s_bcnt1_i32_b64 s8, s[14:15]
	v_add_co_u32_e64 v4, s[14:15], s8, v4
	v_addc_co_u32_e64 v5, s[14:15], 0, v5, s[14:15]
	v_cmp_eq_u32_e64 s[14:15], 1, v2
	s_and_b64 s[8:9], vcc, s[14:15]
	v_cndmask_b32_e64 v48, 0, 1, s[8:9]
	v_cmp_ne_u32_e64 s[14:15], 0, v48
	s_bcnt1_i32_b64 s8, s[14:15]
	v_add_co_u32_e64 v6, s[14:15], s8, v6
	v_addc_co_u32_e64 v7, s[14:15], 0, v7, s[14:15]
	;; [unrolled: 7-line block ×3, first 2 shown]
	v_cmp_eq_u32_e64 s[14:15], 3, v2
	s_and_b64 s[8:9], vcc, s[14:15]
	v_cndmask_b32_e64 v2, 0, 1, s[8:9]
	v_cmp_ne_u32_e32 vcc, 0, v2
	s_bcnt1_i32_b64 s8, vcc
	v_add_co_u32_e32 v10, vcc, s8, v10
	v_addc_co_u32_e32 v11, vcc, 0, v11, vcc
	s_mul_i32 s8, s30, s27
	v_mov_b32_e32 v2, s16
	v_add_co_u32_e32 v30, vcc, s8, v30
	v_addc_co_u32_e32 v31, vcc, v31, v2, vcc
	v_mov_b32_e32 v2, v47
	s_andn2_b64 exec, exec, s[6:7]
	s_cbranch_execz .LBB6_88
.LBB6_86:                               ;   Parent Loop BB6_34 Depth=1
                                        ; =>  This Inner Loop Header: Depth=2
	v_add_co_u32_e32 v28, vcc, s27, v28
	v_addc_co_u32_e32 v29, vcc, 0, v29, vcc
	v_cmp_gt_i64_e64 s[14:15], s[24:25], v[28:29]
	v_cmp_le_i64_e32 vcc, s[24:25], v[28:29]
	v_mov_b32_e32 v47, 0
	s_and_saveexec_b64 s[8:9], s[14:15]
	s_cbranch_execz .LBB6_85
; %bb.87:                               ;   in Loop: Header=BB6_86 Depth=2
	global_load_ubyte v47, v[30:31], off
	s_branch .LBB6_85
.LBB6_88:                               ;   in Loop: Header=BB6_34 Depth=1
	s_or_b64 exec, exec, s[6:7]
.LBB6_89:                               ;   in Loop: Header=BB6_34 Depth=1
	s_or_b64 exec, exec, s[4:5]
	s_branch .LBB6_68
.LBB6_90:                               ;   in Loop: Header=BB6_34 Depth=1
	global_load_ushort v2, v3, s[74:75]
	v_mov_b32_e32 v8, 0
	v_mov_b32_e32 v9, 0
	s_waitcnt vmcnt(0)
	v_readfirstlane_b32 s4, v2
	s_and_b32 s8, 0xffff, s4
	s_lshl_b32 s9, s8, 2
	v_cvt_f32_u32_e32 v4, s9
	s_sub_i32 s4, 0, s9
	v_rcp_iflag_f32_e32 v6, v4
	v_mov_b32_e32 v4, 0
	v_mov_b32_e32 v5, 0
	v_mul_f32_e32 v6, 0x4f7ffffe, v6
	v_cvt_u32_f32_e32 v10, v6
	v_mov_b32_e32 v6, 0
	v_mov_b32_e32 v7, 0
	v_readfirstlane_b32 s5, v10
	s_mul_i32 s4, s4, s5
	s_mul_hi_u32 s4, s5, s4
	s_add_i32 s5, s5, s4
	s_mul_hi_u32 s4, s26, s5
	s_mul_i32 s5, s4, s9
	s_sub_i32 s5, s26, s5
	s_add_i32 s6, s4, 1
	s_sub_i32 s7, s5, s9
	s_cmp_ge_u32 s5, s9
	s_cselect_b32 s4, s6, s4
	s_cselect_b32 s5, s7, s5
	s_add_i32 s6, s4, 1
	s_cmp_ge_u32 s5, s9
	s_cselect_b32 s4, s6, s4
	s_mul_hi_u32 s5, s8, s4
	s_mul_i32 s4, s8, s4
	s_lshl_b64 s[6:7], s[4:5], 2
	v_cmp_gt_u64_e32 vcc, s[6:7], v[16:17]
	v_mov_b32_e32 v10, 0
	v_mov_b32_e32 v11, 0
	s_and_saveexec_b64 s[44:45], vcc
	s_cbranch_execz .LBB6_94
; %bb.91:                               ;   in Loop: Header=BB6_34 Depth=1
	v_mov_b32_e32 v29, v17
	s_mov_b64 s[46:47], 0
	v_mov_b32_e32 v30, v16
	s_mov_b64 s[48:49], 0
	s_mov_b64 s[50:51], 0
	;; [unrolled: 1-line block ×4, first 2 shown]
	v_mov_b32_e32 v28, v16
.LBB6_92:                               ;   Parent Loop BB6_34 Depth=1
                                        ; =>  This Inner Loop Header: Depth=2
	ds_read_b32 v4, v30
	v_add_u32_e32 v30, s9, v30
	s_waitcnt lgkmcnt(0)
	v_and_b32_e32 v6, 0xff, v4
	v_bfe_u32 v7, v4, 8, 8
	v_and_b32_e32 v8, v45, v6
	v_bfe_u32 v6, v6, s12, 2
	v_lshrrev_b32_e32 v5, 24, v4
	v_bfe_u32 v4, v4, 16, 8
	v_cmp_eq_u32_e32 vcc, v8, v43
	v_and_b32_e32 v8, v45, v7
	v_bfe_u32 v7, v7, s12, 2
	v_cmp_eq_u32_e64 s[20:21], 0, v6
	v_cmp_eq_u32_e64 s[14:15], v8, v43
	v_and_b32_e32 v8, v45, v4
	v_bfe_u32 v4, v4, s12, 2
	s_and_b64 s[28:29], vcc, s[20:21]
	v_cmp_eq_u32_e64 s[20:21], 0, v7
	v_cmp_eq_u32_e64 s[16:17], v8, v43
	v_and_b32_e32 v8, v45, v5
	v_bfe_u32 v5, v5, s12, 2
	s_and_b64 s[34:35], s[14:15], s[20:21]
	v_cmp_eq_u32_e64 s[20:21], 0, v4
	v_cmp_eq_u32_e64 s[18:19], v8, v43
	s_and_b64 s[36:37], s[16:17], s[20:21]
	v_cmp_eq_u32_e64 s[20:21], 0, v5
	v_cndmask_b32_e64 v8, 0, 1, s[28:29]
	s_and_b64 s[38:39], s[18:19], s[20:21]
	v_cmp_ne_u32_e64 s[20:21], 0, v8
	v_cndmask_b32_e64 v8, 0, 1, s[34:35]
	s_bcnt1_i32_b64 s5, s[20:21]
	v_cmp_ne_u32_e64 s[20:21], 0, v8
	v_cndmask_b32_e64 v8, 0, 1, s[36:37]
	s_bcnt1_i32_b64 s27, s[20:21]
	;; [unrolled: 3-line block ×3, first 2 shown]
	v_cmp_ne_u32_e64 s[20:21], 0, v8
	s_bcnt1_i32_b64 s20, s[20:21]
	s_add_u32 s5, s5, s60
	s_addc_u32 s21, 0, s61
	s_add_u32 s5, s5, s27
	s_addc_u32 s21, s21, 0
	;; [unrolled: 2-line block ×4, first 2 shown]
	v_cmp_eq_u32_e64 s[20:21], 1, v6
	s_and_b64 s[28:29], vcc, s[20:21]
	v_cmp_eq_u32_e64 s[20:21], 1, v7
	s_and_b64 s[34:35], s[14:15], s[20:21]
	v_cmp_eq_u32_e64 s[20:21], 1, v4
	s_and_b64 s[36:37], s[16:17], s[20:21]
	v_cmp_eq_u32_e64 s[20:21], 1, v5
	v_cndmask_b32_e64 v8, 0, 1, s[28:29]
	s_and_b64 s[38:39], s[18:19], s[20:21]
	v_cmp_ne_u32_e64 s[20:21], 0, v8
	v_cndmask_b32_e64 v8, 0, 1, s[34:35]
	s_bcnt1_i32_b64 s5, s[20:21]
	v_cmp_ne_u32_e64 s[20:21], 0, v8
	v_cndmask_b32_e64 v8, 0, 1, s[36:37]
	s_bcnt1_i32_b64 s27, s[20:21]
	;; [unrolled: 3-line block ×3, first 2 shown]
	v_cmp_ne_u32_e64 s[20:21], 0, v8
	s_bcnt1_i32_b64 s20, s[20:21]
	s_add_u32 s5, s5, s56
	s_addc_u32 s21, 0, s57
	s_add_u32 s5, s5, s27
	s_addc_u32 s21, s21, 0
	;; [unrolled: 2-line block ×4, first 2 shown]
	v_cmp_eq_u32_e64 s[20:21], 2, v6
	s_and_b64 s[28:29], vcc, s[20:21]
	v_cmp_eq_u32_e64 s[20:21], 2, v7
	s_and_b64 s[34:35], s[14:15], s[20:21]
	v_cmp_eq_u32_e64 s[20:21], 2, v4
	s_and_b64 s[36:37], s[16:17], s[20:21]
	v_cmp_eq_u32_e64 s[20:21], 2, v5
	v_cndmask_b32_e64 v8, 0, 1, s[28:29]
	s_and_b64 s[38:39], s[18:19], s[20:21]
	v_cmp_ne_u32_e64 s[20:21], 0, v8
	v_cndmask_b32_e64 v8, 0, 1, s[34:35]
	s_bcnt1_i32_b64 s5, s[20:21]
	v_cmp_ne_u32_e64 s[20:21], 0, v8
	v_cndmask_b32_e64 v8, 0, 1, s[36:37]
	s_bcnt1_i32_b64 s27, s[20:21]
	;; [unrolled: 3-line block ×3, first 2 shown]
	v_cmp_ne_u32_e64 s[20:21], 0, v8
	s_bcnt1_i32_b64 s20, s[20:21]
	s_add_u32 s5, s5, s50
	s_addc_u32 s21, 0, s51
	s_add_u32 s5, s5, s27
	s_addc_u32 s21, s21, 0
	;; [unrolled: 2-line block ×4, first 2 shown]
	v_cmp_eq_u32_e64 s[20:21], 3, v6
	s_and_b64 s[20:21], vcc, s[20:21]
	v_cmp_eq_u32_e32 vcc, 3, v7
	s_and_b64 s[14:15], s[14:15], vcc
	v_cmp_eq_u32_e32 vcc, 3, v4
	s_and_b64 s[16:17], s[16:17], vcc
	v_cmp_eq_u32_e32 vcc, 3, v5
	v_cndmask_b32_e64 v4, 0, 1, s[20:21]
	s_and_b64 s[18:19], s[18:19], vcc
	v_cmp_ne_u32_e32 vcc, 0, v4
	v_cndmask_b32_e64 v4, 0, 1, s[14:15]
	s_bcnt1_i32_b64 s5, vcc
	v_cmp_ne_u32_e32 vcc, 0, v4
	v_cndmask_b32_e64 v4, 0, 1, s[16:17]
	s_bcnt1_i32_b64 s14, vcc
	;; [unrolled: 3-line block ×3, first 2 shown]
	v_cmp_ne_u32_e32 vcc, 0, v4
	s_bcnt1_i32_b64 s16, vcc
	s_add_u32 s5, s5, s48
	s_addc_u32 s17, 0, s49
	s_add_u32 s5, s5, s14
	s_addc_u32 s14, s17, 0
	s_add_u32 s5, s5, s15
	v_add_co_u32_e32 v28, vcc, s9, v28
	s_addc_u32 s14, s14, 0
	v_addc_co_u32_e32 v29, vcc, 0, v29, vcc
	s_add_u32 s48, s5, s16
	v_cmp_le_u64_e32 vcc, s[6:7], v[28:29]
	s_addc_u32 s49, s14, 0
	v_mov_b32_e32 v4, s60
	v_mov_b32_e32 v6, s56
	;; [unrolled: 1-line block ×4, first 2 shown]
	s_or_b64 s[46:47], vcc, s[46:47]
	v_mov_b32_e32 v5, s61
	v_mov_b32_e32 v7, s57
	;; [unrolled: 1-line block ×4, first 2 shown]
	s_andn2_b64 exec, exec, s[46:47]
	s_cbranch_execnz .LBB6_92
; %bb.93:                               ;   in Loop: Header=BB6_34 Depth=1
	s_or_b64 exec, exec, s[46:47]
.LBB6_94:                               ;   in Loop: Header=BB6_34 Depth=1
	s_or_b64 exec, exec, s[44:45]
	v_mov_b32_e32 v29, s7
	v_add_co_u32_e32 v28, vcc, s6, v0
	s_and_b32 s64, s26, 0x7fffffff
	v_addc_co_u32_e32 v29, vcc, 0, v29, vcc
	v_cmp_gt_u64_e32 vcc, s[64:65], v[28:29]
	s_and_saveexec_b64 s[6:7], vcc
	s_cbranch_execz .LBB6_98
; %bb.95:                               ;   in Loop: Header=BB6_34 Depth=1
	v_lshl_add_u32 v30, s4, 2, v0
	s_mov_b64 s[4:5], 0
.LBB6_96:                               ;   Parent Loop BB6_34 Depth=1
                                        ; =>  This Inner Loop Header: Depth=2
	ds_read_u8 v31, v30
	v_add_u32_e32 v30, s8, v30
	s_waitcnt lgkmcnt(0)
	v_and_b32_e32 v47, v45, v31
	v_bfe_u32 v31, v31, s12, 2
	v_cmp_eq_u32_e32 vcc, v47, v43
	v_cmp_eq_u32_e64 s[14:15], 0, v31
	s_and_b64 s[14:15], vcc, s[14:15]
	v_cndmask_b32_e64 v47, 0, 1, s[14:15]
	v_cmp_ne_u32_e64 s[14:15], 0, v47
	s_bcnt1_i32_b64 s9, s[14:15]
	v_add_co_u32_e64 v4, s[14:15], s9, v4
	v_addc_co_u32_e64 v5, s[14:15], 0, v5, s[14:15]
	v_cmp_eq_u32_e64 s[14:15], 1, v31
	s_and_b64 s[14:15], vcc, s[14:15]
	v_cndmask_b32_e64 v47, 0, 1, s[14:15]
	v_cmp_ne_u32_e64 s[14:15], 0, v47
	s_bcnt1_i32_b64 s9, s[14:15]
	v_add_co_u32_e64 v6, s[14:15], s9, v6
	v_addc_co_u32_e64 v7, s[14:15], 0, v7, s[14:15]
	;; [unrolled: 7-line block ×3, first 2 shown]
	v_cmp_eq_u32_e64 s[14:15], 3, v31
	s_and_b64 s[14:15], vcc, s[14:15]
	v_cndmask_b32_e64 v31, 0, 1, s[14:15]
	v_cmp_ne_u32_e32 vcc, 0, v31
	s_bcnt1_i32_b64 s9, vcc
	v_add_co_u32_e32 v10, vcc, s9, v10
	v_addc_co_u32_e32 v11, vcc, 0, v11, vcc
	v_add_co_u32_sdwa v28, vcc, v28, v2 dst_sel:DWORD dst_unused:UNUSED_PAD src0_sel:DWORD src1_sel:WORD_0
	v_addc_co_u32_e32 v29, vcc, 0, v29, vcc
	v_cmp_le_u64_e32 vcc, s[64:65], v[28:29]
	s_or_b64 s[4:5], vcc, s[4:5]
	s_andn2_b64 exec, exec, s[4:5]
	s_cbranch_execnz .LBB6_96
; %bb.97:                               ;   in Loop: Header=BB6_34 Depth=1
	s_or_b64 exec, exec, s[4:5]
.LBB6_98:                               ;   in Loop: Header=BB6_34 Depth=1
	s_or_b64 exec, exec, s[6:7]
	s_lshl_b32 s6, s78, 6
	s_and_saveexec_b64 s[4:5], s[10:11]
	s_cbranch_execnz .LBB6_69
	s_branch .LBB6_70
.LBB6_99:                               ;   in Loop: Header=BB6_34 Depth=1
                                        ; implicit-def: $sgpr44_sgpr45
	s_branch .LBB6_78
.LBB6_100:                              ;   in Loop: Header=BB6_34 Depth=1
	s_or_b64 exec, exec, s[6:7]
	s_waitcnt lgkmcnt(0)
	s_barrier
	s_mov_b64 s[6:7], exec
	v_readlane_b32 s8, v57, 32
	v_readlane_b32 s9, v57, 33
	s_and_b64 s[8:9], s[6:7], s[8:9]
	s_mov_b64 exec, s[8:9]
	s_cbranch_execz .LBB6_102
; %bb.101:                              ;   in Loop: Header=BB6_34 Depth=1
	ds_read_b32 v4, v3 offset:5136
	s_waitcnt lgkmcnt(0)
	v_ashrrev_i32_e32 v5, 31, v4
	ds_write_b64 v3, v[4:5] offset:5120
.LBB6_102:                              ;   in Loop: Header=BB6_34 Depth=1
	s_or_b64 exec, exec, s[6:7]
	s_waitcnt lgkmcnt(0)
	s_barrier
	s_mov_b64 s[6:7], -1
	s_and_b64 vcc, exec, s[4:5]
	s_cbranch_vccnz .LBB6_49
	s_branch .LBB6_64
.LBB6_103:                              ;   in Loop: Header=BB6_34 Depth=1
	v_mov_b32_e32 v4, 0
	v_mov_b32_e32 v5, 0
	s_mov_b32 s7, 0
.LBB6_104:                              ;   in Loop: Header=BB6_34 Depth=1
	v_readlane_b32 s8, v57, 49
	v_readlane_b32 s9, v57, 50
	s_andn2_b64 vcc, exec, s[8:9]
	s_cbranch_vccnz .LBB6_107
; %bb.105:                              ;   in Loop: Header=BB6_34 Depth=1
	s_lshl_b32 s8, s78, 9
	s_lshl_b32 s7, s7, 5
	s_add_i32 s8, s8, s7
	v_add_u32_e32 v2, s8, v42
	v_readlane_b32 s7, v57, 48
.LBB6_106:                              ;   Parent Loop BB6_34 Depth=1
                                        ; =>  This Inner Loop Header: Depth=2
	ds_read_b64 v[6:7], v2
	s_add_i32 s7, s7, -1
	v_add_u32_e32 v2, 32, v2
	s_cmp_lg_u32 s7, 0
	s_waitcnt lgkmcnt(0)
	v_add_co_u32_e32 v4, vcc, v6, v4
	v_addc_co_u32_e32 v5, vcc, v7, v5, vcc
	s_cbranch_scc1 .LBB6_106
.LBB6_107:                              ;   in Loop: Header=BB6_34 Depth=1
	v_add_lshl_u32 v2, s6, v32, 3
	ds_write_b64 v2, v[4:5] offset:3072
.LBB6_108:                              ;   in Loop: Header=BB6_34 Depth=1
	s_or_b64 exec, exec, s[4:5]
	s_lshl_b32 s4, s6, 3
	v_mov_b32_e32 v2, s4
	s_waitcnt lgkmcnt(0)
	s_barrier
	ds_read_b128 v[8:11], v2 offset:3088
	ds_read_b128 v[4:7], v2 offset:3072
	v_cmp_eq_u64_e64 s[14:15], 1, v[26:27]
	s_lshl_b32 s79, 3, s12
	s_not_b32 s40, s79
	s_waitcnt lgkmcnt(1)
	v_readfirstlane_b32 s60, v8
	s_waitcnt lgkmcnt(0)
	v_cmp_eq_u64_e32 vcc, 1, v[4:5]
	v_readfirstlane_b32 s61, v9
	v_readfirstlane_b32 s16, v10
	v_readfirstlane_b32 s17, v11
	s_and_b64 s[6:7], vcc, s[14:15]
	s_mov_b64 s[4:5], -1
	s_mov_b64 s[8:9], -1
                                        ; implicit-def: $sgpr26_sgpr27
                                        ; implicit-def: $sgpr20_sgpr21
	s_and_saveexec_b64 s[14:15], s[6:7]
	s_cbranch_execz .LBB6_140
; %bb.109:                              ;   in Loop: Header=BB6_34 Depth=1
	ds_read_b64 v[8:9], v3 offset:5120
	s_waitcnt lgkmcnt(0)
	s_barrier
	v_readfirstlane_b32 s18, v8
	v_readfirstlane_b32 s19, v9
	s_mov_b64 s[8:9], exec
	v_readlane_b32 s20, v57, 53
	v_readlane_b32 s21, v57, 54
	s_and_b64 s[20:21], s[8:9], s[20:21]
	s_mov_b64 exec, s[20:21]
; %bb.110:                              ;   in Loop: Header=BB6_34 Depth=1
	ds_write_b8 v0, v3 offset:3072
; %bb.111:                              ;   in Loop: Header=BB6_34 Depth=1
	s_or_b64 exec, exec, s[8:9]
	v_cmp_lt_i64_e64 s[8:9], s[18:19], 1
	v_and_b32_e32 v43, s40, v43
	v_or_b32_e32 v45, s79, v45
	s_mov_b64 s[20:21], -1
	s_mov_b64 s[26:27], 0
	s_and_b64 vcc, exec, s[8:9]
	s_mov_b64 s[28:29], 0
	s_mov_b64 s[34:35], -1
	s_waitcnt lgkmcnt(0)
	s_barrier
                                        ; implicit-def: $vgpr46
	s_cbranch_vccz .LBB6_125
; %bb.112:                              ;   in Loop: Header=BB6_34 Depth=1
	s_mov_b32 s72, s65
	s_cmp_lg_u64 s[72:73], 0
	s_cbranch_scc0 .LBB6_166
; %bb.113:                              ;   in Loop: Header=BB6_34 Depth=1
	s_add_u32 s8, s23, 0
	s_addc_u32 s9, 0, 0
	s_xor_b64 s[28:29], s[8:9], 0
	v_cvt_f32_u32_e32 v2, s28
	v_cvt_f32_u32_e32 v8, s29
	s_sub_u32 s34, 0, s28
	s_subb_u32 s35, 0, s29
	v_mac_f32_e32 v2, 0x4f800000, v8
	v_rcp_f32_e32 v2, v2
	v_mul_f32_e32 v2, 0x5f7ffffc, v2
	v_mul_f32_e32 v8, 0x2f800000, v2
	v_trunc_f32_e32 v8, v8
	v_mac_f32_e32 v2, 0xcf800000, v8
	v_cvt_u32_f32_e32 v8, v8
	v_cvt_u32_f32_e32 v2, v2
	v_readfirstlane_b32 s36, v8
	v_readfirstlane_b32 s8, v2
	s_mul_i32 s9, s34, s36
	s_mul_hi_u32 s38, s34, s8
	s_mul_i32 s37, s35, s8
	s_add_i32 s9, s38, s9
	s_mul_i32 s39, s34, s8
	s_add_i32 s9, s9, s37
	s_mul_i32 s38, s8, s9
	s_mul_hi_u32 s41, s8, s39
	s_mul_hi_u32 s37, s8, s9
	s_add_u32 s38, s41, s38
	s_addc_u32 s37, 0, s37
	s_mul_hi_u32 s44, s36, s39
	s_mul_i32 s39, s36, s39
	s_add_u32 s38, s38, s39
	s_mul_hi_u32 s41, s36, s9
	s_addc_u32 s37, s37, s44
	s_addc_u32 s38, s41, 0
	s_mul_i32 s9, s36, s9
	s_add_u32 s9, s37, s9
	s_addc_u32 s37, 0, s38
	s_add_u32 s38, s8, s9
	s_cselect_b64 s[8:9], -1, 0
	s_cmp_lg_u64 s[8:9], 0
	s_addc_u32 s36, s36, s37
	s_mul_i32 s8, s34, s36
	s_mul_hi_u32 s9, s34, s38
	s_add_i32 s8, s9, s8
	s_mul_i32 s35, s35, s38
	s_add_i32 s8, s8, s35
	s_mul_i32 s34, s34, s38
	s_mul_hi_u32 s35, s36, s34
	s_mul_i32 s37, s36, s34
	s_mul_i32 s41, s38, s8
	s_mul_hi_u32 s34, s38, s34
	s_mul_hi_u32 s39, s38, s8
	s_add_u32 s34, s34, s41
	s_addc_u32 s39, 0, s39
	s_add_u32 s34, s34, s37
	s_mul_hi_u32 s9, s36, s8
	s_addc_u32 s34, s39, s35
	s_addc_u32 s9, s9, 0
	s_mul_i32 s8, s36, s8
	s_add_u32 s8, s34, s8
	s_addc_u32 s34, 0, s9
	s_add_u32 s37, s38, s8
	s_cselect_b64 s[8:9], -1, 0
	s_cmp_lg_u64 s[8:9], 0
	s_addc_u32 s36, s36, s34
	s_ashr_i32 s34, s73, 31
	s_add_u32 s8, s43, s34
	s_mov_b32 s35, s34
	s_addc_u32 s9, s73, s34
	s_xor_b64 s[8:9], s[8:9], s[34:35]
	s_mul_i32 s39, s8, s36
	s_mul_hi_u32 s41, s8, s37
	s_mul_hi_u32 s38, s8, s36
	s_add_u32 s39, s41, s39
	s_addc_u32 s38, 0, s38
	s_mul_hi_u32 s44, s9, s37
	s_mul_i32 s37, s9, s37
	s_add_u32 s37, s39, s37
	s_mul_hi_u32 s41, s9, s36
	s_addc_u32 s37, s38, s44
	s_addc_u32 s38, s41, 0
	s_mul_i32 s36, s9, s36
	s_add_u32 s36, s37, s36
	s_addc_u32 s37, 0, s38
	s_mul_i32 s37, s28, s37
	s_mul_hi_u32 s38, s28, s36
	s_add_i32 s37, s38, s37
	s_mul_i32 s38, s29, s36
	s_add_i32 s41, s37, s38
	s_sub_i32 s38, s9, s41
	s_mul_i32 s36, s28, s36
	s_sub_u32 s8, s8, s36
	s_cselect_b64 s[36:37], -1, 0
	s_cmp_lg_u64 s[36:37], 0
	s_subb_u32 s44, s38, s29
	s_sub_u32 s45, s8, s28
	s_cselect_b64 s[38:39], -1, 0
	s_cmp_lg_u64 s[38:39], 0
	s_subb_u32 s46, s44, 0
	s_cmp_ge_u32 s46, s29
	s_cselect_b32 s47, -1, 0
	s_cmp_ge_u32 s45, s28
	s_cselect_b32 s48, -1, 0
	s_cmp_eq_u32 s46, s29
	s_cselect_b32 s47, s48, s47
	s_cmp_lg_u64 s[38:39], 0
	s_subb_u32 s44, s44, s29
	s_sub_u32 s48, s45, s28
	s_cselect_b64 s[38:39], -1, 0
	s_cmp_lg_u64 s[38:39], 0
	s_subb_u32 s38, s44, 0
	s_cmp_lg_u32 s47, 0
	s_cselect_b32 s39, s48, s45
	s_cselect_b32 s38, s38, s46
	s_cmp_lg_u64 s[36:37], 0
	s_subb_u32 s9, s9, s41
	s_cmp_ge_u32 s9, s29
	s_cselect_b32 s36, -1, 0
	s_cmp_ge_u32 s8, s28
	s_cselect_b32 s28, -1, 0
	s_cmp_eq_u32 s9, s29
	s_cselect_b32 s28, s28, s36
	s_cmp_lg_u32 s28, 0
	s_cselect_b32 s9, s38, s9
	s_cselect_b32 s8, s39, s8
	s_xor_b64 s[8:9], s[8:9], s[34:35]
	s_sub_u32 s8, s8, s34
	s_subb_u32 s9, s9, s34
	s_cbranch_execnz .LBB6_115
.LBB6_114:                              ;   in Loop: Header=BB6_34 Depth=1
	v_cvt_f32_u32_e32 v2, s23
	s_sub_i32 s8, 0, s23
	v_rcp_iflag_f32_e32 v2, v2
	v_mul_f32_e32 v2, 0x4f7ffffe, v2
	v_cvt_u32_f32_e32 v2, v2
	v_readfirstlane_b32 s9, v2
	s_mul_i32 s8, s8, s9
	s_mul_hi_u32 s8, s9, s8
	s_add_i32 s9, s9, s8
	s_mul_hi_u32 s8, s43, s9
	s_mul_i32 s8, s8, s23
	s_sub_i32 s8, s43, s8
	s_sub_i32 s9, s8, s23
	s_cmp_ge_u32 s8, s23
	s_cselect_b32 s8, s9, s8
	s_sub_i32 s9, s8, s23
	s_cmp_ge_u32 s8, s23
	s_cselect_b32 s64, s9, s8
	s_mov_b64 s[8:9], s[64:65]
.LBB6_115:                              ;   in Loop: Header=BB6_34 Depth=1
	s_sub_u32 s8, s43, s8
	s_subb_u32 s9, s73, s9
	v_cmp_gt_i64_e32 vcc, s[8:9], v[0:1]
	s_mov_b64 s[34:35], 0
	s_mov_b64 s[28:29], 0
                                        ; implicit-def: $vgpr46
	s_and_saveexec_b64 s[44:45], vcc
	s_cbranch_execz .LBB6_124
; %bb.116:                              ;   in Loop: Header=BB6_34 Depth=1
	v_mov_b32_e32 v8, v12
	v_mov_b32_e32 v11, v1
	;; [unrolled: 1-line block ×4, first 2 shown]
                                        ; implicit-def: $sgpr36_sgpr37
	s_branch .LBB6_119
.LBB6_117:                              ;   in Loop: Header=BB6_119 Depth=2
	s_or_b64 exec, exec, s[38:39]
	s_waitcnt lgkmcnt(0)
	s_barrier
	ds_read_u16 v2, v3 offset:3072
	s_mov_b64 s[38:39], -1
	s_waitcnt lgkmcnt(0)
	s_barrier
	v_cmp_ne_u32_sdwa s[46:47], v2, v3 src0_sel:BYTE_0 src1_sel:DWORD
	s_and_b64 vcc, exec, s[46:47]
	s_mov_b64 s[46:47], -1
	s_cbranch_vccz .LBB6_122
.LBB6_118:                              ;   in Loop: Header=BB6_119 Depth=2
	s_and_b64 s[38:39], exec, s[38:39]
	s_or_b64 s[28:29], s[38:39], s[28:29]
	s_andn2_b64 s[36:37], s[36:37], exec
	s_and_b64 s[38:39], s[46:47], exec
	s_or_b64 s[36:37], s[36:37], s[38:39]
	s_andn2_b64 exec, exec, s[28:29]
	s_cbranch_execz .LBB6_123
.LBB6_119:                              ;   Parent Loop BB6_34 Depth=1
                                        ; =>  This Inner Loop Header: Depth=2
	v_cmp_gt_i64_e32 vcc, s[24:25], v[10:11]
	s_and_saveexec_b64 s[38:39], vcc
	s_cbranch_execz .LBB6_117
; %bb.120:                              ;   in Loop: Header=BB6_119 Depth=2
	global_load_ubyte v2, v[8:9], off
	s_waitcnt vmcnt(0)
	v_and_b32_e32 v28, v2, v45
	v_cmp_eq_u32_sdwa s[46:47], v28, v43 src0_sel:BYTE_0 src1_sel:DWORD
	s_and_b64 exec, exec, s[46:47]
	s_cbranch_execz .LBB6_117
; %bb.121:                              ;   in Loop: Header=BB6_119 Depth=2
	v_lshlrev_b16_e32 v2, 8, v2
	v_or_b32_e32 v2, 1, v2
	ds_write_b16 v3, v2 offset:3072
	s_branch .LBB6_117
.LBB6_122:                              ;   in Loop: Header=BB6_119 Depth=2
	v_add_co_u32_e32 v10, vcc, s23, v10
	v_addc_co_u32_e32 v11, vcc, 0, v11, vcc
	v_mov_b32_e32 v28, s33
	v_add_co_u32_e32 v8, vcc, s42, v8
	v_addc_co_u32_e32 v9, vcc, v9, v28, vcc
	v_cmp_le_i64_e32 vcc, s[8:9], v[10:11]
	s_mov_b64 s[46:47], 0
	s_orn2_b64 s[38:39], vcc, exec
	s_branch .LBB6_118
.LBB6_123:                              ;   in Loop: Header=BB6_34 Depth=1
	s_or_b64 exec, exec, s[28:29]
	v_lshrrev_b32_sdwa v46, v44, v2 dst_sel:DWORD dst_unused:UNUSED_PAD src0_sel:DWORD src1_sel:WORD_0
	s_and_b64 s[28:29], s[36:37], exec
.LBB6_124:                              ;   in Loop: Header=BB6_34 Depth=1
	s_or_b64 exec, exec, s[44:45]
.LBB6_125:                              ;   in Loop: Header=BB6_34 Depth=1
	s_and_b64 vcc, exec, s[34:35]
	s_cbranch_vccz .LBB6_139
; %bb.126:                              ;   in Loop: Header=BB6_34 Depth=1
	v_readlane_b32 s8, v57, 40
	s_add_u32 s34, s18, s8
	v_readlane_b32 s8, v57, 41
	s_addc_u32 s21, s19, s8
	s_mov_b32 s20, s65
	s_cmp_lg_u64 s[20:21], 0
	s_cbranch_scc0 .LBB6_167
; %bb.127:                              ;   in Loop: Header=BB6_34 Depth=1
	s_add_u32 s8, s23, 0
	s_addc_u32 s9, 0, 0
	s_xor_b64 s[26:27], s[8:9], 0
	v_cvt_f32_u32_e32 v2, s26
	v_cvt_f32_u32_e32 v8, s27
	s_sub_u32 s20, 0, s26
	s_subb_u32 s35, 0, s27
	v_mac_f32_e32 v2, 0x4f800000, v8
	v_rcp_f32_e32 v2, v2
	v_mul_f32_e32 v2, 0x5f7ffffc, v2
	v_mul_f32_e32 v8, 0x2f800000, v2
	v_trunc_f32_e32 v8, v8
	v_mac_f32_e32 v2, 0xcf800000, v8
	v_cvt_u32_f32_e32 v8, v8
	v_cvt_u32_f32_e32 v2, v2
	v_readfirstlane_b32 s36, v8
	v_readfirstlane_b32 s8, v2
	s_mul_i32 s9, s20, s36
	s_mul_hi_u32 s38, s20, s8
	s_mul_i32 s37, s35, s8
	s_add_i32 s9, s38, s9
	s_mul_i32 s39, s20, s8
	s_add_i32 s9, s9, s37
	s_mul_i32 s38, s8, s9
	s_mul_hi_u32 s41, s8, s39
	s_mul_hi_u32 s37, s8, s9
	s_add_u32 s38, s41, s38
	s_addc_u32 s37, 0, s37
	s_mul_hi_u32 s44, s36, s39
	s_mul_i32 s39, s36, s39
	s_add_u32 s38, s38, s39
	s_mul_hi_u32 s41, s36, s9
	s_addc_u32 s37, s37, s44
	s_addc_u32 s38, s41, 0
	s_mul_i32 s9, s36, s9
	s_add_u32 s9, s37, s9
	s_addc_u32 s37, 0, s38
	s_add_u32 s38, s8, s9
	s_cselect_b64 s[8:9], -1, 0
	s_cmp_lg_u64 s[8:9], 0
	s_addc_u32 s36, s36, s37
	s_mul_i32 s8, s20, s36
	s_mul_hi_u32 s9, s20, s38
	s_add_i32 s8, s9, s8
	s_mul_i32 s35, s35, s38
	s_add_i32 s8, s8, s35
	s_mul_i32 s20, s20, s38
	s_mul_hi_u32 s35, s36, s20
	s_mul_i32 s37, s36, s20
	s_mul_i32 s41, s38, s8
	s_mul_hi_u32 s20, s38, s20
	s_mul_hi_u32 s39, s38, s8
	s_add_u32 s20, s20, s41
	s_addc_u32 s39, 0, s39
	s_add_u32 s20, s20, s37
	s_mul_hi_u32 s9, s36, s8
	s_addc_u32 s20, s39, s35
	s_addc_u32 s9, s9, 0
	s_mul_i32 s8, s36, s8
	s_add_u32 s8, s20, s8
	s_addc_u32 s20, 0, s9
	s_add_u32 s35, s38, s8
	s_cselect_b64 s[8:9], -1, 0
	s_cmp_lg_u64 s[8:9], 0
	s_addc_u32 s20, s36, s20
	s_ashr_i32 s36, s21, 31
	s_add_u32 s8, s34, s36
	s_mov_b32 s37, s36
	s_addc_u32 s9, s21, s36
	s_xor_b64 s[8:9], s[8:9], s[36:37]
	s_mul_i32 s39, s8, s20
	s_mul_hi_u32 s41, s8, s35
	s_mul_hi_u32 s38, s8, s20
	s_add_u32 s39, s41, s39
	s_addc_u32 s38, 0, s38
	s_mul_hi_u32 s44, s9, s35
	s_mul_i32 s35, s9, s35
	s_add_u32 s35, s39, s35
	s_mul_hi_u32 s41, s9, s20
	s_addc_u32 s35, s38, s44
	s_addc_u32 s38, s41, 0
	s_mul_i32 s20, s9, s20
	s_add_u32 s20, s35, s20
	s_addc_u32 s35, 0, s38
	s_mul_i32 s35, s26, s35
	s_mul_hi_u32 s38, s26, s20
	s_add_i32 s35, s38, s35
	s_mul_i32 s38, s27, s20
	s_add_i32 s35, s35, s38
	s_sub_i32 s41, s9, s35
	s_mul_i32 s20, s26, s20
	s_sub_u32 s8, s8, s20
	s_cselect_b64 s[38:39], -1, 0
	s_cmp_lg_u64 s[38:39], 0
	s_subb_u32 s20, s41, s27
	s_sub_u32 s41, s8, s26
	s_cselect_b64 s[44:45], -1, 0
	s_cmp_lg_u64 s[44:45], 0
	s_subb_u32 s46, s20, 0
	s_cmp_ge_u32 s46, s27
	s_cselect_b32 s47, -1, 0
	s_cmp_ge_u32 s41, s26
	s_cselect_b32 s48, -1, 0
	s_cmp_eq_u32 s46, s27
	s_cselect_b32 s47, s48, s47
	s_cmp_lg_u64 s[44:45], 0
	s_subb_u32 s20, s20, s27
	s_sub_u32 s48, s41, s26
	s_cselect_b64 s[44:45], -1, 0
	s_cmp_lg_u64 s[44:45], 0
	s_subb_u32 s20, s20, 0
	s_cmp_lg_u32 s47, 0
	s_cselect_b32 s41, s48, s41
	s_cselect_b32 s20, s20, s46
	s_cmp_lg_u64 s[38:39], 0
	s_subb_u32 s9, s9, s35
	s_cmp_ge_u32 s9, s27
	s_cselect_b32 s35, -1, 0
	s_cmp_ge_u32 s8, s26
	s_cselect_b32 s26, -1, 0
	s_cmp_eq_u32 s9, s27
	s_cselect_b32 s26, s26, s35
	s_cmp_lg_u32 s26, 0
	s_cselect_b32 s9, s20, s9
	s_cselect_b32 s8, s41, s8
	s_xor_b64 s[8:9], s[8:9], s[36:37]
	s_sub_u32 s8, s8, s36
	s_subb_u32 s9, s9, s36
	s_cbranch_execnz .LBB6_129
.LBB6_128:                              ;   in Loop: Header=BB6_34 Depth=1
	v_cvt_f32_u32_e32 v2, s23
	s_sub_i32 s8, 0, s23
	v_rcp_iflag_f32_e32 v2, v2
	v_mul_f32_e32 v2, 0x4f7ffffe, v2
	v_cvt_u32_f32_e32 v2, v2
	v_readfirstlane_b32 s9, v2
	s_mul_i32 s8, s8, s9
	s_mul_hi_u32 s8, s9, s8
	s_add_i32 s9, s9, s8
	s_mul_hi_u32 s8, s34, s9
	s_mul_i32 s8, s8, s23
	s_sub_i32 s8, s34, s8
	s_sub_i32 s9, s8, s23
	s_cmp_ge_u32 s8, s23
	s_cselect_b32 s8, s9, s8
	s_sub_i32 s9, s8, s23
	s_cmp_ge_u32 s8, s23
	s_cselect_b32 s64, s9, s8
	s_mov_b64 s[8:9], s[64:65]
.LBB6_129:                              ;   in Loop: Header=BB6_34 Depth=1
	s_sub_u32 s20, s34, s8
	s_subb_u32 s21, s21, s9
	v_cmp_gt_i64_e32 vcc, s[20:21], v[0:1]
                                        ; implicit-def: $vgpr46
	s_and_saveexec_b64 s[8:9], vcc
	s_cbranch_execz .LBB6_138
; %bb.130:                              ;   in Loop: Header=BB6_34 Depth=1
	v_mov_b32_e32 v9, v1
	s_mov_b64 s[26:27], 0
	v_mov_b32_e32 v2, v0
	v_mov_b32_e32 v8, v0
                                        ; implicit-def: $sgpr34_sgpr35
	s_branch .LBB6_133
.LBB6_131:                              ;   in Loop: Header=BB6_133 Depth=2
	s_or_b64 exec, exec, s[36:37]
	s_waitcnt lgkmcnt(0)
	s_barrier
	ds_read_u16 v10, v3 offset:3072
	s_mov_b64 s[36:37], -1
	s_waitcnt lgkmcnt(0)
	s_barrier
	v_cmp_ne_u32_sdwa s[38:39], v10, v3 src0_sel:BYTE_0 src1_sel:DWORD
	s_and_b64 vcc, exec, s[38:39]
	s_mov_b64 s[38:39], -1
	s_cbranch_vccz .LBB6_136
.LBB6_132:                              ;   in Loop: Header=BB6_133 Depth=2
	s_and_b64 s[36:37], exec, s[36:37]
	s_or_b64 s[26:27], s[36:37], s[26:27]
	s_andn2_b64 s[34:35], s[34:35], exec
	s_and_b64 s[36:37], s[38:39], exec
	s_or_b64 s[34:35], s[34:35], s[36:37]
	s_andn2_b64 exec, exec, s[26:27]
	s_cbranch_execz .LBB6_137
.LBB6_133:                              ;   Parent Loop BB6_34 Depth=1
                                        ; =>  This Inner Loop Header: Depth=2
	v_cmp_gt_u64_e32 vcc, s[18:19], v[8:9]
	s_and_saveexec_b64 s[36:37], vcc
	s_cbranch_execz .LBB6_131
; %bb.134:                              ;   in Loop: Header=BB6_133 Depth=2
	ds_read_u8 v10, v2
	s_waitcnt lgkmcnt(0)
	v_and_b32_e32 v11, v10, v45
	v_cmp_eq_u32_sdwa s[38:39], v11, v43 src0_sel:BYTE_0 src1_sel:DWORD
	s_and_b64 exec, exec, s[38:39]
	s_cbranch_execz .LBB6_131
; %bb.135:                              ;   in Loop: Header=BB6_133 Depth=2
	v_lshlrev_b16_e32 v10, 8, v10
	v_or_b32_e32 v10, 1, v10
	ds_write_b16 v3, v10 offset:3072
	s_branch .LBB6_131
.LBB6_136:                              ;   in Loop: Header=BB6_133 Depth=2
	v_add_co_u32_e32 v8, vcc, s23, v8
	v_addc_co_u32_e32 v9, vcc, 0, v9, vcc
	v_cmp_le_i64_e32 vcc, s[20:21], v[8:9]
	v_add_u32_e32 v2, s23, v2
	s_mov_b64 s[38:39], 0
	s_orn2_b64 s[36:37], vcc, exec
	s_branch .LBB6_132
.LBB6_137:                              ;   in Loop: Header=BB6_34 Depth=1
	s_or_b64 exec, exec, s[26:27]
	s_andn2_b64 s[18:19], s[28:29], exec
	s_and_b64 s[20:21], s[34:35], exec
	v_lshrrev_b32_sdwa v46, v44, v10 dst_sel:DWORD dst_unused:UNUSED_PAD src0_sel:DWORD src1_sel:WORD_0
	s_or_b64 s[28:29], s[18:19], s[20:21]
.LBB6_138:                              ;   in Loop: Header=BB6_34 Depth=1
	s_or_b64 exec, exec, s[8:9]
	s_mov_b64 s[20:21], 0
	s_mov_b64 s[26:27], -1
.LBB6_139:                              ;   in Loop: Header=BB6_34 Depth=1
	s_orn2_b64 s[8:9], s[28:29], exec
.LBB6_140:                              ;   in Loop: Header=BB6_34 Depth=1
	s_or_b64 exec, exec, s[14:15]
	s_andn2_b64 s[14:15], s[58:59], exec
	s_and_b64 s[18:19], s[26:27], exec
	s_or_b64 s[58:59], s[14:15], s[18:19]
	s_andn2_b64 s[14:15], s[94:95], exec
	s_and_b64 s[18:19], s[20:21], exec
	s_andn2_b64 s[92:93], s[92:93], exec
	s_or_b64 s[94:95], s[14:15], s[18:19]
                                        ; implicit-def: $vgpr8_vgpr9
	s_and_saveexec_b64 s[18:19], s[8:9]
	s_cbranch_execz .LBB6_33
; %bb.141:                              ;   in Loop: Header=BB6_34 Depth=1
	v_mov_b32_e32 v8, 1
	s_xor_b64 s[8:9], s[6:7], -1
	v_mov_b32_e32 v2, 1
	v_mov_b32_e32 v9, 0
	s_mov_b64 s[6:7], 0
	s_and_saveexec_b64 s[4:5], s[8:9]
	s_cbranch_execz .LBB6_150
; %bb.142:                              ;   in Loop: Header=BB6_34 Depth=1
	v_cmp_le_i64_e32 vcc, v[26:27], v[4:5]
	s_and_saveexec_b64 s[6:7], vcc
	s_xor_b64 s[6:7], exec, s[6:7]
	s_cbranch_execz .LBB6_147
; %bb.143:                              ;   in Loop: Header=BB6_34 Depth=1
	ds_read_b64 v[8:9], v3 offset:5120
	v_and_b32_e32 v43, s40, v43
	v_or_b32_e32 v45, s79, v45
	s_waitcnt lgkmcnt(0)
	v_cmp_ne_u64_e32 vcc, 0, v[8:9]
	s_cbranch_vccnz .LBB6_147
; %bb.144:                              ;   in Loop: Header=BB6_34 Depth=1
	s_mov_b64 s[8:9], exec
	v_readlane_b32 s14, v57, 32
	v_readlane_b32 s15, v57, 33
	s_and_b64 s[14:15], s[8:9], s[14:15]
	s_mov_b64 exec, s[14:15]
; %bb.145:                              ;   in Loop: Header=BB6_34 Depth=1
	ds_write_b64 v3, v[4:5] offset:5128
; %bb.146:                              ;   in Loop: Header=BB6_34 Depth=1
	s_or_b64 exec, exec, s[8:9]
	s_waitcnt lgkmcnt(0)
	s_barrier
.LBB6_147:                              ;   in Loop: Header=BB6_34 Depth=1
	s_or_saveexec_b64 s[6:7], s[6:7]
	s_mov_b64 s[8:9], 0
	v_mov_b32_e32 v2, 8
	s_xor_b64 exec, exec, s[6:7]
; %bb.148:                              ;   in Loop: Header=BB6_34 Depth=1
	v_sub_co_u32_e32 v26, vcc, v26, v4
	v_subb_co_u32_e32 v27, vcc, v27, v5, vcc
	v_mov_b32_e32 v2, 0
	s_mov_b64 s[8:9], exec
; %bb.149:                              ;   in Loop: Header=BB6_34 Depth=1
	s_or_b64 exec, exec, s[6:7]
	v_mov_b32_e32 v8, v26
	s_and_b64 s[6:7], s[8:9], exec
	v_mov_b32_e32 v9, v27
.LBB6_150:                              ;   in Loop: Header=BB6_34 Depth=1
	s_or_b64 exec, exec, s[4:5]
	s_mov_b64 s[20:21], -1
	s_mov_b64 s[4:5], -1
                                        ; implicit-def: $sgpr14_sgpr15
                                        ; implicit-def: $sgpr56_sgpr57
	s_and_saveexec_b64 s[8:9], s[6:7]
	s_xor_b64 s[26:27], exec, s[8:9]
	s_cbranch_execz .LBB6_292
; %bb.151:                              ;   in Loop: Header=BB6_34 Depth=1
	v_cmp_eq_u64_e32 vcc, 1, v[6:7]
	v_cmp_eq_u64_e64 s[14:15], 1, v[8:9]
	s_mov_b64 s[8:9], -1
	s_and_b64 s[4:5], vcc, s[14:15]
                                        ; implicit-def: $sgpr56_sgpr57
                                        ; implicit-def: $sgpr14_sgpr15
	s_and_saveexec_b64 s[6:7], s[4:5]
	s_cbranch_execz .LBB6_185
; %bb.152:                              ;   in Loop: Header=BB6_34 Depth=1
	ds_read_b64 v[4:5], v3 offset:5120
	s_waitcnt lgkmcnt(0)
	s_barrier
	v_readfirstlane_b32 s44, v4
	v_readfirstlane_b32 s45, v5
	s_mov_b64 s[8:9], exec
	v_readlane_b32 s14, v57, 53
	v_readlane_b32 s15, v57, 54
	s_and_b64 s[14:15], s[8:9], s[14:15]
	s_mov_b64 exec, s[14:15]
; %bb.153:                              ;   in Loop: Header=BB6_34 Depth=1
	ds_write_b8 v0, v3 offset:3072
; %bb.154:                              ;   in Loop: Header=BB6_34 Depth=1
	s_or_b64 exec, exec, s[8:9]
	v_cmp_gt_i64_e64 s[8:9], s[44:45], 0
	v_and_b32_e32 v4, s40, v43
	v_lshl_or_b32 v43, 1, s12, v4
	v_or_b32_e32 v45, s79, v45
	s_mov_b64 s[14:15], -1
	s_mov_b64 s[56:57], 0
	s_and_b64 vcc, exec, s[8:9]
	s_mov_b64 s[28:29], 0
	s_mov_b64 s[34:35], -1
	s_waitcnt lgkmcnt(0)
	s_barrier
                                        ; implicit-def: $vgpr46
	s_cbranch_vccnz .LBB6_170
; %bb.155:                              ;   in Loop: Header=BB6_34 Depth=1
	s_mov_b32 s72, s65
	s_cmp_lg_u64 s[72:73], 0
	s_cbranch_scc0 .LBB6_212
; %bb.156:                              ;   in Loop: Header=BB6_34 Depth=1
	s_add_u32 s8, s23, 0
	s_addc_u32 s9, 0, 0
	s_xor_b64 s[28:29], s[8:9], 0
	v_cvt_f32_u32_e32 v4, s28
	v_cvt_f32_u32_e32 v5, s29
	s_sub_u32 s34, 0, s28
	s_subb_u32 s35, 0, s29
	v_mac_f32_e32 v4, 0x4f800000, v5
	v_rcp_f32_e32 v4, v4
	v_mul_f32_e32 v4, 0x5f7ffffc, v4
	v_mul_f32_e32 v5, 0x2f800000, v4
	v_trunc_f32_e32 v5, v5
	v_mac_f32_e32 v4, 0xcf800000, v5
	v_cvt_u32_f32_e32 v5, v5
	v_cvt_u32_f32_e32 v4, v4
	v_readfirstlane_b32 s36, v5
	v_readfirstlane_b32 s8, v4
	s_mul_i32 s9, s34, s36
	s_mul_hi_u32 s38, s34, s8
	s_mul_i32 s37, s35, s8
	s_add_i32 s9, s38, s9
	s_mul_i32 s39, s34, s8
	s_add_i32 s9, s9, s37
	s_mul_i32 s38, s8, s9
	s_mul_hi_u32 s41, s8, s39
	s_mul_hi_u32 s37, s8, s9
	s_add_u32 s38, s41, s38
	s_addc_u32 s37, 0, s37
	s_mul_hi_u32 s46, s36, s39
	s_mul_i32 s39, s36, s39
	s_add_u32 s38, s38, s39
	s_mul_hi_u32 s41, s36, s9
	s_addc_u32 s37, s37, s46
	s_addc_u32 s38, s41, 0
	s_mul_i32 s9, s36, s9
	s_add_u32 s9, s37, s9
	s_addc_u32 s37, 0, s38
	s_add_u32 s38, s8, s9
	s_cselect_b64 s[8:9], -1, 0
	s_cmp_lg_u64 s[8:9], 0
	s_addc_u32 s36, s36, s37
	s_mul_i32 s8, s34, s36
	s_mul_hi_u32 s9, s34, s38
	s_add_i32 s8, s9, s8
	s_mul_i32 s35, s35, s38
	s_add_i32 s8, s8, s35
	s_mul_i32 s34, s34, s38
	s_mul_hi_u32 s35, s36, s34
	s_mul_i32 s37, s36, s34
	s_mul_i32 s41, s38, s8
	s_mul_hi_u32 s34, s38, s34
	s_mul_hi_u32 s39, s38, s8
	s_add_u32 s34, s34, s41
	s_addc_u32 s39, 0, s39
	s_add_u32 s34, s34, s37
	s_mul_hi_u32 s9, s36, s8
	s_addc_u32 s34, s39, s35
	s_addc_u32 s9, s9, 0
	s_mul_i32 s8, s36, s8
	s_add_u32 s8, s34, s8
	s_addc_u32 s34, 0, s9
	s_add_u32 s37, s38, s8
	s_cselect_b64 s[8:9], -1, 0
	s_cmp_lg_u64 s[8:9], 0
	s_addc_u32 s36, s36, s34
	s_ashr_i32 s34, s73, 31
	s_add_u32 s8, s43, s34
	s_mov_b32 s35, s34
	s_addc_u32 s9, s73, s34
	s_xor_b64 s[8:9], s[8:9], s[34:35]
	s_mul_i32 s39, s8, s36
	s_mul_hi_u32 s41, s8, s37
	s_mul_hi_u32 s38, s8, s36
	s_add_u32 s39, s41, s39
	s_addc_u32 s38, 0, s38
	s_mul_hi_u32 s46, s9, s37
	s_mul_i32 s37, s9, s37
	s_add_u32 s37, s39, s37
	s_mul_hi_u32 s41, s9, s36
	s_addc_u32 s37, s38, s46
	s_addc_u32 s38, s41, 0
	s_mul_i32 s36, s9, s36
	s_add_u32 s36, s37, s36
	s_addc_u32 s37, 0, s38
	s_mul_i32 s37, s28, s37
	s_mul_hi_u32 s38, s28, s36
	s_add_i32 s37, s38, s37
	s_mul_i32 s38, s29, s36
	s_add_i32 s41, s37, s38
	s_sub_i32 s38, s9, s41
	s_mul_i32 s36, s28, s36
	s_sub_u32 s8, s8, s36
	s_cselect_b64 s[36:37], -1, 0
	s_cmp_lg_u64 s[36:37], 0
	s_subb_u32 s46, s38, s29
	s_sub_u32 s47, s8, s28
	s_cselect_b64 s[38:39], -1, 0
	s_cmp_lg_u64 s[38:39], 0
	s_subb_u32 s48, s46, 0
	s_cmp_ge_u32 s48, s29
	s_cselect_b32 s49, -1, 0
	s_cmp_ge_u32 s47, s28
	s_cselect_b32 s50, -1, 0
	s_cmp_eq_u32 s48, s29
	s_cselect_b32 s49, s50, s49
	s_cmp_lg_u64 s[38:39], 0
	s_subb_u32 s46, s46, s29
	s_sub_u32 s50, s47, s28
	s_cselect_b64 s[38:39], -1, 0
	s_cmp_lg_u64 s[38:39], 0
	s_subb_u32 s38, s46, 0
	s_cmp_lg_u32 s49, 0
	s_cselect_b32 s39, s50, s47
	s_cselect_b32 s38, s38, s48
	s_cmp_lg_u64 s[36:37], 0
	s_subb_u32 s9, s9, s41
	s_cmp_ge_u32 s9, s29
	s_cselect_b32 s36, -1, 0
	s_cmp_ge_u32 s8, s28
	s_cselect_b32 s28, -1, 0
	s_cmp_eq_u32 s9, s29
	s_cselect_b32 s28, s28, s36
	s_cmp_lg_u32 s28, 0
	s_cselect_b32 s9, s38, s9
	s_cselect_b32 s8, s39, s8
	s_xor_b64 s[8:9], s[8:9], s[34:35]
	s_sub_u32 s8, s8, s34
	s_subb_u32 s9, s9, s34
	s_cbranch_execnz .LBB6_158
.LBB6_157:                              ;   in Loop: Header=BB6_34 Depth=1
	v_cvt_f32_u32_e32 v4, s23
	s_sub_i32 s8, 0, s23
	v_rcp_iflag_f32_e32 v4, v4
	v_mul_f32_e32 v4, 0x4f7ffffe, v4
	v_cvt_u32_f32_e32 v4, v4
	v_readfirstlane_b32 s9, v4
	s_mul_i32 s8, s8, s9
	s_mul_hi_u32 s8, s9, s8
	s_add_i32 s9, s9, s8
	s_mul_hi_u32 s8, s43, s9
	s_mul_i32 s8, s8, s23
	s_sub_i32 s8, s43, s8
	s_sub_i32 s9, s8, s23
	s_cmp_ge_u32 s8, s23
	s_cselect_b32 s8, s9, s8
	s_sub_i32 s9, s8, s23
	s_cmp_ge_u32 s8, s23
	s_cselect_b32 s64, s9, s8
	s_mov_b64 s[8:9], s[64:65]
.LBB6_158:                              ;   in Loop: Header=BB6_34 Depth=1
	s_sub_u32 s48, s43, s8
	s_subb_u32 s49, s73, s9
	v_cmp_gt_i64_e32 vcc, s[48:49], v[0:1]
	s_mov_b64 s[34:35], 0
	s_mov_b64 s[28:29], 0
                                        ; implicit-def: $vgpr46
	s_and_saveexec_b64 s[46:47], vcc
	s_cbranch_execz .LBB6_169
; %bb.159:                              ;   in Loop: Header=BB6_34 Depth=1
	v_mov_b32_e32 v4, v12
	v_mov_b32_e32 v11, v1
	s_mov_b64 s[8:9], 0
	v_mov_b32_e32 v5, v13
	v_mov_b32_e32 v10, v0
                                        ; implicit-def: $sgpr28_sgpr29
	s_branch .LBB6_162
.LBB6_160:                              ;   in Loop: Header=BB6_162 Depth=2
	s_or_b64 exec, exec, s[36:37]
	s_waitcnt lgkmcnt(0)
	s_barrier
	ds_read_u16 v26, v3 offset:3072
	s_mov_b64 s[36:37], -1
	s_waitcnt lgkmcnt(0)
	s_barrier
	v_cmp_ne_u32_sdwa s[38:39], v26, v3 src0_sel:BYTE_0 src1_sel:DWORD
	s_and_b64 vcc, exec, s[38:39]
	s_mov_b64 s[38:39], -1
	s_cbranch_vccz .LBB6_165
.LBB6_161:                              ;   in Loop: Header=BB6_162 Depth=2
	s_and_b64 s[36:37], exec, s[36:37]
	s_or_b64 s[8:9], s[36:37], s[8:9]
	s_andn2_b64 s[28:29], s[28:29], exec
	s_and_b64 s[36:37], s[38:39], exec
	s_or_b64 s[28:29], s[28:29], s[36:37]
	s_andn2_b64 exec, exec, s[8:9]
	s_cbranch_execz .LBB6_168
.LBB6_162:                              ;   Parent Loop BB6_34 Depth=1
                                        ; =>  This Inner Loop Header: Depth=2
	v_cmp_gt_i64_e32 vcc, s[24:25], v[10:11]
	s_and_saveexec_b64 s[36:37], vcc
	s_cbranch_execz .LBB6_160
; %bb.163:                              ;   in Loop: Header=BB6_162 Depth=2
	global_load_ubyte v26, v[4:5], off
	s_waitcnt vmcnt(0)
	v_and_b32_e32 v27, v26, v45
	v_cmp_eq_u32_sdwa s[38:39], v27, v43 src0_sel:BYTE_0 src1_sel:DWORD
	s_and_b64 exec, exec, s[38:39]
	s_cbranch_execz .LBB6_160
; %bb.164:                              ;   in Loop: Header=BB6_162 Depth=2
	v_lshlrev_b16_e32 v26, 8, v26
	v_or_b32_e32 v26, 1, v26
	ds_write_b16 v3, v26 offset:3072
	s_branch .LBB6_160
.LBB6_165:                              ;   in Loop: Header=BB6_162 Depth=2
	v_add_co_u32_e32 v10, vcc, s23, v10
	v_addc_co_u32_e32 v11, vcc, 0, v11, vcc
	v_mov_b32_e32 v27, s33
	v_add_co_u32_e32 v4, vcc, s42, v4
	v_addc_co_u32_e32 v5, vcc, v5, v27, vcc
	v_cmp_le_i64_e32 vcc, s[48:49], v[10:11]
	s_mov_b64 s[38:39], 0
	s_orn2_b64 s[36:37], vcc, exec
	s_branch .LBB6_161
.LBB6_166:                              ;   in Loop: Header=BB6_34 Depth=1
                                        ; implicit-def: $sgpr8_sgpr9
	s_branch .LBB6_114
.LBB6_167:                              ;   in Loop: Header=BB6_34 Depth=1
                                        ; implicit-def: $sgpr8_sgpr9
	s_branch .LBB6_128
.LBB6_168:                              ;   in Loop: Header=BB6_34 Depth=1
	s_or_b64 exec, exec, s[8:9]
	v_lshrrev_b32_sdwa v46, v44, v26 dst_sel:DWORD dst_unused:UNUSED_PAD src0_sel:DWORD src1_sel:WORD_0
	s_and_b64 s[28:29], s[28:29], exec
.LBB6_169:                              ;   in Loop: Header=BB6_34 Depth=1
	s_or_b64 exec, exec, s[46:47]
.LBB6_170:                              ;   in Loop: Header=BB6_34 Depth=1
	s_and_b64 vcc, exec, s[34:35]
	s_cbranch_vccz .LBB6_184
; %bb.171:                              ;   in Loop: Header=BB6_34 Depth=1
	v_readlane_b32 s8, v57, 40
	s_add_u32 s36, s44, s8
	v_readlane_b32 s8, v57, 41
	s_addc_u32 s15, s45, s8
	s_mov_b32 s14, s65
	s_cmp_lg_u64 s[14:15], 0
	s_cbranch_scc0 .LBB6_213
; %bb.172:                              ;   in Loop: Header=BB6_34 Depth=1
	s_add_u32 s8, s23, 0
	s_addc_u32 s9, 0, 0
	s_xor_b64 s[34:35], s[8:9], 0
	v_cvt_f32_u32_e32 v4, s34
	v_cvt_f32_u32_e32 v5, s35
	s_sub_u32 s14, 0, s34
	s_subb_u32 s37, 0, s35
	v_mac_f32_e32 v4, 0x4f800000, v5
	v_rcp_f32_e32 v4, v4
	v_mul_f32_e32 v4, 0x5f7ffffc, v4
	v_mul_f32_e32 v5, 0x2f800000, v4
	v_trunc_f32_e32 v5, v5
	v_mac_f32_e32 v4, 0xcf800000, v5
	v_cvt_u32_f32_e32 v5, v5
	v_cvt_u32_f32_e32 v4, v4
	v_readfirstlane_b32 s38, v5
	v_readfirstlane_b32 s8, v4
	s_mul_i32 s9, s14, s38
	s_mul_hi_u32 s41, s14, s8
	s_mul_i32 s39, s37, s8
	s_add_i32 s9, s41, s9
	s_mul_i32 s46, s14, s8
	s_add_i32 s9, s9, s39
	s_mul_i32 s41, s8, s9
	s_mul_hi_u32 s47, s8, s46
	s_mul_hi_u32 s39, s8, s9
	s_add_u32 s41, s47, s41
	s_addc_u32 s39, 0, s39
	s_mul_hi_u32 s48, s38, s46
	s_mul_i32 s46, s38, s46
	s_add_u32 s41, s41, s46
	s_mul_hi_u32 s47, s38, s9
	s_addc_u32 s39, s39, s48
	s_addc_u32 s41, s47, 0
	s_mul_i32 s9, s38, s9
	s_add_u32 s9, s39, s9
	s_addc_u32 s39, 0, s41
	s_add_u32 s41, s8, s9
	s_cselect_b64 s[8:9], -1, 0
	s_cmp_lg_u64 s[8:9], 0
	s_addc_u32 s38, s38, s39
	s_mul_i32 s8, s14, s38
	s_mul_hi_u32 s9, s14, s41
	s_add_i32 s8, s9, s8
	s_mul_i32 s37, s37, s41
	s_add_i32 s8, s8, s37
	s_mul_i32 s14, s14, s41
	s_mul_hi_u32 s37, s38, s14
	s_mul_i32 s39, s38, s14
	s_mul_i32 s47, s41, s8
	s_mul_hi_u32 s14, s41, s14
	s_mul_hi_u32 s46, s41, s8
	s_add_u32 s14, s14, s47
	s_addc_u32 s46, 0, s46
	s_add_u32 s14, s14, s39
	s_mul_hi_u32 s9, s38, s8
	s_addc_u32 s14, s46, s37
	s_addc_u32 s9, s9, 0
	s_mul_i32 s8, s38, s8
	s_add_u32 s8, s14, s8
	s_addc_u32 s14, 0, s9
	s_add_u32 s37, s41, s8
	s_cselect_b64 s[8:9], -1, 0
	s_cmp_lg_u64 s[8:9], 0
	s_addc_u32 s14, s38, s14
	s_ashr_i32 s38, s15, 31
	s_add_u32 s8, s36, s38
	s_mov_b32 s39, s38
	s_addc_u32 s9, s15, s38
	s_xor_b64 s[8:9], s[8:9], s[38:39]
	s_mul_i32 s46, s8, s14
	s_mul_hi_u32 s47, s8, s37
	s_mul_hi_u32 s41, s8, s14
	s_add_u32 s46, s47, s46
	s_addc_u32 s41, 0, s41
	s_mul_hi_u32 s48, s9, s37
	s_mul_i32 s37, s9, s37
	s_add_u32 s37, s46, s37
	s_mul_hi_u32 s47, s9, s14
	s_addc_u32 s37, s41, s48
	s_addc_u32 s41, s47, 0
	s_mul_i32 s14, s9, s14
	s_add_u32 s14, s37, s14
	s_addc_u32 s37, 0, s41
	s_mul_i32 s37, s34, s37
	s_mul_hi_u32 s41, s34, s14
	s_add_i32 s37, s41, s37
	s_mul_i32 s41, s35, s14
	s_add_i32 s37, s37, s41
	s_sub_i32 s41, s9, s37
	s_mul_i32 s14, s34, s14
	s_sub_u32 s8, s8, s14
	s_cselect_b64 s[46:47], -1, 0
	s_cmp_lg_u64 s[46:47], 0
	s_subb_u32 s14, s41, s35
	s_sub_u32 s41, s8, s34
	s_cselect_b64 s[48:49], -1, 0
	s_cmp_lg_u64 s[48:49], 0
	s_subb_u32 s50, s14, 0
	s_cmp_ge_u32 s50, s35
	s_cselect_b32 s51, -1, 0
	s_cmp_ge_u32 s41, s34
	s_cselect_b32 s52, -1, 0
	s_cmp_eq_u32 s50, s35
	s_cselect_b32 s51, s52, s51
	s_cmp_lg_u64 s[48:49], 0
	s_subb_u32 s14, s14, s35
	s_sub_u32 s52, s41, s34
	s_cselect_b64 s[48:49], -1, 0
	s_cmp_lg_u64 s[48:49], 0
	s_subb_u32 s14, s14, 0
	s_cmp_lg_u32 s51, 0
	s_cselect_b32 s41, s52, s41
	s_cselect_b32 s14, s14, s50
	s_cmp_lg_u64 s[46:47], 0
	s_subb_u32 s9, s9, s37
	s_cmp_ge_u32 s9, s35
	s_cselect_b32 s37, -1, 0
	s_cmp_ge_u32 s8, s34
	s_cselect_b32 s34, -1, 0
	s_cmp_eq_u32 s9, s35
	s_cselect_b32 s34, s34, s37
	s_cmp_lg_u32 s34, 0
	s_cselect_b32 s9, s14, s9
	s_cselect_b32 s8, s41, s8
	s_xor_b64 s[8:9], s[8:9], s[38:39]
	s_sub_u32 s8, s8, s38
	s_subb_u32 s9, s9, s38
	s_cbranch_execnz .LBB6_174
.LBB6_173:                              ;   in Loop: Header=BB6_34 Depth=1
	v_cvt_f32_u32_e32 v4, s23
	s_sub_i32 s8, 0, s23
	v_rcp_iflag_f32_e32 v4, v4
	v_mul_f32_e32 v4, 0x4f7ffffe, v4
	v_cvt_u32_f32_e32 v4, v4
	v_readfirstlane_b32 s9, v4
	s_mul_i32 s8, s8, s9
	s_mul_hi_u32 s8, s9, s8
	s_add_i32 s9, s9, s8
	s_mul_hi_u32 s8, s36, s9
	s_mul_i32 s8, s8, s23
	s_sub_i32 s8, s36, s8
	s_sub_i32 s9, s8, s23
	s_cmp_ge_u32 s8, s23
	s_cselect_b32 s8, s9, s8
	s_sub_i32 s9, s8, s23
	s_cmp_ge_u32 s8, s23
	s_cselect_b32 s64, s9, s8
	s_mov_b64 s[8:9], s[64:65]
.LBB6_174:                              ;   in Loop: Header=BB6_34 Depth=1
	s_sub_u32 s14, s36, s8
	s_subb_u32 s15, s15, s9
	v_cmp_gt_i64_e32 vcc, s[14:15], v[0:1]
                                        ; implicit-def: $vgpr46
	s_and_saveexec_b64 s[8:9], vcc
	s_cbranch_execz .LBB6_183
; %bb.175:                              ;   in Loop: Header=BB6_34 Depth=1
	v_mov_b32_e32 v5, v1
	s_mov_b64 s[34:35], 0
	v_mov_b32_e32 v10, v0
	v_mov_b32_e32 v4, v0
                                        ; implicit-def: $sgpr36_sgpr37
	s_branch .LBB6_178
.LBB6_176:                              ;   in Loop: Header=BB6_178 Depth=2
	s_or_b64 exec, exec, s[38:39]
	s_waitcnt lgkmcnt(0)
	s_barrier
	ds_read_u16 v11, v3 offset:3072
	s_mov_b64 s[38:39], -1
	s_waitcnt lgkmcnt(0)
	s_barrier
	v_cmp_eq_u32_sdwa s[46:47], v11, v3 src0_sel:BYTE_0 src1_sel:DWORD
	s_and_b64 vcc, exec, s[46:47]
	s_mov_b64 s[46:47], -1
	s_cbranch_vccnz .LBB6_181
.LBB6_177:                              ;   in Loop: Header=BB6_178 Depth=2
	s_and_b64 s[38:39], exec, s[38:39]
	s_or_b64 s[34:35], s[38:39], s[34:35]
	s_andn2_b64 s[36:37], s[36:37], exec
	s_and_b64 s[38:39], s[46:47], exec
	s_or_b64 s[36:37], s[36:37], s[38:39]
	s_andn2_b64 exec, exec, s[34:35]
	s_cbranch_execz .LBB6_182
.LBB6_178:                              ;   Parent Loop BB6_34 Depth=1
                                        ; =>  This Inner Loop Header: Depth=2
	v_cmp_gt_u64_e32 vcc, s[44:45], v[4:5]
	s_and_saveexec_b64 s[38:39], vcc
	s_cbranch_execz .LBB6_176
; %bb.179:                              ;   in Loop: Header=BB6_178 Depth=2
	ds_read_u8 v11, v10
	s_waitcnt lgkmcnt(0)
	v_and_b32_e32 v26, v11, v45
	v_cmp_eq_u32_sdwa s[46:47], v26, v43 src0_sel:BYTE_0 src1_sel:DWORD
	s_and_b64 exec, exec, s[46:47]
	s_cbranch_execz .LBB6_176
; %bb.180:                              ;   in Loop: Header=BB6_178 Depth=2
	v_lshlrev_b16_e32 v11, 8, v11
	v_or_b32_e32 v11, 1, v11
	ds_write_b16 v3, v11 offset:3072
	s_branch .LBB6_176
.LBB6_181:                              ;   in Loop: Header=BB6_178 Depth=2
	v_add_co_u32_e32 v4, vcc, s23, v4
	v_addc_co_u32_e32 v5, vcc, 0, v5, vcc
	v_cmp_le_i64_e32 vcc, s[14:15], v[4:5]
	v_add_u32_e32 v10, s23, v10
	s_mov_b64 s[46:47], 0
	s_orn2_b64 s[38:39], vcc, exec
	s_branch .LBB6_177
.LBB6_182:                              ;   in Loop: Header=BB6_34 Depth=1
	s_or_b64 exec, exec, s[34:35]
	s_andn2_b64 s[14:15], s[28:29], exec
	s_and_b64 s[28:29], s[36:37], exec
	v_lshrrev_b32_sdwa v46, v44, v11 dst_sel:DWORD dst_unused:UNUSED_PAD src0_sel:DWORD src1_sel:WORD_0
	s_or_b64 s[28:29], s[14:15], s[28:29]
.LBB6_183:                              ;   in Loop: Header=BB6_34 Depth=1
	s_or_b64 exec, exec, s[8:9]
	s_mov_b64 s[14:15], 0
	s_mov_b64 s[56:57], -1
.LBB6_184:                              ;   in Loop: Header=BB6_34 Depth=1
	s_orn2_b64 s[8:9], s[28:29], exec
.LBB6_185:                              ;   in Loop: Header=BB6_34 Depth=1
	s_or_b64 exec, exec, s[6:7]
	s_mov_b64 s[6:7], 0
	s_and_saveexec_b64 s[62:63], s[8:9]
	s_cbranch_execz .LBB6_291
; %bb.186:                              ;   in Loop: Header=BB6_34 Depth=1
	v_mov_b32_e32 v4, 1
	s_xor_b64 s[8:9], s[4:5], -1
	v_mov_b32_e32 v2, 1
	v_mov_b32_e32 v5, 0
	s_and_saveexec_b64 s[4:5], s[8:9]
	s_cbranch_execz .LBB6_196
; %bb.187:                              ;   in Loop: Header=BB6_34 Depth=1
	v_cmp_le_i64_e32 vcc, v[8:9], v[6:7]
	s_and_saveexec_b64 s[6:7], vcc
	s_xor_b64 s[6:7], exec, s[6:7]
	s_cbranch_execz .LBB6_193
; %bb.188:                              ;   in Loop: Header=BB6_34 Depth=1
	ds_read_b64 v[4:5], v3 offset:5120
	v_and_b32_e32 v2, s40, v43
	v_lshl_or_b32 v43, 1, s12, v2
	v_or_b32_e32 v45, s79, v45
	s_waitcnt lgkmcnt(0)
	v_cmp_ne_u64_e32 vcc, 0, v[4:5]
	s_cbranch_vccnz .LBB6_192
; %bb.189:                              ;   in Loop: Header=BB6_34 Depth=1
	s_mov_b64 s[8:9], exec
	v_readlane_b32 s28, v57, 32
	v_readlane_b32 s29, v57, 33
	s_and_b64 s[28:29], s[8:9], s[28:29]
	s_mov_b64 exec, s[28:29]
; %bb.190:                              ;   in Loop: Header=BB6_34 Depth=1
	ds_write_b64 v3, v[6:7] offset:5128
; %bb.191:                              ;   in Loop: Header=BB6_34 Depth=1
	s_or_b64 exec, exec, s[8:9]
	s_waitcnt lgkmcnt(0)
	s_barrier
.LBB6_192:                              ;   in Loop: Header=BB6_34 Depth=1
                                        ; implicit-def: $vgpr4_vgpr5_vgpr6_vgpr7
.LBB6_193:                              ;   in Loop: Header=BB6_34 Depth=1
	s_or_saveexec_b64 s[6:7], s[6:7]
	s_mov_b64 s[8:9], 0
	v_mov_b32_e32 v2, 8
	s_xor_b64 exec, exec, s[6:7]
; %bb.194:                              ;   in Loop: Header=BB6_34 Depth=1
	v_sub_co_u32_e32 v8, vcc, v8, v6
	v_subb_co_u32_e32 v9, vcc, v9, v7, vcc
	v_mov_b32_e32 v2, 0
	s_mov_b64 s[8:9], exec
; %bb.195:                              ;   in Loop: Header=BB6_34 Depth=1
	s_or_b64 exec, exec, s[6:7]
	v_mov_b32_e32 v4, v8
	s_and_b64 s[6:7], s[8:9], exec
	v_mov_b32_e32 v5, v9
.LBB6_196:                              ;   in Loop: Header=BB6_34 Depth=1
	s_or_b64 exec, exec, s[4:5]
	s_mov_b64 s[4:5], -1
                                        ; implicit-def: $sgpr46_sgpr47
                                        ; implicit-def: $sgpr48_sgpr49
	s_and_saveexec_b64 s[44:45], s[6:7]
	s_cbranch_execz .LBB6_290
; %bb.197:                              ;   in Loop: Header=BB6_34 Depth=1
	s_cmp_eq_u64 s[60:61], 1
	v_cmp_eq_u64_e32 vcc, 1, v[4:5]
	s_cselect_b64 s[4:5], -1, 0
	s_and_b64 s[6:7], s[4:5], vcc
	s_mov_b64 s[8:9], -1
                                        ; implicit-def: $sgpr48_sgpr49
                                        ; implicit-def: $sgpr46_sgpr47
	s_and_saveexec_b64 s[4:5], s[6:7]
	s_cbranch_execz .LBB6_231
; %bb.198:                              ;   in Loop: Header=BB6_34 Depth=1
	ds_read_b64 v[6:7], v3 offset:5120
	s_waitcnt lgkmcnt(0)
	s_barrier
	v_readfirstlane_b32 s50, v6
	v_readfirstlane_b32 s51, v7
	s_mov_b64 s[8:9], exec
	v_readlane_b32 s28, v57, 53
	v_readlane_b32 s29, v57, 54
	s_and_b64 s[28:29], s[8:9], s[28:29]
	s_mov_b64 exec, s[28:29]
; %bb.199:                              ;   in Loop: Header=BB6_34 Depth=1
	ds_write_b8 v0, v3 offset:3072
; %bb.200:                              ;   in Loop: Header=BB6_34 Depth=1
	s_or_b64 exec, exec, s[8:9]
	v_cmp_gt_i64_e64 s[8:9], s[50:51], 0
	v_and_b32_e32 v6, s40, v43
	v_lshl_or_b32 v43, 2, s12, v6
	v_or_b32_e32 v45, s79, v45
	s_mov_b64 s[46:47], -1
	s_mov_b64 s[48:49], 0
	s_and_b64 vcc, exec, s[8:9]
	s_mov_b64 s[28:29], 0
	s_mov_b64 s[34:35], -1
	s_waitcnt lgkmcnt(0)
	s_barrier
                                        ; implicit-def: $vgpr46
	s_cbranch_vccnz .LBB6_216
; %bb.201:                              ;   in Loop: Header=BB6_34 Depth=1
	s_mov_b32 s72, s65
	s_cmp_lg_u64 s[72:73], 0
	s_cbranch_scc0 .LBB6_257
; %bb.202:                              ;   in Loop: Header=BB6_34 Depth=1
	s_add_u32 s8, s23, 0
	s_addc_u32 s9, 0, 0
	s_xor_b64 s[28:29], s[8:9], 0
	v_cvt_f32_u32_e32 v6, s28
	v_cvt_f32_u32_e32 v7, s29
	s_sub_u32 s34, 0, s28
	s_subb_u32 s35, 0, s29
	v_mac_f32_e32 v6, 0x4f800000, v7
	v_rcp_f32_e32 v6, v6
	v_mul_f32_e32 v6, 0x5f7ffffc, v6
	v_mul_f32_e32 v7, 0x2f800000, v6
	v_trunc_f32_e32 v7, v7
	v_mac_f32_e32 v6, 0xcf800000, v7
	v_cvt_u32_f32_e32 v7, v7
	v_cvt_u32_f32_e32 v6, v6
	v_readfirstlane_b32 s36, v7
	v_readfirstlane_b32 s8, v6
	s_mul_i32 s9, s34, s36
	s_mul_hi_u32 s38, s34, s8
	s_mul_i32 s37, s35, s8
	s_add_i32 s9, s38, s9
	s_mul_i32 s39, s34, s8
	s_add_i32 s9, s9, s37
	s_mul_i32 s38, s8, s9
	s_mul_hi_u32 s41, s8, s39
	s_mul_hi_u32 s37, s8, s9
	s_add_u32 s38, s41, s38
	s_addc_u32 s37, 0, s37
	s_mul_hi_u32 s52, s36, s39
	s_mul_i32 s39, s36, s39
	s_add_u32 s38, s38, s39
	s_mul_hi_u32 s41, s36, s9
	s_addc_u32 s37, s37, s52
	s_addc_u32 s38, s41, 0
	s_mul_i32 s9, s36, s9
	s_add_u32 s9, s37, s9
	s_addc_u32 s37, 0, s38
	s_add_u32 s38, s8, s9
	s_cselect_b64 s[8:9], -1, 0
	s_cmp_lg_u64 s[8:9], 0
	s_addc_u32 s36, s36, s37
	s_mul_i32 s8, s34, s36
	s_mul_hi_u32 s9, s34, s38
	s_add_i32 s8, s9, s8
	s_mul_i32 s35, s35, s38
	s_add_i32 s8, s8, s35
	s_mul_i32 s34, s34, s38
	s_mul_hi_u32 s35, s36, s34
	s_mul_i32 s37, s36, s34
	s_mul_i32 s41, s38, s8
	s_mul_hi_u32 s34, s38, s34
	s_mul_hi_u32 s39, s38, s8
	s_add_u32 s34, s34, s41
	s_addc_u32 s39, 0, s39
	s_add_u32 s34, s34, s37
	s_mul_hi_u32 s9, s36, s8
	s_addc_u32 s34, s39, s35
	s_addc_u32 s9, s9, 0
	s_mul_i32 s8, s36, s8
	s_add_u32 s8, s34, s8
	s_addc_u32 s34, 0, s9
	s_add_u32 s37, s38, s8
	s_cselect_b64 s[8:9], -1, 0
	s_cmp_lg_u64 s[8:9], 0
	s_addc_u32 s36, s36, s34
	s_ashr_i32 s34, s73, 31
	s_add_u32 s8, s43, s34
	s_mov_b32 s35, s34
	s_addc_u32 s9, s73, s34
	s_xor_b64 s[8:9], s[8:9], s[34:35]
	s_mul_i32 s39, s8, s36
	s_mul_hi_u32 s41, s8, s37
	s_mul_hi_u32 s38, s8, s36
	s_add_u32 s39, s41, s39
	s_addc_u32 s38, 0, s38
	s_mul_hi_u32 s52, s9, s37
	s_mul_i32 s37, s9, s37
	s_add_u32 s37, s39, s37
	s_mul_hi_u32 s41, s9, s36
	s_addc_u32 s37, s38, s52
	s_addc_u32 s38, s41, 0
	s_mul_i32 s36, s9, s36
	s_add_u32 s36, s37, s36
	s_addc_u32 s37, 0, s38
	s_mul_i32 s37, s28, s37
	s_mul_hi_u32 s38, s28, s36
	s_add_i32 s37, s38, s37
	s_mul_i32 s38, s29, s36
	s_add_i32 s41, s37, s38
	s_sub_i32 s38, s9, s41
	s_mul_i32 s36, s28, s36
	s_sub_u32 s8, s8, s36
	s_cselect_b64 s[36:37], -1, 0
	s_cmp_lg_u64 s[36:37], 0
	s_subb_u32 s52, s38, s29
	s_sub_u32 s53, s8, s28
	s_cselect_b64 s[38:39], -1, 0
	s_cmp_lg_u64 s[38:39], 0
	s_subb_u32 s54, s52, 0
	s_cmp_ge_u32 s54, s29
	s_cselect_b32 s55, -1, 0
	s_cmp_ge_u32 s53, s28
	s_cselect_b32 s64, -1, 0
	s_cmp_eq_u32 s54, s29
	s_cselect_b32 s55, s64, s55
	s_cmp_lg_u64 s[38:39], 0
	s_subb_u32 s52, s52, s29
	s_sub_u32 s64, s53, s28
	s_cselect_b64 s[38:39], -1, 0
	s_cmp_lg_u64 s[38:39], 0
	s_subb_u32 s38, s52, 0
	s_cmp_lg_u32 s55, 0
	s_cselect_b32 s39, s64, s53
	s_cselect_b32 s38, s38, s54
	s_cmp_lg_u64 s[36:37], 0
	s_subb_u32 s9, s9, s41
	s_cmp_ge_u32 s9, s29
	s_cselect_b32 s36, -1, 0
	s_cmp_ge_u32 s8, s28
	s_cselect_b32 s28, -1, 0
	s_cmp_eq_u32 s9, s29
	s_cselect_b32 s28, s28, s36
	s_cmp_lg_u32 s28, 0
	s_cselect_b32 s9, s38, s9
	s_cselect_b32 s8, s39, s8
	s_xor_b64 s[8:9], s[8:9], s[34:35]
	s_sub_u32 s8, s8, s34
	s_subb_u32 s9, s9, s34
	s_cbranch_execnz .LBB6_204
.LBB6_203:                              ;   in Loop: Header=BB6_34 Depth=1
	v_cvt_f32_u32_e32 v6, s23
	s_sub_i32 s8, 0, s23
	v_rcp_iflag_f32_e32 v6, v6
	v_mul_f32_e32 v6, 0x4f7ffffe, v6
	v_cvt_u32_f32_e32 v6, v6
	v_readfirstlane_b32 s9, v6
	s_mul_i32 s8, s8, s9
	s_mul_hi_u32 s8, s9, s8
	s_add_i32 s9, s9, s8
	s_mul_hi_u32 s8, s43, s9
	s_mul_i32 s8, s8, s23
	s_sub_i32 s8, s43, s8
	s_sub_i32 s9, s8, s23
	s_cmp_ge_u32 s8, s23
	s_cselect_b32 s8, s9, s8
	s_sub_i32 s9, s8, s23
	s_cmp_ge_u32 s8, s23
	s_cselect_b32 s64, s9, s8
	s_mov_b64 s[8:9], s[64:65]
.LBB6_204:                              ;   in Loop: Header=BB6_34 Depth=1
	s_sub_u32 s54, s43, s8
	s_subb_u32 s55, s73, s9
	v_cmp_gt_i64_e32 vcc, s[54:55], v[0:1]
	s_mov_b64 s[34:35], 0
	s_mov_b64 s[28:29], 0
                                        ; implicit-def: $vgpr46
	s_and_saveexec_b64 s[52:53], vcc
	s_cbranch_execz .LBB6_215
; %bb.205:                              ;   in Loop: Header=BB6_34 Depth=1
	v_mov_b32_e32 v6, v12
	v_mov_b32_e32 v9, v1
	s_mov_b64 s[8:9], 0
	v_mov_b32_e32 v7, v13
	v_mov_b32_e32 v8, v0
                                        ; implicit-def: $sgpr28_sgpr29
	s_branch .LBB6_208
.LBB6_206:                              ;   in Loop: Header=BB6_208 Depth=2
	s_or_b64 exec, exec, s[36:37]
	s_waitcnt lgkmcnt(0)
	s_barrier
	ds_read_u16 v10, v3 offset:3072
	s_mov_b64 s[36:37], -1
	s_waitcnt lgkmcnt(0)
	s_barrier
	v_cmp_ne_u32_sdwa s[38:39], v10, v3 src0_sel:BYTE_0 src1_sel:DWORD
	s_and_b64 vcc, exec, s[38:39]
	s_mov_b64 s[38:39], -1
	s_cbranch_vccz .LBB6_211
.LBB6_207:                              ;   in Loop: Header=BB6_208 Depth=2
	s_and_b64 s[36:37], exec, s[36:37]
	s_or_b64 s[8:9], s[36:37], s[8:9]
	s_andn2_b64 s[28:29], s[28:29], exec
	s_and_b64 s[36:37], s[38:39], exec
	s_or_b64 s[28:29], s[28:29], s[36:37]
	s_andn2_b64 exec, exec, s[8:9]
	s_cbranch_execz .LBB6_214
.LBB6_208:                              ;   Parent Loop BB6_34 Depth=1
                                        ; =>  This Inner Loop Header: Depth=2
	v_cmp_gt_i64_e32 vcc, s[24:25], v[8:9]
	s_and_saveexec_b64 s[36:37], vcc
	s_cbranch_execz .LBB6_206
; %bb.209:                              ;   in Loop: Header=BB6_208 Depth=2
	global_load_ubyte v10, v[6:7], off
	s_waitcnt vmcnt(0)
	v_and_b32_e32 v11, v10, v45
	v_cmp_eq_u32_sdwa s[38:39], v11, v43 src0_sel:BYTE_0 src1_sel:DWORD
	s_and_b64 exec, exec, s[38:39]
	s_cbranch_execz .LBB6_206
; %bb.210:                              ;   in Loop: Header=BB6_208 Depth=2
	v_lshlrev_b16_e32 v10, 8, v10
	v_or_b32_e32 v10, 1, v10
	ds_write_b16 v3, v10 offset:3072
	s_branch .LBB6_206
.LBB6_211:                              ;   in Loop: Header=BB6_208 Depth=2
	v_add_co_u32_e32 v8, vcc, s23, v8
	v_addc_co_u32_e32 v9, vcc, 0, v9, vcc
	v_mov_b32_e32 v11, s33
	v_add_co_u32_e32 v6, vcc, s42, v6
	v_addc_co_u32_e32 v7, vcc, v7, v11, vcc
	v_cmp_le_i64_e32 vcc, s[54:55], v[8:9]
	s_mov_b64 s[38:39], 0
	s_orn2_b64 s[36:37], vcc, exec
	s_branch .LBB6_207
.LBB6_212:                              ;   in Loop: Header=BB6_34 Depth=1
                                        ; implicit-def: $sgpr8_sgpr9
	s_branch .LBB6_157
.LBB6_213:                              ;   in Loop: Header=BB6_34 Depth=1
                                        ; implicit-def: $sgpr8_sgpr9
	s_branch .LBB6_173
.LBB6_214:                              ;   in Loop: Header=BB6_34 Depth=1
	s_or_b64 exec, exec, s[8:9]
	v_lshrrev_b32_sdwa v46, v44, v10 dst_sel:DWORD dst_unused:UNUSED_PAD src0_sel:DWORD src1_sel:WORD_0
	s_and_b64 s[28:29], s[28:29], exec
.LBB6_215:                              ;   in Loop: Header=BB6_34 Depth=1
	s_or_b64 exec, exec, s[52:53]
.LBB6_216:                              ;   in Loop: Header=BB6_34 Depth=1
	s_and_b64 vcc, exec, s[34:35]
	s_cbranch_vccz .LBB6_230
; %bb.217:                              ;   in Loop: Header=BB6_34 Depth=1
	v_readlane_b32 s8, v57, 40
	s_add_u32 s38, s50, s8
	v_readlane_b32 s8, v57, 41
	s_addc_u32 s35, s51, s8
	s_mov_b32 s34, s65
	s_cmp_lg_u64 s[34:35], 0
	s_cbranch_scc0 .LBB6_258
; %bb.218:                              ;   in Loop: Header=BB6_34 Depth=1
	s_add_u32 s8, s23, 0
	s_addc_u32 s9, 0, 0
	s_xor_b64 s[46:47], s[8:9], 0
	v_cvt_f32_u32_e32 v6, s46
	v_cvt_f32_u32_e32 v7, s47
	s_sub_u32 s34, 0, s46
	s_subb_u32 s36, 0, s47
	v_mac_f32_e32 v6, 0x4f800000, v7
	v_rcp_f32_e32 v6, v6
	v_mul_f32_e32 v6, 0x5f7ffffc, v6
	v_mul_f32_e32 v7, 0x2f800000, v6
	v_trunc_f32_e32 v7, v7
	v_mac_f32_e32 v6, 0xcf800000, v7
	v_cvt_u32_f32_e32 v7, v7
	v_cvt_u32_f32_e32 v6, v6
	v_readfirstlane_b32 s37, v7
	v_readfirstlane_b32 s8, v6
	s_mul_i32 s9, s34, s37
	s_mul_hi_u32 s41, s34, s8
	s_mul_i32 s39, s36, s8
	s_add_i32 s9, s41, s9
	s_mul_i32 s48, s34, s8
	s_add_i32 s9, s9, s39
	s_mul_i32 s41, s8, s9
	s_mul_hi_u32 s49, s8, s48
	s_mul_hi_u32 s39, s8, s9
	s_add_u32 s41, s49, s41
	s_addc_u32 s39, 0, s39
	s_mul_hi_u32 s52, s37, s48
	s_mul_i32 s48, s37, s48
	s_add_u32 s41, s41, s48
	s_mul_hi_u32 s49, s37, s9
	s_addc_u32 s39, s39, s52
	s_addc_u32 s41, s49, 0
	s_mul_i32 s9, s37, s9
	s_add_u32 s9, s39, s9
	s_addc_u32 s39, 0, s41
	s_add_u32 s41, s8, s9
	s_cselect_b64 s[8:9], -1, 0
	s_cmp_lg_u64 s[8:9], 0
	s_addc_u32 s37, s37, s39
	s_mul_i32 s8, s34, s37
	s_mul_hi_u32 s9, s34, s41
	s_add_i32 s8, s9, s8
	s_mul_i32 s36, s36, s41
	s_add_i32 s8, s8, s36
	s_mul_i32 s34, s34, s41
	s_mul_hi_u32 s36, s37, s34
	s_mul_i32 s39, s37, s34
	s_mul_i32 s49, s41, s8
	s_mul_hi_u32 s34, s41, s34
	s_mul_hi_u32 s48, s41, s8
	s_add_u32 s34, s34, s49
	s_addc_u32 s48, 0, s48
	s_add_u32 s34, s34, s39
	s_mul_hi_u32 s9, s37, s8
	s_addc_u32 s34, s48, s36
	s_addc_u32 s9, s9, 0
	s_mul_i32 s8, s37, s8
	s_add_u32 s8, s34, s8
	s_addc_u32 s34, 0, s9
	s_add_u32 s39, s41, s8
	s_cselect_b64 s[8:9], -1, 0
	s_cmp_lg_u64 s[8:9], 0
	s_addc_u32 s34, s37, s34
	s_ashr_i32 s36, s35, 31
	s_add_u32 s8, s38, s36
	s_mov_b32 s37, s36
	s_addc_u32 s9, s35, s36
	s_xor_b64 s[8:9], s[8:9], s[36:37]
	s_mul_i32 s48, s8, s34
	s_mul_hi_u32 s49, s8, s39
	s_mul_hi_u32 s41, s8, s34
	s_add_u32 s48, s49, s48
	s_addc_u32 s41, 0, s41
	s_mul_hi_u32 s52, s9, s39
	s_mul_i32 s39, s9, s39
	s_add_u32 s39, s48, s39
	s_mul_hi_u32 s49, s9, s34
	s_addc_u32 s39, s41, s52
	s_addc_u32 s41, s49, 0
	s_mul_i32 s34, s9, s34
	s_add_u32 s34, s39, s34
	s_addc_u32 s39, 0, s41
	s_mul_i32 s39, s46, s39
	s_mul_hi_u32 s41, s46, s34
	s_add_i32 s39, s41, s39
	s_mul_i32 s41, s47, s34
	s_add_i32 s39, s39, s41
	s_sub_i32 s41, s9, s39
	s_mul_i32 s34, s46, s34
	s_sub_u32 s8, s8, s34
	s_cselect_b64 s[48:49], -1, 0
	s_cmp_lg_u64 s[48:49], 0
	s_subb_u32 s34, s41, s47
	s_sub_u32 s41, s8, s46
	s_cselect_b64 s[52:53], -1, 0
	s_cmp_lg_u64 s[52:53], 0
	s_subb_u32 s54, s34, 0
	s_cmp_ge_u32 s54, s47
	s_cselect_b32 s55, -1, 0
	s_cmp_ge_u32 s41, s46
	s_cselect_b32 s64, -1, 0
	s_cmp_eq_u32 s54, s47
	s_cselect_b32 s55, s64, s55
	s_cmp_lg_u64 s[52:53], 0
	s_subb_u32 s34, s34, s47
	s_sub_u32 s64, s41, s46
	s_cselect_b64 s[52:53], -1, 0
	s_cmp_lg_u64 s[52:53], 0
	s_subb_u32 s34, s34, 0
	s_cmp_lg_u32 s55, 0
	s_cselect_b32 s41, s64, s41
	s_cselect_b32 s34, s34, s54
	s_cmp_lg_u64 s[48:49], 0
	s_subb_u32 s9, s9, s39
	s_cmp_ge_u32 s9, s47
	s_cselect_b32 s39, -1, 0
	s_cmp_ge_u32 s8, s46
	s_cselect_b32 s46, -1, 0
	s_cmp_eq_u32 s9, s47
	s_cselect_b32 s39, s46, s39
	s_cmp_lg_u32 s39, 0
	s_cselect_b32 s9, s34, s9
	s_cselect_b32 s8, s41, s8
	s_xor_b64 s[8:9], s[8:9], s[36:37]
	s_sub_u32 s8, s8, s36
	s_subb_u32 s9, s9, s36
	s_cbranch_execnz .LBB6_220
.LBB6_219:                              ;   in Loop: Header=BB6_34 Depth=1
	v_cvt_f32_u32_e32 v6, s23
	s_sub_i32 s8, 0, s23
	v_rcp_iflag_f32_e32 v6, v6
	v_mul_f32_e32 v6, 0x4f7ffffe, v6
	v_cvt_u32_f32_e32 v6, v6
	v_readfirstlane_b32 s9, v6
	s_mul_i32 s8, s8, s9
	s_mul_hi_u32 s8, s9, s8
	s_add_i32 s9, s9, s8
	s_mul_hi_u32 s8, s38, s9
	s_mul_i32 s8, s8, s23
	s_sub_i32 s8, s38, s8
	s_sub_i32 s9, s8, s23
	s_cmp_ge_u32 s8, s23
	s_cselect_b32 s8, s9, s8
	s_sub_i32 s9, s8, s23
	s_cmp_ge_u32 s8, s23
	s_cselect_b32 s64, s9, s8
	s_mov_b64 s[8:9], s[64:65]
.LBB6_220:                              ;   in Loop: Header=BB6_34 Depth=1
	s_sub_u32 s34, s38, s8
	s_subb_u32 s35, s35, s9
	v_cmp_gt_i64_e32 vcc, s[34:35], v[0:1]
                                        ; implicit-def: $vgpr46
	s_and_saveexec_b64 s[8:9], vcc
	s_cbranch_execz .LBB6_229
; %bb.221:                              ;   in Loop: Header=BB6_34 Depth=1
	v_mov_b32_e32 v7, v1
	s_mov_b64 s[36:37], 0
	v_mov_b32_e32 v8, v0
	v_mov_b32_e32 v6, v0
                                        ; implicit-def: $sgpr38_sgpr39
	s_branch .LBB6_224
.LBB6_222:                              ;   in Loop: Header=BB6_224 Depth=2
	s_or_b64 exec, exec, s[46:47]
	s_waitcnt lgkmcnt(0)
	s_barrier
	ds_read_u16 v9, v3 offset:3072
	s_mov_b64 s[46:47], -1
	s_waitcnt lgkmcnt(0)
	s_barrier
	v_cmp_eq_u32_sdwa s[48:49], v9, v3 src0_sel:BYTE_0 src1_sel:DWORD
	s_and_b64 vcc, exec, s[48:49]
	s_mov_b64 s[48:49], -1
	s_cbranch_vccnz .LBB6_227
.LBB6_223:                              ;   in Loop: Header=BB6_224 Depth=2
	s_and_b64 s[46:47], exec, s[46:47]
	s_or_b64 s[36:37], s[46:47], s[36:37]
	s_andn2_b64 s[38:39], s[38:39], exec
	s_and_b64 s[46:47], s[48:49], exec
	s_or_b64 s[38:39], s[38:39], s[46:47]
	s_andn2_b64 exec, exec, s[36:37]
	s_cbranch_execz .LBB6_228
.LBB6_224:                              ;   Parent Loop BB6_34 Depth=1
                                        ; =>  This Inner Loop Header: Depth=2
	v_cmp_gt_u64_e32 vcc, s[50:51], v[6:7]
	s_and_saveexec_b64 s[46:47], vcc
	s_cbranch_execz .LBB6_222
; %bb.225:                              ;   in Loop: Header=BB6_224 Depth=2
	ds_read_u8 v9, v8
	s_waitcnt lgkmcnt(0)
	v_and_b32_e32 v10, v9, v45
	v_cmp_eq_u32_sdwa s[48:49], v10, v43 src0_sel:BYTE_0 src1_sel:DWORD
	s_and_b64 exec, exec, s[48:49]
	s_cbranch_execz .LBB6_222
; %bb.226:                              ;   in Loop: Header=BB6_224 Depth=2
	v_lshlrev_b16_e32 v9, 8, v9
	v_or_b32_e32 v9, 1, v9
	ds_write_b16 v3, v9 offset:3072
	s_branch .LBB6_222
.LBB6_227:                              ;   in Loop: Header=BB6_224 Depth=2
	v_add_co_u32_e32 v6, vcc, s23, v6
	v_addc_co_u32_e32 v7, vcc, 0, v7, vcc
	v_cmp_le_i64_e32 vcc, s[34:35], v[6:7]
	v_add_u32_e32 v8, s23, v8
	s_mov_b64 s[48:49], 0
	s_orn2_b64 s[46:47], vcc, exec
	s_branch .LBB6_223
.LBB6_228:                              ;   in Loop: Header=BB6_34 Depth=1
	s_or_b64 exec, exec, s[36:37]
	s_andn2_b64 s[28:29], s[28:29], exec
	s_and_b64 s[34:35], s[38:39], exec
	v_lshrrev_b32_sdwa v46, v44, v9 dst_sel:DWORD dst_unused:UNUSED_PAD src0_sel:DWORD src1_sel:WORD_0
	s_or_b64 s[28:29], s[28:29], s[34:35]
.LBB6_229:                              ;   in Loop: Header=BB6_34 Depth=1
	s_or_b64 exec, exec, s[8:9]
	s_mov_b64 s[46:47], 0
	s_mov_b64 s[48:49], -1
.LBB6_230:                              ;   in Loop: Header=BB6_34 Depth=1
	s_orn2_b64 s[8:9], s[28:29], exec
.LBB6_231:                              ;   in Loop: Header=BB6_34 Depth=1
	s_or_b64 exec, exec, s[4:5]
	s_mov_b64 s[28:29], 0
	s_and_saveexec_b64 s[4:5], s[8:9]
	s_cbranch_execz .LBB6_289
; %bb.232:                              ;   in Loop: Header=BB6_34 Depth=1
	v_mov_b32_e32 v6, 1
	s_xor_b64 s[8:9], s[6:7], -1
	v_mov_b32_e32 v2, 1
	v_mov_b32_e32 v7, 0
	s_mov_b64 s[34:35], 0
	s_and_saveexec_b64 s[6:7], s[8:9]
	s_cbranch_execz .LBB6_241
; %bb.233:                              ;   in Loop: Header=BB6_34 Depth=1
	v_cmp_ge_i64_e32 vcc, s[60:61], v[4:5]
	s_and_saveexec_b64 s[8:9], vcc
	s_xor_b64 s[8:9], exec, s[8:9]
	s_cbranch_execz .LBB6_238
; %bb.234:                              ;   in Loop: Header=BB6_34 Depth=1
	ds_read_b64 v[6:7], v3 offset:5120
	v_and_b32_e32 v2, s40, v43
	v_lshl_or_b32 v43, 2, s12, v2
	v_or_b32_e32 v45, s79, v45
	s_waitcnt lgkmcnt(0)
	v_cmp_ne_u64_e32 vcc, 0, v[6:7]
	s_cbranch_vccnz .LBB6_238
; %bb.235:                              ;   in Loop: Header=BB6_34 Depth=1
	s_mov_b64 s[28:29], exec
	v_readlane_b32 s34, v57, 32
	v_readlane_b32 s35, v57, 33
	s_and_b64 s[34:35], s[28:29], s[34:35]
	s_mov_b64 exec, s[34:35]
; %bb.236:                              ;   in Loop: Header=BB6_34 Depth=1
	v_mov_b32_e32 v6, s60
	v_mov_b32_e32 v7, s61
	ds_write_b64 v3, v[6:7] offset:5128
; %bb.237:                              ;   in Loop: Header=BB6_34 Depth=1
	s_or_b64 exec, exec, s[28:29]
	s_waitcnt lgkmcnt(0)
	s_barrier
.LBB6_238:                              ;   in Loop: Header=BB6_34 Depth=1
	s_or_saveexec_b64 s[8:9], s[8:9]
	s_mov_b64 s[28:29], 0
	v_mov_b32_e32 v2, 8
	s_xor_b64 exec, exec, s[8:9]
; %bb.239:                              ;   in Loop: Header=BB6_34 Depth=1
	v_subrev_co_u32_e32 v4, vcc, s60, v4
	v_mov_b32_e32 v2, s61
	v_subb_co_u32_e32 v5, vcc, v5, v2, vcc
	v_mov_b32_e32 v2, 0
	s_mov_b64 s[28:29], exec
; %bb.240:                              ;   in Loop: Header=BB6_34 Depth=1
	s_or_b64 exec, exec, s[8:9]
	v_mov_b32_e32 v7, v5
	s_and_b64 s[34:35], s[28:29], exec
	v_mov_b32_e32 v6, v4
.LBB6_241:                              ;   in Loop: Header=BB6_34 Depth=1
	s_or_b64 exec, exec, s[6:7]
	s_mov_b64 s[8:9], -1
                                        ; implicit-def: $sgpr28_sgpr29
                                        ; implicit-def: $sgpr54_sgpr55
	s_and_saveexec_b64 s[6:7], s[34:35]
	s_cbranch_execz .LBB6_288
; %bb.242:                              ;   in Loop: Header=BB6_34 Depth=1
	s_cmp_eq_u64 s[16:17], 1
	v_cmp_eq_u64_e32 vcc, 1, v[6:7]
	s_cselect_b64 s[8:9], -1, 0
	s_and_b64 s[40:41], s[8:9], vcc
	s_mov_b64 s[8:9], -1
                                        ; implicit-def: $sgpr28_sgpr29
                                        ; implicit-def: $sgpr54_sgpr55
	s_and_saveexec_b64 s[60:61], s[40:41]
	s_cbranch_execz .LBB6_276
; %bb.243:                              ;   in Loop: Header=BB6_34 Depth=1
	ds_read_b64 v[4:5], v3 offset:5120
	s_waitcnt lgkmcnt(0)
	s_barrier
	v_readfirstlane_b32 s34, v4
	v_readfirstlane_b32 s35, v5
	s_mov_b64 s[8:9], exec
	v_readlane_b32 s28, v57, 53
	v_readlane_b32 s29, v57, 54
	s_and_b64 s[28:29], s[8:9], s[28:29]
	s_mov_b64 exec, s[28:29]
; %bb.244:                              ;   in Loop: Header=BB6_34 Depth=1
	ds_write_b8 v0, v3 offset:3072
; %bb.245:                              ;   in Loop: Header=BB6_34 Depth=1
	s_or_b64 exec, exec, s[8:9]
	v_cmp_gt_i64_e64 s[8:9], s[34:35], 0
	v_or_b32_e32 v43, s79, v43
	v_or_b32_e32 v45, s79, v45
	s_mov_b64 s[54:55], -1
	s_mov_b64 s[28:29], 0
	s_and_b64 vcc, exec, s[8:9]
	s_mov_b64 s[52:53], 0
	s_mov_b64 s[76:77], -1
	s_waitcnt lgkmcnt(0)
	s_barrier
                                        ; implicit-def: $vgpr46
	s_cbranch_vccnz .LBB6_261
; %bb.246:                              ;   in Loop: Header=BB6_34 Depth=1
	s_mov_b32 s72, s65
	v_writelane_b32 v57, s40, 57
	s_cmp_lg_u64 s[72:73], 0
	v_writelane_b32 v57, s41, 58
	s_cbranch_scc0 .LBB6_295
; %bb.247:                              ;   in Loop: Header=BB6_34 Depth=1
	s_add_u32 s8, s23, 0
	s_addc_u32 s9, 0, 0
	s_xor_b64 s[52:53], s[8:9], 0
	v_cvt_f32_u32_e32 v4, s52
	v_cvt_f32_u32_e32 v5, s53
	s_sub_u32 s36, 0, s52
	s_subb_u32 s37, 0, s53
	v_mac_f32_e32 v4, 0x4f800000, v5
	v_rcp_f32_e32 v4, v4
	v_mul_f32_e32 v4, 0x5f7ffffc, v4
	v_mul_f32_e32 v5, 0x2f800000, v4
	v_trunc_f32_e32 v5, v5
	v_mac_f32_e32 v4, 0xcf800000, v5
	v_cvt_u32_f32_e32 v5, v5
	v_cvt_u32_f32_e32 v4, v4
	v_readfirstlane_b32 s38, v5
	v_readfirstlane_b32 s8, v4
	s_mul_i32 s9, s36, s38
	s_mul_hi_u32 s40, s36, s8
	s_mul_i32 s39, s37, s8
	s_add_i32 s9, s40, s9
	s_mul_i32 s41, s36, s8
	s_add_i32 s9, s9, s39
	s_mul_i32 s40, s8, s9
	s_mul_hi_u32 s50, s8, s41
	s_mul_hi_u32 s39, s8, s9
	s_add_u32 s40, s50, s40
	s_addc_u32 s39, 0, s39
	s_mul_hi_u32 s51, s38, s41
	s_mul_i32 s41, s38, s41
	s_add_u32 s40, s40, s41
	s_mul_hi_u32 s50, s38, s9
	s_addc_u32 s39, s39, s51
	s_addc_u32 s40, s50, 0
	s_mul_i32 s9, s38, s9
	s_add_u32 s9, s39, s9
	s_addc_u32 s39, 0, s40
	s_add_u32 s40, s8, s9
	s_cselect_b64 s[8:9], -1, 0
	s_cmp_lg_u64 s[8:9], 0
	s_addc_u32 s38, s38, s39
	s_mul_i32 s8, s36, s38
	s_mul_hi_u32 s9, s36, s40
	s_add_i32 s8, s9, s8
	s_mul_i32 s37, s37, s40
	s_add_i32 s8, s8, s37
	s_mul_i32 s36, s36, s40
	s_mul_hi_u32 s37, s38, s36
	s_mul_i32 s39, s38, s36
	s_mul_i32 s50, s40, s8
	s_mul_hi_u32 s36, s40, s36
	s_mul_hi_u32 s41, s40, s8
	s_add_u32 s36, s36, s50
	s_addc_u32 s41, 0, s41
	s_add_u32 s36, s36, s39
	s_mul_hi_u32 s9, s38, s8
	s_addc_u32 s36, s41, s37
	s_addc_u32 s9, s9, 0
	s_mul_i32 s8, s38, s8
	s_add_u32 s8, s36, s8
	s_addc_u32 s36, 0, s9
	s_add_u32 s39, s40, s8
	s_cselect_b64 s[8:9], -1, 0
	s_cmp_lg_u64 s[8:9], 0
	s_addc_u32 s38, s38, s36
	s_ashr_i32 s36, s73, 31
	s_add_u32 s8, s43, s36
	s_mov_b32 s37, s36
	s_addc_u32 s9, s73, s36
	s_xor_b64 s[8:9], s[8:9], s[36:37]
	s_mul_i32 s41, s8, s38
	s_mul_hi_u32 s50, s8, s39
	s_mul_hi_u32 s40, s8, s38
	s_add_u32 s41, s50, s41
	s_addc_u32 s40, 0, s40
	s_mul_hi_u32 s51, s9, s39
	s_mul_i32 s39, s9, s39
	s_add_u32 s39, s41, s39
	s_mul_hi_u32 s50, s9, s38
	s_addc_u32 s39, s40, s51
	s_addc_u32 s40, s50, 0
	s_mul_i32 s38, s9, s38
	s_add_u32 s38, s39, s38
	s_addc_u32 s39, 0, s40
	s_mul_i32 s39, s52, s39
	s_mul_hi_u32 s40, s52, s38
	s_add_i32 s39, s40, s39
	s_mul_i32 s40, s53, s38
	s_add_i32 s50, s39, s40
	s_sub_i32 s40, s9, s50
	s_mul_i32 s38, s52, s38
	s_sub_u32 s8, s8, s38
	s_cselect_b64 s[38:39], -1, 0
	s_cmp_lg_u64 s[38:39], 0
	s_subb_u32 s51, s40, s53
	s_sub_u32 s64, s8, s52
	s_cselect_b64 s[40:41], -1, 0
	s_cmp_lg_u64 s[40:41], 0
	s_subb_u32 s72, s51, 0
	s_cmp_ge_u32 s72, s53
	s_cselect_b32 s76, -1, 0
	s_cmp_ge_u32 s64, s52
	s_cselect_b32 s77, -1, 0
	s_cmp_eq_u32 s72, s53
	s_cselect_b32 s76, s77, s76
	s_cmp_lg_u64 s[40:41], 0
	s_subb_u32 s51, s51, s53
	s_sub_u32 s77, s64, s52
	s_cselect_b64 s[40:41], -1, 0
	s_cmp_lg_u64 s[40:41], 0
	s_subb_u32 s40, s51, 0
	s_cmp_lg_u32 s76, 0
	s_cselect_b32 s41, s77, s64
	s_cselect_b32 s40, s40, s72
	s_cmp_lg_u64 s[38:39], 0
	s_subb_u32 s9, s9, s50
	s_cmp_ge_u32 s9, s53
	s_cselect_b32 s38, -1, 0
	s_cmp_ge_u32 s8, s52
	s_cselect_b32 s39, -1, 0
	s_cmp_eq_u32 s9, s53
	s_cselect_b32 s38, s39, s38
	s_cmp_lg_u32 s38, 0
	s_cselect_b32 s9, s40, s9
	s_cselect_b32 s8, s41, s8
	s_xor_b64 s[8:9], s[8:9], s[36:37]
	s_sub_u32 s8, s8, s36
	s_subb_u32 s9, s9, s36
	s_cbranch_execnz .LBB6_249
.LBB6_248:                              ;   in Loop: Header=BB6_34 Depth=1
	v_cvt_f32_u32_e32 v4, s23
	s_sub_i32 s8, 0, s23
	v_rcp_iflag_f32_e32 v4, v4
	v_mul_f32_e32 v4, 0x4f7ffffe, v4
	v_cvt_u32_f32_e32 v4, v4
	v_readfirstlane_b32 s9, v4
	s_mul_i32 s8, s8, s9
	s_mul_hi_u32 s8, s9, s8
	s_add_i32 s9, s9, s8
	s_mul_hi_u32 s8, s43, s9
	s_mul_i32 s8, s8, s23
	s_sub_i32 s8, s43, s8
	s_sub_i32 s9, s8, s23
	s_cmp_ge_u32 s8, s23
	s_cselect_b32 s8, s9, s8
	s_sub_i32 s9, s8, s23
	s_cmp_ge_u32 s8, s23
	s_cselect_b32 s64, s9, s8
	s_mov_b64 s[8:9], s[64:65]
.LBB6_249:                              ;   in Loop: Header=BB6_34 Depth=1
	s_sub_u32 s8, s43, s8
	s_subb_u32 s9, s73, s9
	v_cmp_gt_i64_e32 vcc, s[8:9], v[0:1]
	s_mov_b64 s[76:77], 0
	s_mov_b64 s[52:53], 0
                                        ; implicit-def: $vgpr46
	s_and_saveexec_b64 s[50:51], vcc
	s_cbranch_execz .LBB6_260
; %bb.250:                              ;   in Loop: Header=BB6_34 Depth=1
	v_mov_b32_e32 v4, v12
	v_mov_b32_e32 v9, v1
	;; [unrolled: 1-line block ×4, first 2 shown]
                                        ; implicit-def: $sgpr36_sgpr37
	s_branch .LBB6_253
.LBB6_251:                              ;   in Loop: Header=BB6_253 Depth=2
	s_or_b64 exec, exec, s[38:39]
	s_waitcnt lgkmcnt(0)
	s_barrier
	ds_read_u16 v10, v3 offset:3072
	s_mov_b64 s[38:39], -1
	s_waitcnt lgkmcnt(0)
	s_barrier
	v_cmp_ne_u32_sdwa s[40:41], v10, v3 src0_sel:BYTE_0 src1_sel:DWORD
	s_and_b64 vcc, exec, s[40:41]
	s_mov_b64 s[40:41], -1
	s_cbranch_vccz .LBB6_256
.LBB6_252:                              ;   in Loop: Header=BB6_253 Depth=2
	s_and_b64 s[38:39], exec, s[38:39]
	s_or_b64 s[52:53], s[38:39], s[52:53]
	s_andn2_b64 s[36:37], s[36:37], exec
	s_and_b64 s[38:39], s[40:41], exec
	s_or_b64 s[36:37], s[36:37], s[38:39]
	s_andn2_b64 exec, exec, s[52:53]
	s_cbranch_execz .LBB6_259
.LBB6_253:                              ;   Parent Loop BB6_34 Depth=1
                                        ; =>  This Inner Loop Header: Depth=2
	v_cmp_gt_i64_e32 vcc, s[24:25], v[8:9]
	s_and_saveexec_b64 s[38:39], vcc
	s_cbranch_execz .LBB6_251
; %bb.254:                              ;   in Loop: Header=BB6_253 Depth=2
	global_load_ubyte v10, v[4:5], off
	s_waitcnt vmcnt(0)
	v_and_b32_e32 v11, v10, v45
	v_cmp_eq_u32_sdwa s[40:41], v11, v43 src0_sel:BYTE_0 src1_sel:DWORD
	s_and_b64 exec, exec, s[40:41]
	s_cbranch_execz .LBB6_251
; %bb.255:                              ;   in Loop: Header=BB6_253 Depth=2
	v_lshlrev_b16_e32 v10, 8, v10
	v_or_b32_e32 v10, 1, v10
	ds_write_b16 v3, v10 offset:3072
	s_branch .LBB6_251
.LBB6_256:                              ;   in Loop: Header=BB6_253 Depth=2
	v_add_co_u32_e32 v8, vcc, s23, v8
	v_addc_co_u32_e32 v9, vcc, 0, v9, vcc
	v_mov_b32_e32 v11, s33
	v_add_co_u32_e32 v4, vcc, s42, v4
	v_addc_co_u32_e32 v5, vcc, v5, v11, vcc
	v_cmp_le_i64_e32 vcc, s[8:9], v[8:9]
	s_mov_b64 s[40:41], 0
	s_orn2_b64 s[38:39], vcc, exec
	s_branch .LBB6_252
.LBB6_257:                              ;   in Loop: Header=BB6_34 Depth=1
                                        ; implicit-def: $sgpr8_sgpr9
	s_branch .LBB6_203
.LBB6_258:                              ;   in Loop: Header=BB6_34 Depth=1
                                        ; implicit-def: $sgpr8_sgpr9
	s_branch .LBB6_219
.LBB6_259:                              ;   in Loop: Header=BB6_34 Depth=1
	s_or_b64 exec, exec, s[52:53]
	v_lshrrev_b32_sdwa v46, v44, v10 dst_sel:DWORD dst_unused:UNUSED_PAD src0_sel:DWORD src1_sel:WORD_0
	s_and_b64 s[52:53], s[36:37], exec
.LBB6_260:                              ;   in Loop: Header=BB6_34 Depth=1
	s_or_b64 exec, exec, s[50:51]
	v_readlane_b32 s40, v57, 57
	v_readlane_b32 s41, v57, 58
.LBB6_261:                              ;   in Loop: Header=BB6_34 Depth=1
	s_and_b64 vcc, exec, s[76:77]
	s_cbranch_vccz .LBB6_275
; %bb.262:                              ;   in Loop: Header=BB6_34 Depth=1
	v_readlane_b32 s8, v57, 40
	s_add_u32 s38, s34, s8
	v_readlane_b32 s8, v57, 41
	s_addc_u32 s29, s35, s8
	s_mov_b32 s28, s65
	s_cmp_lg_u64 s[28:29], 0
	s_cbranch_scc0 .LBB6_296
; %bb.263:                              ;   in Loop: Header=BB6_34 Depth=1
	s_add_u32 s8, s23, 0
	s_addc_u32 s9, 0, 0
	s_xor_b64 s[54:55], s[8:9], 0
	v_cvt_f32_u32_e32 v4, s54
	v_cvt_f32_u32_e32 v5, s55
	s_sub_u32 s28, 0, s54
	s_subb_u32 s36, 0, s55
	s_mov_b64 vcc, s[40:41]
	v_mac_f32_e32 v4, 0x4f800000, v5
	v_rcp_f32_e32 v4, v4
	v_mul_f32_e32 v4, 0x5f7ffffc, v4
	v_mul_f32_e32 v5, 0x2f800000, v4
	v_trunc_f32_e32 v5, v5
	v_mac_f32_e32 v4, 0xcf800000, v5
	v_cvt_u32_f32_e32 v5, v5
	v_cvt_u32_f32_e32 v4, v4
	v_readfirstlane_b32 s37, v5
	v_readfirstlane_b32 s8, v4
	s_mul_i32 s9, s28, s37
	s_mul_hi_u32 s40, s28, s8
	s_mul_i32 s39, s36, s8
	s_add_i32 s9, s40, s9
	s_mul_i32 s41, s28, s8
	s_add_i32 s9, s9, s39
	s_mul_i32 s40, s8, s9
	s_mul_hi_u32 s50, s8, s41
	s_mul_hi_u32 s39, s8, s9
	s_add_u32 s40, s50, s40
	s_addc_u32 s39, 0, s39
	s_mul_hi_u32 s51, s37, s41
	s_mul_i32 s41, s37, s41
	s_add_u32 s40, s40, s41
	s_mul_hi_u32 s50, s37, s9
	s_addc_u32 s39, s39, s51
	s_addc_u32 s40, s50, 0
	s_mul_i32 s9, s37, s9
	s_add_u32 s9, s39, s9
	s_addc_u32 s39, 0, s40
	s_add_u32 s40, s8, s9
	s_cselect_b64 s[8:9], -1, 0
	s_cmp_lg_u64 s[8:9], 0
	s_addc_u32 s37, s37, s39
	s_mul_i32 s8, s28, s37
	s_mul_hi_u32 s9, s28, s40
	s_add_i32 s8, s9, s8
	s_mul_i32 s36, s36, s40
	s_add_i32 s8, s8, s36
	s_mul_i32 s28, s28, s40
	s_mul_hi_u32 s36, s37, s28
	s_mul_i32 s39, s37, s28
	s_mul_i32 s50, s40, s8
	s_mul_hi_u32 s28, s40, s28
	s_mul_hi_u32 s41, s40, s8
	s_add_u32 s28, s28, s50
	s_addc_u32 s41, 0, s41
	s_add_u32 s28, s28, s39
	s_mul_hi_u32 s9, s37, s8
	s_addc_u32 s28, s41, s36
	s_addc_u32 s9, s9, 0
	s_mul_i32 s8, s37, s8
	s_add_u32 s8, s28, s8
	s_addc_u32 s28, 0, s9
	s_add_u32 s39, s40, s8
	s_cselect_b64 s[8:9], -1, 0
	s_cmp_lg_u64 s[8:9], 0
	s_addc_u32 s28, s37, s28
	s_ashr_i32 s36, s29, 31
	s_add_u32 s8, s38, s36
	s_mov_b32 s37, s36
	s_addc_u32 s9, s29, s36
	s_xor_b64 s[8:9], s[8:9], s[36:37]
	s_mul_i32 s41, s8, s28
	s_mul_hi_u32 s50, s8, s39
	s_mul_hi_u32 s40, s8, s28
	s_add_u32 s41, s50, s41
	s_addc_u32 s40, 0, s40
	s_mul_hi_u32 s51, s9, s39
	s_mul_i32 s39, s9, s39
	s_add_u32 s39, s41, s39
	s_mul_hi_u32 s50, s9, s28
	s_addc_u32 s39, s40, s51
	s_addc_u32 s40, s50, 0
	s_mul_i32 s28, s9, s28
	s_add_u32 s28, s39, s28
	s_addc_u32 s39, 0, s40
	s_mul_i32 s39, s54, s39
	s_mul_hi_u32 s40, s54, s28
	s_add_i32 s39, s40, s39
	s_mul_i32 s40, s55, s28
	s_add_i32 s39, s39, s40
	s_sub_i32 s50, s9, s39
	s_mul_i32 s28, s54, s28
	s_sub_u32 s8, s8, s28
	s_cselect_b64 s[40:41], -1, 0
	s_cmp_lg_u64 s[40:41], 0
	s_subb_u32 s28, s50, s55
	s_sub_u32 s64, s8, s54
	s_cselect_b64 s[50:51], -1, 0
	s_cmp_lg_u64 s[50:51], 0
	s_subb_u32 s72, s28, 0
	s_cmp_ge_u32 s72, s55
	s_cselect_b32 s76, -1, 0
	s_cmp_ge_u32 s64, s54
	s_cselect_b32 s77, -1, 0
	s_cmp_eq_u32 s72, s55
	s_cselect_b32 s76, s77, s76
	s_cmp_lg_u64 s[50:51], 0
	s_subb_u32 s28, s28, s55
	s_sub_u32 s77, s64, s54
	s_cselect_b64 s[50:51], -1, 0
	s_cmp_lg_u64 s[50:51], 0
	s_subb_u32 s28, s28, 0
	s_cmp_lg_u32 s76, 0
	s_cselect_b32 s50, s77, s64
	s_cselect_b32 s28, s28, s72
	s_cmp_lg_u64 s[40:41], 0
	s_subb_u32 s9, s9, s39
	s_cmp_ge_u32 s9, s55
	s_cselect_b32 s39, -1, 0
	s_cmp_ge_u32 s8, s54
	s_cselect_b32 s40, -1, 0
	s_cmp_eq_u32 s9, s55
	s_cselect_b32 s39, s40, s39
	s_cmp_lg_u32 s39, 0
	s_cselect_b32 s9, s28, s9
	s_cselect_b32 s8, s50, s8
	s_xor_b64 s[8:9], s[8:9], s[36:37]
	s_sub_u32 s8, s8, s36
	s_mov_b64 s[40:41], vcc
	s_subb_u32 s9, s9, s36
	s_cbranch_execnz .LBB6_265
.LBB6_264:                              ;   in Loop: Header=BB6_34 Depth=1
	v_cvt_f32_u32_e32 v4, s23
	s_sub_i32 s8, 0, s23
	v_rcp_iflag_f32_e32 v4, v4
	v_mul_f32_e32 v4, 0x4f7ffffe, v4
	v_cvt_u32_f32_e32 v4, v4
	v_readfirstlane_b32 s9, v4
	s_mul_i32 s8, s8, s9
	s_mul_hi_u32 s8, s9, s8
	s_add_i32 s9, s9, s8
	s_mul_hi_u32 s8, s38, s9
	s_mul_i32 s8, s8, s23
	s_sub_i32 s8, s38, s8
	s_sub_i32 s9, s8, s23
	s_cmp_ge_u32 s8, s23
	s_cselect_b32 s8, s9, s8
	s_sub_i32 s9, s8, s23
	s_cmp_ge_u32 s8, s23
	s_cselect_b32 s64, s9, s8
	s_mov_b64 s[8:9], s[64:65]
.LBB6_265:                              ;   in Loop: Header=BB6_34 Depth=1
	s_sub_u32 s28, s38, s8
	s_subb_u32 s29, s29, s9
	v_cmp_gt_i64_e32 vcc, s[28:29], v[0:1]
                                        ; implicit-def: $vgpr46
	s_and_saveexec_b64 s[8:9], vcc
	s_cbranch_execz .LBB6_274
; %bb.266:                              ;   in Loop: Header=BB6_34 Depth=1
	v_mov_b32_e32 v5, v1
	s_mov_b64 s[76:77], s[40:41]
	s_mov_b64 s[36:37], 0
	v_mov_b32_e32 v8, v0
	v_mov_b32_e32 v4, v0
                                        ; implicit-def: $sgpr38_sgpr39
	s_branch .LBB6_269
.LBB6_267:                              ;   in Loop: Header=BB6_269 Depth=2
	s_or_b64 exec, exec, s[54:55]
	s_waitcnt lgkmcnt(0)
	s_barrier
	ds_read_u16 v9, v3 offset:3072
	s_mov_b64 s[54:55], -1
	s_waitcnt lgkmcnt(0)
	s_barrier
	v_cmp_eq_u32_sdwa s[40:41], v9, v3 src0_sel:BYTE_0 src1_sel:DWORD
	s_and_b64 vcc, exec, s[40:41]
	s_mov_b64 s[40:41], -1
	s_cbranch_vccnz .LBB6_272
.LBB6_268:                              ;   in Loop: Header=BB6_269 Depth=2
	s_and_b64 s[50:51], exec, s[54:55]
	s_or_b64 s[36:37], s[50:51], s[36:37]
	s_andn2_b64 s[38:39], s[38:39], exec
	s_and_b64 s[40:41], s[40:41], exec
	s_or_b64 s[38:39], s[38:39], s[40:41]
	s_andn2_b64 exec, exec, s[36:37]
	s_cbranch_execz .LBB6_273
.LBB6_269:                              ;   Parent Loop BB6_34 Depth=1
                                        ; =>  This Inner Loop Header: Depth=2
	v_cmp_gt_u64_e32 vcc, s[34:35], v[4:5]
	s_and_saveexec_b64 s[54:55], vcc
	s_cbranch_execz .LBB6_267
; %bb.270:                              ;   in Loop: Header=BB6_269 Depth=2
	ds_read_u8 v9, v8
	s_waitcnt lgkmcnt(0)
	v_and_b32_e32 v10, v9, v45
	v_cmp_eq_u32_sdwa s[40:41], v10, v43 src0_sel:BYTE_0 src1_sel:DWORD
	s_and_b64 exec, exec, s[40:41]
	s_cbranch_execz .LBB6_267
; %bb.271:                              ;   in Loop: Header=BB6_269 Depth=2
	v_lshlrev_b16_e32 v9, 8, v9
	v_or_b32_e32 v9, 1, v9
	ds_write_b16 v3, v9 offset:3072
	s_branch .LBB6_267
.LBB6_272:                              ;   in Loop: Header=BB6_269 Depth=2
	v_add_co_u32_e32 v4, vcc, s23, v4
	v_addc_co_u32_e32 v5, vcc, 0, v5, vcc
	v_cmp_le_i64_e32 vcc, s[28:29], v[4:5]
	v_add_u32_e32 v8, s23, v8
	s_mov_b64 s[40:41], 0
	s_orn2_b64 s[54:55], vcc, exec
	s_branch .LBB6_268
.LBB6_273:                              ;   in Loop: Header=BB6_34 Depth=1
	s_or_b64 exec, exec, s[36:37]
	s_andn2_b64 s[28:29], s[52:53], exec
	s_and_b64 s[34:35], s[38:39], exec
	v_lshrrev_b32_sdwa v46, v44, v9 dst_sel:DWORD dst_unused:UNUSED_PAD src0_sel:DWORD src1_sel:WORD_0
	s_or_b64 s[52:53], s[28:29], s[34:35]
	s_mov_b64 s[40:41], s[76:77]
.LBB6_274:                              ;   in Loop: Header=BB6_34 Depth=1
	s_or_b64 exec, exec, s[8:9]
	s_mov_b64 s[54:55], 0
	s_mov_b64 s[28:29], -1
.LBB6_275:                              ;   in Loop: Header=BB6_34 Depth=1
	s_orn2_b64 s[8:9], s[52:53], exec
.LBB6_276:                              ;   in Loop: Header=BB6_34 Depth=1
	s_or_b64 exec, exec, s[60:61]
	s_mov_b64 s[36:37], 0
	s_and_saveexec_b64 s[34:35], s[8:9]
	s_cbranch_execz .LBB6_287
; %bb.277:                              ;   in Loop: Header=BB6_34 Depth=1
	v_mov_b32_e32 v4, 1
	s_xor_b64 s[8:9], s[40:41], -1
	v_mov_b32_e32 v5, 0
	v_mov_b32_e32 v2, 1
	s_and_saveexec_b64 s[50:51], s[8:9]
	s_cbranch_execz .LBB6_286
; %bb.278:                              ;   in Loop: Header=BB6_34 Depth=1
	v_cmp_ge_i64_e32 vcc, s[16:17], v[6:7]
	s_and_saveexec_b64 s[8:9], vcc
	s_xor_b64 s[8:9], exec, s[8:9]
	s_cbranch_execz .LBB6_283
; %bb.279:                              ;   in Loop: Header=BB6_34 Depth=1
	ds_read_b64 v[4:5], v3 offset:5120
	v_or_b32_e32 v43, s79, v43
	v_or_b32_e32 v45, s79, v45
	s_waitcnt lgkmcnt(0)
	v_cmp_ne_u64_e32 vcc, 0, v[4:5]
	s_cbranch_vccnz .LBB6_283
; %bb.280:                              ;   in Loop: Header=BB6_34 Depth=1
	s_mov_b64 s[36:37], exec
	v_readlane_b32 s38, v57, 32
	v_readlane_b32 s39, v57, 33
	s_and_b64 s[38:39], s[36:37], s[38:39]
	s_mov_b64 exec, s[38:39]
; %bb.281:                              ;   in Loop: Header=BB6_34 Depth=1
	v_mov_b32_e32 v4, s16
	v_mov_b32_e32 v5, s17
	ds_write_b64 v3, v[4:5] offset:5128
; %bb.282:                              ;   in Loop: Header=BB6_34 Depth=1
	s_or_b64 exec, exec, s[36:37]
	s_waitcnt lgkmcnt(0)
	s_barrier
.LBB6_283:                              ;   in Loop: Header=BB6_34 Depth=1
	s_andn2_saveexec_b64 s[8:9], s[8:9]
; %bb.284:                              ;   in Loop: Header=BB6_34 Depth=1
	v_mov_b32_e32 v2, s17
	v_subrev_co_u32_e32 v6, vcc, s16, v6
	v_subb_co_u32_e32 v7, vcc, v7, v2, vcc
; %bb.285:                              ;   in Loop: Header=BB6_34 Depth=1
	s_or_b64 exec, exec, s[8:9]
	v_mov_b32_e32 v4, v6
	v_mov_b32_e32 v2, 8
	;; [unrolled: 1-line block ×3, first 2 shown]
.LBB6_286:                              ;   in Loop: Header=BB6_34 Depth=1
	s_or_b64 exec, exec, s[50:51]
	v_mov_b32_e32 v7, v5
	s_mov_b64 s[36:37], exec
	v_mov_b32_e32 v6, v4
.LBB6_287:                              ;   in Loop: Header=BB6_34 Depth=1
	s_or_b64 exec, exec, s[34:35]
	s_orn2_b64 s[8:9], s[36:37], exec
.LBB6_288:                              ;   in Loop: Header=BB6_34 Depth=1
	s_or_b64 exec, exec, s[6:7]
	s_andn2_b64 s[6:7], s[48:49], exec
	s_and_b64 s[16:17], s[28:29], exec
	s_or_b64 s[48:49], s[6:7], s[16:17]
	s_andn2_b64 s[6:7], s[46:47], exec
	s_and_b64 s[16:17], s[54:55], exec
	v_mov_b32_e32 v4, v6
	s_or_b64 s[46:47], s[6:7], s[16:17]
	s_and_b64 s[28:29], s[8:9], exec
	v_mov_b32_e32 v5, v7
.LBB6_289:                              ;   in Loop: Header=BB6_34 Depth=1
	s_or_b64 exec, exec, s[4:5]
	s_orn2_b64 s[4:5], s[28:29], exec
.LBB6_290:                              ;   in Loop: Header=BB6_34 Depth=1
	s_or_b64 exec, exec, s[44:45]
	s_andn2_b64 s[6:7], s[56:57], exec
	s_and_b64 s[8:9], s[48:49], exec
	s_or_b64 s[56:57], s[6:7], s[8:9]
	s_andn2_b64 s[6:7], s[14:15], exec
	s_and_b64 s[8:9], s[46:47], exec
	v_mov_b32_e32 v9, v5
	s_or_b64 s[14:15], s[6:7], s[8:9]
	s_and_b64 s[6:7], s[4:5], exec
	v_mov_b32_e32 v8, v4
.LBB6_291:                              ;   in Loop: Header=BB6_34 Depth=1
	s_or_b64 exec, exec, s[62:63]
	s_orn2_b64 s[4:5], s[6:7], exec
.LBB6_292:                              ;   in Loop: Header=BB6_34 Depth=1
	s_or_b64 exec, exec, s[26:27]
	s_mov_b64 s[6:7], 0
	s_and_saveexec_b64 s[8:9], s[4:5]
	s_xor_b64 s[4:5], exec, s[8:9]
	s_cbranch_execz .LBB6_32
; %bb.293:                              ;   in Loop: Header=BB6_34 Depth=1
	v_and_b32_e32 v2, 7, v2
	v_cmp_eq_u32_e32 vcc, 0, v2
	s_mov_b64 s[8:9], -1
	s_mov_b64 s[6:7], -1
	s_and_saveexec_b64 s[16:17], vcc
	s_cbranch_execz .LBB6_31
; %bb.294:                              ;   in Loop: Header=BB6_34 Depth=1
	s_xor_b32 s78, s78, 1
	s_add_i32 s20, s12, -2
	s_cmp_eq_u32 s12, 0
	s_cselect_b64 s[8:9], -1, 0
	s_xor_b64 s[6:7], exec, -1
	s_orn2_b64 s[8:9], s[8:9], exec
	s_mov_b32 s12, s20
	s_branch .LBB6_31
.LBB6_295:                              ;   in Loop: Header=BB6_34 Depth=1
                                        ; implicit-def: $sgpr8_sgpr9
	s_branch .LBB6_248
.LBB6_296:                              ;   in Loop: Header=BB6_34 Depth=1
                                        ; implicit-def: $sgpr8_sgpr9
	s_branch .LBB6_264
.LBB6_297:
	s_or_b64 exec, exec, s[84:85]
	s_xor_b64 s[6:7], s[90:91], -1
	s_xor_b64 s[0:1], s[86:87], -1
	;; [unrolled: 1-line block ×3, first 2 shown]
	s_mov_b64 s[2:3], 0
	s_and_saveexec_b64 s[4:5], s[0:1]
	s_xor_b64 s[4:5], exec, s[4:5]
	s_cbranch_execnz .LBB6_302
; %bb.298:
	s_andn2_saveexec_b64 s[0:1], s[4:5]
	s_cbranch_execnz .LBB6_324
.LBB6_299:
	s_or_b64 exec, exec, s[0:1]
	s_and_saveexec_b64 s[0:1], s[2:3]
.LBB6_300:
	; divergent unreachable
.LBB6_301:
	s_endpgm
.LBB6_302:
	s_and_saveexec_b64 s[0:1], s[6:7]
	s_xor_b64 s[6:7], exec, s[0:1]
	s_cbranch_execz .LBB6_322
; %bb.303:
	s_and_saveexec_b64 s[0:1], s[8:9]
	s_xor_b64 s[2:3], exec, s[0:1]
; %bb.304:
	v_mov_b32_e32 v46, v43
; %bb.305:
	s_or_b64 exec, exec, s[2:3]
	s_mov_b64 s[2:3], exec
	v_readlane_b32 s0, v57, 32
	v_readlane_b32 s1, v57, 33
	;; [unrolled: 1-line block ×3, first 2 shown]
	s_and_b64 s[0:1], s[2:3], s[0:1]
	s_mov_b32 s22, s8
	v_readlane_b32 s9, v57, 35
	s_mov_b64 exec, s[0:1]
; %bb.306:
	v_mov_b32_e32 v2, 0
	v_mov_b32_e32 v3, s24
	ds_write_b32 v2, v3 offset:5140
; %bb.307:
	s_or_b64 exec, exec, s[2:3]
	s_waitcnt lgkmcnt(0)
	s_barrier
	s_mov_b64 s[10:11], exec
	v_readlane_b32 s0, v57, 55
	v_readlane_b32 s1, v57, 56
	s_and_b64 s[0:1], s[10:11], s[0:1]
	s_mov_b64 exec, s[0:1]
	s_cbranch_execz .LBB6_319
; %bb.308:
	v_mov_b32_e32 v2, 0
	ds_read_b32 v4, v2 offset:5140
	s_mov_b64 s[8:9], 0
                                        ; implicit-def: $sgpr12_sgpr13
                                        ; implicit-def: $sgpr14_sgpr15
                                        ; implicit-def: $sgpr16_sgpr17
	s_waitcnt lgkmcnt(0)
	v_ashrrev_i32_e32 v5, 31, v4
	s_branch .LBB6_311
.LBB6_309:                              ;   in Loop: Header=BB6_311 Depth=1
	s_or_b64 exec, exec, s[26:27]
	s_andn2_b64 s[0:1], s[16:17], exec
	s_and_b64 s[16:17], s[20:21], exec
	s_or_b64 s[16:17], s[0:1], s[16:17]
	s_andn2_b64 s[0:1], s[14:15], exec
	s_and_b64 s[2:3], s[2:3], exec
	s_or_b64 s[14:15], s[0:1], s[2:3]
.LBB6_310:                              ;   in Loop: Header=BB6_311 Depth=1
	s_or_b64 exec, exec, s[18:19]
	s_and_b64 s[0:1], exec, s[14:15]
	s_or_b64 s[8:9], s[0:1], s[8:9]
	s_andn2_b64 s[0:1], s[12:13], exec
	s_and_b64 s[2:3], s[16:17], exec
	s_or_b64 s[12:13], s[0:1], s[2:3]
	s_andn2_b64 exec, exec, s[8:9]
	s_cbranch_execz .LBB6_314
.LBB6_311:                              ; =>This Inner Loop Header: Depth=1
	v_mov_b32_e32 v3, v1
	v_mov_b32_e32 v2, v0
	v_cmp_lt_i64_e32 vcc, v[2:3], v[4:5]
	s_or_b64 s[16:17], s[16:17], exec
	s_or_b64 s[14:15], s[14:15], exec
                                        ; implicit-def: $vgpr0_vgpr1
	s_and_saveexec_b64 s[18:19], vcc
	s_cbranch_execz .LBB6_310
; %bb.312:                              ;   in Loop: Header=BB6_311 Depth=1
	global_load_ubyte v0, v[12:13], off
	s_mov_b64 s[2:3], -1
	s_mov_b64 s[20:21], 0
	s_waitcnt vmcnt(0)
	v_cmp_ne_u16_sdwa s[0:1], v0, v46 src0_sel:DWORD src1_sel:BYTE_0
                                        ; implicit-def: $vgpr0_vgpr1
	s_and_saveexec_b64 s[26:27], s[0:1]
	s_cbranch_execz .LBB6_309
; %bb.313:                              ;   in Loop: Header=BB6_311 Depth=1
	v_add_co_u32_e32 v0, vcc, s23, v2
	v_addc_co_u32_e32 v1, vcc, 0, v3, vcc
	v_mov_b32_e32 v3, s33
	v_cmp_le_i64_e32 vcc, s[24:25], v[0:1]
	v_add_co_u32_e64 v12, s[2:3], s42, v12
	v_addc_co_u32_e64 v13, s[2:3], v13, v3, s[2:3]
	s_mov_b64 s[20:21], exec
	s_orn2_b64 s[2:3], vcc, exec
	s_branch .LBB6_309
.LBB6_314:
	s_or_b64 exec, exec, s[8:9]
	s_xor_b64 s[0:1], s[12:13], -1
	s_and_saveexec_b64 s[2:3], s[0:1]
	s_xor_b64 s[2:3], exec, s[2:3]
	s_cbranch_execz .LBB6_319
; %bb.315:
	s_mov_b64 s[2:3], exec
	s_brev_b32 s0, -2
.LBB6_316:                              ; =>This Inner Loop Header: Depth=1
	s_ff1_i32_b64 s1, s[2:3]
	v_readlane_b32 s12, v2, s1
	s_lshl_b64 s[8:9], 1, s1
	s_min_i32 s0, s0, s12
	s_andn2_b64 s[2:3], s[2:3], s[8:9]
	s_cmp_lg_u64 s[2:3], 0
	s_cbranch_scc1 .LBB6_316
; %bb.317:
	v_mbcnt_lo_u32_b32 v0, exec_lo, 0
	v_mbcnt_hi_u32_b32 v0, exec_hi, v0
	v_cmp_eq_u32_e32 vcc, 0, v0
	s_and_saveexec_b64 s[2:3], vcc
	s_xor_b64 s[2:3], exec, s[2:3]
; %bb.318:
	v_mov_b32_e32 v0, 0
	v_mov_b32_e32 v1, s0
	ds_min_i32 v0, v1 offset:5140
.LBB6_319:
	s_or_b64 exec, exec, s[10:11]
	s_waitcnt lgkmcnt(0)
	s_barrier
	s_mov_b64 s[2:3], exec
	v_readlane_b32 s0, v57, 32
	v_readlane_b32 s1, v57, 33
	s_and_b64 s[0:1], s[2:3], s[0:1]
	s_mov_b64 exec, s[0:1]
	s_cbranch_execz .LBB6_321
; %bb.320:
	v_readlane_b32 s24, v57, 6
	v_readlane_b32 s26, v57, 8
	;; [unrolled: 1-line block ×5, first 2 shown]
	s_mul_i32 s0, s28, s27
	s_mul_hi_u32 s1, s28, s26
	s_add_i32 s0, s1, s0
	s_mul_i32 s1, s29, s26
	s_add_i32 s0, s0, s1
	s_mul_i32 s1, s28, s26
	v_readlane_b32 s10, v57, 14
	s_sub_u32 s8, s22, s1
	v_readlane_b32 s11, v57, 15
	s_subb_u32 s0, 0, s0
	s_mul_i32 s1, s8, s11
	s_mul_hi_u32 s9, s8, s10
	v_readlane_b32 s16, v57, 0
	s_add_i32 s1, s9, s1
	s_mul_i32 s0, s0, s10
	v_readlane_b32 s17, v57, 1
	v_readlane_b32 s20, v57, 10
	s_add_i32 s1, s1, s0
	s_mul_i32 s0, s8, s10
	v_readlane_b32 s21, v57, 11
	s_mul_i32 s8, s20, s17
	s_mul_hi_u32 s9, s20, s16
	s_add_i32 s8, s9, s8
	s_mul_i32 s9, s21, s16
	s_add_i32 s8, s8, s9
	s_mul_i32 s9, s20, s16
	v_readlane_b32 s16, v57, 4
	v_readlane_b32 s36, v57, 22
	;; [unrolled: 1-line block ×3, first 2 shown]
	s_sub_u32 s9, s16, s9
	v_readlane_b32 s38, v57, 24
	v_readlane_b32 s39, v57, 25
	s_subb_u32 s8, s17, s8
	s_mul_i32 s10, s9, s39
	s_mul_hi_u32 s11, s9, s38
	v_readlane_b32 s37, v57, 23
	s_add_i32 s10, s11, s10
	s_mul_i32 s8, s8, s38
	s_add_i32 s12, s10, s8
	s_mul_i32 s13, s9, s38
	s_mul_i32 s8, s20, s37
	s_mul_hi_u32 s9, s20, s36
	v_readlane_b32 s18, v57, 2
	v_readlane_b32 s19, v57, 3
	s_add_i32 s8, s9, s8
	s_mul_i32 s9, s21, s36
	s_add_i32 s14, s8, s9
	s_mul_i32 s8, s16, s19
	s_mul_hi_u32 s9, s16, s18
	s_add_i32 s8, s9, s8
	s_mul_i32 s9, s17, s18
	s_add_i32 s8, s8, s9
	s_mul_i32 s9, s16, s18
	v_readlane_b32 s18, v57, 20
	s_sub_u32 s9, s22, s9
	v_readlane_b32 s19, v57, 21
	s_subb_u32 s8, 0, s8
	s_mul_i32 s10, s9, s19
	s_mul_hi_u32 s11, s9, s18
	v_readlane_b32 s25, v57, 7
	s_add_i32 s10, s11, s10
	s_mul_i32 s8, s8, s18
	s_mul_i32 s17, s9, s18
	v_readlane_b32 s18, v57, 26
	s_add_i32 s16, s10, s8
	v_readlane_b32 s19, v57, 27
	s_mul_i32 s8, s18, s25
	s_mul_hi_u32 s9, s18, s24
	s_add_i32 s8, s9, s8
	s_mul_i32 s9, s19, s24
	s_mul_i32 s15, s20, s36
	s_add_i32 s8, s8, s9
	s_mul_i32 s9, s18, s24
	v_readlane_b32 s20, v57, 16
	s_sub_u32 s10, s28, s9
	v_readlane_b32 s22, v57, 18
	v_readlane_b32 s23, v57, 19
	s_subb_u32 s8, s29, s8
	s_mul_i32 s9, s10, s23
	s_mul_hi_u32 s11, s10, s22
	v_readlane_b32 s21, v57, 17
	s_add_i32 s9, s11, s9
	s_mul_i32 s8, s8, s22
	s_add_i32 s9, s9, s8
	s_mul_i32 s8, s10, s22
	s_mul_i32 s10, s18, s21
	s_mul_hi_u32 s11, s18, s20
	s_add_i32 s10, s11, s10
	s_mul_i32 s11, s19, s20
	s_add_i32 s11, s10, s11
	s_mul_i32 s10, s18, s20
	v_readlane_b32 s18, v57, 30
	v_readlane_b32 s19, v57, 31
	s_add_u32 s15, s18, s15
	s_addc_u32 s14, s19, s14
	s_add_u32 s13, s15, s13
	s_addc_u32 s14, s14, s12
	;; [unrolled: 2-line block ×3, first 2 shown]
	s_lshl_b64 s[10:11], s[10:11], 3
	v_readlane_b32 s14, v57, 28
	v_mov_b32_e32 v2, 0
	v_readlane_b32 s15, v57, 29
	s_add_u32 s10, s14, s10
	ds_read_b32 v0, v2 offset:5140
	s_addc_u32 s11, s15, s11
	s_lshl_b64 s[8:9], s[8:9], 3
	s_add_u32 s8, s10, s8
	s_addc_u32 s9, s11, s9
	s_lshl_b64 s[0:1], s[0:1], 3
	s_add_u32 s0, s8, s0
	s_addc_u32 s1, s9, s1
	s_waitcnt lgkmcnt(0)
	v_ashrrev_i32_e32 v1, 31, v0
	global_store_dwordx2 v2, v[0:1], s[0:1]
	global_store_byte v2, v46, s[12:13]
.LBB6_321:
	s_or_b64 exec, exec, s[2:3]
.LBB6_322:
	s_or_saveexec_b64 s[0:1], s[6:7]
	s_mov_b64 s[2:3], 0
	s_xor_b64 exec, exec, s[0:1]
	s_cbranch_execnz .LBB6_325
.LBB6_323:
	s_or_b64 exec, exec, s[0:1]
	s_and_b64 s[2:3], s[2:3], exec
	s_andn2_saveexec_b64 s[0:1], s[4:5]
	s_cbranch_execz .LBB6_299
.LBB6_324:
	s_or_b64 s[2:3], s[2:3], exec
	s_trap 2
	s_or_b64 exec, exec, s[0:1]
	s_and_saveexec_b64 s[0:1], s[2:3]
	s_cbranch_execnz .LBB6_300
	s_branch .LBB6_301
.LBB6_325:
	s_mov_b64 s[2:3], exec
	s_trap 2
	s_branch .LBB6_323
	.section	.rodata,"a",@progbits
	.p2align	6, 0x0
	.amdhsa_kernel _ZN2at6native12_GLOBAL__N_114gatherKthValueIhlLi3EEEvNS_4cuda6detail10TensorInfoIKT_T0_EES8_S8_S8_S8_NS5_IS6_S8_EENS5_IlS8_EE
		.amdhsa_group_segment_fixed_size 5144
		.amdhsa_private_segment_fixed_size 0
		.amdhsa_kernarg_size 1536
		.amdhsa_user_sgpr_count 6
		.amdhsa_user_sgpr_private_segment_buffer 1
		.amdhsa_user_sgpr_dispatch_ptr 0
		.amdhsa_user_sgpr_queue_ptr 0
		.amdhsa_user_sgpr_kernarg_segment_ptr 1
		.amdhsa_user_sgpr_dispatch_id 0
		.amdhsa_user_sgpr_flat_scratch_init 0
		.amdhsa_user_sgpr_private_segment_size 0
		.amdhsa_uses_dynamic_stack 0
		.amdhsa_system_sgpr_private_segment_wavefront_offset 0
		.amdhsa_system_sgpr_workgroup_id_x 1
		.amdhsa_system_sgpr_workgroup_id_y 1
		.amdhsa_system_sgpr_workgroup_id_z 1
		.amdhsa_system_sgpr_workgroup_info 0
		.amdhsa_system_vgpr_workitem_id 0
		.amdhsa_next_free_vgpr 58
		.amdhsa_next_free_sgpr 96
		.amdhsa_reserve_vcc 1
		.amdhsa_reserve_flat_scratch 0
		.amdhsa_float_round_mode_32 0
		.amdhsa_float_round_mode_16_64 0
		.amdhsa_float_denorm_mode_32 3
		.amdhsa_float_denorm_mode_16_64 3
		.amdhsa_dx10_clamp 1
		.amdhsa_ieee_mode 1
		.amdhsa_fp16_overflow 0
		.amdhsa_exception_fp_ieee_invalid_op 0
		.amdhsa_exception_fp_denorm_src 0
		.amdhsa_exception_fp_ieee_div_zero 0
		.amdhsa_exception_fp_ieee_overflow 0
		.amdhsa_exception_fp_ieee_underflow 0
		.amdhsa_exception_fp_ieee_inexact 0
		.amdhsa_exception_int_div_zero 0
	.end_amdhsa_kernel
	.section	.text._ZN2at6native12_GLOBAL__N_114gatherKthValueIhlLi3EEEvNS_4cuda6detail10TensorInfoIKT_T0_EES8_S8_S8_S8_NS5_IS6_S8_EENS5_IlS8_EE,"axG",@progbits,_ZN2at6native12_GLOBAL__N_114gatherKthValueIhlLi3EEEvNS_4cuda6detail10TensorInfoIKT_T0_EES8_S8_S8_S8_NS5_IS6_S8_EENS5_IlS8_EE,comdat
.Lfunc_end6:
	.size	_ZN2at6native12_GLOBAL__N_114gatherKthValueIhlLi3EEEvNS_4cuda6detail10TensorInfoIKT_T0_EES8_S8_S8_S8_NS5_IS6_S8_EENS5_IlS8_EE, .Lfunc_end6-_ZN2at6native12_GLOBAL__N_114gatherKthValueIhlLi3EEEvNS_4cuda6detail10TensorInfoIKT_T0_EES8_S8_S8_S8_NS5_IS6_S8_EENS5_IlS8_EE
                                        ; -- End function
	.set _ZN2at6native12_GLOBAL__N_114gatherKthValueIhlLi3EEEvNS_4cuda6detail10TensorInfoIKT_T0_EES8_S8_S8_S8_NS5_IS6_S8_EENS5_IlS8_EE.num_vgpr, 58
	.set _ZN2at6native12_GLOBAL__N_114gatherKthValueIhlLi3EEEvNS_4cuda6detail10TensorInfoIKT_T0_EES8_S8_S8_S8_NS5_IS6_S8_EENS5_IlS8_EE.num_agpr, 0
	.set _ZN2at6native12_GLOBAL__N_114gatherKthValueIhlLi3EEEvNS_4cuda6detail10TensorInfoIKT_T0_EES8_S8_S8_S8_NS5_IS6_S8_EENS5_IlS8_EE.numbered_sgpr, 96
	.set _ZN2at6native12_GLOBAL__N_114gatherKthValueIhlLi3EEEvNS_4cuda6detail10TensorInfoIKT_T0_EES8_S8_S8_S8_NS5_IS6_S8_EENS5_IlS8_EE.num_named_barrier, 0
	.set _ZN2at6native12_GLOBAL__N_114gatherKthValueIhlLi3EEEvNS_4cuda6detail10TensorInfoIKT_T0_EES8_S8_S8_S8_NS5_IS6_S8_EENS5_IlS8_EE.private_seg_size, 0
	.set _ZN2at6native12_GLOBAL__N_114gatherKthValueIhlLi3EEEvNS_4cuda6detail10TensorInfoIKT_T0_EES8_S8_S8_S8_NS5_IS6_S8_EENS5_IlS8_EE.uses_vcc, 1
	.set _ZN2at6native12_GLOBAL__N_114gatherKthValueIhlLi3EEEvNS_4cuda6detail10TensorInfoIKT_T0_EES8_S8_S8_S8_NS5_IS6_S8_EENS5_IlS8_EE.uses_flat_scratch, 0
	.set _ZN2at6native12_GLOBAL__N_114gatherKthValueIhlLi3EEEvNS_4cuda6detail10TensorInfoIKT_T0_EES8_S8_S8_S8_NS5_IS6_S8_EENS5_IlS8_EE.has_dyn_sized_stack, 0
	.set _ZN2at6native12_GLOBAL__N_114gatherKthValueIhlLi3EEEvNS_4cuda6detail10TensorInfoIKT_T0_EES8_S8_S8_S8_NS5_IS6_S8_EENS5_IlS8_EE.has_recursion, 0
	.set _ZN2at6native12_GLOBAL__N_114gatherKthValueIhlLi3EEEvNS_4cuda6detail10TensorInfoIKT_T0_EES8_S8_S8_S8_NS5_IS6_S8_EENS5_IlS8_EE.has_indirect_call, 0
	.section	.AMDGPU.csdata,"",@progbits
; Kernel info:
; codeLenInByte = 21184
; TotalNumSgprs: 100
; NumVgprs: 58
; ScratchSize: 0
; MemoryBound: 0
; FloatMode: 240
; IeeeMode: 1
; LDSByteSize: 5144 bytes/workgroup (compile time only)
; SGPRBlocks: 12
; VGPRBlocks: 14
; NumSGPRsForWavesPerEU: 100
; NumVGPRsForWavesPerEU: 58
; Occupancy: 4
; WaveLimiterHint : 1
; COMPUTE_PGM_RSRC2:SCRATCH_EN: 0
; COMPUTE_PGM_RSRC2:USER_SGPR: 6
; COMPUTE_PGM_RSRC2:TRAP_HANDLER: 0
; COMPUTE_PGM_RSRC2:TGID_X_EN: 1
; COMPUTE_PGM_RSRC2:TGID_Y_EN: 1
; COMPUTE_PGM_RSRC2:TGID_Z_EN: 1
; COMPUTE_PGM_RSRC2:TIDIG_COMP_CNT: 0
	.section	.text._ZN2at6native12_GLOBAL__N_114gatherKthValueIhlLin1EEEvNS_4cuda6detail10TensorInfoIKT_T0_EES8_S8_S8_S8_NS5_IS6_S8_EENS5_IlS8_EE,"axG",@progbits,_ZN2at6native12_GLOBAL__N_114gatherKthValueIhlLin1EEEvNS_4cuda6detail10TensorInfoIKT_T0_EES8_S8_S8_S8_NS5_IS6_S8_EENS5_IlS8_EE,comdat
	.globl	_ZN2at6native12_GLOBAL__N_114gatherKthValueIhlLin1EEEvNS_4cuda6detail10TensorInfoIKT_T0_EES8_S8_S8_S8_NS5_IS6_S8_EENS5_IlS8_EE ; -- Begin function _ZN2at6native12_GLOBAL__N_114gatherKthValueIhlLin1EEEvNS_4cuda6detail10TensorInfoIKT_T0_EES8_S8_S8_S8_NS5_IS6_S8_EENS5_IlS8_EE
	.p2align	8
	.type	_ZN2at6native12_GLOBAL__N_114gatherKthValueIhlLin1EEEvNS_4cuda6detail10TensorInfoIKT_T0_EES8_S8_S8_S8_NS5_IS6_S8_EENS5_IlS8_EE,@function
_ZN2at6native12_GLOBAL__N_114gatherKthValueIhlLin1EEEvNS_4cuda6detail10TensorInfoIKT_T0_EES8_S8_S8_S8_NS5_IS6_S8_EENS5_IlS8_EE: ; @_ZN2at6native12_GLOBAL__N_114gatherKthValueIhlLin1EEEvNS_4cuda6detail10TensorInfoIKT_T0_EES8_S8_S8_S8_NS5_IS6_S8_EENS5_IlS8_EE
; %bb.0:
	s_load_dwordx2 s[12:13], s[4:5], 0x500
	s_load_dwordx8 s[24:31], s[4:5], 0x1a0
	s_add_u32 s10, s4, 0x500
	s_addc_u32 s11, s5, 0
	s_mov_b32 s1, 0
	s_waitcnt lgkmcnt(0)
	s_mul_i32 s0, s13, s8
	s_add_i32 s0, s0, s7
	s_mul_i32 s0, s0, s12
	s_add_i32 s0, s0, s6
	v_mov_b32_e32 v2, s1
	v_mov_b32_e32 v1, s0
	v_cmp_le_i64_e32 vcc, s[28:29], v[1:2]
	s_cbranch_vccnz .LBB7_304
; %bb.1:
	s_load_dword s13, s[4:5], 0x198
	s_mov_b64 s[8:9], 0
	s_mov_b64 s[2:3], s[0:1]
	s_waitcnt lgkmcnt(0)
	s_cmp_lt_i32 s13, 2
	s_cbranch_scc1 .LBB7_9
; %bb.2:
	s_mov_b32 s14, 0
	s_add_i32 s2, s13, -1
	s_mov_b32 s3, s14
	s_add_i32 s7, s13, 1
	s_lshl_b64 s[2:3], s[2:3], 3
	s_add_u32 s2, s4, s2
	s_addc_u32 s3, s5, s3
	s_add_u32 s16, s2, 8
	s_addc_u32 s17, s3, 0
	s_mov_b64 s[18:19], s[0:1]
.LBB7_3:                                ; =>This Inner Loop Header: Depth=1
	s_load_dwordx2 s[20:21], s[16:17], 0x0
	s_waitcnt lgkmcnt(0)
	s_or_b64 s[2:3], s[18:19], s[20:21]
	s_mov_b32 s15, s3
	s_cmp_lg_u64 s[14:15], 0
	s_cbranch_scc0 .LBB7_8
; %bb.4:                                ;   in Loop: Header=BB7_3 Depth=1
	s_ashr_i32 s2, s21, 31
	s_add_u32 s22, s20, s2
	s_mov_b32 s3, s2
	s_addc_u32 s23, s21, s2
	s_xor_b64 s[22:23], s[22:23], s[2:3]
	v_cvt_f32_u32_e32 v1, s22
	v_cvt_f32_u32_e32 v2, s23
	s_sub_u32 s13, 0, s22
	s_subb_u32 s15, 0, s23
	v_mac_f32_e32 v1, 0x4f800000, v2
	v_rcp_f32_e32 v1, v1
	v_mul_f32_e32 v1, 0x5f7ffffc, v1
	v_mul_f32_e32 v2, 0x2f800000, v1
	v_trunc_f32_e32 v2, v2
	v_mac_f32_e32 v1, 0xcf800000, v2
	v_cvt_u32_f32_e32 v2, v2
	v_cvt_u32_f32_e32 v1, v1
	v_readfirstlane_b32 s33, v2
	v_readfirstlane_b32 s28, v1
	s_mul_i32 s29, s13, s33
	s_mul_hi_u32 s35, s13, s28
	s_mul_i32 s34, s15, s28
	s_add_i32 s29, s35, s29
	s_add_i32 s29, s29, s34
	s_mul_i32 s36, s13, s28
	s_mul_i32 s35, s28, s29
	s_mul_hi_u32 s37, s28, s36
	s_mul_hi_u32 s34, s28, s29
	s_add_u32 s35, s37, s35
	s_addc_u32 s34, 0, s34
	s_mul_hi_u32 s38, s33, s36
	s_mul_i32 s36, s33, s36
	s_add_u32 s35, s35, s36
	s_mul_hi_u32 s37, s33, s29
	s_addc_u32 s34, s34, s38
	s_addc_u32 s35, s37, 0
	s_mul_i32 s29, s33, s29
	s_add_u32 s29, s34, s29
	s_addc_u32 s34, 0, s35
	s_add_u32 s35, s28, s29
	s_cselect_b64 s[28:29], -1, 0
	s_cmp_lg_u64 s[28:29], 0
	s_addc_u32 s33, s33, s34
	s_mul_i32 s28, s13, s33
	s_mul_hi_u32 s29, s13, s35
	s_add_i32 s28, s29, s28
	s_mul_i32 s15, s15, s35
	s_add_i32 s28, s28, s15
	s_mul_i32 s13, s13, s35
	s_mul_hi_u32 s29, s33, s13
	s_mul_i32 s34, s33, s13
	s_mul_i32 s37, s35, s28
	s_mul_hi_u32 s13, s35, s13
	s_mul_hi_u32 s36, s35, s28
	s_add_u32 s13, s13, s37
	s_addc_u32 s36, 0, s36
	s_add_u32 s13, s13, s34
	s_mul_hi_u32 s15, s33, s28
	s_addc_u32 s13, s36, s29
	s_addc_u32 s15, s15, 0
	s_mul_i32 s28, s33, s28
	s_add_u32 s13, s13, s28
	s_addc_u32 s15, 0, s15
	s_add_u32 s13, s35, s13
	s_cselect_b64 s[28:29], -1, 0
	s_cmp_lg_u64 s[28:29], 0
	s_addc_u32 s15, s33, s15
	s_ashr_i32 s28, s19, 31
	s_add_u32 s34, s18, s28
	s_mov_b32 s29, s28
	s_addc_u32 s35, s19, s28
	s_xor_b64 s[34:35], s[34:35], s[28:29]
	s_mul_i32 s36, s34, s15
	s_mul_hi_u32 s37, s34, s13
	s_mul_hi_u32 s33, s34, s15
	s_add_u32 s36, s37, s36
	s_addc_u32 s33, 0, s33
	s_mul_hi_u32 s38, s35, s13
	s_mul_i32 s13, s35, s13
	s_add_u32 s13, s36, s13
	s_mul_hi_u32 s37, s35, s15
	s_addc_u32 s13, s33, s38
	s_addc_u32 s33, s37, 0
	s_mul_i32 s15, s35, s15
	s_add_u32 s13, s13, s15
	s_addc_u32 s15, 0, s33
	s_mul_i32 s33, s22, s15
	s_mul_hi_u32 s36, s22, s13
	s_add_i32 s33, s36, s33
	s_mul_i32 s36, s23, s13
	s_add_i32 s33, s33, s36
	s_sub_i32 s38, s35, s33
	s_mul_i32 s36, s22, s13
	s_sub_u32 s34, s34, s36
	s_cselect_b64 s[36:37], -1, 0
	s_cmp_lg_u64 s[36:37], 0
	s_subb_u32 s40, s38, s23
	s_sub_u32 s41, s34, s22
	s_cselect_b64 s[38:39], -1, 0
	s_cmp_lg_u64 s[38:39], 0
	s_subb_u32 s38, s40, 0
	s_cmp_ge_u32 s38, s23
	s_cselect_b32 s39, -1, 0
	s_cmp_ge_u32 s41, s22
	s_cselect_b32 s40, -1, 0
	s_cmp_eq_u32 s38, s23
	s_cselect_b32 s38, s40, s39
	s_add_u32 s39, s13, 1
	s_addc_u32 s40, s15, 0
	s_add_u32 s41, s13, 2
	s_addc_u32 s42, s15, 0
	s_cmp_lg_u32 s38, 0
	s_cselect_b32 s38, s41, s39
	s_cselect_b32 s39, s42, s40
	s_cmp_lg_u64 s[36:37], 0
	s_subb_u32 s33, s35, s33
	s_cmp_ge_u32 s33, s23
	s_cselect_b32 s35, -1, 0
	s_cmp_ge_u32 s34, s22
	s_cselect_b32 s22, -1, 0
	s_cmp_eq_u32 s33, s23
	s_cselect_b32 s22, s22, s35
	s_cmp_lg_u32 s22, 0
	s_cselect_b32 s23, s39, s15
	s_cselect_b32 s22, s38, s13
	s_xor_b64 s[2:3], s[28:29], s[2:3]
	s_xor_b64 s[22:23], s[22:23], s[2:3]
	s_sub_u32 s2, s22, s2
	s_subb_u32 s3, s23, s3
	s_cbranch_execnz .LBB7_6
.LBB7_5:                                ;   in Loop: Header=BB7_3 Depth=1
	v_cvt_f32_u32_e32 v1, s20
	s_sub_i32 s2, 0, s20
	v_rcp_iflag_f32_e32 v1, v1
	v_mul_f32_e32 v1, 0x4f7ffffe, v1
	v_cvt_u32_f32_e32 v1, v1
	v_readfirstlane_b32 s3, v1
	s_mul_i32 s2, s2, s3
	s_mul_hi_u32 s2, s3, s2
	s_add_i32 s3, s3, s2
	s_mul_hi_u32 s2, s18, s3
	s_mul_i32 s13, s2, s20
	s_sub_i32 s13, s18, s13
	s_add_i32 s3, s2, 1
	s_sub_i32 s15, s13, s20
	s_cmp_ge_u32 s13, s20
	s_cselect_b32 s2, s3, s2
	s_cselect_b32 s13, s15, s13
	s_add_i32 s3, s2, 1
	s_cmp_ge_u32 s13, s20
	s_cselect_b32 s2, s3, s2
	s_mov_b32 s3, s14
.LBB7_6:                                ;   in Loop: Header=BB7_3 Depth=1
	s_mul_i32 s13, s2, s21
	s_mul_hi_u32 s15, s2, s20
	s_load_dwordx2 s[22:23], s[16:17], 0xc8
	s_add_i32 s13, s15, s13
	s_mul_i32 s15, s3, s20
	s_add_i32 s13, s13, s15
	s_mul_i32 s15, s2, s20
	s_sub_u32 s15, s18, s15
	s_subb_u32 s13, s19, s13
	s_waitcnt lgkmcnt(0)
	s_mul_i32 s13, s22, s13
	s_mul_hi_u32 s18, s22, s15
	s_add_i32 s13, s18, s13
	s_mul_i32 s18, s23, s15
	s_add_i32 s13, s13, s18
	s_mul_i32 s15, s22, s15
	s_add_u32 s8, s15, s8
	s_addc_u32 s9, s13, s9
	s_add_i32 s7, s7, -1
	s_add_u32 s16, s16, -8
	s_addc_u32 s17, s17, -1
	s_cmp_gt_u32 s7, 2
	s_cbranch_scc0 .LBB7_9
; %bb.7:                                ;   in Loop: Header=BB7_3 Depth=1
	s_mov_b64 s[18:19], s[2:3]
	s_branch .LBB7_3
.LBB7_8:                                ;   in Loop: Header=BB7_3 Depth=1
                                        ; implicit-def: $sgpr2_sgpr3
	s_branch .LBB7_5
.LBB7_9:
	s_load_dword s13, s[4:5], 0x358
	s_load_dwordx2 s[14:15], s[4:5], 0xd0
	s_add_u32 s16, s4, 0x1c0
	s_addc_u32 s17, s5, 0
	s_mov_b64 s[22:23], 0
	s_waitcnt lgkmcnt(0)
	s_cmp_lt_i32 s13, 2
	s_mov_b64 s[28:29], s[0:1]
	s_cbranch_scc1 .LBB7_17
; %bb.10:
	s_mov_b32 s18, 0
	s_add_i32 s20, s13, -1
	s_mov_b32 s21, s18
	s_add_i32 s7, s13, 1
	s_lshl_b64 s[20:21], s[20:21], 3
	s_add_u32 s13, s16, s20
	s_addc_u32 s19, s17, s21
	s_add_u32 s20, s13, 8
	s_addc_u32 s21, s19, 0
	s_mov_b64 s[34:35], s[0:1]
.LBB7_11:                               ; =>This Inner Loop Header: Depth=1
	s_load_dwordx2 s[36:37], s[20:21], 0x0
	s_waitcnt lgkmcnt(0)
	s_or_b64 s[28:29], s[34:35], s[36:37]
	s_mov_b32 s19, s29
	s_cmp_lg_u64 s[18:19], 0
	s_cbranch_scc0 .LBB7_16
; %bb.12:                               ;   in Loop: Header=BB7_11 Depth=1
	s_ashr_i32 s28, s37, 31
	s_add_u32 s38, s36, s28
	s_mov_b32 s29, s28
	s_addc_u32 s39, s37, s28
	s_xor_b64 s[38:39], s[38:39], s[28:29]
	v_cvt_f32_u32_e32 v1, s38
	v_cvt_f32_u32_e32 v2, s39
	s_sub_u32 s13, 0, s38
	s_subb_u32 s19, 0, s39
	v_mac_f32_e32 v1, 0x4f800000, v2
	v_rcp_f32_e32 v1, v1
	v_mul_f32_e32 v1, 0x5f7ffffc, v1
	v_mul_f32_e32 v2, 0x2f800000, v1
	v_trunc_f32_e32 v2, v2
	v_mac_f32_e32 v1, 0xcf800000, v2
	v_cvt_u32_f32_e32 v2, v2
	v_cvt_u32_f32_e32 v1, v1
	v_readfirstlane_b32 s33, v2
	v_readfirstlane_b32 s40, v1
	s_mul_i32 s41, s13, s33
	s_mul_hi_u32 s43, s13, s40
	s_mul_i32 s42, s19, s40
	s_add_i32 s41, s43, s41
	s_add_i32 s41, s41, s42
	s_mul_i32 s44, s13, s40
	s_mul_i32 s43, s40, s41
	s_mul_hi_u32 s45, s40, s44
	s_mul_hi_u32 s42, s40, s41
	s_add_u32 s43, s45, s43
	s_addc_u32 s42, 0, s42
	s_mul_hi_u32 s46, s33, s44
	s_mul_i32 s44, s33, s44
	s_add_u32 s43, s43, s44
	s_mul_hi_u32 s45, s33, s41
	s_addc_u32 s42, s42, s46
	s_addc_u32 s43, s45, 0
	s_mul_i32 s41, s33, s41
	s_add_u32 s41, s42, s41
	s_addc_u32 s42, 0, s43
	s_add_u32 s43, s40, s41
	s_cselect_b64 s[40:41], -1, 0
	s_cmp_lg_u64 s[40:41], 0
	s_addc_u32 s33, s33, s42
	s_mul_i32 s40, s13, s33
	s_mul_hi_u32 s41, s13, s43
	s_add_i32 s40, s41, s40
	s_mul_i32 s19, s19, s43
	s_add_i32 s40, s40, s19
	s_mul_i32 s13, s13, s43
	s_mul_hi_u32 s41, s33, s13
	s_mul_i32 s42, s33, s13
	s_mul_i32 s45, s43, s40
	s_mul_hi_u32 s13, s43, s13
	s_mul_hi_u32 s44, s43, s40
	s_add_u32 s13, s13, s45
	s_addc_u32 s44, 0, s44
	s_add_u32 s13, s13, s42
	s_mul_hi_u32 s19, s33, s40
	s_addc_u32 s13, s44, s41
	s_addc_u32 s19, s19, 0
	s_mul_i32 s40, s33, s40
	s_add_u32 s13, s13, s40
	s_addc_u32 s19, 0, s19
	s_add_u32 s13, s43, s13
	s_cselect_b64 s[40:41], -1, 0
	s_cmp_lg_u64 s[40:41], 0
	s_addc_u32 s19, s33, s19
	s_ashr_i32 s40, s35, 31
	s_add_u32 s42, s34, s40
	s_mov_b32 s41, s40
	s_addc_u32 s43, s35, s40
	s_xor_b64 s[42:43], s[42:43], s[40:41]
	s_mul_i32 s44, s42, s19
	s_mul_hi_u32 s45, s42, s13
	s_mul_hi_u32 s33, s42, s19
	s_add_u32 s44, s45, s44
	s_addc_u32 s33, 0, s33
	s_mul_hi_u32 s46, s43, s13
	s_mul_i32 s13, s43, s13
	s_add_u32 s13, s44, s13
	s_mul_hi_u32 s45, s43, s19
	s_addc_u32 s13, s33, s46
	s_addc_u32 s33, s45, 0
	s_mul_i32 s19, s43, s19
	s_add_u32 s13, s13, s19
	s_addc_u32 s19, 0, s33
	s_mul_i32 s33, s38, s19
	s_mul_hi_u32 s44, s38, s13
	s_add_i32 s33, s44, s33
	s_mul_i32 s44, s39, s13
	s_add_i32 s33, s33, s44
	s_sub_i32 s46, s43, s33
	s_mul_i32 s44, s38, s13
	s_sub_u32 s42, s42, s44
	s_cselect_b64 s[44:45], -1, 0
	s_cmp_lg_u64 s[44:45], 0
	s_subb_u32 s48, s46, s39
	s_sub_u32 s49, s42, s38
	s_cselect_b64 s[46:47], -1, 0
	s_cmp_lg_u64 s[46:47], 0
	s_subb_u32 s46, s48, 0
	s_cmp_ge_u32 s46, s39
	s_cselect_b32 s47, -1, 0
	s_cmp_ge_u32 s49, s38
	s_cselect_b32 s48, -1, 0
	s_cmp_eq_u32 s46, s39
	s_cselect_b32 s46, s48, s47
	s_add_u32 s47, s13, 1
	s_addc_u32 s48, s19, 0
	s_add_u32 s49, s13, 2
	s_addc_u32 s50, s19, 0
	s_cmp_lg_u32 s46, 0
	s_cselect_b32 s46, s49, s47
	s_cselect_b32 s47, s50, s48
	s_cmp_lg_u64 s[44:45], 0
	s_subb_u32 s33, s43, s33
	s_cmp_ge_u32 s33, s39
	s_cselect_b32 s43, -1, 0
	s_cmp_ge_u32 s42, s38
	s_cselect_b32 s38, -1, 0
	s_cmp_eq_u32 s33, s39
	s_cselect_b32 s33, s38, s43
	s_cmp_lg_u32 s33, 0
	s_cselect_b32 s39, s47, s19
	s_cselect_b32 s38, s46, s13
	s_xor_b64 s[28:29], s[40:41], s[28:29]
	s_xor_b64 s[38:39], s[38:39], s[28:29]
	s_sub_u32 s28, s38, s28
	s_subb_u32 s29, s39, s29
	s_cbranch_execnz .LBB7_14
.LBB7_13:                               ;   in Loop: Header=BB7_11 Depth=1
	v_cvt_f32_u32_e32 v1, s36
	s_sub_i32 s13, 0, s36
	v_rcp_iflag_f32_e32 v1, v1
	v_mul_f32_e32 v1, 0x4f7ffffe, v1
	v_cvt_u32_f32_e32 v1, v1
	v_readfirstlane_b32 s19, v1
	s_mul_i32 s13, s13, s19
	s_mul_hi_u32 s13, s19, s13
	s_add_i32 s19, s19, s13
	s_mul_hi_u32 s13, s34, s19
	s_mul_i32 s28, s13, s36
	s_sub_i32 s28, s34, s28
	s_add_i32 s19, s13, 1
	s_sub_i32 s29, s28, s36
	s_cmp_ge_u32 s28, s36
	s_cselect_b32 s13, s19, s13
	s_cselect_b32 s28, s29, s28
	s_add_i32 s19, s13, 1
	s_cmp_ge_u32 s28, s36
	s_cselect_b32 s28, s19, s13
	s_mov_b32 s29, s18
.LBB7_14:                               ;   in Loop: Header=BB7_11 Depth=1
	s_mul_i32 s13, s28, s37
	s_mul_hi_u32 s19, s28, s36
	s_load_dwordx2 s[38:39], s[20:21], 0xc8
	s_add_i32 s13, s19, s13
	s_mul_i32 s19, s29, s36
	s_add_i32 s13, s13, s19
	s_mul_i32 s19, s28, s36
	s_sub_u32 s19, s34, s19
	s_subb_u32 s13, s35, s13
	s_waitcnt lgkmcnt(0)
	s_mul_i32 s13, s38, s13
	s_mul_hi_u32 s33, s38, s19
	s_add_i32 s13, s33, s13
	s_mul_i32 s33, s39, s19
	s_add_i32 s13, s13, s33
	s_mul_i32 s19, s38, s19
	s_add_u32 s22, s19, s22
	s_addc_u32 s23, s13, s23
	s_add_i32 s7, s7, -1
	s_add_u32 s20, s20, -8
	s_addc_u32 s21, s21, -1
	s_cmp_gt_u32 s7, 2
	s_cbranch_scc0 .LBB7_17
; %bb.15:                               ;   in Loop: Header=BB7_11 Depth=1
	s_mov_b64 s[34:35], s[28:29]
	s_branch .LBB7_11
.LBB7_16:                               ;   in Loop: Header=BB7_11 Depth=1
                                        ; implicit-def: $sgpr28_sgpr29
	s_branch .LBB7_13
.LBB7_17:
	s_load_dword s18, s[4:5], 0x4f8
	s_load_dwordx2 s[20:21], s[16:17], 0xd0
	s_add_u32 s13, s4, 0x360
                                        ; implicit-def: $vgpr57 : SGPR spill to VGPR lane
                                        ; kill: killed $sgpr16 killed $sgpr17
	s_addc_u32 s17, s5, 0
	s_mov_b64 s[34:35], 0
	s_waitcnt lgkmcnt(0)
	s_cmp_lt_i32 s18, 2
	v_writelane_b32 v57, s20, 0
	v_writelane_b32 v57, s21, 1
	s_cbranch_scc1 .LBB7_25
; %bb.18:
	s_mov_b32 s16, 0
	s_add_i32 s7, s18, 1
	s_add_i32 s18, s18, -1
	s_mov_b32 s19, s16
	s_lshl_b64 s[18:19], s[18:19], 3
	s_add_u32 s13, s13, s18
	s_addc_u32 s17, s17, s19
	s_add_u32 s18, s13, 8
	s_addc_u32 s19, s17, 0
.LBB7_19:                               ; =>This Inner Loop Header: Depth=1
	s_load_dwordx2 s[20:21], s[18:19], 0x0
	s_waitcnt lgkmcnt(0)
	s_or_b64 s[36:37], s[0:1], s[20:21]
	s_mov_b32 s17, s37
	s_cmp_lg_u64 s[16:17], 0
	s_cbranch_scc0 .LBB7_24
; %bb.20:                               ;   in Loop: Header=BB7_19 Depth=1
	s_ashr_i32 s36, s21, 31
	s_add_u32 s38, s20, s36
	s_mov_b32 s37, s36
	s_addc_u32 s39, s21, s36
	s_xor_b64 s[38:39], s[38:39], s[36:37]
	v_cvt_f32_u32_e32 v1, s38
	v_cvt_f32_u32_e32 v2, s39
	s_sub_u32 s13, 0, s38
	s_subb_u32 s17, 0, s39
	v_mac_f32_e32 v1, 0x4f800000, v2
	v_rcp_f32_e32 v1, v1
	v_mul_f32_e32 v1, 0x5f7ffffc, v1
	v_mul_f32_e32 v2, 0x2f800000, v1
	v_trunc_f32_e32 v2, v2
	v_mac_f32_e32 v1, 0xcf800000, v2
	v_cvt_u32_f32_e32 v2, v2
	v_cvt_u32_f32_e32 v1, v1
	v_readfirstlane_b32 s33, v2
	v_readfirstlane_b32 s40, v1
	s_mul_i32 s41, s13, s33
	s_mul_hi_u32 s43, s13, s40
	s_mul_i32 s42, s17, s40
	s_add_i32 s41, s43, s41
	s_add_i32 s41, s41, s42
	s_mul_i32 s44, s13, s40
	s_mul_i32 s43, s40, s41
	s_mul_hi_u32 s45, s40, s44
	s_mul_hi_u32 s42, s40, s41
	s_add_u32 s43, s45, s43
	s_addc_u32 s42, 0, s42
	s_mul_hi_u32 s46, s33, s44
	s_mul_i32 s44, s33, s44
	s_add_u32 s43, s43, s44
	s_mul_hi_u32 s45, s33, s41
	s_addc_u32 s42, s42, s46
	s_addc_u32 s43, s45, 0
	s_mul_i32 s41, s33, s41
	s_add_u32 s41, s42, s41
	s_addc_u32 s42, 0, s43
	s_add_u32 s43, s40, s41
	s_cselect_b64 s[40:41], -1, 0
	s_cmp_lg_u64 s[40:41], 0
	s_addc_u32 s33, s33, s42
	s_mul_i32 s40, s13, s33
	s_mul_hi_u32 s41, s13, s43
	s_add_i32 s40, s41, s40
	s_mul_i32 s17, s17, s43
	s_add_i32 s40, s40, s17
	s_mul_i32 s13, s13, s43
	s_mul_hi_u32 s41, s33, s13
	s_mul_i32 s42, s33, s13
	s_mul_i32 s45, s43, s40
	s_mul_hi_u32 s13, s43, s13
	s_mul_hi_u32 s44, s43, s40
	s_add_u32 s13, s13, s45
	s_addc_u32 s44, 0, s44
	s_add_u32 s13, s13, s42
	s_mul_hi_u32 s17, s33, s40
	s_addc_u32 s13, s44, s41
	s_addc_u32 s17, s17, 0
	s_mul_i32 s40, s33, s40
	s_add_u32 s13, s13, s40
	s_addc_u32 s17, 0, s17
	s_add_u32 s13, s43, s13
	s_cselect_b64 s[40:41], -1, 0
	s_cmp_lg_u64 s[40:41], 0
	s_addc_u32 s17, s33, s17
	s_ashr_i32 s40, s1, 31
	s_add_u32 s42, s0, s40
	s_mov_b32 s41, s40
	s_addc_u32 s43, s1, s40
	s_xor_b64 s[42:43], s[42:43], s[40:41]
	s_mul_i32 s44, s42, s17
	s_mul_hi_u32 s45, s42, s13
	s_mul_hi_u32 s33, s42, s17
	s_add_u32 s44, s45, s44
	s_addc_u32 s33, 0, s33
	s_mul_hi_u32 s46, s43, s13
	s_mul_i32 s13, s43, s13
	s_add_u32 s13, s44, s13
	s_mul_hi_u32 s45, s43, s17
	s_addc_u32 s13, s33, s46
	s_addc_u32 s33, s45, 0
	s_mul_i32 s17, s43, s17
	s_add_u32 s13, s13, s17
	s_addc_u32 s17, 0, s33
	s_mul_i32 s33, s38, s17
	s_mul_hi_u32 s44, s38, s13
	s_add_i32 s33, s44, s33
	s_mul_i32 s44, s39, s13
	s_add_i32 s33, s33, s44
	s_sub_i32 s46, s43, s33
	s_mul_i32 s44, s38, s13
	s_sub_u32 s42, s42, s44
	s_cselect_b64 s[44:45], -1, 0
	s_cmp_lg_u64 s[44:45], 0
	s_subb_u32 s48, s46, s39
	s_sub_u32 s49, s42, s38
	s_cselect_b64 s[46:47], -1, 0
	s_cmp_lg_u64 s[46:47], 0
	s_subb_u32 s46, s48, 0
	s_cmp_ge_u32 s46, s39
	s_cselect_b32 s47, -1, 0
	s_cmp_ge_u32 s49, s38
	s_cselect_b32 s48, -1, 0
	s_cmp_eq_u32 s46, s39
	s_cselect_b32 s46, s48, s47
	s_add_u32 s47, s13, 1
	s_addc_u32 s48, s17, 0
	s_add_u32 s49, s13, 2
	s_addc_u32 s50, s17, 0
	s_cmp_lg_u32 s46, 0
	s_cselect_b32 s46, s49, s47
	s_cselect_b32 s47, s50, s48
	s_cmp_lg_u64 s[44:45], 0
	s_subb_u32 s33, s43, s33
	s_cmp_ge_u32 s33, s39
	s_cselect_b32 s43, -1, 0
	s_cmp_ge_u32 s42, s38
	s_cselect_b32 s38, -1, 0
	s_cmp_eq_u32 s33, s39
	s_cselect_b32 s33, s38, s43
	s_cmp_lg_u32 s33, 0
	s_cselect_b32 s39, s47, s17
	s_cselect_b32 s38, s46, s13
	s_xor_b64 s[36:37], s[40:41], s[36:37]
	s_xor_b64 s[38:39], s[38:39], s[36:37]
	s_sub_u32 s38, s38, s36
	s_subb_u32 s39, s39, s37
	s_cbranch_execnz .LBB7_22
.LBB7_21:                               ;   in Loop: Header=BB7_19 Depth=1
	v_cvt_f32_u32_e32 v1, s20
	s_sub_i32 s13, 0, s20
	s_mov_b32 s39, s16
	v_rcp_iflag_f32_e32 v1, v1
	v_mul_f32_e32 v1, 0x4f7ffffe, v1
	v_cvt_u32_f32_e32 v1, v1
	v_readfirstlane_b32 s17, v1
	s_mul_i32 s13, s13, s17
	s_mul_hi_u32 s13, s17, s13
	s_add_i32 s17, s17, s13
	s_mul_hi_u32 s13, s0, s17
	s_mul_i32 s33, s13, s20
	s_sub_i32 s33, s0, s33
	s_add_i32 s17, s13, 1
	s_sub_i32 s36, s33, s20
	s_cmp_ge_u32 s33, s20
	s_cselect_b32 s13, s17, s13
	s_cselect_b32 s33, s36, s33
	s_add_i32 s17, s13, 1
	s_cmp_ge_u32 s33, s20
	s_cselect_b32 s38, s17, s13
.LBB7_22:                               ;   in Loop: Header=BB7_19 Depth=1
	s_mul_i32 s13, s38, s21
	s_mul_hi_u32 s17, s38, s20
	s_load_dwordx2 s[36:37], s[18:19], 0xc8
	s_add_i32 s13, s17, s13
	s_mul_i32 s17, s39, s20
	s_add_i32 s13, s13, s17
	s_mul_i32 s17, s38, s20
	s_sub_u32 s0, s0, s17
	s_subb_u32 s1, s1, s13
	s_waitcnt lgkmcnt(0)
	s_mul_i32 s1, s36, s1
	s_mul_hi_u32 s13, s36, s0
	s_add_i32 s1, s13, s1
	s_mul_i32 s13, s37, s0
	s_add_i32 s1, s1, s13
	s_mul_i32 s0, s36, s0
	s_add_u32 s34, s0, s34
	s_addc_u32 s35, s1, s35
	s_add_i32 s7, s7, -1
	s_add_u32 s18, s18, -8
	s_addc_u32 s19, s19, -1
	s_cmp_gt_u32 s7, 2
	s_cbranch_scc0 .LBB7_26
; %bb.23:                               ;   in Loop: Header=BB7_19 Depth=1
	s_mov_b64 s[0:1], s[38:39]
	s_branch .LBB7_19
.LBB7_24:                               ;   in Loop: Header=BB7_19 Depth=1
                                        ; implicit-def: $sgpr38_sgpr39
	s_branch .LBB7_21
.LBB7_25:
	s_mov_b64 s[38:39], s[0:1]
.LBB7_26:
	s_load_dwordx2 s[0:1], s[4:5], 0x430
	s_mov_b32 s47, 0
                                        ; kill: killed $sgpr4 killed $sgpr5
	s_waitcnt lgkmcnt(0)
	v_writelane_b32 v57, s0, 2
	v_writelane_b32 v57, s1, 3
	s_load_dwordx2 s[16:17], s[4:5], 0x0
	s_load_dwordx2 s[0:1], s[4:5], 0x1c0
	s_waitcnt lgkmcnt(0)
	v_writelane_b32 v57, s0, 4
	v_writelane_b32 v57, s1, 5
	s_load_dwordx2 s[0:1], s[4:5], 0x360
	v_cmp_eq_u32_e64 s[4:5], 0, v0
	s_waitcnt lgkmcnt(0)
	v_writelane_b32 v57, s0, 6
	v_writelane_b32 v57, s1, 7
	s_mov_b64 s[0:1], exec
	v_writelane_b32 v57, s4, 8
	v_writelane_b32 v57, s5, 9
	s_and_b64 s[4:5], s[0:1], s[4:5]
	s_mov_b64 exec, s[4:5]
	s_cbranch_execz .LBB7_28
; %bb.27:
	v_mov_b32_e32 v1, 0
	v_mov_b32_e32 v3, s24
	;; [unrolled: 1-line block ×4, first 2 shown]
	ds_write_b32 v1, v1 offset:5136
	ds_write_b128 v1, v[1:4] offset:5120
.LBB7_28:
	s_or_b64 exec, exec, s[0:1]
	s_mul_i32 s0, s14, s3
	s_mul_hi_u32 s1, s14, s2
	s_add_i32 s0, s1, s0
	s_mul_i32 s1, s15, s2
	s_add_i32 s4, s0, s1
	s_mul_i32 s5, s14, s2
	s_add_u32 s0, s16, s5
	s_addc_u32 s1, s17, s4
	s_add_u32 s48, s0, s8
	s_addc_u32 s49, s1, s9
	v_mbcnt_lo_u32_b32 v1, -1, 0
	v_mad_u64_u32 v[4:5], s[0:1], s30, v0, 0
	v_mbcnt_hi_u32_b32 v32, -1, v1
	v_cmp_gt_u32_e32 vcc, 64, v0
	v_cmp_gt_i32_e64 s[2:3], 4, v32
	s_and_b64 s[0:1], vcc, s[2:3]
	v_writelane_b32 v57, s0, 10
	v_mov_b32_e32 v1, v5
	v_mov_b32_e32 v5, 0xc00
	v_writelane_b32 v57, s1, 11
	v_mad_u64_u32 v[1:2], s[0:1], s31, v0, v[1:2]
	v_mov_b32_e32 v6, 0
	v_cmp_gt_i64_e64 s[0:1], s[24:25], v[5:6]
	s_waitcnt lgkmcnt(0)
	v_writelane_b32 v57, s0, 12
	s_barrier
	v_writelane_b32 v57, s1, 13
	s_load_dword s0, s[10:11], 0xc
	v_mov_b32_e32 v2, s49
	v_add_co_u32_e32 v14, vcc, s48, v4
	v_mov_b32_e32 v3, 0
	s_waitcnt lgkmcnt(0)
	s_and_b32 s33, s0, 0xffff
	s_bfe_u32 s0, s0, 0xa0006
	s_cmp_gt_u32 s33, 63
	s_cselect_b64 s[2:3], -1, 0
	v_writelane_b32 v57, s2, 14
	s_add_u32 s1, s33, -1
	v_writelane_b32 v57, s3, 15
	s_addc_u32 s2, 0, -1
	v_addc_co_u32_e32 v15, vcc, v2, v1, vcc
	v_writelane_b32 v57, s1, 16
	s_add_u32 s1, s1, s24
	v_add_u32_e32 v2, 2, v0
	s_addc_u32 s55, s2, s25
	v_cmp_gt_i64_e32 vcc, s[24:25], v[2:3]
	s_cmp_lt_u32 s6, s12
	v_mov_b32_e32 v6, s25
	v_writelane_b32 v57, s1, 17
	s_cselect_b32 s1, 12, 18
	v_cndmask_b32_e32 v7, 0, v6, vcc
	v_mov_b32_e32 v6, s24
	v_writelane_b32 v57, s2, 18
	s_add_u32 s2, s10, s1
	v_cndmask_b32_e32 v2, v2, v6, vcc
	v_not_b32_e32 v6, v0
	s_addc_u32 s3, s11, 0
	v_add_co_u32_e32 v6, vcc, v2, v6
	v_writelane_b32 v57, s2, 19
	v_addc_co_u32_e32 v7, vcc, -1, v7, vcc
	v_writelane_b32 v57, s3, 20
	v_cmp_lt_u64_e64 s[2:3], 3, v[6:7]
	v_and_b32_e32 v18, -4, v6
	v_writelane_b32 v57, s2, 21
	v_mov_b32_e32 v19, v7
	v_writelane_b32 v57, s3, 22
	v_cmp_ne_u64_e64 s[2:3], v[6:7], v[18:19]
	s_add_i32 s1, s0, -1
	v_writelane_b32 v57, s2, 23
	v_writelane_b32 v57, s3, 24
	s_bfe_u32 s2, s33, 0x30006
	s_and_b32 s1, s1, 0xffff
	s_cmp_gt_u32 s1, 6
	s_cselect_b64 s[6:7], -1, 0
	v_writelane_b32 v57, s6, 25
	s_and_b32 s3, s0, 0x3f8
	v_writelane_b32 v57, s7, 26
	s_cmp_lg_u32 s2, 0
	v_lshlrev_b32_e32 v16, 2, v0
	v_writelane_b32 v57, s2, 27
	s_cselect_b64 s[0:1], -1, 0
	v_writelane_b32 v57, s0, 28
	v_or_b32_e32 v6, 3, v16
	v_writelane_b32 v57, s1, 29
	v_mad_u64_u32 v[20:21], s[0:1], s30, v6, 0
	s_add_u32 s2, s8, s5
	s_addc_u32 s0, s9, s4
	s_add_u32 s4, s16, s2
	v_or_b32_e32 v11, 2, v16
	s_addc_u32 s5, s17, s0
	v_mov_b32_e32 v2, v21
	v_mad_u64_u32 v[21:22], s[0:1], s30, v11, 0
	v_mov_b32_e32 v9, s30
	v_mad_u64_u32 v[6:7], s[0:1], s31, v6, v[2:3]
	v_mov_b32_e32 v2, s5
	v_writelane_b32 v57, s4, 30
	v_add_co_u32_e32 v12, vcc, s4, v4
	v_mov_b32_e32 v10, s31
	v_mov_b32_e32 v5, v1
	v_addc_co_u32_e32 v13, vcc, v2, v1, vcc
	v_mov_b32_e32 v1, v22
	v_mad_u64_u32 v[22:23], s[0:1], s30, v16, v[9:10]
	v_lshlrev_b64 v[7:8], v32, -1
	v_mad_u64_u32 v[1:2], s[0:1], s31, v11, v[1:2]
	v_mov_b32_e32 v2, v23
	v_not_b32_e32 v33, v8
	v_mad_u64_u32 v[8:9], s[0:1], s31, v16, v[2:3]
	v_writelane_b32 v57, s5, 31
	v_cmp_gt_u32_e64 s[0:1], 2, v0
	v_mov_b32_e32 v36, v1
	v_writelane_b32 v57, s0, 32
	v_mov_b32_e32 v1, v3
	v_writelane_b32 v57, s1, 33
	v_cmp_gt_i64_e64 s[0:1], s[24:25], v[0:1]
	v_lshlrev_b32_e32 v2, 2, v32
	v_and_b32_e32 v38, 0x100, v2
	v_lshrrev_b32_e32 v2, 1, v0
	v_writelane_b32 v57, s0, 34
	v_and_b32_e32 v2, 0x1e0, v2
	v_writelane_b32 v57, s1, 35
	v_or_b32_e32 v39, 0xc00, v2
	s_mov_b32 s0, s31
	v_mov_b32_e32 v2, s25
	v_add_co_u32_e32 v40, vcc, s24, v0
	v_writelane_b32 v57, s0, 36
	v_lshlrev_b64 v[23:24], 2, v[4:5]
	v_addc_co_u32_e32 v41, vcc, 0, v2, vcc
	v_mov_b32_e32 v2, 0xc00
	s_mul_i32 s0, s31, s33
	s_mul_hi_u32 s1, s30, s33
	v_mov_b32_e32 v26, s26
	v_not_b32_e32 v34, v7
	v_mov_b32_e32 v35, v6
	v_mov_b32_e32 v37, v8
	v_cmp_eq_u32_e64 s[10:11], 0, v32
	v_mov_b32_e32 v17, v3
	s_mov_b32 s62, s30
	s_mov_b32 s54, s31
	;; [unrolled: 1-line block ×8, first 2 shown]
	s_lshl_b64 s[64:65], s[30:31], 2
	v_lshl_or_b32 v42, v32, 3, v2
	s_add_i32 s52, s1, s0
	s_mul_i32 s53, s30, s33
	s_mov_b64 s[66:67], 0
	s_mov_b32 s50, 0xc0c0004
	s_mov_b32 s63, 0
	v_mov_b32_e32 v44, 8
	v_mov_b32_e32 v46, 0
	;; [unrolled: 1-line block ×4, first 2 shown]
	v_add_co_u32_e32 v25, vcc, v18, v0
	v_mov_b32_e32 v27, s27
	s_mov_b32 s56, s31
                                        ; implicit-def: $sgpr68_sgpr69
                                        ; implicit-def: $sgpr72_sgpr73
                                        ; implicit-def: $sgpr70_sgpr71
                                        ; implicit-def: $sgpr76_sgpr77
                                        ; implicit-def: $sgpr78_sgpr79
                                        ; implicit-def: $sgpr74_sgpr75
	v_writelane_b32 v57, s54, 37
	s_branch .LBB7_32
.LBB7_29:                               ;   in Loop: Header=BB7_32 Depth=1
	s_or_b64 exec, exec, s[16:17]
	s_and_b64 s[6:7], s[6:7], exec
	s_andn2_b64 s[82:83], s[82:83], exec
	s_andn2_b64 s[14:15], s[14:15], exec
	s_orn2_b64 s[20:21], s[8:9], exec
.LBB7_30:                               ;   in Loop: Header=BB7_32 Depth=1
	s_or_b64 exec, exec, s[4:5]
	s_andn2_b64 s[0:1], s[74:75], exec
	s_and_b64 s[4:5], s[6:7], exec
	s_or_b64 s[74:75], s[0:1], s[4:5]
	s_andn2_b64 s[0:1], s[78:79], exec
	s_and_b64 s[4:5], s[82:83], exec
	s_or_b64 s[78:79], s[0:1], s[4:5]
	;; [unrolled: 3-line block ×3, first 2 shown]
	s_orn2_b64 s[14:15], s[20:21], exec
.LBB7_31:                               ;   in Loop: Header=BB7_32 Depth=1
	s_or_b64 exec, exec, s[18:19]
	s_and_b64 s[0:1], exec, s[14:15]
	s_or_b64 s[66:67], s[0:1], s[66:67]
	s_andn2_b64 s[0:1], s[70:71], exec
	s_and_b64 s[4:5], s[74:75], exec
	s_or_b64 s[70:71], s[0:1], s[4:5]
	s_andn2_b64 s[0:1], s[72:73], exec
	s_and_b64 s[4:5], s[78:79], exec
	;; [unrolled: 3-line block ×3, first 2 shown]
	v_mov_b32_e32 v27, v9
	s_or_b64 s[68:69], s[0:1], s[4:5]
	v_mov_b32_e32 v26, v8
	s_andn2_b64 exec, exec, s[66:67]
	s_cbranch_execz .LBB7_300
.LBB7_32:                               ; =>This Loop Header: Depth=1
                                        ;     Child Loop BB7_37 Depth 2
                                        ;     Child Loop BB7_51 Depth 2
	;; [unrolled: 1-line block ×17, first 2 shown]
	ds_read_b128 v[4:7], v3 offset:5120
	s_waitcnt lgkmcnt(0)
	v_readfirstlane_b32 s27, v5
	v_readfirstlane_b32 s26, v4
	v_cmp_gt_i64_e64 s[0:1], s[26:27], 0
	s_and_b64 vcc, exec, s[0:1]
	s_cbranch_vccnz .LBB7_64
; %bb.33:                               ;   in Loop: Header=BB7_32 Depth=1
	v_readlane_b32 s0, v57, 12
	v_readlane_b32 s1, v57, 13
	s_and_b64 vcc, exec, s[0:1]
	s_cbranch_vccz .LBB7_45
; %bb.34:                               ;   in Loop: Header=BB7_32 Depth=1
	s_mov_b64 s[0:1], 0xc01
	v_cmp_gt_i64_e32 vcc, s[0:1], v[6:7]
	s_mov_b64 s[6:7], 0
	s_mov_b64 s[4:5], 0
	s_cbranch_vccz .LBB7_46
; %bb.35:                               ;   in Loop: Header=BB7_32 Depth=1
	v_readlane_b32 s0, v57, 19
	v_readlane_b32 s1, v57, 20
	s_nop 4
	global_load_ushort v6, v3, s[0:1]
	global_load_ubyte v2, v[14:15], off
	v_readlane_b32 s0, v57, 30
	v_readlane_b32 s1, v57, 31
	v_mov_b32_e32 v5, s1
	v_mov_b32_e32 v4, s0
	s_waitcnt vmcnt(1)
	v_and_b32_e32 v8, 0xffff, v6
	v_readfirstlane_b32 s8, v6
	v_add_co_u32_e32 v6, vcc, v0, v8
	v_addc_co_u32_e64 v7, s[0:1], 0, 0, vcc
	v_mul_lo_u32 v7, s30, v7
	v_mul_lo_u32 v9, s31, v6
	v_mad_u64_u32 v[4:5], s[0:1], s30, v6, v[4:5]
	s_and_b32 s8, 0xffff, s8
	s_mul_i32 s0, s31, s8
	s_mul_hi_u32 s1, s30, s8
	v_add3_u32 v5, v9, v5, v7
	v_mov_b32_e32 v7, v1
	s_mul_i32 s20, s30, s8
	s_add_i32 s21, s1, s0
	v_mov_b32_e32 v6, v0
	s_branch .LBB7_37
.LBB7_36:                               ;   in Loop: Header=BB7_37 Depth=2
	s_or_b64 exec, exec, s[0:1]
	v_mov_b32_e32 v2, s21
	v_add_co_u32_e32 v4, vcc, s20, v4
	v_addc_co_u32_e32 v5, vcc, v5, v2, vcc
	v_mov_b32_e32 v2, v9
	s_andn2_b64 exec, exec, s[4:5]
	s_cbranch_execz .LBB7_98
.LBB7_37:                               ;   Parent Loop BB7_32 Depth=1
                                        ; =>  This Inner Loop Header: Depth=2
	v_add_co_u32_e32 v6, vcc, v6, v8
	v_addc_co_u32_e32 v7, vcc, 0, v7, vcc
	v_cmp_gt_i64_e64 s[14:15], s[24:25], v[6:7]
	v_cmp_le_i64_e32 vcc, s[24:25], v[6:7]
	s_waitcnt lgkmcnt(0)
	v_mov_b32_e32 v10, 0
	v_mov_b32_e32 v9, 0
	s_and_saveexec_b64 s[0:1], s[14:15]
	s_cbranch_execz .LBB7_39
; %bb.38:                               ;   in Loop: Header=BB7_37 Depth=2
	global_load_ubyte v9, v[4:5], off
.LBB7_39:                               ;   in Loop: Header=BB7_37 Depth=2
	s_or_b64 exec, exec, s[0:1]
	s_waitcnt vmcnt(0)
	v_and_b32_e32 v11, v2, v45
	v_cmp_eq_u32_sdwa s[8:9], v11, v43 src0_sel:BYTE_0 src1_sel:DWORD
	s_cmp_lg_u64 s[8:9], 0
	s_cselect_b64 s[0:1], -1, 0
	s_and_b64 s[0:1], s[10:11], s[0:1]
	s_and_saveexec_b64 s[16:17], s[0:1]
	s_cbranch_execz .LBB7_43
; %bb.40:                               ;   in Loop: Header=BB7_37 Depth=2
	s_mov_b64 s[18:19], exec
	v_mbcnt_lo_u32_b32 v10, s18, 0
	v_mbcnt_hi_u32_b32 v10, s19, v10
	s_bcnt1_i32_b64 s27, s[8:9]
	v_cmp_eq_u32_e64 s[14:15], 0, v10
                                        ; implicit-def: $vgpr11
	s_and_saveexec_b64 s[0:1], s[14:15]
; %bb.41:                               ;   in Loop: Header=BB7_37 Depth=2
	s_bcnt1_i32_b64 s14, s[18:19]
	s_mul_i32 s14, s27, s14
	v_mov_b32_e32 v11, s14
	ds_add_rtn_u32 v11, v3, v11 offset:5136
; %bb.42:                               ;   in Loop: Header=BB7_37 Depth=2
	s_or_b64 exec, exec, s[0:1]
	s_waitcnt lgkmcnt(0)
	v_readfirstlane_b32 s0, v11
	v_mov_b32_e32 v11, s0
	v_mad_u32_u24 v10, s27, v10, v11
.LBB7_43:                               ;   in Loop: Header=BB7_37 Depth=2
	s_or_b64 exec, exec, s[16:17]
	ds_bpermute_b32 v10, v38, v10
	s_and_b64 s[0:1], exec, vcc
	s_or_b64 s[4:5], s[0:1], s[4:5]
	s_and_saveexec_b64 s[0:1], s[8:9]
	s_cbranch_execz .LBB7_36
; %bb.44:                               ;   in Loop: Header=BB7_37 Depth=2
	v_and_b32_e32 v28, s8, v34
	v_and_b32_e32 v11, s9, v33
	v_bcnt_u32_b32 v28, v28, 0
	v_bcnt_u32_b32 v11, v11, v28
	s_waitcnt lgkmcnt(0)
	v_add_u32_e32 v10, v10, v11
	ds_write_b8 v10, v2
	s_branch .LBB7_36
.LBB7_45:                               ;   in Loop: Header=BB7_32 Depth=1
	s_mov_b64 s[6:7], -1
	s_mov_b64 s[4:5], 0
.LBB7_46:                               ;   in Loop: Header=BB7_32 Depth=1
	s_and_b64 vcc, exec, s[6:7]
	s_cbranch_vccz .LBB7_62
.LBB7_47:                               ;   in Loop: Header=BB7_32 Depth=1
	s_mov_b64 s[16:17], exec
	v_readlane_b32 s0, v57, 34
	v_readlane_b32 s1, v57, 35
	s_and_b64 s[0:1], s[16:17], s[0:1]
	s_mov_b64 exec, s[0:1]
	s_cbranch_execz .LBB7_59
; %bb.48:                               ;   in Loop: Header=BB7_32 Depth=1
	v_readlane_b32 s0, v57, 19
	v_readlane_b32 s1, v57, 20
	s_nop 4
	global_load_ushort v2, v3, s[0:1]
	global_load_ubyte v30, v[14:15], off
	v_mov_b32_e32 v8, v0
	s_waitcnt vmcnt(1)
	v_readfirstlane_b32 s0, v2
	v_add_u32_sdwa v2, v2, v0 dst_sel:DWORD dst_unused:UNUSED_PAD src0_sel:WORD_0 src1_sel:DWORD
	v_cmp_gt_i64_e32 vcc, s[24:25], v[2:3]
	s_and_saveexec_b64 s[18:19], vcc
	s_cbranch_execz .LBB7_58
; %bb.49:                               ;   in Loop: Header=BB7_32 Depth=1
	s_and_b32 s0, s0, 0xffff
	s_cmp_eq_u32 s0, 1
	v_readlane_b32 s6, v57, 21
                                        ; implicit-def: $vgpr8_vgpr9
	s_cselect_b64 s[4:5], -1, 0
	v_readlane_b32 s7, v57, 22
	v_mov_b32_e32 v10, v1
	v_mov_b32_e32 v5, v3
	s_and_b64 s[8:9], s[6:7], s[4:5]
	s_mov_b64 s[4:5], -1
	v_mov_b32_e32 v9, v0
	v_mov_b32_e32 v4, v2
	s_and_saveexec_b64 s[6:7], s[8:9]
	s_cbranch_execz .LBB7_53
; %bb.50:                               ;   in Loop: Header=BB7_32 Depth=1
	v_add_co_u32_e32 v8, vcc, 3, v2
	v_addc_co_u32_e64 v9, s[4:5], 0, 0, vcc
	v_add_co_u32_e32 v6, vcc, 2, v2
	v_addc_co_u32_e64 v7, s[4:5], 0, 0, vcc
	v_add_co_u32_e32 v4, vcc, 1, v2
	v_addc_co_u32_e64 v5, s[4:5], 0, 0, vcc
	v_mov_b32_e32 v29, v19
	v_mov_b32_e32 v11, v9
	s_waitcnt vmcnt(0)
	v_lshlrev_b32_e32 v47, 24, v30
	s_mov_b64 s[14:15], 0
	v_mov_b32_e32 v28, v18
	v_mov_b32_e32 v31, v0
	;; [unrolled: 1-line block ×9, first 2 shown]
	v_readlane_b32 s8, v57, 36
.LBB7_51:                               ;   Parent Loop BB7_32 Depth=1
                                        ; =>  This Inner Loop Header: Depth=2
	v_mul_lo_u32 v30, v9, s2
	v_mul_lo_u32 v50, v8, s57
	v_mad_u64_u32 v[48:49], s[4:5], v8, s2, 0
	v_mul_lo_u32 v51, v7, s12
	v_mul_lo_u32 v52, v6, s46
	v_add3_u32 v30, v49, v50, v30
	v_mad_u64_u32 v[49:50], s[4:5], v6, s12, 0
	v_mul_lo_u32 v54, v4, s54
	v_mul_lo_u32 v56, v11, s51
	v_add3_u32 v53, v50, v52, v51
	v_mul_lo_u32 v52, v5, s62
	v_mad_u64_u32 v[50:51], s[4:5], v4, s62, 0
	s_mov_b32 s1, 0xc0c0007
	v_add3_u32 v51, v51, v54, v52
	v_add_co_u32_e32 v50, vcc, s48, v50
	v_mov_b32_e32 v54, s49
	v_addc_co_u32_e32 v51, vcc, v54, v51, vcc
	v_add_co_u32_e32 v52, vcc, s48, v49
	v_addc_co_u32_e32 v53, vcc, v54, v53, vcc
	v_add_co_u32_e32 v48, vcc, s48, v48
	v_addc_co_u32_e32 v49, vcc, v54, v30, vcc
	v_mov_b32_e32 v55, s49
	v_mov_b32_e32 v54, s48
	v_mad_u64_u32 v[54:55], s[4:5], v10, s51, v[54:55]
	v_mul_lo_u32 v30, v10, s8
	v_add_co_u32_e32 v10, vcc, 4, v10
	v_addc_co_u32_e32 v11, vcc, 0, v11, vcc
	v_add3_u32 v55, v56, v55, v30
	global_load_ubyte v30, v[54:55], off
	s_nop 0
	global_load_ubyte v52, v[52:53], off
	s_nop 0
	global_load_ubyte v50, v[50:51], off
	v_add_co_u32_e32 v8, vcc, 4, v8
	global_load_ubyte v48, v[48:49], off
	v_addc_co_u32_e32 v9, vcc, 0, v9, vcc
	v_add_co_u32_e32 v6, vcc, 4, v6
	v_addc_co_u32_e32 v7, vcc, 0, v7, vcc
	v_add_co_u32_e32 v4, vcc, 4, v4
	v_addc_co_u32_e32 v5, vcc, 0, v5, vcc
	v_add_co_u32_e32 v28, vcc, -4, v28
	v_addc_co_u32_e32 v29, vcc, -1, v29, vcc
	v_cmp_eq_u64_e32 vcc, 0, v[28:29]
	s_or_b64 s[14:15], vcc, s[14:15]
	s_waitcnt vmcnt(1)
	v_perm_b32 v51, v50, v52, s50
	v_perm_b32 v47, v47, v50, s1
	s_waitcnt vmcnt(0)
	v_perm_b32 v49, v48, v30, s50
	v_perm_b32 v48, v52, v48, s50
	v_lshl_or_b32 v49, v49, 16, v51
	v_lshl_or_b32 v47, v48, 16, v47
	ds_write_b32 v31, v47
	v_add_u32_e32 v31, 4, v31
	v_mov_b32_e32 v47, v49
	s_andn2_b64 exec, exec, s[14:15]
	s_cbranch_execnz .LBB7_51
; %bb.52:                               ;   in Loop: Header=BB7_32 Depth=1
	s_or_b64 exec, exec, s[14:15]
	v_readlane_b32 s4, v57, 23
	v_add_co_u32_e32 v4, vcc, v2, v18
	v_readlane_b32 s5, v57, 24
	v_addc_co_u32_e32 v5, vcc, 0, v19, vcc
	v_add_co_u32_e32 v8, vcc, -1, v4
	s_orn2_b64 s[4:5], s[4:5], exec
	v_mov_b32_e32 v9, v25
	v_mov_b32_e32 v10, v26
.LBB7_53:                               ;   in Loop: Header=BB7_32 Depth=1
	s_or_b64 exec, exec, s[6:7]
	s_and_saveexec_b64 s[6:7], s[4:5]
	s_cbranch_execz .LBB7_57
; %bb.54:                               ;   in Loop: Header=BB7_32 Depth=1
	v_readlane_b32 s4, v57, 30
	v_readlane_b32 s5, v57, 31
	v_mov_b32_e32 v7, s5
	v_mov_b32_e32 v6, s4
	v_mad_u64_u32 v[6:7], s[4:5], s30, v4, v[6:7]
	v_mul_lo_u32 v2, s30, v5
	v_mul_lo_u32 v8, s31, v4
	s_mul_i32 s8, s31, s0
	s_mul_hi_u32 s9, s30, s0
	s_mov_b64 s[4:5], 0
	s_sub_u32 s1, 0, s0
	v_add3_u32 v7, v8, v7, v2
	s_add_i32 s8, s9, s8
	s_mul_i32 s9, s30, s0
.LBB7_55:                               ;   Parent Loop BB7_32 Depth=1
                                        ; =>  This Inner Loop Header: Depth=2
	global_load_ubyte v2, v[6:7], off
	v_mov_b32_e32 v11, v5
	v_mov_b32_e32 v10, v4
	v_add_co_u32_e32 v4, vcc, s0, v10
	v_addc_co_u32_e32 v5, vcc, 0, v11, vcc
	v_add_co_u32_e32 v6, vcc, s9, v6
	v_mov_b32_e32 v8, s8
	v_addc_co_u32_e32 v7, vcc, v7, v8, vcc
	v_cmp_le_i64_e32 vcc, s[24:25], v[4:5]
	s_waitcnt vmcnt(1)
	ds_write_b8 v9, v30
	v_add_co_u32_e64 v8, s[14:15], s1, v4
	s_or_b64 s[4:5], vcc, s[4:5]
	v_mov_b32_e32 v9, v10
	v_mov_b32_e32 v10, v11
	s_waitcnt vmcnt(0)
	v_mov_b32_e32 v30, v2
	s_andn2_b64 exec, exec, s[4:5]
	s_cbranch_execnz .LBB7_55
; %bb.56:                               ;   in Loop: Header=BB7_32 Depth=1
	s_or_b64 exec, exec, s[4:5]
	v_mov_b32_e32 v30, v2
.LBB7_57:                               ;   in Loop: Header=BB7_32 Depth=1
	s_or_b64 exec, exec, s[6:7]
.LBB7_58:                               ;   in Loop: Header=BB7_32 Depth=1
	s_or_b64 exec, exec, s[18:19]
	s_waitcnt vmcnt(0)
	ds_write_b8 v8, v30
.LBB7_59:                               ;   in Loop: Header=BB7_32 Depth=1
	s_or_b64 exec, exec, s[16:17]
	s_waitcnt lgkmcnt(0)
	s_barrier
	s_mov_b64 s[0:1], exec
	v_readlane_b32 s4, v57, 8
	v_readlane_b32 s5, v57, 9
	s_and_b64 s[4:5], s[0:1], s[4:5]
	s_mov_b64 exec, s[4:5]
; %bb.60:                               ;   in Loop: Header=BB7_32 Depth=1
	v_mov_b32_e32 v4, s24
	v_mov_b32_e32 v5, s25
	ds_write_b64 v3, v[4:5] offset:5120
; %bb.61:                               ;   in Loop: Header=BB7_32 Depth=1
	s_or_b64 exec, exec, s[0:1]
	s_waitcnt lgkmcnt(0)
	s_barrier
	s_mov_b64 s[4:5], -1
.LBB7_62:                               ;   in Loop: Header=BB7_32 Depth=1
	s_and_b64 vcc, exec, s[4:5]
	s_cbranch_vccz .LBB7_64
; %bb.63:                               ;   in Loop: Header=BB7_32 Depth=1
	ds_read_b64 v[4:5], v3 offset:5120
	s_waitcnt lgkmcnt(0)
	v_readfirstlane_b32 s26, v4
.LBB7_64:                               ;   in Loop: Header=BB7_32 Depth=1
	s_cmp_lt_i32 s26, 1
	s_mov_b64 s[4:5], -1
                                        ; implicit-def: $vgpr10_vgpr11
                                        ; implicit-def: $vgpr6_vgpr7
	s_cbranch_scc1 .LBB7_74
; %bb.65:                               ;   in Loop: Header=BB7_32 Depth=1
	s_and_b64 vcc, exec, s[4:5]
	s_cbranch_vccnz .LBB7_88
.LBB7_66:                               ;   in Loop: Header=BB7_32 Depth=1
	s_lshl_b32 s0, s63, 6
	s_and_saveexec_b64 s[4:5], s[10:11]
	s_cbranch_execz .LBB7_68
.LBB7_67:                               ;   in Loop: Header=BB7_32 Depth=1
	v_lshl_add_u32 v2, s0, 3, v39
	ds_write_b128 v2, v[4:7]
	ds_write_b128 v2, v[8:11] offset:16
.LBB7_68:                               ;   in Loop: Header=BB7_32 Depth=1
	s_or_b64 exec, exec, s[4:5]
	s_waitcnt lgkmcnt(0)
	s_barrier
	s_mov_b64 s[6:7], exec
	v_readlane_b32 s4, v57, 10
	v_readlane_b32 s5, v57, 11
	s_and_b64 s[4:5], s[6:7], s[4:5]
	s_mov_b64 exec, s[4:5]
	s_cbranch_execz .LBB7_106
; %bb.69:                               ;   in Loop: Header=BB7_32 Depth=1
	v_readlane_b32 s4, v57, 14
	v_mov_b32_e32 v4, 0
	v_readlane_b32 s5, v57, 15
	v_mov_b32_e32 v5, 0
	s_andn2_b64 vcc, exec, s[4:5]
	s_cbranch_vccnz .LBB7_105
; %bb.70:                               ;   in Loop: Header=BB7_32 Depth=1
	v_readlane_b32 s4, v57, 25
	v_readlane_b32 s5, v57, 26
	s_andn2_b64 vcc, exec, s[4:5]
	s_cbranch_vccnz .LBB7_101
; %bb.71:                               ;   in Loop: Header=BB7_32 Depth=1
	v_mov_b32_e32 v4, 0
	v_lshl_add_u32 v2, s63, 9, v42
	v_mov_b32_e32 v5, 0
	s_mov_b32 s1, 0
.LBB7_72:                               ;   Parent Loop BB7_32 Depth=1
                                        ; =>  This Inner Loop Header: Depth=2
	ds_read2_b64 v[6:9], v2 offset1:4
	ds_read2_b64 v[28:31], v2 offset0:8 offset1:12
	ds_read2_b64 v[47:50], v2 offset0:16 offset1:20
	;; [unrolled: 1-line block ×3, first 2 shown]
	s_add_i32 s1, s1, 8
	s_waitcnt lgkmcnt(3)
	v_add_co_u32_e32 v4, vcc, v6, v4
	v_addc_co_u32_e32 v5, vcc, v7, v5, vcc
	v_add_co_u32_e32 v4, vcc, v8, v4
	v_addc_co_u32_e32 v5, vcc, v9, v5, vcc
	s_waitcnt lgkmcnt(2)
	v_add_co_u32_e32 v4, vcc, v28, v4
	v_addc_co_u32_e32 v5, vcc, v29, v5, vcc
	v_add_co_u32_e32 v4, vcc, v30, v4
	v_addc_co_u32_e32 v5, vcc, v31, v5, vcc
	s_waitcnt lgkmcnt(1)
	v_add_co_u32_e32 v4, vcc, v47, v4
	v_addc_co_u32_e32 v5, vcc, v48, v5, vcc
	v_add_co_u32_e32 v4, vcc, v49, v4
	v_addc_co_u32_e32 v5, vcc, v50, v5, vcc
	s_waitcnt lgkmcnt(0)
	v_add_co_u32_e32 v4, vcc, v51, v4
	v_addc_co_u32_e32 v5, vcc, v52, v5, vcc
	v_add_co_u32_e32 v4, vcc, v53, v4
	v_add_u32_e32 v2, 0x100, v2
	s_cmp_eq_u32 s3, s1
	v_addc_co_u32_e32 v5, vcc, v54, v5, vcc
	s_cbranch_scc0 .LBB7_72
; %bb.73:                               ;   in Loop: Header=BB7_32 Depth=1
	s_mov_b32 s1, s3
	s_branch .LBB7_102
.LBB7_74:                               ;   in Loop: Header=BB7_32 Depth=1
	v_readlane_b32 s0, v57, 19
	v_readlane_b32 s1, v57, 20
	s_nop 4
	global_load_ushort v2, v3, s[0:1]
	s_mov_b32 s0, s47
	s_waitcnt vmcnt(0)
	v_readfirstlane_b32 s1, v2
	s_and_b32 s8, s1, 0xffff
	s_lshl_b32 s4, s8, 2
	s_mov_b32 s1, s25
	s_cmp_lg_u64 s[0:1], 0
	s_cbranch_scc0 .LBB7_97
; %bb.75:                               ;   in Loop: Header=BB7_32 Depth=1
	s_add_u32 s0, s4, 0
	s_addc_u32 s1, 0, 0
	s_xor_b64 s[6:7], s[0:1], 0
	v_cvt_f32_u32_e32 v2, s6
	v_cvt_f32_u32_e32 v4, s7
	s_sub_u32 s5, 0, s6
	s_subb_u32 s9, 0, s7
	v_mac_f32_e32 v2, 0x4f800000, v4
	v_rcp_f32_e32 v2, v2
	v_mul_f32_e32 v2, 0x5f7ffffc, v2
	v_mul_f32_e32 v4, 0x2f800000, v2
	v_trunc_f32_e32 v4, v4
	v_mac_f32_e32 v2, 0xcf800000, v4
	v_cvt_u32_f32_e32 v4, v4
	v_cvt_u32_f32_e32 v2, v2
	v_readfirstlane_b32 s14, v4
	v_readfirstlane_b32 s0, v2
	s_mul_i32 s1, s5, s14
	s_mul_hi_u32 s16, s5, s0
	s_mul_i32 s15, s9, s0
	s_add_i32 s1, s16, s1
	s_mul_i32 s17, s5, s0
	s_add_i32 s1, s1, s15
	s_mul_i32 s16, s0, s1
	s_mul_hi_u32 s18, s0, s17
	s_mul_hi_u32 s15, s0, s1
	s_add_u32 s16, s18, s16
	s_addc_u32 s15, 0, s15
	s_mul_hi_u32 s19, s14, s17
	s_mul_i32 s17, s14, s17
	s_add_u32 s16, s16, s17
	s_mul_hi_u32 s18, s14, s1
	s_addc_u32 s15, s15, s19
	s_addc_u32 s16, s18, 0
	s_mul_i32 s1, s14, s1
	s_add_u32 s1, s15, s1
	s_addc_u32 s15, 0, s16
	s_add_u32 s16, s0, s1
	s_cselect_b64 s[0:1], -1, 0
	s_cmp_lg_u64 s[0:1], 0
	s_addc_u32 s14, s14, s15
	s_mul_i32 s0, s5, s14
	s_mul_hi_u32 s1, s5, s16
	s_add_i32 s0, s1, s0
	s_mul_i32 s9, s9, s16
	s_add_i32 s0, s0, s9
	s_mul_i32 s5, s5, s16
	s_mul_hi_u32 s9, s14, s5
	s_mul_i32 s15, s14, s5
	s_mul_i32 s18, s16, s0
	s_mul_hi_u32 s5, s16, s5
	s_mul_hi_u32 s17, s16, s0
	s_add_u32 s5, s5, s18
	s_addc_u32 s17, 0, s17
	s_add_u32 s5, s5, s15
	s_mul_hi_u32 s1, s14, s0
	s_addc_u32 s5, s17, s9
	s_addc_u32 s1, s1, 0
	s_mul_i32 s0, s14, s0
	s_add_u32 s0, s5, s0
	s_addc_u32 s5, 0, s1
	s_add_u32 s9, s16, s0
	s_cselect_b64 s[0:1], -1, 0
	s_cmp_lg_u64 s[0:1], 0
	s_addc_u32 s5, s14, s5
	s_ashr_i32 s0, s25, 31
	s_add_u32 s14, s24, s0
	s_mov_b32 s1, s0
	s_addc_u32 s15, s25, s0
	s_xor_b64 s[14:15], s[14:15], s[0:1]
	s_mul_i32 s17, s14, s5
	s_mul_hi_u32 s18, s14, s9
	s_mul_hi_u32 s16, s14, s5
	s_add_u32 s17, s18, s17
	s_addc_u32 s16, 0, s16
	s_mul_hi_u32 s19, s15, s9
	s_mul_i32 s9, s15, s9
	s_add_u32 s9, s17, s9
	s_mul_hi_u32 s18, s15, s5
	s_addc_u32 s9, s16, s19
	s_addc_u32 s16, s18, 0
	s_mul_i32 s5, s15, s5
	s_add_u32 s5, s9, s5
	s_addc_u32 s9, 0, s16
	s_mul_i32 s9, s6, s9
	s_mul_hi_u32 s16, s6, s5
	s_add_i32 s9, s16, s9
	s_mul_i32 s16, s7, s5
	s_add_i32 s9, s9, s16
	s_sub_i32 s18, s15, s9
	s_mul_i32 s5, s6, s5
	s_sub_u32 s5, s14, s5
	s_cselect_b64 s[16:17], -1, 0
	s_cmp_lg_u64 s[16:17], 0
	s_subb_u32 s14, s18, s7
	s_sub_u32 s20, s5, s6
	s_cselect_b64 s[18:19], -1, 0
	s_cmp_lg_u64 s[18:19], 0
	s_subb_u32 s21, s14, 0
	s_cmp_ge_u32 s21, s7
	s_cselect_b32 s27, -1, 0
	s_cmp_ge_u32 s20, s6
	s_cselect_b32 s36, -1, 0
	s_cmp_eq_u32 s21, s7
	s_cselect_b32 s27, s36, s27
	s_cmp_lg_u64 s[18:19], 0
	s_subb_u32 s14, s14, s7
	s_sub_u32 s36, s20, s6
	s_cselect_b64 s[18:19], -1, 0
	s_cmp_lg_u64 s[18:19], 0
	s_subb_u32 s14, s14, 0
	s_cmp_lg_u32 s27, 0
	s_cselect_b32 s18, s36, s20
	s_cselect_b32 s14, s14, s21
	s_cmp_lg_u64 s[16:17], 0
	s_subb_u32 s9, s15, s9
	s_cmp_ge_u32 s9, s7
	s_cselect_b32 s15, -1, 0
	s_cmp_ge_u32 s5, s6
	s_cselect_b32 s6, -1, 0
	s_cmp_eq_u32 s9, s7
	s_cselect_b32 s6, s6, s15
	s_cmp_lg_u32 s6, 0
	s_cselect_b32 s7, s14, s9
	s_cselect_b32 s6, s18, s5
	s_xor_b64 s[6:7], s[6:7], s[0:1]
	s_sub_u32 s80, s6, s0
	s_subb_u32 s81, s7, s0
	s_cbranch_execnz .LBB7_77
.LBB7_76:                               ;   in Loop: Header=BB7_32 Depth=1
	v_cvt_f32_u32_e32 v2, s4
	s_sub_i32 s0, 0, s4
	v_rcp_iflag_f32_e32 v2, v2
	v_mul_f32_e32 v2, 0x4f7ffffe, v2
	v_cvt_u32_f32_e32 v2, v2
	v_readfirstlane_b32 s1, v2
	s_mul_i32 s0, s0, s1
	s_mul_hi_u32 s0, s1, s0
	s_add_i32 s1, s1, s0
	s_mul_hi_u32 s0, s24, s1
	s_mul_i32 s0, s0, s4
	s_sub_i32 s0, s24, s0
	s_sub_i32 s1, s0, s4
	s_cmp_ge_u32 s0, s4
	s_cselect_b32 s0, s1, s0
	s_sub_i32 s1, s0, s4
	s_cmp_ge_u32 s0, s4
	s_cselect_b32 s46, s1, s0
	s_mov_b64 s[80:81], s[46:47]
	s_mov_b32 s46, s56
.LBB7_77:                               ;   in Loop: Header=BB7_32 Depth=1
	s_sub_u32 s82, s24, s80
	s_subb_u32 s83, s25, s81
	v_cmp_gt_i64_e32 vcc, s[82:83], v[16:17]
	v_mov_b32_e32 v4, 0
	v_mov_b32_e32 v6, 0
	;; [unrolled: 1-line block ×8, first 2 shown]
	s_and_saveexec_b64 s[84:85], vcc
	s_cbranch_execz .LBB7_81
; %bb.78:                               ;   in Loop: Header=BB7_32 Depth=1
	s_mul_i32 s0, s65, s8
	s_mul_hi_u32 s1, s64, s8
	v_mov_b32_e32 v29, v17
	s_add_i32 s0, s1, s0
	s_mov_b64 s[86:87], 0
	s_mov_b64 s[88:89], s[48:49]
	;; [unrolled: 1-line block ×6, first 2 shown]
	v_mov_b32_e32 v28, v16
.LBB7_79:                               ;   Parent Loop BB7_32 Depth=1
                                        ; =>  This Inner Loop Header: Depth=2
	v_add_co_u32_e32 v4, vcc, s88, v23
	v_mov_b32_e32 v2, s89
	v_addc_co_u32_e32 v5, vcc, v2, v24, vcc
	global_load_ubyte v6, v[4:5], off
	v_add_co_u32_e32 v4, vcc, s88, v22
	v_addc_co_u32_e32 v5, vcc, v2, v37, vcc
	global_load_ubyte v7, v[4:5], off
	v_add_co_u32_e32 v4, vcc, s88, v21
	;; [unrolled: 3-line block ×3, first 2 shown]
	v_addc_co_u32_e32 v5, vcc, v2, v35, vcc
	global_load_ubyte v2, v[4:5], off
	s_waitcnt vmcnt(3)
	v_and_b32_e32 v4, v45, v6
	v_cmp_eq_u32_e32 vcc, v4, v43
	s_waitcnt vmcnt(2)
	v_and_b32_e32 v4, v45, v7
	v_cmp_eq_u32_e64 s[14:15], v4, v43
	v_bfe_u32 v5, v7, s13, 2
	s_waitcnt vmcnt(1)
	v_and_b32_e32 v4, v45, v8
	v_cmp_eq_u32_e64 s[16:17], v4, v43
	s_waitcnt vmcnt(0)
	v_and_b32_e32 v4, v45, v2
	v_cmp_eq_u32_e64 s[18:19], v4, v43
	v_bfe_u32 v4, v6, s13, 2
	v_cmp_eq_u32_e64 s[20:21], 0, v4
	v_bfe_u32 v6, v8, s13, 2
	s_and_b64 s[6:7], vcc, s[20:21]
	v_cmp_eq_u32_e64 s[20:21], 0, v5
	v_bfe_u32 v2, v2, s13, 2
	s_and_b64 s[36:37], s[14:15], s[20:21]
	v_cmp_eq_u32_e64 s[20:21], 0, v6
	s_and_b64 s[42:43], s[16:17], s[20:21]
	v_cmp_eq_u32_e64 s[20:21], 0, v2
	v_cndmask_b32_e64 v7, 0, 1, s[6:7]
	s_and_b64 s[44:45], s[18:19], s[20:21]
	v_cmp_ne_u32_e64 s[20:21], 0, v7
	v_cndmask_b32_e64 v7, 0, 1, s[36:37]
	s_bcnt1_i32_b64 s1, s[20:21]
	v_cmp_ne_u32_e64 s[20:21], 0, v7
	v_cndmask_b32_e64 v7, 0, 1, s[42:43]
	s_bcnt1_i32_b64 s5, s[20:21]
	;; [unrolled: 3-line block ×3, first 2 shown]
	v_cmp_ne_u32_e64 s[20:21], 0, v7
	s_bcnt1_i32_b64 s7, s[20:21]
	s_add_u32 s1, s1, s40
	s_addc_u32 s9, 0, s41
	s_add_u32 s1, s1, s5
	s_addc_u32 s5, s9, 0
	;; [unrolled: 2-line block ×3, first 2 shown]
	s_add_u32 s40, s1, s7
	v_cmp_eq_u32_e64 s[20:21], 1, v4
	s_addc_u32 s41, s5, 0
	s_and_b64 s[6:7], vcc, s[20:21]
	v_cmp_eq_u32_e64 s[20:21], 1, v5
	s_and_b64 s[36:37], s[14:15], s[20:21]
	v_cmp_eq_u32_e64 s[20:21], 1, v6
	s_and_b64 s[42:43], s[16:17], s[20:21]
	v_cmp_eq_u32_e64 s[20:21], 1, v2
	v_cndmask_b32_e64 v7, 0, 1, s[6:7]
	s_and_b64 s[44:45], s[18:19], s[20:21]
	v_cmp_ne_u32_e64 s[20:21], 0, v7
	v_cndmask_b32_e64 v7, 0, 1, s[36:37]
	s_bcnt1_i32_b64 s1, s[20:21]
	v_cmp_ne_u32_e64 s[20:21], 0, v7
	v_cndmask_b32_e64 v7, 0, 1, s[42:43]
	s_bcnt1_i32_b64 s5, s[20:21]
	;; [unrolled: 3-line block ×3, first 2 shown]
	v_cmp_ne_u32_e64 s[20:21], 0, v7
	s_bcnt1_i32_b64 s7, s[20:21]
	s_add_u32 s1, s1, s94
	s_addc_u32 s9, 0, s95
	s_add_u32 s1, s1, s5
	s_addc_u32 s5, s9, 0
	;; [unrolled: 2-line block ×3, first 2 shown]
	s_add_u32 s94, s1, s7
	v_cmp_eq_u32_e64 s[20:21], 2, v4
	s_addc_u32 s95, s5, 0
	s_and_b64 s[6:7], vcc, s[20:21]
	v_cmp_eq_u32_e64 s[20:21], 2, v5
	s_and_b64 s[36:37], s[14:15], s[20:21]
	v_cmp_eq_u32_e64 s[20:21], 2, v6
	s_and_b64 s[42:43], s[16:17], s[20:21]
	v_cmp_eq_u32_e64 s[20:21], 2, v2
	v_cndmask_b32_e64 v7, 0, 1, s[6:7]
	s_and_b64 s[44:45], s[18:19], s[20:21]
	v_cmp_ne_u32_e64 s[20:21], 0, v7
	v_cndmask_b32_e64 v7, 0, 1, s[36:37]
	s_bcnt1_i32_b64 s1, s[20:21]
	v_cmp_ne_u32_e64 s[20:21], 0, v7
	v_cndmask_b32_e64 v7, 0, 1, s[42:43]
	s_bcnt1_i32_b64 s5, s[20:21]
	;; [unrolled: 3-line block ×3, first 2 shown]
	v_cmp_ne_u32_e64 s[20:21], 0, v7
	s_bcnt1_i32_b64 s7, s[20:21]
	s_add_u32 s1, s1, s92
	s_addc_u32 s9, 0, s93
	s_add_u32 s1, s1, s5
	s_addc_u32 s5, s9, 0
	;; [unrolled: 2-line block ×3, first 2 shown]
	s_add_u32 s92, s1, s7
	v_cmp_eq_u32_e64 s[20:21], 3, v4
	s_addc_u32 s93, s5, 0
	s_and_b64 s[6:7], vcc, s[20:21]
	v_cmp_eq_u32_e32 vcc, 3, v5
	s_and_b64 s[14:15], s[14:15], vcc
	v_cmp_eq_u32_e32 vcc, 3, v6
	s_and_b64 s[16:17], s[16:17], vcc
	v_cmp_eq_u32_e32 vcc, 3, v2
	v_cndmask_b32_e64 v2, 0, 1, s[6:7]
	s_and_b64 s[18:19], s[18:19], vcc
	v_cmp_ne_u32_e32 vcc, 0, v2
	v_cndmask_b32_e64 v2, 0, 1, s[14:15]
	s_bcnt1_i32_b64 s1, vcc
	v_cmp_ne_u32_e32 vcc, 0, v2
	v_cndmask_b32_e64 v2, 0, 1, s[16:17]
	s_bcnt1_i32_b64 s5, vcc
	;; [unrolled: 3-line block ×3, first 2 shown]
	v_cmp_ne_u32_e32 vcc, 0, v2
	s_bcnt1_i32_b64 s7, vcc
	s_add_u32 s1, s1, s90
	s_addc_u32 s9, 0, s91
	s_add_u32 s1, s1, s5
	s_addc_u32 s5, s9, 0
	;; [unrolled: 2-line block ×3, first 2 shown]
	s_add_u32 s90, s1, s7
	v_add_co_u32_e32 v28, vcc, s4, v28
	s_addc_u32 s91, s5, 0
	v_addc_co_u32_e32 v29, vcc, 0, v29, vcc
	s_mul_i32 s1, s64, s8
	s_add_u32 s88, s88, s1
	v_cmp_le_i64_e32 vcc, s[82:83], v[28:29]
	s_addc_u32 s89, s89, s0
	v_mov_b32_e32 v4, s40
	v_mov_b32_e32 v6, s94
	;; [unrolled: 1-line block ×4, first 2 shown]
	s_or_b64 s[86:87], vcc, s[86:87]
	v_mov_b32_e32 v5, s41
	v_mov_b32_e32 v7, s95
	;; [unrolled: 1-line block ×4, first 2 shown]
	s_andn2_b64 exec, exec, s[86:87]
	s_cbranch_execnz .LBB7_79
; %bb.80:                               ;   in Loop: Header=BB7_32 Depth=1
	s_or_b64 exec, exec, s[86:87]
.LBB7_81:                               ;   in Loop: Header=BB7_32 Depth=1
	s_or_b64 exec, exec, s[84:85]
	v_mov_b32_e32 v2, s83
	v_add_co_u32_e32 v28, vcc, s82, v0
	v_addc_co_u32_e32 v29, vcc, 0, v2, vcc
	v_cmp_gt_i64_e32 vcc, s[24:25], v[28:29]
	s_and_saveexec_b64 s[6:7], vcc
	s_cbranch_execz .LBB7_87
; %bb.82:                               ;   in Loop: Header=BB7_32 Depth=1
	v_mov_b32_e32 v30, s48
	v_mov_b32_e32 v31, s49
	v_mad_u64_u32 v[30:31], s[0:1], v28, s30, v[30:31]
	v_mul_lo_u32 v2, v28, s31
	v_mul_lo_u32 v47, v29, s30
	v_readlane_b32 s0, v57, 30
	v_readlane_b32 s1, v57, 31
	s_mul_i32 s16, s30, s8
	v_add3_u32 v31, v47, v31, v2
	global_load_ubyte v2, v[30:31], off
	v_add_co_u32_e32 v30, vcc, s8, v40
	v_addc_co_u32_e32 v31, vcc, 0, v41, vcc
	v_mov_b32_e32 v47, s81
	v_subrev_co_u32_e32 v48, vcc, s80, v30
	v_subb_co_u32_e32 v30, vcc, v31, v47, vcc
	v_mul_lo_u32 v47, s30, v30
	v_mov_b32_e32 v31, s1
	v_mov_b32_e32 v30, s0
	v_mul_lo_u32 v49, s31, v48
	v_mad_u64_u32 v[30:31], s[0:1], s30, v48, v[30:31]
	s_mul_i32 s0, s31, s8
	s_mul_hi_u32 s1, s30, s8
	v_add3_u32 v31, v49, v31, v47
	s_add_i32 s9, s1, s0
	s_mov_b64 s[4:5], 0
	s_branch .LBB7_84
.LBB7_83:                               ;   in Loop: Header=BB7_84 Depth=2
	s_or_b64 exec, exec, s[0:1]
	s_waitcnt vmcnt(0)
	v_and_b32_e32 v2, 0xff, v2
	s_and_b64 s[0:1], exec, vcc
	v_and_b32_e32 v48, v45, v2
	v_bfe_u32 v2, v2, s13, 2
	s_or_b64 s[4:5], s[0:1], s[4:5]
	v_cmp_eq_u32_e32 vcc, v48, v43
	v_cmp_eq_u32_e64 s[14:15], 0, v2
	s_and_b64 s[0:1], vcc, s[14:15]
	v_cndmask_b32_e64 v48, 0, 1, s[0:1]
	v_cmp_ne_u32_e64 s[14:15], 0, v48
	s_bcnt1_i32_b64 s0, s[14:15]
	v_add_co_u32_e64 v4, s[14:15], s0, v4
	v_addc_co_u32_e64 v5, s[14:15], 0, v5, s[14:15]
	v_cmp_eq_u32_e64 s[14:15], 1, v2
	s_and_b64 s[0:1], vcc, s[14:15]
	v_cndmask_b32_e64 v48, 0, 1, s[0:1]
	v_cmp_ne_u32_e64 s[14:15], 0, v48
	s_bcnt1_i32_b64 s0, s[14:15]
	v_add_co_u32_e64 v6, s[14:15], s0, v6
	v_addc_co_u32_e64 v7, s[14:15], 0, v7, s[14:15]
	;; [unrolled: 7-line block ×3, first 2 shown]
	v_cmp_eq_u32_e64 s[14:15], 3, v2
	s_and_b64 s[0:1], vcc, s[14:15]
	v_cndmask_b32_e64 v2, 0, 1, s[0:1]
	v_cmp_ne_u32_e32 vcc, 0, v2
	s_bcnt1_i32_b64 s0, vcc
	v_add_co_u32_e32 v10, vcc, s0, v10
	v_addc_co_u32_e32 v11, vcc, 0, v11, vcc
	v_mov_b32_e32 v2, s9
	v_add_co_u32_e32 v30, vcc, s16, v30
	v_addc_co_u32_e32 v31, vcc, v31, v2, vcc
	v_mov_b32_e32 v2, v47
	s_andn2_b64 exec, exec, s[4:5]
	s_cbranch_execz .LBB7_86
.LBB7_84:                               ;   Parent Loop BB7_32 Depth=1
                                        ; =>  This Inner Loop Header: Depth=2
	v_add_co_u32_e32 v28, vcc, s8, v28
	v_addc_co_u32_e32 v29, vcc, 0, v29, vcc
	v_cmp_gt_i64_e64 s[14:15], s[24:25], v[28:29]
	v_cmp_le_i64_e32 vcc, s[24:25], v[28:29]
	v_mov_b32_e32 v47, 0
	s_and_saveexec_b64 s[0:1], s[14:15]
	s_cbranch_execz .LBB7_83
; %bb.85:                               ;   in Loop: Header=BB7_84 Depth=2
	global_load_ubyte v47, v[30:31], off
	s_branch .LBB7_83
.LBB7_86:                               ;   in Loop: Header=BB7_32 Depth=1
	s_or_b64 exec, exec, s[4:5]
.LBB7_87:                               ;   in Loop: Header=BB7_32 Depth=1
	s_or_b64 exec, exec, s[6:7]
	s_branch .LBB7_66
.LBB7_88:                               ;   in Loop: Header=BB7_32 Depth=1
	v_readlane_b32 s0, v57, 19
	v_readlane_b32 s1, v57, 20
	v_mov_b32_e32 v8, 0
	v_mov_b32_e32 v9, 0
	s_nop 2
	global_load_ushort v2, v3, s[0:1]
	s_waitcnt vmcnt(0)
	v_readfirstlane_b32 s0, v2
	s_and_b32 s0, 0xffff, s0
	s_lshl_b32 s1, s0, 2
	v_cvt_f32_u32_e32 v4, s1
	s_sub_i32 s4, 0, s1
	v_rcp_iflag_f32_e32 v6, v4
	v_mov_b32_e32 v4, 0
	v_mov_b32_e32 v5, 0
	v_mul_f32_e32 v6, 0x4f7ffffe, v6
	v_cvt_u32_f32_e32 v10, v6
	v_mov_b32_e32 v6, 0
	v_mov_b32_e32 v7, 0
	v_readfirstlane_b32 s5, v10
	s_mul_i32 s4, s4, s5
	s_mul_hi_u32 s4, s5, s4
	s_add_i32 s5, s5, s4
	s_mul_hi_u32 s4, s26, s5
	s_mul_i32 s5, s4, s1
	s_sub_i32 s5, s26, s5
	s_add_i32 s6, s4, 1
	s_sub_i32 s7, s5, s1
	s_cmp_ge_u32 s5, s1
	s_cselect_b32 s4, s6, s4
	s_cselect_b32 s5, s7, s5
	s_add_i32 s6, s4, 1
	s_cmp_ge_u32 s5, s1
	s_cselect_b32 s4, s6, s4
	s_mul_hi_u32 s41, s0, s4
	s_mul_i32 s40, s0, s4
	s_lshl_b64 s[80:81], s[40:41], 2
	v_cmp_gt_u64_e32 vcc, s[80:81], v[16:17]
	v_mov_b32_e32 v10, 0
	v_mov_b32_e32 v11, 0
	s_and_saveexec_b64 s[82:83], vcc
	s_cbranch_execz .LBB7_92
; %bb.89:                               ;   in Loop: Header=BB7_32 Depth=1
	v_mov_b32_e32 v29, v17
	s_mov_b64 s[84:85], 0
	v_mov_b32_e32 v30, v16
	s_mov_b64 s[86:87], 0
	s_mov_b64 s[88:89], 0
	;; [unrolled: 1-line block ×4, first 2 shown]
	v_mov_b32_e32 v28, v16
.LBB7_90:                               ;   Parent Loop BB7_32 Depth=1
                                        ; =>  This Inner Loop Header: Depth=2
	ds_read_b32 v4, v30
	v_add_u32_e32 v30, s1, v30
	s_waitcnt lgkmcnt(0)
	v_and_b32_e32 v6, 0xff, v4
	v_bfe_u32 v7, v4, 8, 8
	v_and_b32_e32 v8, v45, v6
	v_bfe_u32 v6, v6, s13, 2
	v_lshrrev_b32_e32 v5, 24, v4
	v_bfe_u32 v4, v4, 16, 8
	v_cmp_eq_u32_e32 vcc, v8, v43
	v_and_b32_e32 v8, v45, v7
	v_bfe_u32 v7, v7, s13, 2
	v_cmp_eq_u32_e64 s[20:21], 0, v6
	v_cmp_eq_u32_e64 s[14:15], v8, v43
	v_and_b32_e32 v8, v45, v4
	v_bfe_u32 v4, v4, s13, 2
	s_and_b64 s[4:5], vcc, s[20:21]
	v_cmp_eq_u32_e64 s[20:21], 0, v7
	v_cmp_eq_u32_e64 s[16:17], v8, v43
	v_and_b32_e32 v8, v45, v5
	v_bfe_u32 v5, v5, s13, 2
	s_and_b64 s[6:7], s[14:15], s[20:21]
	v_cmp_eq_u32_e64 s[20:21], 0, v4
	v_cmp_eq_u32_e64 s[18:19], v8, v43
	s_and_b64 s[8:9], s[16:17], s[20:21]
	v_cmp_eq_u32_e64 s[20:21], 0, v5
	v_cndmask_b32_e64 v8, 0, 1, s[4:5]
	s_and_b64 s[36:37], s[18:19], s[20:21]
	v_cmp_ne_u32_e64 s[20:21], 0, v8
	v_cndmask_b32_e64 v8, 0, 1, s[6:7]
	s_bcnt1_i32_b64 s4, s[20:21]
	v_cmp_ne_u32_e64 s[20:21], 0, v8
	v_cndmask_b32_e64 v8, 0, 1, s[8:9]
	s_bcnt1_i32_b64 s5, s[20:21]
	;; [unrolled: 3-line block ×3, first 2 shown]
	v_cmp_ne_u32_e64 s[20:21], 0, v8
	s_bcnt1_i32_b64 s7, s[20:21]
	s_add_u32 s4, s4, s92
	s_addc_u32 s8, 0, s93
	s_add_u32 s4, s4, s5
	s_addc_u32 s5, s8, 0
	;; [unrolled: 2-line block ×3, first 2 shown]
	s_add_u32 s92, s4, s7
	v_cmp_eq_u32_e64 s[20:21], 1, v6
	s_addc_u32 s93, s5, 0
	s_and_b64 s[4:5], vcc, s[20:21]
	v_cmp_eq_u32_e64 s[20:21], 1, v7
	s_and_b64 s[6:7], s[14:15], s[20:21]
	v_cmp_eq_u32_e64 s[20:21], 1, v4
	s_and_b64 s[8:9], s[16:17], s[20:21]
	v_cmp_eq_u32_e64 s[20:21], 1, v5
	v_cndmask_b32_e64 v8, 0, 1, s[4:5]
	s_and_b64 s[36:37], s[18:19], s[20:21]
	v_cmp_ne_u32_e64 s[20:21], 0, v8
	v_cndmask_b32_e64 v8, 0, 1, s[6:7]
	s_bcnt1_i32_b64 s4, s[20:21]
	v_cmp_ne_u32_e64 s[20:21], 0, v8
	v_cndmask_b32_e64 v8, 0, 1, s[8:9]
	s_bcnt1_i32_b64 s5, s[20:21]
	;; [unrolled: 3-line block ×3, first 2 shown]
	v_cmp_ne_u32_e64 s[20:21], 0, v8
	s_bcnt1_i32_b64 s7, s[20:21]
	s_add_u32 s4, s4, s90
	s_addc_u32 s8, 0, s91
	s_add_u32 s4, s4, s5
	s_addc_u32 s5, s8, 0
	;; [unrolled: 2-line block ×3, first 2 shown]
	s_add_u32 s90, s4, s7
	v_cmp_eq_u32_e64 s[20:21], 2, v6
	s_addc_u32 s91, s5, 0
	s_and_b64 s[4:5], vcc, s[20:21]
	v_cmp_eq_u32_e64 s[20:21], 2, v7
	s_and_b64 s[6:7], s[14:15], s[20:21]
	v_cmp_eq_u32_e64 s[20:21], 2, v4
	s_and_b64 s[8:9], s[16:17], s[20:21]
	v_cmp_eq_u32_e64 s[20:21], 2, v5
	v_cndmask_b32_e64 v8, 0, 1, s[4:5]
	s_and_b64 s[36:37], s[18:19], s[20:21]
	v_cmp_ne_u32_e64 s[20:21], 0, v8
	v_cndmask_b32_e64 v8, 0, 1, s[6:7]
	s_bcnt1_i32_b64 s4, s[20:21]
	v_cmp_ne_u32_e64 s[20:21], 0, v8
	v_cndmask_b32_e64 v8, 0, 1, s[8:9]
	s_bcnt1_i32_b64 s5, s[20:21]
	;; [unrolled: 3-line block ×3, first 2 shown]
	v_cmp_ne_u32_e64 s[20:21], 0, v8
	s_bcnt1_i32_b64 s7, s[20:21]
	s_add_u32 s4, s4, s88
	s_addc_u32 s8, 0, s89
	s_add_u32 s4, s4, s5
	s_addc_u32 s5, s8, 0
	;; [unrolled: 2-line block ×3, first 2 shown]
	s_add_u32 s88, s4, s7
	v_cmp_eq_u32_e64 s[20:21], 3, v6
	s_addc_u32 s89, s5, 0
	s_and_b64 s[4:5], vcc, s[20:21]
	v_cmp_eq_u32_e32 vcc, 3, v7
	s_and_b64 s[6:7], s[14:15], vcc
	v_cmp_eq_u32_e32 vcc, 3, v4
	s_and_b64 s[8:9], s[16:17], vcc
	v_cmp_eq_u32_e32 vcc, 3, v5
	v_cndmask_b32_e64 v4, 0, 1, s[4:5]
	s_and_b64 s[14:15], s[18:19], vcc
	v_cmp_ne_u32_e32 vcc, 0, v4
	v_cndmask_b32_e64 v4, 0, 1, s[6:7]
	s_bcnt1_i32_b64 s4, vcc
	v_cmp_ne_u32_e32 vcc, 0, v4
	v_cndmask_b32_e64 v4, 0, 1, s[8:9]
	s_bcnt1_i32_b64 s5, vcc
	;; [unrolled: 3-line block ×3, first 2 shown]
	v_cmp_ne_u32_e32 vcc, 0, v4
	s_bcnt1_i32_b64 s7, vcc
	s_add_u32 s4, s4, s86
	s_addc_u32 s8, 0, s87
	s_add_u32 s4, s4, s5
	s_addc_u32 s5, s8, 0
	s_add_u32 s4, s4, s6
	v_add_co_u32_e32 v28, vcc, s1, v28
	s_addc_u32 s5, s5, 0
	v_addc_co_u32_e32 v29, vcc, 0, v29, vcc
	s_add_u32 s86, s4, s7
	v_cmp_le_u64_e32 vcc, s[80:81], v[28:29]
	s_addc_u32 s87, s5, 0
	v_mov_b32_e32 v4, s92
	v_mov_b32_e32 v6, s90
	;; [unrolled: 1-line block ×4, first 2 shown]
	s_or_b64 s[84:85], vcc, s[84:85]
	v_mov_b32_e32 v5, s93
	v_mov_b32_e32 v7, s91
	;; [unrolled: 1-line block ×4, first 2 shown]
	s_andn2_b64 exec, exec, s[84:85]
	s_cbranch_execnz .LBB7_90
; %bb.91:                               ;   in Loop: Header=BB7_32 Depth=1
	s_or_b64 exec, exec, s[84:85]
.LBB7_92:                               ;   in Loop: Header=BB7_32 Depth=1
	s_or_b64 exec, exec, s[82:83]
	v_mov_b32_e32 v29, s81
	v_add_co_u32_e32 v28, vcc, s80, v0
	s_and_b32 s46, s26, 0x7fffffff
	v_addc_co_u32_e32 v29, vcc, 0, v29, vcc
	v_cmp_gt_u64_e32 vcc, s[46:47], v[28:29]
	s_and_saveexec_b64 s[6:7], vcc
	s_cbranch_execz .LBB7_96
; %bb.93:                               ;   in Loop: Header=BB7_32 Depth=1
	v_lshl_add_u32 v30, s40, 2, v0
	s_mov_b64 s[16:17], 0
.LBB7_94:                               ;   Parent Loop BB7_32 Depth=1
                                        ; =>  This Inner Loop Header: Depth=2
	ds_read_u8 v31, v30
	v_add_u32_e32 v30, s0, v30
	s_waitcnt lgkmcnt(0)
	v_and_b32_e32 v47, v45, v31
	v_bfe_u32 v31, v31, s13, 2
	v_cmp_eq_u32_e32 vcc, v47, v43
	v_cmp_eq_u32_e64 s[14:15], 0, v31
	s_and_b64 s[4:5], vcc, s[14:15]
	v_cndmask_b32_e64 v47, 0, 1, s[4:5]
	v_cmp_ne_u32_e64 s[14:15], 0, v47
	s_bcnt1_i32_b64 s1, s[14:15]
	v_add_co_u32_e64 v4, s[14:15], s1, v4
	v_addc_co_u32_e64 v5, s[14:15], 0, v5, s[14:15]
	v_cmp_eq_u32_e64 s[14:15], 1, v31
	s_and_b64 s[4:5], vcc, s[14:15]
	v_cndmask_b32_e64 v47, 0, 1, s[4:5]
	v_cmp_ne_u32_e64 s[14:15], 0, v47
	s_bcnt1_i32_b64 s1, s[14:15]
	v_add_co_u32_e64 v6, s[14:15], s1, v6
	v_addc_co_u32_e64 v7, s[14:15], 0, v7, s[14:15]
	;; [unrolled: 7-line block ×3, first 2 shown]
	v_cmp_eq_u32_e64 s[14:15], 3, v31
	s_and_b64 s[4:5], vcc, s[14:15]
	v_cndmask_b32_e64 v31, 0, 1, s[4:5]
	v_cmp_ne_u32_e32 vcc, 0, v31
	s_bcnt1_i32_b64 s1, vcc
	v_add_co_u32_e32 v10, vcc, s1, v10
	v_addc_co_u32_e32 v11, vcc, 0, v11, vcc
	v_add_co_u32_sdwa v28, vcc, v28, v2 dst_sel:DWORD dst_unused:UNUSED_PAD src0_sel:DWORD src1_sel:WORD_0
	v_addc_co_u32_e32 v29, vcc, 0, v29, vcc
	v_cmp_le_u64_e32 vcc, s[46:47], v[28:29]
	s_or_b64 s[16:17], vcc, s[16:17]
	s_andn2_b64 exec, exec, s[16:17]
	s_cbranch_execnz .LBB7_94
; %bb.95:                               ;   in Loop: Header=BB7_32 Depth=1
	s_or_b64 exec, exec, s[16:17]
.LBB7_96:                               ;   in Loop: Header=BB7_32 Depth=1
	s_or_b64 exec, exec, s[6:7]
	s_mov_b32 s46, s56
	s_lshl_b32 s0, s63, 6
	s_and_saveexec_b64 s[4:5], s[10:11]
	s_cbranch_execnz .LBB7_67
	s_branch .LBB7_68
.LBB7_97:                               ;   in Loop: Header=BB7_32 Depth=1
                                        ; implicit-def: $sgpr80_sgpr81
	s_branch .LBB7_76
.LBB7_98:                               ;   in Loop: Header=BB7_32 Depth=1
	s_or_b64 exec, exec, s[4:5]
	s_waitcnt lgkmcnt(0)
	s_barrier
	s_mov_b64 s[0:1], exec
	v_readlane_b32 s4, v57, 8
	v_readlane_b32 s5, v57, 9
	s_and_b64 s[4:5], s[0:1], s[4:5]
	s_mov_b64 exec, s[4:5]
	s_cbranch_execz .LBB7_100
; %bb.99:                               ;   in Loop: Header=BB7_32 Depth=1
	ds_read_b32 v4, v3 offset:5136
	s_waitcnt lgkmcnt(0)
	v_ashrrev_i32_e32 v5, 31, v4
	ds_write_b64 v3, v[4:5] offset:5120
.LBB7_100:                              ;   in Loop: Header=BB7_32 Depth=1
	s_or_b64 exec, exec, s[0:1]
	s_waitcnt lgkmcnt(0)
	s_barrier
	s_mov_b64 s[4:5], -1
	s_and_b64 vcc, exec, s[6:7]
	s_cbranch_vccnz .LBB7_47
	s_branch .LBB7_62
.LBB7_101:                              ;   in Loop: Header=BB7_32 Depth=1
	v_mov_b32_e32 v4, 0
	v_mov_b32_e32 v5, 0
	s_mov_b32 s1, 0
.LBB7_102:                              ;   in Loop: Header=BB7_32 Depth=1
	v_readlane_b32 s4, v57, 28
	v_readlane_b32 s5, v57, 29
	s_andn2_b64 vcc, exec, s[4:5]
	s_cbranch_vccnz .LBB7_105
; %bb.103:                              ;   in Loop: Header=BB7_32 Depth=1
	s_lshl_b32 s4, s63, 9
	s_lshl_b32 s1, s1, 5
	s_add_i32 s4, s4, s1
	v_add_u32_e32 v2, s4, v42
	v_readlane_b32 s1, v57, 27
.LBB7_104:                              ;   Parent Loop BB7_32 Depth=1
                                        ; =>  This Inner Loop Header: Depth=2
	ds_read_b64 v[6:7], v2
	s_add_i32 s1, s1, -1
	v_add_u32_e32 v2, 32, v2
	s_cmp_lg_u32 s1, 0
	s_waitcnt lgkmcnt(0)
	v_add_co_u32_e32 v4, vcc, v6, v4
	v_addc_co_u32_e32 v5, vcc, v7, v5, vcc
	s_cbranch_scc1 .LBB7_104
.LBB7_105:                              ;   in Loop: Header=BB7_32 Depth=1
	v_add_lshl_u32 v2, s0, v32, 3
	ds_write_b64 v2, v[4:5] offset:3072
.LBB7_106:                              ;   in Loop: Header=BB7_32 Depth=1
	s_or_b64 exec, exec, s[6:7]
	s_lshl_b32 s0, s0, 3
	v_mov_b32_e32 v2, s0
	s_waitcnt lgkmcnt(0)
	s_barrier
	ds_read_b128 v[8:11], v2 offset:3088
	ds_read_b128 v[4:7], v2 offset:3072
	v_cmp_eq_u64_e64 s[14:15], 1, v[26:27]
	s_lshl_b32 s88, 3, s13
	s_not_b32 s89, s88
	s_waitcnt lgkmcnt(1)
	v_readfirstlane_b32 s80, v8
	s_waitcnt lgkmcnt(0)
	v_cmp_eq_u64_e32 vcc, 1, v[4:5]
	v_readfirstlane_b32 s81, v9
	v_readfirstlane_b32 s16, v10
	;; [unrolled: 1-line block ×3, first 2 shown]
	s_and_b64 s[20:21], vcc, s[14:15]
	s_mov_b64 s[14:15], -1
	s_mov_b64 s[4:5], -1
                                        ; implicit-def: $sgpr40_sgpr41
                                        ; implicit-def: $sgpr36_sgpr37
	s_and_saveexec_b64 s[18:19], s[20:21]
	s_cbranch_execz .LBB7_140
; %bb.107:                              ;   in Loop: Header=BB7_32 Depth=1
	ds_read_b64 v[8:9], v3 offset:5120
	s_waitcnt lgkmcnt(0)
	s_barrier
	v_readfirstlane_b32 s26, v8
	v_readfirstlane_b32 s27, v9
	s_mov_b64 s[0:1], exec
	v_readlane_b32 s4, v57, 32
	v_readlane_b32 s5, v57, 33
	s_and_b64 s[4:5], s[0:1], s[4:5]
	s_mov_b64 exec, s[4:5]
; %bb.108:                              ;   in Loop: Header=BB7_32 Depth=1
	ds_write_b8 v0, v3 offset:3072
; %bb.109:                              ;   in Loop: Header=BB7_32 Depth=1
	s_or_b64 exec, exec, s[0:1]
	v_cmp_lt_i64_e64 s[0:1], s[26:27], 1
	v_and_b32_e32 v43, s89, v43
	v_or_b32_e32 v45, s88, v45
	s_mov_b64 s[36:37], -1
	s_mov_b64 s[40:41], 0
	s_and_b64 vcc, exec, s[0:1]
	s_mov_b64 s[6:7], 0
	s_mov_b64 s[4:5], -1
	s_waitcnt lgkmcnt(0)
	s_barrier
                                        ; implicit-def: $vgpr46
	s_cbranch_vccz .LBB7_125
; %bb.110:                              ;   in Loop: Header=BB7_32 Depth=1
	s_mov_b32 s54, s47
	s_cmp_lg_u64 s[54:55], 0
	s_cbranch_scc0 .LBB7_112
; %bb.111:                              ;   in Loop: Header=BB7_32 Depth=1
	s_add_u32 s0, s33, 0
	s_addc_u32 s1, 0, 0
	s_xor_b64 s[6:7], s[0:1], 0
	v_cvt_f32_u32_e32 v2, s6
	v_cvt_f32_u32_e32 v8, s7
	s_sub_u32 s4, 0, s6
	s_subb_u32 s5, 0, s7
	v_mac_f32_e32 v2, 0x4f800000, v8
	v_rcp_f32_e32 v2, v2
	v_mul_f32_e32 v2, 0x5f7ffffc, v2
	v_mul_f32_e32 v8, 0x2f800000, v2
	v_trunc_f32_e32 v8, v8
	v_mac_f32_e32 v2, 0xcf800000, v8
	v_cvt_u32_f32_e32 v8, v8
	v_cvt_u32_f32_e32 v2, v2
	v_readfirstlane_b32 s8, v8
	v_readfirstlane_b32 s0, v2
	s_mul_i32 s1, s4, s8
	s_mul_hi_u32 s42, s4, s0
	s_mul_i32 s9, s5, s0
	s_add_i32 s1, s42, s1
	s_mul_i32 s43, s4, s0
	s_add_i32 s1, s1, s9
	s_mul_i32 s42, s0, s1
	s_mul_hi_u32 s44, s0, s43
	s_mul_hi_u32 s9, s0, s1
	s_add_u32 s42, s44, s42
	s_addc_u32 s9, 0, s9
	s_mul_hi_u32 s45, s8, s43
	s_mul_i32 s43, s8, s43
	s_add_u32 s42, s42, s43
	s_mul_hi_u32 s44, s8, s1
	s_addc_u32 s9, s9, s45
	s_addc_u32 s42, s44, 0
	s_mul_i32 s1, s8, s1
	s_add_u32 s1, s9, s1
	s_addc_u32 s9, 0, s42
	s_add_u32 s42, s0, s1
	s_cselect_b64 s[0:1], -1, 0
	s_cmp_lg_u64 s[0:1], 0
	s_addc_u32 s8, s8, s9
	s_mul_i32 s0, s4, s8
	s_mul_hi_u32 s1, s4, s42
	s_add_i32 s0, s1, s0
	s_mul_i32 s5, s5, s42
	s_add_i32 s0, s0, s5
	s_mul_i32 s4, s4, s42
	s_mul_hi_u32 s5, s8, s4
	s_mul_i32 s9, s8, s4
	s_mul_i32 s44, s42, s0
	s_mul_hi_u32 s4, s42, s4
	s_mul_hi_u32 s43, s42, s0
	s_add_u32 s4, s4, s44
	s_addc_u32 s43, 0, s43
	s_add_u32 s4, s4, s9
	s_mul_hi_u32 s1, s8, s0
	s_addc_u32 s4, s43, s5
	s_addc_u32 s1, s1, 0
	s_mul_i32 s0, s8, s0
	s_add_u32 s0, s4, s0
	s_addc_u32 s4, 0, s1
	s_add_u32 s9, s42, s0
	s_cselect_b64 s[0:1], -1, 0
	s_cmp_lg_u64 s[0:1], 0
	s_addc_u32 s8, s8, s4
	s_ashr_i32 s0, s55, 31
	v_readlane_b32 s4, v57, 17
	s_add_u32 s4, s4, s0
	s_mov_b32 s1, s0
	s_addc_u32 s5, s55, s0
	s_xor_b64 s[4:5], s[4:5], s[0:1]
	s_mul_i32 s43, s4, s8
	s_mul_hi_u32 s44, s4, s9
	s_mul_hi_u32 s42, s4, s8
	s_add_u32 s43, s44, s43
	s_addc_u32 s42, 0, s42
	s_mul_hi_u32 s45, s5, s9
	s_mul_i32 s9, s5, s9
	s_add_u32 s9, s43, s9
	s_mul_hi_u32 s44, s5, s8
	s_addc_u32 s9, s42, s45
	s_addc_u32 s42, s44, 0
	s_mul_i32 s8, s5, s8
	s_add_u32 s8, s9, s8
	s_addc_u32 s9, 0, s42
	s_mul_i32 s9, s6, s9
	s_mul_hi_u32 s42, s6, s8
	s_add_i32 s9, s42, s9
	s_mul_i32 s42, s7, s8
	s_add_i32 s44, s9, s42
	s_sub_i32 s42, s5, s44
	s_mul_i32 s8, s6, s8
	s_sub_u32 s4, s4, s8
	s_cselect_b64 s[8:9], -1, 0
	s_cmp_lg_u64 s[8:9], 0
	s_subb_u32 s45, s42, s7
	s_sub_u32 s46, s4, s6
	s_cselect_b64 s[42:43], -1, 0
	s_cmp_lg_u64 s[42:43], 0
	s_subb_u32 s54, s45, 0
	s_cmp_ge_u32 s54, s7
	s_cselect_b32 s58, -1, 0
	s_cmp_ge_u32 s46, s6
	s_cselect_b32 s59, -1, 0
	s_cmp_eq_u32 s54, s7
	s_cselect_b32 s58, s59, s58
	s_cmp_lg_u64 s[42:43], 0
	s_subb_u32 s45, s45, s7
	s_sub_u32 s59, s46, s6
	s_cselect_b64 s[42:43], -1, 0
	s_cmp_lg_u64 s[42:43], 0
	s_subb_u32 s42, s45, 0
	s_cmp_lg_u32 s58, 0
	s_cselect_b32 s43, s59, s46
	s_cselect_b32 s42, s42, s54
	s_cmp_lg_u64 s[8:9], 0
	s_subb_u32 s5, s5, s44
	s_cmp_ge_u32 s5, s7
	s_cselect_b32 s8, -1, 0
	s_cmp_ge_u32 s4, s6
	s_cselect_b32 s6, -1, 0
	s_cmp_eq_u32 s5, s7
	s_cselect_b32 s6, s6, s8
	s_cmp_lg_u32 s6, 0
	s_cselect_b32 s5, s42, s5
	s_cselect_b32 s4, s43, s4
	s_xor_b64 s[4:5], s[4:5], s[0:1]
	s_sub_u32 s4, s4, s0
	s_mov_b32 s46, s56
	s_subb_u32 s5, s5, s0
	s_mov_b64 s[0:1], 0
	s_branch .LBB7_113
.LBB7_112:                              ;   in Loop: Header=BB7_32 Depth=1
	s_mov_b64 s[0:1], -1
                                        ; implicit-def: $sgpr4_sgpr5
.LBB7_113:                              ;   in Loop: Header=BB7_32 Depth=1
	s_andn2_b64 vcc, exec, s[0:1]
	v_readlane_b32 s54, v57, 37
	s_cbranch_vccnz .LBB7_115
; %bb.114:                              ;   in Loop: Header=BB7_32 Depth=1
	v_cvt_f32_u32_e32 v2, s33
	s_sub_i32 s0, 0, s33
	v_readlane_b32 s4, v57, 17
	v_rcp_iflag_f32_e32 v2, v2
	v_mul_f32_e32 v2, 0x4f7ffffe, v2
	v_cvt_u32_f32_e32 v2, v2
	v_readfirstlane_b32 s1, v2
	s_mul_i32 s0, s0, s1
	s_mul_hi_u32 s0, s1, s0
	s_add_i32 s1, s1, s0
	s_mul_hi_u32 s0, s4, s1
	s_mul_i32 s0, s0, s33
	s_sub_i32 s0, s4, s0
	s_sub_i32 s1, s0, s33
	s_cmp_ge_u32 s0, s33
	s_cselect_b32 s0, s1, s0
	s_sub_i32 s1, s0, s33
	s_cmp_ge_u32 s0, s33
	s_cselect_b32 s46, s1, s0
	s_mov_b64 s[4:5], s[46:47]
	s_mov_b32 s46, s56
.LBB7_115:                              ;   in Loop: Header=BB7_32 Depth=1
	v_readlane_b32 s0, v57, 17
	s_sub_u32 s44, s0, s4
	s_subb_u32 s45, s55, s5
	v_cmp_gt_i64_e32 vcc, s[44:45], v[0:1]
	s_mov_b64 s[4:5], 0
	s_mov_b64 s[6:7], 0
                                        ; implicit-def: $vgpr46
	s_and_saveexec_b64 s[42:43], vcc
	s_cbranch_execz .LBB7_124
; %bb.116:                              ;   in Loop: Header=BB7_32 Depth=1
	v_mov_b32_e32 v8, v12
	v_mov_b32_e32 v11, v1
	;; [unrolled: 1-line block ×4, first 2 shown]
                                        ; implicit-def: $sgpr8_sgpr9
	s_branch .LBB7_119
.LBB7_117:                              ;   in Loop: Header=BB7_119 Depth=2
	s_or_b64 exec, exec, s[58:59]
	s_waitcnt lgkmcnt(0)
	s_barrier
	ds_read_u16 v2, v3 offset:3072
	s_mov_b64 s[58:59], -1
	s_mov_b64 s[60:61], -1
	s_waitcnt lgkmcnt(0)
	s_barrier
	v_cmp_ne_u32_sdwa s[0:1], v2, v3 src0_sel:BYTE_0 src1_sel:DWORD
	s_and_b64 vcc, exec, s[0:1]
	s_cbranch_vccz .LBB7_122
.LBB7_118:                              ;   in Loop: Header=BB7_119 Depth=2
	s_and_b64 s[0:1], exec, s[58:59]
	s_or_b64 s[6:7], s[0:1], s[6:7]
	s_andn2_b64 s[0:1], s[8:9], exec
	s_and_b64 s[8:9], s[60:61], exec
	s_or_b64 s[8:9], s[0:1], s[8:9]
	s_andn2_b64 exec, exec, s[6:7]
	s_cbranch_execz .LBB7_123
.LBB7_119:                              ;   Parent Loop BB7_32 Depth=1
                                        ; =>  This Inner Loop Header: Depth=2
	v_cmp_gt_i64_e32 vcc, s[24:25], v[10:11]
	s_and_saveexec_b64 s[58:59], vcc
	s_cbranch_execz .LBB7_117
; %bb.120:                              ;   in Loop: Header=BB7_119 Depth=2
	global_load_ubyte v2, v[8:9], off
	s_waitcnt vmcnt(0)
	v_and_b32_e32 v28, v2, v45
	v_cmp_eq_u32_sdwa s[0:1], v28, v43 src0_sel:BYTE_0 src1_sel:DWORD
	s_and_b64 exec, exec, s[0:1]
	s_cbranch_execz .LBB7_117
; %bb.121:                              ;   in Loop: Header=BB7_119 Depth=2
	v_lshlrev_b16_e32 v2, 8, v2
	v_or_b32_e32 v2, 1, v2
	ds_write_b16 v3, v2 offset:3072
	s_branch .LBB7_117
.LBB7_122:                              ;   in Loop: Header=BB7_119 Depth=2
	v_add_co_u32_e32 v10, vcc, s33, v10
	v_addc_co_u32_e32 v11, vcc, 0, v11, vcc
	v_mov_b32_e32 v28, s52
	v_add_co_u32_e32 v8, vcc, s53, v8
	v_addc_co_u32_e32 v9, vcc, v9, v28, vcc
	v_cmp_le_i64_e32 vcc, s[44:45], v[10:11]
	s_mov_b64 s[60:61], 0
	s_orn2_b64 s[58:59], vcc, exec
	s_branch .LBB7_118
.LBB7_123:                              ;   in Loop: Header=BB7_32 Depth=1
	s_or_b64 exec, exec, s[6:7]
	v_lshrrev_b32_sdwa v46, v44, v2 dst_sel:DWORD dst_unused:UNUSED_PAD src0_sel:DWORD src1_sel:WORD_0
	s_and_b64 s[6:7], s[8:9], exec
.LBB7_124:                              ;   in Loop: Header=BB7_32 Depth=1
	s_or_b64 exec, exec, s[42:43]
.LBB7_125:                              ;   in Loop: Header=BB7_32 Depth=1
	s_and_b64 vcc, exec, s[4:5]
	s_cbranch_vccz .LBB7_139
; %bb.126:                              ;   in Loop: Header=BB7_32 Depth=1
	v_readlane_b32 s0, v57, 16
	s_add_u32 s8, s26, s0
	v_readlane_b32 s0, v57, 18
	s_addc_u32 s37, s27, s0
	s_mov_b32 s36, s47
	s_cmp_lg_u64 s[36:37], 0
	s_cbranch_scc0 .LBB7_157
; %bb.127:                              ;   in Loop: Header=BB7_32 Depth=1
	s_add_u32 s0, s33, 0
	s_addc_u32 s1, 0, 0
	s_xor_b64 s[40:41], s[0:1], 0
	v_cvt_f32_u32_e32 v2, s40
	v_cvt_f32_u32_e32 v8, s41
	s_sub_u32 s4, 0, s40
	s_subb_u32 s5, 0, s41
	v_mac_f32_e32 v2, 0x4f800000, v8
	v_rcp_f32_e32 v2, v2
	v_mul_f32_e32 v2, 0x5f7ffffc, v2
	v_mul_f32_e32 v8, 0x2f800000, v2
	v_trunc_f32_e32 v8, v8
	v_mac_f32_e32 v2, 0xcf800000, v8
	v_cvt_u32_f32_e32 v8, v8
	v_cvt_u32_f32_e32 v2, v2
	v_readfirstlane_b32 s9, v8
	v_readfirstlane_b32 s0, v2
	s_mul_i32 s1, s4, s9
	s_mul_hi_u32 s42, s4, s0
	s_mul_i32 s36, s5, s0
	s_add_i32 s1, s42, s1
	s_mul_i32 s43, s4, s0
	s_add_i32 s1, s1, s36
	s_mul_i32 s42, s0, s1
	s_mul_hi_u32 s44, s0, s43
	s_mul_hi_u32 s36, s0, s1
	s_add_u32 s42, s44, s42
	s_addc_u32 s36, 0, s36
	s_mul_hi_u32 s45, s9, s43
	s_mul_i32 s43, s9, s43
	s_add_u32 s42, s42, s43
	s_mul_hi_u32 s44, s9, s1
	s_addc_u32 s36, s36, s45
	s_addc_u32 s42, s44, 0
	s_mul_i32 s1, s9, s1
	s_add_u32 s1, s36, s1
	s_addc_u32 s36, 0, s42
	s_add_u32 s42, s0, s1
	s_cselect_b64 s[0:1], -1, 0
	s_cmp_lg_u64 s[0:1], 0
	s_addc_u32 s9, s9, s36
	s_mul_i32 s0, s4, s9
	s_mul_hi_u32 s1, s4, s42
	s_add_i32 s0, s1, s0
	s_mul_i32 s5, s5, s42
	s_add_i32 s0, s0, s5
	s_mul_i32 s4, s4, s42
	s_mul_hi_u32 s5, s9, s4
	s_mul_i32 s36, s9, s4
	s_mul_i32 s44, s42, s0
	s_mul_hi_u32 s4, s42, s4
	s_mul_hi_u32 s43, s42, s0
	s_add_u32 s4, s4, s44
	s_addc_u32 s43, 0, s43
	s_add_u32 s4, s4, s36
	s_mul_hi_u32 s1, s9, s0
	s_addc_u32 s4, s43, s5
	s_addc_u32 s1, s1, 0
	s_mul_i32 s0, s9, s0
	s_add_u32 s0, s4, s0
	s_addc_u32 s4, 0, s1
	s_add_u32 s36, s42, s0
	s_cselect_b64 s[0:1], -1, 0
	s_cmp_lg_u64 s[0:1], 0
	s_addc_u32 s9, s9, s4
	s_ashr_i32 s0, s37, 31
	s_add_u32 s4, s8, s0
	s_mov_b32 s1, s0
	s_addc_u32 s5, s37, s0
	s_xor_b64 s[4:5], s[4:5], s[0:1]
	s_mul_i32 s43, s4, s9
	s_mul_hi_u32 s44, s4, s36
	s_mul_hi_u32 s42, s4, s9
	s_add_u32 s43, s44, s43
	s_addc_u32 s42, 0, s42
	s_mul_hi_u32 s45, s5, s36
	s_mul_i32 s36, s5, s36
	s_add_u32 s36, s43, s36
	s_mul_hi_u32 s44, s5, s9
	s_addc_u32 s36, s42, s45
	s_addc_u32 s42, s44, 0
	s_mul_i32 s9, s5, s9
	s_add_u32 s9, s36, s9
	s_addc_u32 s36, 0, s42
	s_mul_i32 s36, s40, s36
	s_mul_hi_u32 s42, s40, s9
	s_add_i32 s36, s42, s36
	s_mul_i32 s42, s41, s9
	s_add_i32 s36, s36, s42
	s_sub_i32 s44, s5, s36
	s_mul_i32 s9, s40, s9
	s_sub_u32 s4, s4, s9
	s_cselect_b64 s[42:43], -1, 0
	s_cmp_lg_u64 s[42:43], 0
	s_subb_u32 s9, s44, s41
	s_sub_u32 s46, s4, s40
	s_cselect_b64 s[44:45], -1, 0
	s_cmp_lg_u64 s[44:45], 0
	s_subb_u32 s54, s9, 0
	s_cmp_ge_u32 s54, s41
	s_cselect_b32 s58, -1, 0
	s_cmp_ge_u32 s46, s40
	s_cselect_b32 s59, -1, 0
	s_cmp_eq_u32 s54, s41
	s_cselect_b32 s58, s59, s58
	s_cmp_lg_u64 s[44:45], 0
	s_subb_u32 s9, s9, s41
	s_sub_u32 s59, s46, s40
	s_cselect_b64 s[44:45], -1, 0
	s_cmp_lg_u64 s[44:45], 0
	s_subb_u32 s9, s9, 0
	s_cmp_lg_u32 s58, 0
	s_cselect_b32 s44, s59, s46
	s_cselect_b32 s9, s9, s54
	s_cmp_lg_u64 s[42:43], 0
	s_subb_u32 s5, s5, s36
	s_cmp_ge_u32 s5, s41
	s_cselect_b32 s36, -1, 0
	s_cmp_ge_u32 s4, s40
	s_cselect_b32 s40, -1, 0
	s_cmp_eq_u32 s5, s41
	s_cselect_b32 s36, s40, s36
	s_cmp_lg_u32 s36, 0
	s_cselect_b32 s5, s9, s5
	s_cselect_b32 s4, s44, s4
	s_xor_b64 s[4:5], s[4:5], s[0:1]
	s_sub_u32 s4, s4, s0
	v_readlane_b32 s54, v57, 37
	s_subb_u32 s5, s5, s0
	s_cbranch_execnz .LBB7_129
.LBB7_128:                              ;   in Loop: Header=BB7_32 Depth=1
	v_cvt_f32_u32_e32 v2, s33
	s_sub_i32 s0, 0, s33
	v_rcp_iflag_f32_e32 v2, v2
	v_mul_f32_e32 v2, 0x4f7ffffe, v2
	v_cvt_u32_f32_e32 v2, v2
	v_readfirstlane_b32 s1, v2
	s_mul_i32 s0, s0, s1
	s_mul_hi_u32 s0, s1, s0
	s_add_i32 s1, s1, s0
	s_mul_hi_u32 s0, s8, s1
	s_mul_i32 s0, s0, s33
	s_sub_i32 s0, s8, s0
	s_sub_i32 s1, s0, s33
	s_cmp_ge_u32 s0, s33
	s_cselect_b32 s0, s1, s0
	s_sub_i32 s1, s0, s33
	s_cmp_ge_u32 s0, s33
	s_cselect_b32 s46, s1, s0
	s_mov_b64 s[4:5], s[46:47]
.LBB7_129:                              ;   in Loop: Header=BB7_32 Depth=1
	s_sub_u32 s36, s8, s4
	s_subb_u32 s37, s37, s5
	v_cmp_gt_i64_e32 vcc, s[36:37], v[0:1]
                                        ; implicit-def: $vgpr46
	s_and_saveexec_b64 s[4:5], vcc
	s_mov_b32 s46, s56
	s_cbranch_execz .LBB7_138
; %bb.130:                              ;   in Loop: Header=BB7_32 Depth=1
	v_mov_b32_e32 v9, v1
	s_mov_b64 s[8:9], 0
	v_mov_b32_e32 v2, v0
	v_mov_b32_e32 v8, v0
                                        ; implicit-def: $sgpr40_sgpr41
	s_branch .LBB7_133
.LBB7_131:                              ;   in Loop: Header=BB7_133 Depth=2
	s_or_b64 exec, exec, s[42:43]
	s_waitcnt lgkmcnt(0)
	s_barrier
	ds_read_u16 v10, v3 offset:3072
	s_mov_b64 s[42:43], -1
	s_mov_b64 s[44:45], -1
	s_waitcnt lgkmcnt(0)
	s_barrier
	v_cmp_ne_u32_sdwa s[0:1], v10, v3 src0_sel:BYTE_0 src1_sel:DWORD
	s_and_b64 vcc, exec, s[0:1]
	s_cbranch_vccz .LBB7_136
.LBB7_132:                              ;   in Loop: Header=BB7_133 Depth=2
	s_and_b64 s[0:1], exec, s[42:43]
	s_or_b64 s[8:9], s[0:1], s[8:9]
	s_andn2_b64 s[0:1], s[40:41], exec
	s_and_b64 s[40:41], s[44:45], exec
	s_or_b64 s[40:41], s[0:1], s[40:41]
	s_andn2_b64 exec, exec, s[8:9]
	s_cbranch_execz .LBB7_137
.LBB7_133:                              ;   Parent Loop BB7_32 Depth=1
                                        ; =>  This Inner Loop Header: Depth=2
	v_cmp_gt_u64_e32 vcc, s[26:27], v[8:9]
	s_and_saveexec_b64 s[42:43], vcc
	s_cbranch_execz .LBB7_131
; %bb.134:                              ;   in Loop: Header=BB7_133 Depth=2
	ds_read_u8 v10, v2
	s_waitcnt lgkmcnt(0)
	v_and_b32_e32 v11, v10, v45
	v_cmp_eq_u32_sdwa s[0:1], v11, v43 src0_sel:BYTE_0 src1_sel:DWORD
	s_and_b64 exec, exec, s[0:1]
	s_cbranch_execz .LBB7_131
; %bb.135:                              ;   in Loop: Header=BB7_133 Depth=2
	v_lshlrev_b16_e32 v10, 8, v10
	v_or_b32_e32 v10, 1, v10
	ds_write_b16 v3, v10 offset:3072
	s_branch .LBB7_131
.LBB7_136:                              ;   in Loop: Header=BB7_133 Depth=2
	v_add_co_u32_e32 v8, vcc, s33, v8
	v_addc_co_u32_e32 v9, vcc, 0, v9, vcc
	v_cmp_le_i64_e32 vcc, s[36:37], v[8:9]
	v_add_u32_e32 v2, s33, v2
	s_mov_b64 s[44:45], 0
	s_orn2_b64 s[42:43], vcc, exec
	s_branch .LBB7_132
.LBB7_137:                              ;   in Loop: Header=BB7_32 Depth=1
	s_or_b64 exec, exec, s[8:9]
	s_andn2_b64 s[0:1], s[6:7], exec
	s_and_b64 s[6:7], s[40:41], exec
	v_lshrrev_b32_sdwa v46, v44, v10 dst_sel:DWORD dst_unused:UNUSED_PAD src0_sel:DWORD src1_sel:WORD_0
	s_or_b64 s[6:7], s[0:1], s[6:7]
.LBB7_138:                              ;   in Loop: Header=BB7_32 Depth=1
	s_or_b64 exec, exec, s[4:5]
	s_mov_b64 s[36:37], 0
	s_mov_b64 s[40:41], -1
.LBB7_139:                              ;   in Loop: Header=BB7_32 Depth=1
	s_orn2_b64 s[4:5], s[6:7], exec
.LBB7_140:                              ;   in Loop: Header=BB7_32 Depth=1
	s_or_b64 exec, exec, s[18:19]
	s_andn2_b64 s[0:1], s[78:79], exec
	s_and_b64 s[6:7], s[40:41], exec
	s_or_b64 s[78:79], s[0:1], s[6:7]
	s_andn2_b64 s[0:1], s[76:77], exec
	s_and_b64 s[6:7], s[36:37], exec
	s_andn2_b64 s[74:75], s[74:75], exec
	s_or_b64 s[76:77], s[0:1], s[6:7]
                                        ; implicit-def: $vgpr8_vgpr9
	s_and_saveexec_b64 s[18:19], s[4:5]
	s_cbranch_execz .LBB7_31
; %bb.141:                              ;   in Loop: Header=BB7_32 Depth=1
	v_mov_b32_e32 v8, 1
	s_xor_b64 s[0:1], s[20:21], -1
	v_mov_b32_e32 v2, 1
	v_mov_b32_e32 v9, 0
	s_mov_b64 s[6:7], 0
	s_and_saveexec_b64 s[4:5], s[0:1]
	s_cbranch_execz .LBB7_150
; %bb.142:                              ;   in Loop: Header=BB7_32 Depth=1
	v_cmp_le_i64_e32 vcc, v[26:27], v[4:5]
	s_and_saveexec_b64 s[0:1], vcc
	s_xor_b64 s[6:7], exec, s[0:1]
	s_cbranch_execz .LBB7_147
; %bb.143:                              ;   in Loop: Header=BB7_32 Depth=1
	ds_read_b64 v[8:9], v3 offset:5120
	v_and_b32_e32 v43, s89, v43
	v_or_b32_e32 v45, s88, v45
	s_waitcnt lgkmcnt(0)
	v_cmp_ne_u64_e32 vcc, 0, v[8:9]
	s_cbranch_vccnz .LBB7_147
; %bb.144:                              ;   in Loop: Header=BB7_32 Depth=1
	s_mov_b64 s[0:1], exec
	v_readlane_b32 s8, v57, 8
	v_readlane_b32 s9, v57, 9
	s_and_b64 s[8:9], s[0:1], s[8:9]
	s_mov_b64 exec, s[8:9]
; %bb.145:                              ;   in Loop: Header=BB7_32 Depth=1
	ds_write_b64 v3, v[4:5] offset:5128
; %bb.146:                              ;   in Loop: Header=BB7_32 Depth=1
	s_or_b64 exec, exec, s[0:1]
	s_waitcnt lgkmcnt(0)
	s_barrier
.LBB7_147:                              ;   in Loop: Header=BB7_32 Depth=1
	s_or_saveexec_b64 s[6:7], s[6:7]
	s_mov_b64 s[8:9], 0
	v_mov_b32_e32 v2, 8
	s_xor_b64 exec, exec, s[6:7]
; %bb.148:                              ;   in Loop: Header=BB7_32 Depth=1
	v_sub_co_u32_e32 v26, vcc, v26, v4
	v_subb_co_u32_e32 v27, vcc, v27, v5, vcc
	v_mov_b32_e32 v2, 0
	s_mov_b64 s[8:9], exec
; %bb.149:                              ;   in Loop: Header=BB7_32 Depth=1
	s_or_b64 exec, exec, s[6:7]
	v_mov_b32_e32 v8, v26
	s_and_b64 s[6:7], s[8:9], exec
	v_mov_b32_e32 v9, v27
.LBB7_150:                              ;   in Loop: Header=BB7_32 Depth=1
	s_or_b64 exec, exec, s[4:5]
	s_mov_b64 s[20:21], -1
	s_mov_b64 s[4:5], -1
                                        ; implicit-def: $sgpr14_sgpr15
                                        ; implicit-def: $sgpr82_sgpr83
	s_and_saveexec_b64 s[0:1], s[6:7]
	s_xor_b64 s[26:27], exec, s[0:1]
	s_cbranch_execz .LBB7_296
; %bb.151:                              ;   in Loop: Header=BB7_32 Depth=1
	v_cmp_eq_u64_e32 vcc, 1, v[6:7]
	v_cmp_eq_u64_e64 s[14:15], 1, v[8:9]
                                        ; implicit-def: $sgpr82_sgpr83
	s_and_b64 s[40:41], vcc, s[14:15]
                                        ; implicit-def: $sgpr14_sgpr15
	s_and_saveexec_b64 s[84:85], s[40:41]
	s_cbranch_execz .LBB7_186
; %bb.152:                              ;   in Loop: Header=BB7_32 Depth=1
	ds_read_b64 v[4:5], v3 offset:5120
	s_waitcnt lgkmcnt(0)
	s_barrier
	v_readfirstlane_b32 s86, v4
	v_readfirstlane_b32 s87, v5
	s_mov_b64 s[0:1], exec
	v_readlane_b32 s4, v57, 32
	v_readlane_b32 s5, v57, 33
	s_and_b64 s[4:5], s[0:1], s[4:5]
	s_mov_b64 exec, s[4:5]
; %bb.153:                              ;   in Loop: Header=BB7_32 Depth=1
	ds_write_b8 v0, v3 offset:3072
; %bb.154:                              ;   in Loop: Header=BB7_32 Depth=1
	s_or_b64 exec, exec, s[0:1]
	v_cmp_gt_i64_e64 s[0:1], s[86:87], 0
	v_and_b32_e32 v4, s89, v43
	v_lshl_or_b32 v43, 1, s13, v4
	v_or_b32_e32 v45, s88, v45
	s_mov_b64 s[14:15], -1
	s_mov_b64 s[82:83], 0
	s_and_b64 vcc, exec, s[0:1]
	s_mov_b64 s[36:37], 0
	s_mov_b64 s[6:7], -1
	s_waitcnt lgkmcnt(0)
	s_barrier
                                        ; implicit-def: $vgpr46
	s_cbranch_vccnz .LBB7_171
; %bb.155:                              ;   in Loop: Header=BB7_32 Depth=1
	s_mov_b32 s54, s47
	s_cmp_lg_u64 s[54:55], 0
	s_cbranch_scc0 .LBB7_158
; %bb.156:                              ;   in Loop: Header=BB7_32 Depth=1
	s_add_u32 s0, s33, 0
	s_addc_u32 s1, 0, 0
	s_xor_b64 s[6:7], s[0:1], 0
	v_cvt_f32_u32_e32 v4, s6
	v_cvt_f32_u32_e32 v5, s7
	s_sub_u32 s4, 0, s6
	s_subb_u32 s5, 0, s7
	v_mac_f32_e32 v4, 0x4f800000, v5
	v_rcp_f32_e32 v4, v4
	v_mul_f32_e32 v4, 0x5f7ffffc, v4
	v_mul_f32_e32 v5, 0x2f800000, v4
	v_trunc_f32_e32 v5, v5
	v_mac_f32_e32 v4, 0xcf800000, v5
	v_cvt_u32_f32_e32 v5, v5
	v_cvt_u32_f32_e32 v4, v4
	v_readfirstlane_b32 s8, v5
	v_readfirstlane_b32 s0, v4
	s_mul_i32 s1, s4, s8
	s_mul_hi_u32 s36, s4, s0
	s_mul_i32 s9, s5, s0
	s_add_i32 s1, s36, s1
	s_mul_i32 s37, s4, s0
	s_add_i32 s1, s1, s9
	s_mul_i32 s36, s0, s1
	s_mul_hi_u32 s42, s0, s37
	s_mul_hi_u32 s9, s0, s1
	s_add_u32 s36, s42, s36
	s_addc_u32 s9, 0, s9
	s_mul_hi_u32 s43, s8, s37
	s_mul_i32 s37, s8, s37
	s_add_u32 s36, s36, s37
	s_mul_hi_u32 s42, s8, s1
	s_addc_u32 s9, s9, s43
	s_addc_u32 s36, s42, 0
	s_mul_i32 s1, s8, s1
	s_add_u32 s1, s9, s1
	s_addc_u32 s9, 0, s36
	s_add_u32 s36, s0, s1
	s_cselect_b64 s[0:1], -1, 0
	s_cmp_lg_u64 s[0:1], 0
	s_addc_u32 s8, s8, s9
	s_mul_i32 s0, s4, s8
	s_mul_hi_u32 s1, s4, s36
	s_add_i32 s0, s1, s0
	s_mul_i32 s5, s5, s36
	s_add_i32 s0, s0, s5
	s_mul_i32 s4, s4, s36
	s_mul_hi_u32 s5, s8, s4
	s_mul_i32 s9, s8, s4
	s_mul_i32 s42, s36, s0
	s_mul_hi_u32 s4, s36, s4
	s_mul_hi_u32 s37, s36, s0
	s_add_u32 s4, s4, s42
	s_addc_u32 s37, 0, s37
	s_add_u32 s4, s4, s9
	s_mul_hi_u32 s1, s8, s0
	s_addc_u32 s4, s37, s5
	s_addc_u32 s1, s1, 0
	s_mul_i32 s0, s8, s0
	s_add_u32 s0, s4, s0
	s_addc_u32 s4, 0, s1
	s_add_u32 s9, s36, s0
	s_cselect_b64 s[0:1], -1, 0
	s_cmp_lg_u64 s[0:1], 0
	s_addc_u32 s8, s8, s4
	s_ashr_i32 s0, s55, 31
	v_readlane_b32 s4, v57, 17
	s_add_u32 s4, s4, s0
	s_mov_b32 s1, s0
	s_addc_u32 s5, s55, s0
	s_xor_b64 s[4:5], s[4:5], s[0:1]
	s_mul_i32 s37, s4, s8
	s_mul_hi_u32 s42, s4, s9
	s_mul_hi_u32 s36, s4, s8
	s_add_u32 s37, s42, s37
	s_addc_u32 s36, 0, s36
	s_mul_hi_u32 s43, s5, s9
	s_mul_i32 s9, s5, s9
	s_add_u32 s9, s37, s9
	s_mul_hi_u32 s42, s5, s8
	s_addc_u32 s9, s36, s43
	s_addc_u32 s36, s42, 0
	s_mul_i32 s8, s5, s8
	s_add_u32 s8, s9, s8
	s_addc_u32 s9, 0, s36
	s_mul_i32 s9, s6, s9
	s_mul_hi_u32 s36, s6, s8
	s_add_i32 s9, s36, s9
	s_mul_i32 s36, s7, s8
	s_add_i32 s42, s9, s36
	s_sub_i32 s36, s5, s42
	s_mul_i32 s8, s6, s8
	s_sub_u32 s4, s4, s8
	s_cselect_b64 s[8:9], -1, 0
	s_cmp_lg_u64 s[8:9], 0
	s_subb_u32 s43, s36, s7
	s_sub_u32 s44, s4, s6
	s_cselect_b64 s[36:37], -1, 0
	s_cmp_lg_u64 s[36:37], 0
	s_subb_u32 s45, s43, 0
	s_cmp_ge_u32 s45, s7
	s_cselect_b32 s46, -1, 0
	s_cmp_ge_u32 s44, s6
	s_cselect_b32 s54, -1, 0
	s_cmp_eq_u32 s45, s7
	s_cselect_b32 s46, s54, s46
	s_cmp_lg_u64 s[36:37], 0
	s_subb_u32 s43, s43, s7
	s_sub_u32 s54, s44, s6
	s_cselect_b64 s[36:37], -1, 0
	s_cmp_lg_u64 s[36:37], 0
	s_subb_u32 s36, s43, 0
	s_cmp_lg_u32 s46, 0
	s_cselect_b32 s37, s54, s44
	s_cselect_b32 s36, s36, s45
	s_cmp_lg_u64 s[8:9], 0
	s_subb_u32 s5, s5, s42
	s_cmp_ge_u32 s5, s7
	s_cselect_b32 s8, -1, 0
	s_cmp_ge_u32 s4, s6
	s_cselect_b32 s6, -1, 0
	s_cmp_eq_u32 s5, s7
	s_cselect_b32 s6, s6, s8
	s_cmp_lg_u32 s6, 0
	s_cselect_b32 s5, s36, s5
	s_cselect_b32 s4, s37, s4
	s_xor_b64 s[4:5], s[4:5], s[0:1]
	s_sub_u32 s4, s4, s0
	s_subb_u32 s5, s5, s0
	s_mov_b64 s[0:1], 0
	s_branch .LBB7_159
.LBB7_157:                              ;   in Loop: Header=BB7_32 Depth=1
                                        ; implicit-def: $sgpr4_sgpr5
	s_branch .LBB7_128
.LBB7_158:                              ;   in Loop: Header=BB7_32 Depth=1
	s_mov_b64 s[0:1], -1
                                        ; implicit-def: $sgpr4_sgpr5
.LBB7_159:                              ;   in Loop: Header=BB7_32 Depth=1
	s_andn2_b64 vcc, exec, s[0:1]
	v_readlane_b32 s54, v57, 37
	s_cbranch_vccnz .LBB7_161
; %bb.160:                              ;   in Loop: Header=BB7_32 Depth=1
	v_cvt_f32_u32_e32 v4, s33
	s_sub_i32 s0, 0, s33
	v_readlane_b32 s4, v57, 17
	v_rcp_iflag_f32_e32 v4, v4
	v_mul_f32_e32 v4, 0x4f7ffffe, v4
	v_cvt_u32_f32_e32 v4, v4
	v_readfirstlane_b32 s1, v4
	s_mul_i32 s0, s0, s1
	s_mul_hi_u32 s0, s1, s0
	s_add_i32 s1, s1, s0
	s_mul_hi_u32 s0, s4, s1
	s_mul_i32 s0, s0, s33
	s_sub_i32 s0, s4, s0
	s_sub_i32 s1, s0, s33
	s_cmp_ge_u32 s0, s33
	s_cselect_b32 s0, s1, s0
	s_sub_i32 s1, s0, s33
	s_cmp_ge_u32 s0, s33
	s_cselect_b32 s46, s1, s0
	s_mov_b64 s[4:5], s[46:47]
.LBB7_161:                              ;   in Loop: Header=BB7_32 Depth=1
	v_readlane_b32 s0, v57, 17
	s_sub_u32 s42, s0, s4
	s_subb_u32 s43, s55, s5
	v_cmp_gt_i64_e32 vcc, s[42:43], v[0:1]
	s_mov_b64 s[6:7], 0
	s_mov_b64 s[36:37], 0
                                        ; implicit-def: $vgpr46
	s_and_saveexec_b64 s[4:5], vcc
	s_mov_b32 s46, s56
	s_cbranch_execz .LBB7_170
; %bb.162:                              ;   in Loop: Header=BB7_32 Depth=1
	v_mov_b32_e32 v4, v12
	v_mov_b32_e32 v11, v1
	;; [unrolled: 1-line block ×4, first 2 shown]
                                        ; implicit-def: $sgpr44_sgpr45
	s_branch .LBB7_165
.LBB7_163:                              ;   in Loop: Header=BB7_165 Depth=2
	s_or_b64 exec, exec, s[8:9]
	s_waitcnt lgkmcnt(0)
	s_barrier
	ds_read_u16 v26, v3 offset:3072
	s_mov_b64 s[8:9], -1
	s_mov_b64 s[58:59], -1
	s_waitcnt lgkmcnt(0)
	s_barrier
	v_cmp_ne_u32_sdwa s[0:1], v26, v3 src0_sel:BYTE_0 src1_sel:DWORD
	s_and_b64 vcc, exec, s[0:1]
	s_cbranch_vccz .LBB7_168
.LBB7_164:                              ;   in Loop: Header=BB7_165 Depth=2
	s_and_b64 s[0:1], exec, s[8:9]
	s_or_b64 s[36:37], s[0:1], s[36:37]
	s_andn2_b64 s[0:1], s[44:45], exec
	s_and_b64 s[8:9], s[58:59], exec
	s_or_b64 s[44:45], s[0:1], s[8:9]
	s_andn2_b64 exec, exec, s[36:37]
	s_cbranch_execz .LBB7_169
.LBB7_165:                              ;   Parent Loop BB7_32 Depth=1
                                        ; =>  This Inner Loop Header: Depth=2
	v_cmp_gt_i64_e32 vcc, s[24:25], v[10:11]
	s_and_saveexec_b64 s[8:9], vcc
	s_cbranch_execz .LBB7_163
; %bb.166:                              ;   in Loop: Header=BB7_165 Depth=2
	global_load_ubyte v26, v[4:5], off
	s_waitcnt vmcnt(0)
	v_and_b32_e32 v27, v26, v45
	v_cmp_eq_u32_sdwa s[0:1], v27, v43 src0_sel:BYTE_0 src1_sel:DWORD
	s_and_b64 exec, exec, s[0:1]
	s_cbranch_execz .LBB7_163
; %bb.167:                              ;   in Loop: Header=BB7_165 Depth=2
	v_lshlrev_b16_e32 v26, 8, v26
	v_or_b32_e32 v26, 1, v26
	ds_write_b16 v3, v26 offset:3072
	s_branch .LBB7_163
.LBB7_168:                              ;   in Loop: Header=BB7_165 Depth=2
	v_add_co_u32_e32 v10, vcc, s33, v10
	v_addc_co_u32_e32 v11, vcc, 0, v11, vcc
	v_mov_b32_e32 v27, s52
	v_add_co_u32_e32 v4, vcc, s53, v4
	v_addc_co_u32_e32 v5, vcc, v5, v27, vcc
	v_cmp_le_i64_e32 vcc, s[42:43], v[10:11]
	s_mov_b64 s[58:59], 0
	s_orn2_b64 s[8:9], vcc, exec
	s_branch .LBB7_164
.LBB7_169:                              ;   in Loop: Header=BB7_32 Depth=1
	s_or_b64 exec, exec, s[36:37]
	v_lshrrev_b32_sdwa v46, v44, v26 dst_sel:DWORD dst_unused:UNUSED_PAD src0_sel:DWORD src1_sel:WORD_0
	s_and_b64 s[36:37], s[44:45], exec
.LBB7_170:                              ;   in Loop: Header=BB7_32 Depth=1
	s_or_b64 exec, exec, s[4:5]
.LBB7_171:                              ;   in Loop: Header=BB7_32 Depth=1
	s_and_b64 vcc, exec, s[6:7]
	s_cbranch_vccz .LBB7_185
; %bb.172:                              ;   in Loop: Header=BB7_32 Depth=1
	v_readlane_b32 s0, v57, 16
	s_add_u32 s8, s86, s0
	v_readlane_b32 s0, v57, 18
	s_addc_u32 s7, s87, s0
	s_mov_b32 s6, s47
	s_cmp_lg_u64 s[6:7], 0
	s_cbranch_scc0 .LBB7_204
; %bb.173:                              ;   in Loop: Header=BB7_32 Depth=1
	s_add_u32 s0, s33, 0
	s_addc_u32 s1, 0, 0
	s_xor_b64 s[14:15], s[0:1], 0
	v_cvt_f32_u32_e32 v4, s14
	v_cvt_f32_u32_e32 v5, s15
	s_sub_u32 s4, 0, s14
	s_subb_u32 s5, 0, s15
	v_mac_f32_e32 v4, 0x4f800000, v5
	v_rcp_f32_e32 v4, v4
	v_mul_f32_e32 v4, 0x5f7ffffc, v4
	v_mul_f32_e32 v5, 0x2f800000, v4
	v_trunc_f32_e32 v5, v5
	v_mac_f32_e32 v4, 0xcf800000, v5
	v_cvt_u32_f32_e32 v5, v5
	v_cvt_u32_f32_e32 v4, v4
	v_readfirstlane_b32 s6, v5
	v_readfirstlane_b32 s0, v4
	s_mul_i32 s1, s4, s6
	s_mul_hi_u32 s42, s4, s0
	s_mul_i32 s9, s5, s0
	s_add_i32 s1, s42, s1
	s_mul_i32 s43, s4, s0
	s_add_i32 s1, s1, s9
	s_mul_i32 s42, s0, s1
	s_mul_hi_u32 s44, s0, s43
	s_mul_hi_u32 s9, s0, s1
	s_add_u32 s42, s44, s42
	s_addc_u32 s9, 0, s9
	s_mul_hi_u32 s45, s6, s43
	s_mul_i32 s43, s6, s43
	s_add_u32 s42, s42, s43
	s_mul_hi_u32 s44, s6, s1
	s_addc_u32 s9, s9, s45
	s_addc_u32 s42, s44, 0
	s_mul_i32 s1, s6, s1
	s_add_u32 s1, s9, s1
	s_addc_u32 s9, 0, s42
	s_add_u32 s42, s0, s1
	s_cselect_b64 s[0:1], -1, 0
	s_cmp_lg_u64 s[0:1], 0
	s_addc_u32 s6, s6, s9
	s_mul_i32 s0, s4, s6
	s_mul_hi_u32 s1, s4, s42
	s_add_i32 s0, s1, s0
	s_mul_i32 s5, s5, s42
	s_add_i32 s0, s0, s5
	s_mul_i32 s4, s4, s42
	s_mul_hi_u32 s5, s6, s4
	s_mul_i32 s9, s6, s4
	s_mul_i32 s44, s42, s0
	s_mul_hi_u32 s4, s42, s4
	s_mul_hi_u32 s43, s42, s0
	s_add_u32 s4, s4, s44
	s_addc_u32 s43, 0, s43
	s_add_u32 s4, s4, s9
	s_mul_hi_u32 s1, s6, s0
	s_addc_u32 s4, s43, s5
	s_addc_u32 s1, s1, 0
	s_mul_i32 s0, s6, s0
	s_add_u32 s0, s4, s0
	s_addc_u32 s4, 0, s1
	s_add_u32 s9, s42, s0
	s_cselect_b64 s[0:1], -1, 0
	s_cmp_lg_u64 s[0:1], 0
	s_addc_u32 s6, s6, s4
	s_ashr_i32 s0, s7, 31
	s_add_u32 s4, s8, s0
	s_mov_b32 s1, s0
	s_addc_u32 s5, s7, s0
	s_xor_b64 s[4:5], s[4:5], s[0:1]
	s_mul_i32 s43, s4, s6
	s_mul_hi_u32 s44, s4, s9
	s_mul_hi_u32 s42, s4, s6
	s_add_u32 s43, s44, s43
	s_addc_u32 s42, 0, s42
	s_mul_hi_u32 s45, s5, s9
	s_mul_i32 s9, s5, s9
	s_add_u32 s9, s43, s9
	s_mul_hi_u32 s44, s5, s6
	s_addc_u32 s9, s42, s45
	s_addc_u32 s42, s44, 0
	s_mul_i32 s6, s5, s6
	s_add_u32 s6, s9, s6
	s_addc_u32 s9, 0, s42
	s_mul_i32 s9, s14, s9
	s_mul_hi_u32 s42, s14, s6
	s_add_i32 s9, s42, s9
	s_mul_i32 s42, s15, s6
	s_add_i32 s9, s9, s42
	s_sub_i32 s44, s5, s9
	s_mul_i32 s6, s14, s6
	s_sub_u32 s4, s4, s6
	s_cselect_b64 s[42:43], -1, 0
	s_cmp_lg_u64 s[42:43], 0
	s_subb_u32 s6, s44, s15
	s_sub_u32 s46, s4, s14
	s_cselect_b64 s[44:45], -1, 0
	s_cmp_lg_u64 s[44:45], 0
	s_subb_u32 s54, s6, 0
	s_cmp_ge_u32 s54, s15
	s_cselect_b32 s58, -1, 0
	s_cmp_ge_u32 s46, s14
	s_cselect_b32 s59, -1, 0
	s_cmp_eq_u32 s54, s15
	s_cselect_b32 s58, s59, s58
	s_cmp_lg_u64 s[44:45], 0
	s_subb_u32 s6, s6, s15
	s_sub_u32 s59, s46, s14
	s_cselect_b64 s[44:45], -1, 0
	s_cmp_lg_u64 s[44:45], 0
	s_subb_u32 s6, s6, 0
	s_cmp_lg_u32 s58, 0
	s_cselect_b32 s44, s59, s46
	s_cselect_b32 s6, s6, s54
	s_cmp_lg_u64 s[42:43], 0
	s_subb_u32 s5, s5, s9
	s_cmp_ge_u32 s5, s15
	s_cselect_b32 s9, -1, 0
	s_cmp_ge_u32 s4, s14
	s_cselect_b32 s14, -1, 0
	s_cmp_eq_u32 s5, s15
	s_cselect_b32 s9, s14, s9
	s_cmp_lg_u32 s9, 0
	s_cselect_b32 s5, s6, s5
	s_cselect_b32 s4, s44, s4
	s_xor_b64 s[4:5], s[4:5], s[0:1]
	s_sub_u32 s4, s4, s0
	v_readlane_b32 s54, v57, 37
	s_subb_u32 s5, s5, s0
	s_cbranch_execnz .LBB7_175
.LBB7_174:                              ;   in Loop: Header=BB7_32 Depth=1
	v_cvt_f32_u32_e32 v4, s33
	s_sub_i32 s0, 0, s33
	v_rcp_iflag_f32_e32 v4, v4
	v_mul_f32_e32 v4, 0x4f7ffffe, v4
	v_cvt_u32_f32_e32 v4, v4
	v_readfirstlane_b32 s1, v4
	s_mul_i32 s0, s0, s1
	s_mul_hi_u32 s0, s1, s0
	s_add_i32 s1, s1, s0
	s_mul_hi_u32 s0, s8, s1
	s_mul_i32 s0, s0, s33
	s_sub_i32 s0, s8, s0
	s_sub_i32 s1, s0, s33
	s_cmp_ge_u32 s0, s33
	s_cselect_b32 s0, s1, s0
	s_sub_i32 s1, s0, s33
	s_cmp_ge_u32 s0, s33
	s_cselect_b32 s46, s1, s0
	s_mov_b64 s[4:5], s[46:47]
.LBB7_175:                              ;   in Loop: Header=BB7_32 Depth=1
	s_sub_u32 s6, s8, s4
	s_subb_u32 s7, s7, s5
	v_cmp_gt_i64_e32 vcc, s[6:7], v[0:1]
                                        ; implicit-def: $vgpr46
	s_and_saveexec_b64 s[4:5], vcc
	s_mov_b32 s46, s56
	s_cbranch_execz .LBB7_184
; %bb.176:                              ;   in Loop: Header=BB7_32 Depth=1
	v_mov_b32_e32 v5, v1
	s_mov_b64 s[8:9], 0
	v_mov_b32_e32 v10, v0
	v_mov_b32_e32 v4, v0
                                        ; implicit-def: $sgpr14_sgpr15
	s_branch .LBB7_179
.LBB7_177:                              ;   in Loop: Header=BB7_179 Depth=2
	s_or_b64 exec, exec, s[42:43]
	s_waitcnt lgkmcnt(0)
	s_barrier
	ds_read_u16 v11, v3 offset:3072
	s_mov_b64 s[42:43], -1
	s_mov_b64 s[44:45], -1
	s_waitcnt lgkmcnt(0)
	s_barrier
	v_cmp_eq_u32_sdwa s[0:1], v11, v3 src0_sel:BYTE_0 src1_sel:DWORD
	s_and_b64 vcc, exec, s[0:1]
	s_cbranch_vccnz .LBB7_182
.LBB7_178:                              ;   in Loop: Header=BB7_179 Depth=2
	s_and_b64 s[0:1], exec, s[42:43]
	s_or_b64 s[8:9], s[0:1], s[8:9]
	s_andn2_b64 s[0:1], s[14:15], exec
	s_and_b64 s[14:15], s[44:45], exec
	s_or_b64 s[14:15], s[0:1], s[14:15]
	s_andn2_b64 exec, exec, s[8:9]
	s_cbranch_execz .LBB7_183
.LBB7_179:                              ;   Parent Loop BB7_32 Depth=1
                                        ; =>  This Inner Loop Header: Depth=2
	v_cmp_gt_u64_e32 vcc, s[86:87], v[4:5]
	s_and_saveexec_b64 s[42:43], vcc
	s_cbranch_execz .LBB7_177
; %bb.180:                              ;   in Loop: Header=BB7_179 Depth=2
	ds_read_u8 v11, v10
	s_waitcnt lgkmcnt(0)
	v_and_b32_e32 v26, v11, v45
	v_cmp_eq_u32_sdwa s[0:1], v26, v43 src0_sel:BYTE_0 src1_sel:DWORD
	s_and_b64 exec, exec, s[0:1]
	s_cbranch_execz .LBB7_177
; %bb.181:                              ;   in Loop: Header=BB7_179 Depth=2
	v_lshlrev_b16_e32 v11, 8, v11
	v_or_b32_e32 v11, 1, v11
	ds_write_b16 v3, v11 offset:3072
	s_branch .LBB7_177
.LBB7_182:                              ;   in Loop: Header=BB7_179 Depth=2
	v_add_co_u32_e32 v4, vcc, s33, v4
	v_addc_co_u32_e32 v5, vcc, 0, v5, vcc
	v_cmp_le_i64_e32 vcc, s[6:7], v[4:5]
	v_add_u32_e32 v10, s33, v10
	s_mov_b64 s[44:45], 0
	s_orn2_b64 s[42:43], vcc, exec
	s_branch .LBB7_178
.LBB7_183:                              ;   in Loop: Header=BB7_32 Depth=1
	s_or_b64 exec, exec, s[8:9]
	s_andn2_b64 s[0:1], s[36:37], exec
	s_and_b64 s[6:7], s[14:15], exec
	v_lshrrev_b32_sdwa v46, v44, v11 dst_sel:DWORD dst_unused:UNUSED_PAD src0_sel:DWORD src1_sel:WORD_0
	s_or_b64 s[36:37], s[0:1], s[6:7]
.LBB7_184:                              ;   in Loop: Header=BB7_32 Depth=1
	s_or_b64 exec, exec, s[4:5]
	s_mov_b64 s[14:15], 0
	s_mov_b64 s[82:83], -1
.LBB7_185:                              ;   in Loop: Header=BB7_32 Depth=1
	s_orn2_b64 s[4:5], s[36:37], exec
.LBB7_186:                              ;   in Loop: Header=BB7_32 Depth=1
	s_or_b64 exec, exec, s[84:85]
	s_mov_b64 s[6:7], 0
	s_and_saveexec_b64 s[84:85], s[4:5]
	s_cbranch_execz .LBB7_295
; %bb.187:                              ;   in Loop: Header=BB7_32 Depth=1
	v_mov_b32_e32 v4, 1
	s_xor_b64 s[0:1], s[40:41], -1
	v_mov_b32_e32 v2, 1
	v_mov_b32_e32 v5, 0
	s_mov_b64 s[8:9], 0
	s_and_saveexec_b64 s[6:7], s[0:1]
	s_cbranch_execz .LBB7_197
; %bb.188:                              ;   in Loop: Header=BB7_32 Depth=1
	v_cmp_le_i64_e32 vcc, v[8:9], v[6:7]
	s_and_saveexec_b64 s[0:1], vcc
	s_xor_b64 s[4:5], exec, s[0:1]
	s_cbranch_execz .LBB7_194
; %bb.189:                              ;   in Loop: Header=BB7_32 Depth=1
	ds_read_b64 v[4:5], v3 offset:5120
	v_and_b32_e32 v2, s89, v43
	v_lshl_or_b32 v43, 1, s13, v2
	v_or_b32_e32 v45, s88, v45
	s_waitcnt lgkmcnt(0)
	v_cmp_ne_u64_e32 vcc, 0, v[4:5]
	s_cbranch_vccnz .LBB7_193
; %bb.190:                              ;   in Loop: Header=BB7_32 Depth=1
	s_mov_b64 s[0:1], exec
	v_readlane_b32 s8, v57, 8
	v_readlane_b32 s9, v57, 9
	s_and_b64 s[8:9], s[0:1], s[8:9]
	s_mov_b64 exec, s[8:9]
; %bb.191:                              ;   in Loop: Header=BB7_32 Depth=1
	ds_write_b64 v3, v[6:7] offset:5128
; %bb.192:                              ;   in Loop: Header=BB7_32 Depth=1
	s_or_b64 exec, exec, s[0:1]
	s_waitcnt lgkmcnt(0)
	s_barrier
.LBB7_193:                              ;   in Loop: Header=BB7_32 Depth=1
                                        ; implicit-def: $vgpr4_vgpr5_vgpr6_vgpr7
.LBB7_194:                              ;   in Loop: Header=BB7_32 Depth=1
	s_or_saveexec_b64 s[4:5], s[4:5]
	s_mov_b64 s[8:9], 0
	v_mov_b32_e32 v2, 8
	s_xor_b64 exec, exec, s[4:5]
; %bb.195:                              ;   in Loop: Header=BB7_32 Depth=1
	v_sub_co_u32_e32 v8, vcc, v8, v6
	v_subb_co_u32_e32 v9, vcc, v9, v7, vcc
	v_mov_b32_e32 v2, 0
	s_mov_b64 s[8:9], exec
; %bb.196:                              ;   in Loop: Header=BB7_32 Depth=1
	s_or_b64 exec, exec, s[4:5]
	v_mov_b32_e32 v4, v8
	s_and_b64 s[8:9], s[8:9], exec
	v_mov_b32_e32 v5, v9
.LBB7_197:                              ;   in Loop: Header=BB7_32 Depth=1
	s_or_b64 exec, exec, s[6:7]
	s_mov_b64 s[4:5], -1
                                        ; implicit-def: $sgpr42_sgpr43
                                        ; implicit-def: $sgpr90_sgpr91
	s_and_saveexec_b64 s[86:87], s[8:9]
	s_cbranch_execz .LBB7_294
; %bb.198:                              ;   in Loop: Header=BB7_32 Depth=1
	s_cmp_eq_u64 s[80:81], 1
	v_cmp_eq_u64_e32 vcc, 1, v[4:5]
	s_cselect_b64 s[0:1], -1, 0
	s_and_b64 s[92:93], s[0:1], vcc
                                        ; implicit-def: $sgpr90_sgpr91
                                        ; implicit-def: $sgpr42_sgpr43
	s_and_saveexec_b64 s[40:41], s[92:93]
	s_cbranch_execz .LBB7_234
; %bb.199:                              ;   in Loop: Header=BB7_32 Depth=1
	ds_read_b64 v[6:7], v3 offset:5120
	s_waitcnt lgkmcnt(0)
	s_barrier
	v_readfirstlane_b32 s94, v6
	v_readfirstlane_b32 s95, v7
	s_mov_b64 s[0:1], exec
	v_readlane_b32 s4, v57, 32
	v_readlane_b32 s5, v57, 33
	s_and_b64 s[4:5], s[0:1], s[4:5]
	s_mov_b64 exec, s[4:5]
; %bb.200:                              ;   in Loop: Header=BB7_32 Depth=1
	ds_write_b8 v0, v3 offset:3072
; %bb.201:                              ;   in Loop: Header=BB7_32 Depth=1
	s_or_b64 exec, exec, s[0:1]
	v_cmp_gt_i64_e64 s[0:1], s[94:95], 0
	v_and_b32_e32 v6, s89, v43
	v_lshl_or_b32 v43, 2, s13, v6
	v_or_b32_e32 v45, s88, v45
	s_mov_b64 s[90:91], 0
	s_and_b64 vcc, exec, s[0:1]
	s_mov_b64 s[36:37], 0
	s_mov_b64 s[6:7], -1
	s_waitcnt lgkmcnt(0)
	s_barrier
                                        ; implicit-def: $vgpr46
	s_cbranch_vccnz .LBB7_218
; %bb.202:                              ;   in Loop: Header=BB7_32 Depth=1
	s_mov_b32 s54, s47
	s_cmp_lg_u64 s[54:55], 0
	s_cbranch_scc0 .LBB7_205
; %bb.203:                              ;   in Loop: Header=BB7_32 Depth=1
	s_add_u32 s0, s33, 0
	s_addc_u32 s1, 0, 0
	s_xor_b64 s[6:7], s[0:1], 0
	v_cvt_f32_u32_e32 v6, s6
	v_cvt_f32_u32_e32 v7, s7
	s_sub_u32 s4, 0, s6
	s_subb_u32 s5, 0, s7
	v_mac_f32_e32 v6, 0x4f800000, v7
	v_rcp_f32_e32 v6, v6
	v_mul_f32_e32 v6, 0x5f7ffffc, v6
	v_mul_f32_e32 v7, 0x2f800000, v6
	v_trunc_f32_e32 v7, v7
	v_mac_f32_e32 v6, 0xcf800000, v7
	v_cvt_u32_f32_e32 v7, v7
	v_cvt_u32_f32_e32 v6, v6
	v_readfirstlane_b32 s8, v7
	v_readfirstlane_b32 s0, v6
	s_mul_i32 s1, s4, s8
	s_mul_hi_u32 s36, s4, s0
	s_mul_i32 s9, s5, s0
	s_add_i32 s1, s36, s1
	s_mul_i32 s37, s4, s0
	s_add_i32 s1, s1, s9
	s_mul_i32 s36, s0, s1
	s_mul_hi_u32 s42, s0, s37
	s_mul_hi_u32 s9, s0, s1
	s_add_u32 s36, s42, s36
	s_addc_u32 s9, 0, s9
	s_mul_hi_u32 s43, s8, s37
	s_mul_i32 s37, s8, s37
	s_add_u32 s36, s36, s37
	s_mul_hi_u32 s42, s8, s1
	s_addc_u32 s9, s9, s43
	s_addc_u32 s36, s42, 0
	s_mul_i32 s1, s8, s1
	s_add_u32 s1, s9, s1
	s_addc_u32 s9, 0, s36
	s_add_u32 s36, s0, s1
	s_cselect_b64 s[0:1], -1, 0
	s_cmp_lg_u64 s[0:1], 0
	s_addc_u32 s8, s8, s9
	s_mul_i32 s0, s4, s8
	s_mul_hi_u32 s1, s4, s36
	s_add_i32 s0, s1, s0
	s_mul_i32 s5, s5, s36
	s_add_i32 s0, s0, s5
	s_mul_i32 s4, s4, s36
	s_mul_hi_u32 s5, s8, s4
	s_mul_i32 s9, s8, s4
	s_mul_i32 s42, s36, s0
	s_mul_hi_u32 s4, s36, s4
	s_mul_hi_u32 s37, s36, s0
	s_add_u32 s4, s4, s42
	s_addc_u32 s37, 0, s37
	s_add_u32 s4, s4, s9
	s_mul_hi_u32 s1, s8, s0
	s_addc_u32 s4, s37, s5
	s_addc_u32 s1, s1, 0
	s_mul_i32 s0, s8, s0
	s_add_u32 s0, s4, s0
	s_addc_u32 s4, 0, s1
	s_add_u32 s9, s36, s0
	s_cselect_b64 s[0:1], -1, 0
	s_cmp_lg_u64 s[0:1], 0
	s_addc_u32 s8, s8, s4
	s_ashr_i32 s0, s55, 31
	v_readlane_b32 s4, v57, 17
	s_add_u32 s4, s4, s0
	s_mov_b32 s1, s0
	s_addc_u32 s5, s55, s0
	s_xor_b64 s[4:5], s[4:5], s[0:1]
	s_mul_i32 s37, s4, s8
	s_mul_hi_u32 s42, s4, s9
	s_mul_hi_u32 s36, s4, s8
	s_add_u32 s37, s42, s37
	s_addc_u32 s36, 0, s36
	s_mul_hi_u32 s43, s5, s9
	s_mul_i32 s9, s5, s9
	s_add_u32 s9, s37, s9
	s_mul_hi_u32 s42, s5, s8
	s_addc_u32 s9, s36, s43
	s_addc_u32 s36, s42, 0
	s_mul_i32 s8, s5, s8
	s_add_u32 s8, s9, s8
	s_addc_u32 s9, 0, s36
	s_mul_i32 s9, s6, s9
	s_mul_hi_u32 s36, s6, s8
	s_add_i32 s9, s36, s9
	s_mul_i32 s36, s7, s8
	s_add_i32 s42, s9, s36
	s_sub_i32 s36, s5, s42
	s_mul_i32 s8, s6, s8
	s_sub_u32 s4, s4, s8
	s_cselect_b64 s[8:9], -1, 0
	s_cmp_lg_u64 s[8:9], 0
	s_subb_u32 s43, s36, s7
	s_sub_u32 s44, s4, s6
	s_cselect_b64 s[36:37], -1, 0
	s_cmp_lg_u64 s[36:37], 0
	s_subb_u32 s45, s43, 0
	s_cmp_ge_u32 s45, s7
	s_cselect_b32 s46, -1, 0
	s_cmp_ge_u32 s44, s6
	s_cselect_b32 s54, -1, 0
	s_cmp_eq_u32 s45, s7
	s_cselect_b32 s46, s54, s46
	s_cmp_lg_u64 s[36:37], 0
	s_subb_u32 s43, s43, s7
	s_sub_u32 s54, s44, s6
	s_cselect_b64 s[36:37], -1, 0
	s_cmp_lg_u64 s[36:37], 0
	s_subb_u32 s36, s43, 0
	s_cmp_lg_u32 s46, 0
	s_cselect_b32 s37, s54, s44
	s_cselect_b32 s36, s36, s45
	s_cmp_lg_u64 s[8:9], 0
	s_subb_u32 s5, s5, s42
	s_cmp_ge_u32 s5, s7
	s_cselect_b32 s8, -1, 0
	s_cmp_ge_u32 s4, s6
	s_cselect_b32 s6, -1, 0
	s_cmp_eq_u32 s5, s7
	s_cselect_b32 s6, s6, s8
	s_cmp_lg_u32 s6, 0
	s_cselect_b32 s5, s36, s5
	s_cselect_b32 s4, s37, s4
	s_xor_b64 s[4:5], s[4:5], s[0:1]
	s_sub_u32 s4, s4, s0
	s_subb_u32 s5, s5, s0
	s_mov_b64 s[0:1], 0
	s_branch .LBB7_206
.LBB7_204:                              ;   in Loop: Header=BB7_32 Depth=1
                                        ; implicit-def: $sgpr4_sgpr5
	s_branch .LBB7_174
.LBB7_205:                              ;   in Loop: Header=BB7_32 Depth=1
	s_mov_b64 s[0:1], -1
                                        ; implicit-def: $sgpr4_sgpr5
.LBB7_206:                              ;   in Loop: Header=BB7_32 Depth=1
	s_andn2_b64 vcc, exec, s[0:1]
	v_readlane_b32 s54, v57, 37
	s_cbranch_vccnz .LBB7_208
; %bb.207:                              ;   in Loop: Header=BB7_32 Depth=1
	v_cvt_f32_u32_e32 v6, s33
	s_sub_i32 s0, 0, s33
	v_readlane_b32 s4, v57, 17
	v_rcp_iflag_f32_e32 v6, v6
	v_mul_f32_e32 v6, 0x4f7ffffe, v6
	v_cvt_u32_f32_e32 v6, v6
	v_readfirstlane_b32 s1, v6
	s_mul_i32 s0, s0, s1
	s_mul_hi_u32 s0, s1, s0
	s_add_i32 s1, s1, s0
	s_mul_hi_u32 s0, s4, s1
	s_mul_i32 s0, s0, s33
	s_sub_i32 s0, s4, s0
	s_sub_i32 s1, s0, s33
	s_cmp_ge_u32 s0, s33
	s_cselect_b32 s0, s1, s0
	s_sub_i32 s1, s0, s33
	s_cmp_ge_u32 s0, s33
	s_cselect_b32 s46, s1, s0
	s_mov_b64 s[4:5], s[46:47]
.LBB7_208:                              ;   in Loop: Header=BB7_32 Depth=1
	v_readlane_b32 s0, v57, 17
	s_sub_u32 s42, s0, s4
	s_subb_u32 s43, s55, s5
	v_cmp_gt_i64_e32 vcc, s[42:43], v[0:1]
	s_mov_b64 s[6:7], 0
	s_mov_b64 s[36:37], 0
                                        ; implicit-def: $vgpr46
	s_and_saveexec_b64 s[4:5], vcc
	s_mov_b32 s46, s56
	s_cbranch_execz .LBB7_217
; %bb.209:                              ;   in Loop: Header=BB7_32 Depth=1
	v_mov_b32_e32 v6, v12
	v_mov_b32_e32 v9, v1
	;; [unrolled: 1-line block ×4, first 2 shown]
                                        ; implicit-def: $sgpr44_sgpr45
	s_branch .LBB7_212
.LBB7_210:                              ;   in Loop: Header=BB7_212 Depth=2
	s_or_b64 exec, exec, s[8:9]
	s_waitcnt lgkmcnt(0)
	s_barrier
	ds_read_u16 v10, v3 offset:3072
	s_mov_b64 s[8:9], -1
	s_mov_b64 s[58:59], -1
	s_waitcnt lgkmcnt(0)
	s_barrier
	v_cmp_ne_u32_sdwa s[0:1], v10, v3 src0_sel:BYTE_0 src1_sel:DWORD
	s_and_b64 vcc, exec, s[0:1]
	s_cbranch_vccz .LBB7_215
.LBB7_211:                              ;   in Loop: Header=BB7_212 Depth=2
	s_and_b64 s[0:1], exec, s[8:9]
	s_or_b64 s[36:37], s[0:1], s[36:37]
	s_andn2_b64 s[0:1], s[44:45], exec
	s_and_b64 s[8:9], s[58:59], exec
	s_or_b64 s[44:45], s[0:1], s[8:9]
	s_andn2_b64 exec, exec, s[36:37]
	s_cbranch_execz .LBB7_216
.LBB7_212:                              ;   Parent Loop BB7_32 Depth=1
                                        ; =>  This Inner Loop Header: Depth=2
	v_cmp_gt_i64_e32 vcc, s[24:25], v[8:9]
	s_and_saveexec_b64 s[8:9], vcc
	s_cbranch_execz .LBB7_210
; %bb.213:                              ;   in Loop: Header=BB7_212 Depth=2
	global_load_ubyte v10, v[6:7], off
	s_waitcnt vmcnt(0)
	v_and_b32_e32 v11, v10, v45
	v_cmp_eq_u32_sdwa s[0:1], v11, v43 src0_sel:BYTE_0 src1_sel:DWORD
	s_and_b64 exec, exec, s[0:1]
	s_cbranch_execz .LBB7_210
; %bb.214:                              ;   in Loop: Header=BB7_212 Depth=2
	v_lshlrev_b16_e32 v10, 8, v10
	v_or_b32_e32 v10, 1, v10
	ds_write_b16 v3, v10 offset:3072
	s_branch .LBB7_210
.LBB7_215:                              ;   in Loop: Header=BB7_212 Depth=2
	v_add_co_u32_e32 v8, vcc, s33, v8
	v_addc_co_u32_e32 v9, vcc, 0, v9, vcc
	v_mov_b32_e32 v11, s52
	v_add_co_u32_e32 v6, vcc, s53, v6
	v_addc_co_u32_e32 v7, vcc, v7, v11, vcc
	v_cmp_le_i64_e32 vcc, s[42:43], v[8:9]
	s_mov_b64 s[58:59], 0
	s_orn2_b64 s[8:9], vcc, exec
	s_branch .LBB7_211
.LBB7_216:                              ;   in Loop: Header=BB7_32 Depth=1
	s_or_b64 exec, exec, s[36:37]
	v_lshrrev_b32_sdwa v46, v44, v10 dst_sel:DWORD dst_unused:UNUSED_PAD src0_sel:DWORD src1_sel:WORD_0
	s_and_b64 s[36:37], s[44:45], exec
.LBB7_217:                              ;   in Loop: Header=BB7_32 Depth=1
	s_or_b64 exec, exec, s[4:5]
.LBB7_218:                              ;   in Loop: Header=BB7_32 Depth=1
	s_and_b64 vcc, exec, s[6:7]
	s_cbranch_vccz .LBB7_230
; %bb.219:                              ;   in Loop: Header=BB7_32 Depth=1
	v_readlane_b32 s0, v57, 16
	s_add_u32 s8, s94, s0
	v_readlane_b32 s0, v57, 18
	s_addc_u32 s7, s95, s0
	s_mov_b32 s6, s47
	s_cmp_lg_u64 s[6:7], 0
	s_cbranch_scc0 .LBB7_251
; %bb.220:                              ;   in Loop: Header=BB7_32 Depth=1
	s_add_u32 s0, s33, 0
	s_addc_u32 s1, 0, 0
	s_xor_b64 s[42:43], s[0:1], 0
	v_cvt_f32_u32_e32 v6, s42
	v_cvt_f32_u32_e32 v7, s43
	s_sub_u32 s4, 0, s42
	s_subb_u32 s5, 0, s43
	v_mac_f32_e32 v6, 0x4f800000, v7
	v_rcp_f32_e32 v6, v6
	v_mul_f32_e32 v6, 0x5f7ffffc, v6
	v_mul_f32_e32 v7, 0x2f800000, v6
	v_trunc_f32_e32 v7, v7
	v_mac_f32_e32 v6, 0xcf800000, v7
	v_cvt_u32_f32_e32 v7, v7
	v_cvt_u32_f32_e32 v6, v6
	v_readfirstlane_b32 s6, v7
	v_readfirstlane_b32 s0, v6
	s_mul_i32 s1, s4, s6
	s_mul_hi_u32 s44, s4, s0
	s_mul_i32 s9, s5, s0
	s_add_i32 s1, s44, s1
	s_mul_i32 s45, s4, s0
	s_add_i32 s1, s1, s9
	s_mul_i32 s44, s0, s1
	s_mul_hi_u32 s46, s0, s45
	s_mul_hi_u32 s9, s0, s1
	s_add_u32 s44, s46, s44
	s_addc_u32 s9, 0, s9
	s_mul_hi_u32 s54, s6, s45
	s_mul_i32 s45, s6, s45
	s_add_u32 s44, s44, s45
	s_mul_hi_u32 s46, s6, s1
	s_addc_u32 s9, s9, s54
	s_addc_u32 s44, s46, 0
	s_mul_i32 s1, s6, s1
	s_add_u32 s1, s9, s1
	s_addc_u32 s9, 0, s44
	s_add_u32 s44, s0, s1
	s_cselect_b64 s[0:1], -1, 0
	s_cmp_lg_u64 s[0:1], 0
	s_addc_u32 s6, s6, s9
	s_mul_i32 s0, s4, s6
	s_mul_hi_u32 s1, s4, s44
	s_add_i32 s0, s1, s0
	s_mul_i32 s5, s5, s44
	s_add_i32 s0, s0, s5
	s_mul_i32 s4, s4, s44
	s_mul_hi_u32 s5, s6, s4
	s_mul_i32 s9, s6, s4
	s_mul_i32 s46, s44, s0
	s_mul_hi_u32 s4, s44, s4
	s_mul_hi_u32 s45, s44, s0
	s_add_u32 s4, s4, s46
	s_addc_u32 s45, 0, s45
	s_add_u32 s4, s4, s9
	s_mul_hi_u32 s1, s6, s0
	s_addc_u32 s4, s45, s5
	s_addc_u32 s1, s1, 0
	s_mul_i32 s0, s6, s0
	s_add_u32 s0, s4, s0
	s_addc_u32 s4, 0, s1
	s_add_u32 s9, s44, s0
	s_cselect_b64 s[0:1], -1, 0
	s_cmp_lg_u64 s[0:1], 0
	s_addc_u32 s6, s6, s4
	s_ashr_i32 s0, s7, 31
	s_add_u32 s4, s8, s0
	s_mov_b32 s1, s0
	s_addc_u32 s5, s7, s0
	s_xor_b64 s[4:5], s[4:5], s[0:1]
	s_mul_i32 s45, s4, s6
	s_mul_hi_u32 s46, s4, s9
	s_mul_hi_u32 s44, s4, s6
	s_add_u32 s45, s46, s45
	s_addc_u32 s44, 0, s44
	s_mul_hi_u32 s54, s5, s9
	s_mul_i32 s9, s5, s9
	s_add_u32 s9, s45, s9
	s_mul_hi_u32 s46, s5, s6
	s_addc_u32 s9, s44, s54
	s_addc_u32 s44, s46, 0
	s_mul_i32 s6, s5, s6
	s_add_u32 s6, s9, s6
	s_addc_u32 s9, 0, s44
	s_mul_i32 s9, s42, s9
	s_mul_hi_u32 s44, s42, s6
	s_add_i32 s9, s44, s9
	s_mul_i32 s44, s43, s6
	s_add_i32 s9, s9, s44
	s_sub_i32 s46, s5, s9
	s_mul_i32 s6, s42, s6
	s_sub_u32 s4, s4, s6
	s_cselect_b64 s[44:45], -1, 0
	s_cmp_lg_u64 s[44:45], 0
	s_subb_u32 s6, s46, s43
	s_sub_u32 s46, s4, s42
	s_cselect_b64 s[58:59], -1, 0
	s_cmp_lg_u64 s[58:59], 0
	s_subb_u32 s54, s6, 0
	s_cmp_ge_u32 s54, s43
	s_cselect_b32 s60, -1, 0
	s_cmp_ge_u32 s46, s42
	s_cselect_b32 s61, -1, 0
	s_cmp_eq_u32 s54, s43
	s_cselect_b32 s60, s61, s60
	s_cmp_lg_u64 s[58:59], 0
	s_subb_u32 s6, s6, s43
	s_sub_u32 s61, s46, s42
	s_cselect_b64 s[58:59], -1, 0
	s_cmp_lg_u64 s[58:59], 0
	s_subb_u32 s6, s6, 0
	s_cmp_lg_u32 s60, 0
	s_cselect_b32 s46, s61, s46
	s_cselect_b32 s6, s6, s54
	s_cmp_lg_u64 s[44:45], 0
	s_subb_u32 s5, s5, s9
	s_cmp_ge_u32 s5, s43
	s_cselect_b32 s9, -1, 0
	s_cmp_ge_u32 s4, s42
	s_cselect_b32 s42, -1, 0
	s_cmp_eq_u32 s5, s43
	s_cselect_b32 s9, s42, s9
	s_cmp_lg_u32 s9, 0
	s_cselect_b32 s5, s6, s5
	s_cselect_b32 s4, s46, s4
	s_xor_b64 s[4:5], s[4:5], s[0:1]
	s_sub_u32 s4, s4, s0
	v_readlane_b32 s54, v57, 37
	s_subb_u32 s5, s5, s0
	s_cbranch_execnz .LBB7_222
.LBB7_221:                              ;   in Loop: Header=BB7_32 Depth=1
	v_cvt_f32_u32_e32 v6, s33
	s_sub_i32 s0, 0, s33
	v_rcp_iflag_f32_e32 v6, v6
	v_mul_f32_e32 v6, 0x4f7ffffe, v6
	v_cvt_u32_f32_e32 v6, v6
	v_readfirstlane_b32 s1, v6
	s_mul_i32 s0, s0, s1
	s_mul_hi_u32 s0, s1, s0
	s_add_i32 s1, s1, s0
	s_mul_hi_u32 s0, s8, s1
	s_mul_i32 s0, s0, s33
	s_sub_i32 s0, s8, s0
	s_sub_i32 s1, s0, s33
	s_cmp_ge_u32 s0, s33
	s_cselect_b32 s0, s1, s0
	s_sub_i32 s1, s0, s33
	s_cmp_ge_u32 s0, s33
	s_cselect_b32 s46, s1, s0
	s_mov_b64 s[4:5], s[46:47]
.LBB7_222:                              ;   in Loop: Header=BB7_32 Depth=1
	s_sub_u32 s6, s8, s4
	s_subb_u32 s7, s7, s5
	v_cmp_gt_i64_e32 vcc, s[6:7], v[0:1]
                                        ; implicit-def: $vgpr46
	s_and_saveexec_b64 s[4:5], vcc
	s_mov_b32 s46, s56
	s_cbranch_execz .LBB7_232
; %bb.223:                              ;   in Loop: Header=BB7_32 Depth=1
	v_mov_b32_e32 v7, v1
	s_mov_b64 s[8:9], 0
	v_mov_b32_e32 v8, v0
	v_mov_b32_e32 v6, v0
                                        ; implicit-def: $sgpr42_sgpr43
	s_branch .LBB7_226
.LBB7_224:                              ;   in Loop: Header=BB7_226 Depth=2
	s_or_b64 exec, exec, s[44:45]
	s_waitcnt lgkmcnt(0)
	s_barrier
	ds_read_u16 v9, v3 offset:3072
	s_mov_b64 s[44:45], -1
	s_mov_b64 s[58:59], -1
	s_waitcnt lgkmcnt(0)
	s_barrier
	v_cmp_eq_u32_sdwa s[0:1], v9, v3 src0_sel:BYTE_0 src1_sel:DWORD
	s_and_b64 vcc, exec, s[0:1]
	s_cbranch_vccnz .LBB7_229
.LBB7_225:                              ;   in Loop: Header=BB7_226 Depth=2
	s_and_b64 s[0:1], exec, s[44:45]
	s_or_b64 s[8:9], s[0:1], s[8:9]
	s_andn2_b64 s[0:1], s[42:43], exec
	s_and_b64 s[42:43], s[58:59], exec
	s_or_b64 s[42:43], s[0:1], s[42:43]
	s_andn2_b64 exec, exec, s[8:9]
	s_cbranch_execz .LBB7_231
.LBB7_226:                              ;   Parent Loop BB7_32 Depth=1
                                        ; =>  This Inner Loop Header: Depth=2
	v_cmp_gt_u64_e32 vcc, s[94:95], v[6:7]
	s_and_saveexec_b64 s[44:45], vcc
	s_cbranch_execz .LBB7_224
; %bb.227:                              ;   in Loop: Header=BB7_226 Depth=2
	ds_read_u8 v9, v8
	s_waitcnt lgkmcnt(0)
	v_and_b32_e32 v10, v9, v45
	v_cmp_eq_u32_sdwa s[0:1], v10, v43 src0_sel:BYTE_0 src1_sel:DWORD
	s_and_b64 exec, exec, s[0:1]
	s_cbranch_execz .LBB7_224
; %bb.228:                              ;   in Loop: Header=BB7_226 Depth=2
	v_lshlrev_b16_e32 v9, 8, v9
	v_or_b32_e32 v9, 1, v9
	ds_write_b16 v3, v9 offset:3072
	s_branch .LBB7_224
.LBB7_229:                              ;   in Loop: Header=BB7_226 Depth=2
	v_add_co_u32_e32 v6, vcc, s33, v6
	v_addc_co_u32_e32 v7, vcc, 0, v7, vcc
	v_cmp_le_i64_e32 vcc, s[6:7], v[6:7]
	v_add_u32_e32 v8, s33, v8
	s_mov_b64 s[58:59], 0
	s_orn2_b64 s[44:45], vcc, exec
	s_branch .LBB7_225
.LBB7_230:                              ;   in Loop: Header=BB7_32 Depth=1
	s_mov_b64 s[42:43], -1
	s_branch .LBB7_233
.LBB7_231:                              ;   in Loop: Header=BB7_32 Depth=1
	s_or_b64 exec, exec, s[8:9]
	s_andn2_b64 s[0:1], s[36:37], exec
	s_and_b64 s[6:7], s[42:43], exec
	v_lshrrev_b32_sdwa v46, v44, v9 dst_sel:DWORD dst_unused:UNUSED_PAD src0_sel:DWORD src1_sel:WORD_0
	s_or_b64 s[36:37], s[0:1], s[6:7]
.LBB7_232:                              ;   in Loop: Header=BB7_32 Depth=1
	s_or_b64 exec, exec, s[4:5]
	s_mov_b64 s[42:43], 0
	s_mov_b64 s[90:91], -1
.LBB7_233:                              ;   in Loop: Header=BB7_32 Depth=1
	s_orn2_b64 s[4:5], s[36:37], exec
.LBB7_234:                              ;   in Loop: Header=BB7_32 Depth=1
	s_or_b64 exec, exec, s[40:41]
	s_mov_b64 s[6:7], 0
	s_and_saveexec_b64 s[40:41], s[4:5]
	s_cbranch_execz .LBB7_293
; %bb.235:                              ;   in Loop: Header=BB7_32 Depth=1
	v_mov_b32_e32 v6, 1
	s_xor_b64 s[0:1], s[92:93], -1
	v_mov_b32_e32 v2, 1
	v_mov_b32_e32 v7, 0
	s_mov_b64 s[8:9], 0
	s_and_saveexec_b64 s[6:7], s[0:1]
	s_cbranch_execz .LBB7_244
; %bb.236:                              ;   in Loop: Header=BB7_32 Depth=1
	v_cmp_ge_i64_e32 vcc, s[80:81], v[4:5]
	s_and_saveexec_b64 s[0:1], vcc
	s_xor_b64 s[4:5], exec, s[0:1]
	s_cbranch_execz .LBB7_241
; %bb.237:                              ;   in Loop: Header=BB7_32 Depth=1
	ds_read_b64 v[6:7], v3 offset:5120
	v_and_b32_e32 v2, s89, v43
	v_lshl_or_b32 v43, 2, s13, v2
	v_or_b32_e32 v45, s88, v45
	s_waitcnt lgkmcnt(0)
	v_cmp_ne_u64_e32 vcc, 0, v[6:7]
	s_cbranch_vccnz .LBB7_241
; %bb.238:                              ;   in Loop: Header=BB7_32 Depth=1
	s_mov_b64 s[0:1], exec
	v_readlane_b32 s8, v57, 8
	v_readlane_b32 s9, v57, 9
	s_and_b64 s[8:9], s[0:1], s[8:9]
	s_mov_b64 exec, s[8:9]
; %bb.239:                              ;   in Loop: Header=BB7_32 Depth=1
	v_mov_b32_e32 v6, s80
	v_mov_b32_e32 v7, s81
	ds_write_b64 v3, v[6:7] offset:5128
; %bb.240:                              ;   in Loop: Header=BB7_32 Depth=1
	s_or_b64 exec, exec, s[0:1]
	s_waitcnt lgkmcnt(0)
	s_barrier
.LBB7_241:                              ;   in Loop: Header=BB7_32 Depth=1
	s_or_saveexec_b64 s[4:5], s[4:5]
	s_mov_b64 s[8:9], 0
	v_mov_b32_e32 v2, 8
	s_xor_b64 exec, exec, s[4:5]
; %bb.242:                              ;   in Loop: Header=BB7_32 Depth=1
	v_subrev_co_u32_e32 v4, vcc, s80, v4
	v_mov_b32_e32 v2, s81
	v_subb_co_u32_e32 v5, vcc, v5, v2, vcc
	v_mov_b32_e32 v2, 0
	s_mov_b64 s[8:9], exec
; %bb.243:                              ;   in Loop: Header=BB7_32 Depth=1
	s_or_b64 exec, exec, s[4:5]
	v_mov_b32_e32 v7, v5
	s_and_b64 s[8:9], s[8:9], exec
	v_mov_b32_e32 v6, v4
.LBB7_244:                              ;   in Loop: Header=BB7_32 Depth=1
	s_or_b64 exec, exec, s[6:7]
	s_mov_b64 s[4:5], -1
                                        ; implicit-def: $sgpr44_sgpr45
                                        ; implicit-def: $sgpr36_sgpr37
	s_and_saveexec_b64 s[80:81], s[8:9]
	s_cbranch_execz .LBB7_292
; %bb.245:                              ;   in Loop: Header=BB7_32 Depth=1
	s_cmp_eq_u64 s[16:17], 1
	v_cmp_eq_u64_e32 vcc, 1, v[6:7]
	s_cselect_b64 s[0:1], -1, 0
	v_writelane_b32 v57, s42, 38
	s_and_b64 s[92:93], s[0:1], vcc
	v_writelane_b32 v57, s43, 39
                                        ; implicit-def: $sgpr44_sgpr45
                                        ; implicit-def: $sgpr36_sgpr37
	s_and_saveexec_b64 s[94:95], s[92:93]
	s_cbranch_execz .LBB7_280
; %bb.246:                              ;   in Loop: Header=BB7_32 Depth=1
	ds_read_b64 v[4:5], v3 offset:5120
	s_waitcnt lgkmcnt(0)
	s_barrier
	v_readfirstlane_b32 s42, v4
	v_readfirstlane_b32 s43, v5
	s_mov_b64 s[0:1], exec
	v_readlane_b32 s4, v57, 32
	v_readlane_b32 s5, v57, 33
	s_and_b64 s[4:5], s[0:1], s[4:5]
	s_mov_b64 exec, s[4:5]
; %bb.247:                              ;   in Loop: Header=BB7_32 Depth=1
	ds_write_b8 v0, v3 offset:3072
; %bb.248:                              ;   in Loop: Header=BB7_32 Depth=1
	s_or_b64 exec, exec, s[0:1]
	v_cmp_gt_i64_e64 s[0:1], s[42:43], 0
	v_or_b32_e32 v43, s88, v43
	v_or_b32_e32 v45, s88, v45
	s_mov_b64 s[36:37], -1
	s_mov_b64 s[44:45], 0
	s_and_b64 vcc, exec, s[0:1]
	s_mov_b64 s[6:7], 0
	s_mov_b64 s[4:5], -1
	s_waitcnt lgkmcnt(0)
	s_barrier
                                        ; implicit-def: $vgpr46
	s_cbranch_vccnz .LBB7_265
; %bb.249:                              ;   in Loop: Header=BB7_32 Depth=1
	s_mov_b32 s54, s47
	v_writelane_b32 v57, s92, 40
	s_cmp_lg_u64 s[54:55], 0
	v_writelane_b32 v57, s93, 41
	s_cbranch_scc0 .LBB7_252
; %bb.250:                              ;   in Loop: Header=BB7_32 Depth=1
	s_add_u32 s0, s33, 0
	s_addc_u32 s1, 0, 0
	s_xor_b64 s[6:7], s[0:1], 0
	v_cvt_f32_u32_e32 v4, s6
	v_cvt_f32_u32_e32 v5, s7
	s_sub_u32 s4, 0, s6
	s_subb_u32 s5, 0, s7
	v_mac_f32_e32 v4, 0x4f800000, v5
	v_rcp_f32_e32 v4, v4
	v_mul_f32_e32 v4, 0x5f7ffffc, v4
	v_mul_f32_e32 v5, 0x2f800000, v4
	v_trunc_f32_e32 v5, v5
	v_mac_f32_e32 v4, 0xcf800000, v5
	v_cvt_u32_f32_e32 v5, v5
	v_cvt_u32_f32_e32 v4, v4
	v_readfirstlane_b32 s8, v5
	v_readfirstlane_b32 s0, v4
	s_mul_i32 s1, s4, s8
	s_mul_hi_u32 s46, s4, s0
	s_mul_i32 s9, s5, s0
	s_add_i32 s1, s46, s1
	s_mul_i32 s54, s4, s0
	s_add_i32 s1, s1, s9
	s_mul_i32 s46, s0, s1
	s_mul_hi_u32 s58, s0, s54
	s_mul_hi_u32 s9, s0, s1
	s_add_u32 s46, s58, s46
	s_addc_u32 s9, 0, s9
	s_mul_hi_u32 s59, s8, s54
	s_mul_i32 s54, s8, s54
	s_add_u32 s46, s46, s54
	s_mul_hi_u32 s58, s8, s1
	s_addc_u32 s9, s9, s59
	s_addc_u32 s46, s58, 0
	s_mul_i32 s1, s8, s1
	s_add_u32 s1, s9, s1
	s_addc_u32 s9, 0, s46
	s_add_u32 s46, s0, s1
	s_cselect_b64 s[0:1], -1, 0
	s_cmp_lg_u64 s[0:1], 0
	s_addc_u32 s8, s8, s9
	s_mul_i32 s0, s4, s8
	s_mul_hi_u32 s1, s4, s46
	s_add_i32 s0, s1, s0
	s_mul_i32 s5, s5, s46
	s_add_i32 s0, s0, s5
	s_mul_i32 s4, s4, s46
	s_mul_hi_u32 s5, s8, s4
	s_mul_i32 s9, s8, s4
	s_mul_i32 s58, s46, s0
	s_mul_hi_u32 s4, s46, s4
	s_mul_hi_u32 s54, s46, s0
	s_add_u32 s4, s4, s58
	s_addc_u32 s54, 0, s54
	s_add_u32 s4, s4, s9
	s_mul_hi_u32 s1, s8, s0
	s_addc_u32 s4, s54, s5
	s_addc_u32 s1, s1, 0
	s_mul_i32 s0, s8, s0
	s_add_u32 s0, s4, s0
	s_addc_u32 s4, 0, s1
	s_add_u32 s9, s46, s0
	s_cselect_b64 s[0:1], -1, 0
	s_cmp_lg_u64 s[0:1], 0
	s_addc_u32 s8, s8, s4
	s_ashr_i32 s0, s55, 31
	v_readlane_b32 s4, v57, 17
	s_add_u32 s4, s4, s0
	s_mov_b32 s1, s0
	s_addc_u32 s5, s55, s0
	s_xor_b64 s[4:5], s[4:5], s[0:1]
	s_mul_i32 s54, s4, s8
	s_mul_hi_u32 s58, s4, s9
	s_mul_hi_u32 s46, s4, s8
	s_add_u32 s54, s58, s54
	s_addc_u32 s46, 0, s46
	s_mul_hi_u32 s59, s5, s9
	s_mul_i32 s9, s5, s9
	s_add_u32 s9, s54, s9
	s_mul_hi_u32 s58, s5, s8
	s_addc_u32 s9, s46, s59
	s_addc_u32 s46, s58, 0
	s_mul_i32 s8, s5, s8
	s_add_u32 s8, s9, s8
	s_addc_u32 s9, 0, s46
	s_mul_i32 s9, s6, s9
	s_mul_hi_u32 s46, s6, s8
	s_add_i32 s9, s46, s9
	s_mul_i32 s46, s7, s8
	s_add_i32 s46, s9, s46
	s_sub_i32 s54, s5, s46
	s_mul_i32 s8, s6, s8
	s_sub_u32 s4, s4, s8
	s_cselect_b64 s[8:9], -1, 0
	s_cmp_lg_u64 s[8:9], 0
	s_subb_u32 s54, s54, s7
	s_sub_u32 s60, s4, s6
	s_cselect_b64 s[58:59], -1, 0
	s_cmp_lg_u64 s[58:59], 0
	s_subb_u32 s61, s54, 0
	s_cmp_ge_u32 s61, s7
	s_cselect_b32 s89, -1, 0
	s_cmp_ge_u32 s60, s6
	s_cselect_b32 s92, -1, 0
	s_cmp_eq_u32 s61, s7
	s_cselect_b32 s89, s92, s89
	s_cmp_lg_u64 s[58:59], 0
	s_subb_u32 s54, s54, s7
	s_sub_u32 s92, s60, s6
	s_cselect_b64 s[58:59], -1, 0
	s_cmp_lg_u64 s[58:59], 0
	s_subb_u32 s54, s54, 0
	s_cmp_lg_u32 s89, 0
	s_cselect_b32 s58, s92, s60
	s_cselect_b32 s54, s54, s61
	s_cmp_lg_u64 s[8:9], 0
	s_subb_u32 s5, s5, s46
	s_cmp_ge_u32 s5, s7
	s_cselect_b32 s8, -1, 0
	s_cmp_ge_u32 s4, s6
	s_cselect_b32 s6, -1, 0
	s_cmp_eq_u32 s5, s7
	s_cselect_b32 s6, s6, s8
	s_cmp_lg_u32 s6, 0
	s_cselect_b32 s5, s54, s5
	s_cselect_b32 s4, s58, s4
	s_xor_b64 s[4:5], s[4:5], s[0:1]
	s_sub_u32 s4, s4, s0
	s_mov_b32 s46, s56
	s_subb_u32 s5, s5, s0
	s_mov_b64 s[0:1], 0
	s_branch .LBB7_253
.LBB7_251:                              ;   in Loop: Header=BB7_32 Depth=1
                                        ; implicit-def: $sgpr4_sgpr5
	s_branch .LBB7_221
.LBB7_252:                              ;   in Loop: Header=BB7_32 Depth=1
	s_mov_b64 s[0:1], -1
                                        ; implicit-def: $sgpr4_sgpr5
.LBB7_253:                              ;   in Loop: Header=BB7_32 Depth=1
	s_andn2_b64 vcc, exec, s[0:1]
	v_readlane_b32 s54, v57, 37
	s_cbranch_vccnz .LBB7_255
; %bb.254:                              ;   in Loop: Header=BB7_32 Depth=1
	v_cvt_f32_u32_e32 v4, s33
	s_sub_i32 s0, 0, s33
	v_readlane_b32 s4, v57, 17
	v_rcp_iflag_f32_e32 v4, v4
	v_mul_f32_e32 v4, 0x4f7ffffe, v4
	v_cvt_u32_f32_e32 v4, v4
	v_readfirstlane_b32 s1, v4
	s_mul_i32 s0, s0, s1
	s_mul_hi_u32 s0, s1, s0
	s_add_i32 s1, s1, s0
	s_mul_hi_u32 s0, s4, s1
	s_mul_i32 s0, s0, s33
	s_sub_i32 s0, s4, s0
	s_sub_i32 s1, s0, s33
	s_cmp_ge_u32 s0, s33
	s_cselect_b32 s0, s1, s0
	s_sub_i32 s1, s0, s33
	s_cmp_ge_u32 s0, s33
	s_cselect_b32 s46, s1, s0
	s_mov_b64 s[4:5], s[46:47]
	s_mov_b32 s46, s56
.LBB7_255:                              ;   in Loop: Header=BB7_32 Depth=1
	v_readlane_b32 s0, v57, 17
	s_sub_u32 s60, s0, s4
	s_subb_u32 s61, s55, s5
	v_cmp_gt_i64_e32 vcc, s[60:61], v[0:1]
	s_mov_b64 s[4:5], 0
	s_mov_b64 s[6:7], 0
                                        ; implicit-def: $vgpr46
	s_and_saveexec_b64 s[58:59], vcc
	s_cbranch_execz .LBB7_264
; %bb.256:                              ;   in Loop: Header=BB7_32 Depth=1
	v_mov_b32_e32 v4, v12
	v_mov_b32_e32 v9, v1
	v_mov_b32_e32 v5, v13
	v_mov_b32_e32 v8, v0
                                        ; implicit-def: $sgpr8_sgpr9
	s_branch .LBB7_259
.LBB7_257:                              ;   in Loop: Header=BB7_259 Depth=2
	s_or_b64 exec, exec, s[92:93]
	s_waitcnt lgkmcnt(0)
	s_barrier
	ds_read_u16 v10, v3 offset:3072
	s_mov_b64 s[92:93], -1
	s_waitcnt lgkmcnt(0)
	s_barrier
	v_cmp_ne_u32_sdwa s[0:1], v10, v3 src0_sel:BYTE_0 src1_sel:DWORD
	s_and_b64 vcc, exec, s[0:1]
	s_mov_b64 s[0:1], -1
	s_cbranch_vccz .LBB7_262
.LBB7_258:                              ;   in Loop: Header=BB7_259 Depth=2
	s_and_b64 s[92:93], exec, s[92:93]
	s_or_b64 s[6:7], s[92:93], s[6:7]
	s_andn2_b64 s[8:9], s[8:9], exec
	s_and_b64 s[0:1], s[0:1], exec
	s_or_b64 s[8:9], s[8:9], s[0:1]
	s_andn2_b64 exec, exec, s[6:7]
	s_cbranch_execz .LBB7_263
.LBB7_259:                              ;   Parent Loop BB7_32 Depth=1
                                        ; =>  This Inner Loop Header: Depth=2
	v_cmp_gt_i64_e32 vcc, s[24:25], v[8:9]
	s_and_saveexec_b64 s[92:93], vcc
	s_cbranch_execz .LBB7_257
; %bb.260:                              ;   in Loop: Header=BB7_259 Depth=2
	global_load_ubyte v10, v[4:5], off
	s_waitcnt vmcnt(0)
	v_and_b32_e32 v11, v10, v45
	v_cmp_eq_u32_sdwa s[0:1], v11, v43 src0_sel:BYTE_0 src1_sel:DWORD
	s_and_b64 exec, exec, s[0:1]
	s_cbranch_execz .LBB7_257
; %bb.261:                              ;   in Loop: Header=BB7_259 Depth=2
	v_lshlrev_b16_e32 v10, 8, v10
	v_or_b32_e32 v10, 1, v10
	ds_write_b16 v3, v10 offset:3072
	s_branch .LBB7_257
.LBB7_262:                              ;   in Loop: Header=BB7_259 Depth=2
	v_add_co_u32_e32 v8, vcc, s33, v8
	v_addc_co_u32_e32 v9, vcc, 0, v9, vcc
	v_mov_b32_e32 v11, s52
	v_add_co_u32_e32 v4, vcc, s53, v4
	v_addc_co_u32_e32 v5, vcc, v5, v11, vcc
	v_cmp_le_i64_e32 vcc, s[60:61], v[8:9]
	s_mov_b64 s[0:1], 0
	s_orn2_b64 s[92:93], vcc, exec
	s_branch .LBB7_258
.LBB7_263:                              ;   in Loop: Header=BB7_32 Depth=1
	s_or_b64 exec, exec, s[6:7]
	v_lshrrev_b32_sdwa v46, v44, v10 dst_sel:DWORD dst_unused:UNUSED_PAD src0_sel:DWORD src1_sel:WORD_0
	s_and_b64 s[6:7], s[8:9], exec
.LBB7_264:                              ;   in Loop: Header=BB7_32 Depth=1
	s_or_b64 exec, exec, s[58:59]
	v_readlane_b32 s92, v57, 40
	v_readlane_b32 s93, v57, 41
.LBB7_265:                              ;   in Loop: Header=BB7_32 Depth=1
	s_and_b64 vcc, exec, s[4:5]
	s_cbranch_vccz .LBB7_279
; %bb.266:                              ;   in Loop: Header=BB7_32 Depth=1
	v_readlane_b32 s0, v57, 16
	s_add_u32 s8, s42, s0
	v_readlane_b32 s0, v57, 18
	s_addc_u32 s37, s43, s0
	s_mov_b32 s36, s47
	s_cmp_lg_u64 s[36:37], 0
	s_cbranch_scc0 .LBB7_299
; %bb.267:                              ;   in Loop: Header=BB7_32 Depth=1
	s_add_u32 s0, s33, 0
	s_addc_u32 s1, 0, 0
	s_xor_b64 s[44:45], s[0:1], 0
	v_cvt_f32_u32_e32 v4, s44
	v_cvt_f32_u32_e32 v5, s45
	s_sub_u32 s4, 0, s44
	s_subb_u32 s5, 0, s45
	s_mov_b64 vcc, s[92:93]
	v_mac_f32_e32 v4, 0x4f800000, v5
	v_rcp_f32_e32 v4, v4
	v_mul_f32_e32 v4, 0x5f7ffffc, v4
	v_mul_f32_e32 v5, 0x2f800000, v4
	v_trunc_f32_e32 v5, v5
	v_mac_f32_e32 v4, 0xcf800000, v5
	v_cvt_u32_f32_e32 v5, v5
	v_cvt_u32_f32_e32 v4, v4
	v_readfirstlane_b32 s9, v5
	v_readfirstlane_b32 s0, v4
	s_mul_i32 s1, s4, s9
	s_mul_hi_u32 s46, s4, s0
	s_mul_i32 s36, s5, s0
	s_add_i32 s1, s46, s1
	s_mul_i32 s54, s4, s0
	s_add_i32 s1, s1, s36
	s_mul_i32 s46, s0, s1
	s_mul_hi_u32 s58, s0, s54
	s_mul_hi_u32 s36, s0, s1
	s_add_u32 s46, s58, s46
	s_addc_u32 s36, 0, s36
	s_mul_hi_u32 s59, s9, s54
	s_mul_i32 s54, s9, s54
	s_add_u32 s46, s46, s54
	s_mul_hi_u32 s58, s9, s1
	s_addc_u32 s36, s36, s59
	s_addc_u32 s46, s58, 0
	s_mul_i32 s1, s9, s1
	s_add_u32 s1, s36, s1
	s_addc_u32 s36, 0, s46
	s_add_u32 s46, s0, s1
	s_cselect_b64 s[0:1], -1, 0
	s_cmp_lg_u64 s[0:1], 0
	s_addc_u32 s9, s9, s36
	s_mul_i32 s0, s4, s9
	s_mul_hi_u32 s1, s4, s46
	s_add_i32 s0, s1, s0
	s_mul_i32 s5, s5, s46
	s_add_i32 s0, s0, s5
	s_mul_i32 s4, s4, s46
	s_mul_hi_u32 s5, s9, s4
	s_mul_i32 s36, s9, s4
	s_mul_i32 s58, s46, s0
	s_mul_hi_u32 s4, s46, s4
	s_mul_hi_u32 s54, s46, s0
	s_add_u32 s4, s4, s58
	s_addc_u32 s54, 0, s54
	s_add_u32 s4, s4, s36
	s_mul_hi_u32 s1, s9, s0
	s_addc_u32 s4, s54, s5
	s_addc_u32 s1, s1, 0
	s_mul_i32 s0, s9, s0
	s_add_u32 s0, s4, s0
	s_addc_u32 s4, 0, s1
	s_add_u32 s36, s46, s0
	s_cselect_b64 s[0:1], -1, 0
	s_cmp_lg_u64 s[0:1], 0
	s_addc_u32 s9, s9, s4
	s_ashr_i32 s0, s37, 31
	s_add_u32 s4, s8, s0
	s_mov_b32 s1, s0
	s_addc_u32 s5, s37, s0
	s_xor_b64 s[4:5], s[4:5], s[0:1]
	s_mul_i32 s54, s4, s9
	s_mul_hi_u32 s58, s4, s36
	s_mul_hi_u32 s46, s4, s9
	s_add_u32 s54, s58, s54
	s_addc_u32 s46, 0, s46
	s_mul_hi_u32 s59, s5, s36
	s_mul_i32 s36, s5, s36
	s_add_u32 s36, s54, s36
	s_mul_hi_u32 s58, s5, s9
	s_addc_u32 s36, s46, s59
	s_addc_u32 s46, s58, 0
	s_mul_i32 s9, s5, s9
	s_add_u32 s9, s36, s9
	s_addc_u32 s36, 0, s46
	s_mul_i32 s36, s44, s36
	s_mul_hi_u32 s46, s44, s9
	s_add_i32 s36, s46, s36
	s_mul_i32 s46, s45, s9
	s_add_i32 s36, s36, s46
	s_sub_i32 s46, s5, s36
	s_mul_i32 s9, s44, s9
	s_sub_u32 s4, s4, s9
	s_cselect_b64 s[58:59], -1, 0
	s_cmp_lg_u64 s[58:59], 0
	s_subb_u32 s9, s46, s45
	s_sub_u32 s46, s4, s44
	s_cselect_b64 s[60:61], -1, 0
	s_cmp_lg_u64 s[60:61], 0
	s_subb_u32 s54, s9, 0
	s_cmp_ge_u32 s54, s45
	s_cselect_b32 s89, -1, 0
	s_cmp_ge_u32 s46, s44
	s_cselect_b32 s92, -1, 0
	s_cmp_eq_u32 s54, s45
	s_cselect_b32 s89, s92, s89
	s_cmp_lg_u64 s[60:61], 0
	s_subb_u32 s9, s9, s45
	s_sub_u32 s92, s46, s44
	s_cselect_b64 s[60:61], -1, 0
	s_cmp_lg_u64 s[60:61], 0
	s_subb_u32 s9, s9, 0
	s_cmp_lg_u32 s89, 0
	s_cselect_b32 s46, s92, s46
	s_cselect_b32 s9, s9, s54
	s_cmp_lg_u64 s[58:59], 0
	s_subb_u32 s5, s5, s36
	s_cmp_ge_u32 s5, s45
	s_cselect_b32 s36, -1, 0
	s_cmp_ge_u32 s4, s44
	s_cselect_b32 s44, -1, 0
	s_cmp_eq_u32 s5, s45
	s_cselect_b32 s36, s44, s36
	s_cmp_lg_u32 s36, 0
	s_cselect_b32 s5, s9, s5
	s_cselect_b32 s4, s46, s4
	s_xor_b64 s[4:5], s[4:5], s[0:1]
	s_sub_u32 s4, s4, s0
	s_mov_b64 s[92:93], vcc
	v_readlane_b32 s54, v57, 37
	s_subb_u32 s5, s5, s0
	s_cbranch_execnz .LBB7_269
.LBB7_268:                              ;   in Loop: Header=BB7_32 Depth=1
	v_cvt_f32_u32_e32 v4, s33
	s_sub_i32 s0, 0, s33
	v_rcp_iflag_f32_e32 v4, v4
	v_mul_f32_e32 v4, 0x4f7ffffe, v4
	v_cvt_u32_f32_e32 v4, v4
	v_readfirstlane_b32 s1, v4
	s_mul_i32 s0, s0, s1
	s_mul_hi_u32 s0, s1, s0
	s_add_i32 s1, s1, s0
	s_mul_hi_u32 s0, s8, s1
	s_mul_i32 s0, s0, s33
	s_sub_i32 s0, s8, s0
	s_sub_i32 s1, s0, s33
	s_cmp_ge_u32 s0, s33
	s_cselect_b32 s0, s1, s0
	s_sub_i32 s1, s0, s33
	s_cmp_ge_u32 s0, s33
	s_cselect_b32 s46, s1, s0
	s_mov_b64 s[4:5], s[46:47]
.LBB7_269:                              ;   in Loop: Header=BB7_32 Depth=1
	s_sub_u32 s36, s8, s4
	s_subb_u32 s37, s37, s5
	v_cmp_gt_i64_e32 vcc, s[36:37], v[0:1]
                                        ; implicit-def: $vgpr46
	s_and_saveexec_b64 s[4:5], vcc
	s_mov_b32 s46, s56
	s_cbranch_execz .LBB7_278
; %bb.270:                              ;   in Loop: Header=BB7_32 Depth=1
	v_mov_b32_e32 v5, v1
	s_mov_b64 s[8:9], 0
	v_mov_b32_e32 v8, v0
	v_mov_b32_e32 v4, v0
                                        ; implicit-def: $sgpr44_sgpr45
	s_branch .LBB7_273
.LBB7_271:                              ;   in Loop: Header=BB7_273 Depth=2
	s_or_b64 exec, exec, s[58:59]
	s_waitcnt lgkmcnt(0)
	s_barrier
	ds_read_u16 v9, v3 offset:3072
	s_mov_b64 s[58:59], -1
	s_waitcnt lgkmcnt(0)
	s_barrier
	v_cmp_eq_u32_sdwa s[0:1], v9, v3 src0_sel:BYTE_0 src1_sel:DWORD
	s_and_b64 vcc, exec, s[0:1]
	s_mov_b64 s[0:1], -1
	s_cbranch_vccnz .LBB7_276
.LBB7_272:                              ;   in Loop: Header=BB7_273 Depth=2
	s_and_b64 s[58:59], exec, s[58:59]
	s_or_b64 s[8:9], s[58:59], s[8:9]
	s_andn2_b64 s[44:45], s[44:45], exec
	s_and_b64 s[0:1], s[0:1], exec
	s_or_b64 s[44:45], s[44:45], s[0:1]
	s_andn2_b64 exec, exec, s[8:9]
	s_cbranch_execz .LBB7_277
.LBB7_273:                              ;   Parent Loop BB7_32 Depth=1
                                        ; =>  This Inner Loop Header: Depth=2
	v_cmp_gt_u64_e32 vcc, s[42:43], v[4:5]
	s_and_saveexec_b64 s[58:59], vcc
	s_cbranch_execz .LBB7_271
; %bb.274:                              ;   in Loop: Header=BB7_273 Depth=2
	ds_read_u8 v9, v8
	s_waitcnt lgkmcnt(0)
	v_and_b32_e32 v10, v9, v45
	v_cmp_eq_u32_sdwa s[0:1], v10, v43 src0_sel:BYTE_0 src1_sel:DWORD
	s_and_b64 exec, exec, s[0:1]
	s_cbranch_execz .LBB7_271
; %bb.275:                              ;   in Loop: Header=BB7_273 Depth=2
	v_lshlrev_b16_e32 v9, 8, v9
	v_or_b32_e32 v9, 1, v9
	ds_write_b16 v3, v9 offset:3072
	s_branch .LBB7_271
.LBB7_276:                              ;   in Loop: Header=BB7_273 Depth=2
	v_add_co_u32_e32 v4, vcc, s33, v4
	v_addc_co_u32_e32 v5, vcc, 0, v5, vcc
	v_cmp_le_i64_e32 vcc, s[36:37], v[4:5]
	v_add_u32_e32 v8, s33, v8
	s_mov_b64 s[0:1], 0
	s_orn2_b64 s[58:59], vcc, exec
	s_branch .LBB7_272
.LBB7_277:                              ;   in Loop: Header=BB7_32 Depth=1
	s_or_b64 exec, exec, s[8:9]
	s_andn2_b64 s[0:1], s[6:7], exec
	s_and_b64 s[6:7], s[44:45], exec
	v_lshrrev_b32_sdwa v46, v44, v9 dst_sel:DWORD dst_unused:UNUSED_PAD src0_sel:DWORD src1_sel:WORD_0
	s_or_b64 s[6:7], s[0:1], s[6:7]
.LBB7_278:                              ;   in Loop: Header=BB7_32 Depth=1
	s_or_b64 exec, exec, s[4:5]
	s_mov_b64 s[36:37], 0
	s_mov_b64 s[44:45], -1
.LBB7_279:                              ;   in Loop: Header=BB7_32 Depth=1
	s_orn2_b64 s[4:5], s[6:7], exec
.LBB7_280:                              ;   in Loop: Header=BB7_32 Depth=1
	s_or_b64 exec, exec, s[94:95]
	s_mov_b64 s[8:9], 0
	s_and_saveexec_b64 s[6:7], s[4:5]
	v_readlane_b32 s42, v57, 38
	v_readlane_b32 s43, v57, 39
	s_cbranch_execz .LBB7_291
; %bb.281:                              ;   in Loop: Header=BB7_32 Depth=1
	v_mov_b32_e32 v4, 1
	s_xor_b64 s[0:1], s[92:93], -1
	v_mov_b32_e32 v5, 0
	v_mov_b32_e32 v2, 1
	s_and_saveexec_b64 s[4:5], s[0:1]
	s_cbranch_execz .LBB7_290
; %bb.282:                              ;   in Loop: Header=BB7_32 Depth=1
	v_cmp_ge_i64_e32 vcc, s[16:17], v[6:7]
	s_and_saveexec_b64 s[0:1], vcc
	s_xor_b64 s[8:9], exec, s[0:1]
	s_cbranch_execz .LBB7_287
; %bb.283:                              ;   in Loop: Header=BB7_32 Depth=1
	ds_read_b64 v[4:5], v3 offset:5120
	v_or_b32_e32 v43, s88, v43
	v_or_b32_e32 v45, s88, v45
	s_waitcnt lgkmcnt(0)
	v_cmp_ne_u64_e32 vcc, 0, v[4:5]
	s_cbranch_vccnz .LBB7_287
; %bb.284:                              ;   in Loop: Header=BB7_32 Depth=1
	s_mov_b64 s[0:1], exec
	v_readlane_b32 s42, v57, 8
	v_readlane_b32 s43, v57, 9
	s_and_b64 s[42:43], s[0:1], s[42:43]
	s_mov_b64 exec, s[42:43]
; %bb.285:                              ;   in Loop: Header=BB7_32 Depth=1
	v_mov_b32_e32 v4, s16
	v_mov_b32_e32 v5, s17
	ds_write_b64 v3, v[4:5] offset:5128
; %bb.286:                              ;   in Loop: Header=BB7_32 Depth=1
	s_or_b64 exec, exec, s[0:1]
	s_waitcnt lgkmcnt(0)
	s_barrier
.LBB7_287:                              ;   in Loop: Header=BB7_32 Depth=1
	s_andn2_saveexec_b64 s[8:9], s[8:9]
; %bb.288:                              ;   in Loop: Header=BB7_32 Depth=1
	v_mov_b32_e32 v2, s17
	v_subrev_co_u32_e32 v6, vcc, s16, v6
	v_subb_co_u32_e32 v7, vcc, v7, v2, vcc
; %bb.289:                              ;   in Loop: Header=BB7_32 Depth=1
	s_or_b64 exec, exec, s[8:9]
	v_mov_b32_e32 v4, v6
	v_readlane_b32 s42, v57, 38
	v_mov_b32_e32 v2, 8
	v_mov_b32_e32 v5, v7
	v_readlane_b32 s43, v57, 39
.LBB7_290:                              ;   in Loop: Header=BB7_32 Depth=1
	s_or_b64 exec, exec, s[4:5]
	v_mov_b32_e32 v7, v5
	s_mov_b64 s[8:9], exec
	v_mov_b32_e32 v6, v4
.LBB7_291:                              ;   in Loop: Header=BB7_32 Depth=1
	s_or_b64 exec, exec, s[6:7]
	s_orn2_b64 s[4:5], s[8:9], exec
.LBB7_292:                              ;   in Loop: Header=BB7_32 Depth=1
	s_or_b64 exec, exec, s[80:81]
	s_andn2_b64 s[0:1], s[90:91], exec
	s_and_b64 s[6:7], s[44:45], exec
	s_or_b64 s[90:91], s[0:1], s[6:7]
	s_andn2_b64 s[0:1], s[42:43], exec
	s_and_b64 s[6:7], s[36:37], exec
	v_mov_b32_e32 v4, v6
	s_or_b64 s[42:43], s[0:1], s[6:7]
	s_and_b64 s[6:7], s[4:5], exec
	v_mov_b32_e32 v5, v7
.LBB7_293:                              ;   in Loop: Header=BB7_32 Depth=1
	s_or_b64 exec, exec, s[40:41]
	s_orn2_b64 s[4:5], s[6:7], exec
.LBB7_294:                              ;   in Loop: Header=BB7_32 Depth=1
	s_or_b64 exec, exec, s[86:87]
	s_andn2_b64 s[0:1], s[82:83], exec
	s_and_b64 s[6:7], s[90:91], exec
	s_or_b64 s[82:83], s[0:1], s[6:7]
	s_andn2_b64 s[0:1], s[14:15], exec
	s_and_b64 s[6:7], s[42:43], exec
	v_mov_b32_e32 v9, v5
	s_or_b64 s[14:15], s[0:1], s[6:7]
	s_and_b64 s[6:7], s[4:5], exec
	v_mov_b32_e32 v8, v4
.LBB7_295:                              ;   in Loop: Header=BB7_32 Depth=1
	s_or_b64 exec, exec, s[84:85]
	s_orn2_b64 s[4:5], s[6:7], exec
.LBB7_296:                              ;   in Loop: Header=BB7_32 Depth=1
	s_or_b64 exec, exec, s[26:27]
	s_mov_b64 s[6:7], 0
	s_and_saveexec_b64 s[0:1], s[4:5]
	s_xor_b64 s[4:5], exec, s[0:1]
	s_cbranch_execz .LBB7_30
; %bb.297:                              ;   in Loop: Header=BB7_32 Depth=1
	v_and_b32_e32 v2, 7, v2
	v_cmp_eq_u32_e32 vcc, 0, v2
	s_mov_b64 s[8:9], -1
	s_mov_b64 s[6:7], -1
	s_and_saveexec_b64 s[16:17], vcc
	s_cbranch_execz .LBB7_29
; %bb.298:                              ;   in Loop: Header=BB7_32 Depth=1
	s_xor_b32 s63, s63, 1
	s_add_i32 s20, s13, -2
	s_cmp_eq_u32 s13, 0
	s_cselect_b64 s[0:1], -1, 0
	s_xor_b64 s[6:7], exec, -1
	s_orn2_b64 s[8:9], s[0:1], exec
	s_mov_b32 s13, s20
	s_branch .LBB7_29
.LBB7_299:                              ;   in Loop: Header=BB7_32 Depth=1
                                        ; implicit-def: $sgpr4_sgpr5
	s_branch .LBB7_268
.LBB7_300:
	s_or_b64 exec, exec, s[66:67]
	s_xor_b64 s[0:1], s[72:73], -1
	s_xor_b64 s[4:5], s[68:69], -1
	;; [unrolled: 1-line block ×3, first 2 shown]
	s_mov_b64 s[2:3], 0
	s_and_saveexec_b64 s[6:7], s[4:5]
	s_xor_b64 s[4:5], exec, s[6:7]
	s_cbranch_execnz .LBB7_305
; %bb.301:
	s_andn2_saveexec_b64 s[0:1], s[4:5]
	s_cbranch_execnz .LBB7_327
.LBB7_302:
	s_or_b64 exec, exec, s[0:1]
	s_and_saveexec_b64 s[0:1], s[2:3]
.LBB7_303:
	; divergent unreachable
.LBB7_304:
	s_endpgm
.LBB7_305:
	s_and_saveexec_b64 s[2:3], s[0:1]
	s_xor_b64 s[6:7], exec, s[2:3]
	s_cbranch_execz .LBB7_325
; %bb.306:
	s_and_saveexec_b64 s[0:1], s[8:9]
	s_xor_b64 s[0:1], exec, s[0:1]
; %bb.307:
	v_mov_b32_e32 v46, v43
; %bb.308:
	s_or_b64 exec, exec, s[0:1]
	s_mov_b64 s[0:1], exec
	v_readlane_b32 s2, v57, 8
	v_readlane_b32 s3, v57, 9
	s_and_b64 s[2:3], s[0:1], s[2:3]
	s_mov_b64 exec, s[2:3]
; %bb.309:
	v_mov_b32_e32 v2, 0
	v_mov_b32_e32 v3, s24
	ds_write_b32 v2, v3 offset:5140
; %bb.310:
	s_or_b64 exec, exec, s[0:1]
	s_waitcnt lgkmcnt(0)
	s_barrier
	s_mov_b64 s[10:11], exec
	v_readlane_b32 s0, v57, 34
	v_readlane_b32 s1, v57, 35
	s_and_b64 s[0:1], s[10:11], s[0:1]
	s_mov_b64 exec, s[0:1]
	s_cbranch_execz .LBB7_322
; %bb.311:
	v_mov_b32_e32 v2, 0
	ds_read_b32 v4, v2 offset:5140
	s_mov_b64 s[8:9], 0
                                        ; implicit-def: $sgpr12_sgpr13
                                        ; implicit-def: $sgpr14_sgpr15
                                        ; implicit-def: $sgpr16_sgpr17
	s_waitcnt lgkmcnt(0)
	v_ashrrev_i32_e32 v5, 31, v4
	s_branch .LBB7_314
.LBB7_312:                              ;   in Loop: Header=BB7_314 Depth=1
	s_or_b64 exec, exec, s[26:27]
	s_andn2_b64 s[0:1], s[16:17], exec
	s_and_b64 s[16:17], s[20:21], exec
	s_or_b64 s[16:17], s[0:1], s[16:17]
	s_andn2_b64 s[0:1], s[14:15], exec
	s_and_b64 s[2:3], s[2:3], exec
	s_or_b64 s[14:15], s[0:1], s[2:3]
.LBB7_313:                              ;   in Loop: Header=BB7_314 Depth=1
	s_or_b64 exec, exec, s[18:19]
	s_and_b64 s[0:1], exec, s[14:15]
	s_or_b64 s[8:9], s[0:1], s[8:9]
	s_andn2_b64 s[0:1], s[12:13], exec
	s_and_b64 s[2:3], s[16:17], exec
	s_or_b64 s[12:13], s[0:1], s[2:3]
	s_andn2_b64 exec, exec, s[8:9]
	s_cbranch_execz .LBB7_317
.LBB7_314:                              ; =>This Inner Loop Header: Depth=1
	v_mov_b32_e32 v3, v1
	v_mov_b32_e32 v2, v0
	v_cmp_lt_i64_e32 vcc, v[2:3], v[4:5]
	s_or_b64 s[16:17], s[16:17], exec
	s_or_b64 s[14:15], s[14:15], exec
                                        ; implicit-def: $vgpr0_vgpr1
	s_and_saveexec_b64 s[18:19], vcc
	s_cbranch_execz .LBB7_313
; %bb.315:                              ;   in Loop: Header=BB7_314 Depth=1
	global_load_ubyte v0, v[12:13], off
	s_mov_b64 s[2:3], -1
	s_mov_b64 s[20:21], 0
	s_waitcnt vmcnt(0)
	v_cmp_ne_u16_sdwa s[0:1], v0, v46 src0_sel:DWORD src1_sel:BYTE_0
                                        ; implicit-def: $vgpr0_vgpr1
	s_and_saveexec_b64 s[26:27], s[0:1]
	s_cbranch_execz .LBB7_312
; %bb.316:                              ;   in Loop: Header=BB7_314 Depth=1
	v_add_co_u32_e32 v0, vcc, s33, v2
	v_addc_co_u32_e32 v1, vcc, 0, v3, vcc
	v_mov_b32_e32 v3, s52
	v_cmp_le_i64_e32 vcc, s[24:25], v[0:1]
	v_add_co_u32_e64 v12, s[2:3], s53, v12
	v_addc_co_u32_e64 v13, s[2:3], v13, v3, s[2:3]
	s_mov_b64 s[20:21], exec
	s_orn2_b64 s[2:3], vcc, exec
	s_branch .LBB7_312
.LBB7_317:
	s_or_b64 exec, exec, s[8:9]
	s_xor_b64 s[0:1], s[12:13], -1
	s_and_saveexec_b64 s[2:3], s[0:1]
	s_xor_b64 s[2:3], exec, s[2:3]
	s_cbranch_execz .LBB7_322
; %bb.318:
	s_mov_b64 s[2:3], exec
	s_brev_b32 s0, -2
.LBB7_319:                              ; =>This Inner Loop Header: Depth=1
	s_ff1_i32_b64 s1, s[2:3]
	v_readlane_b32 s12, v2, s1
	s_lshl_b64 s[8:9], 1, s1
	s_min_i32 s0, s0, s12
	s_andn2_b64 s[2:3], s[2:3], s[8:9]
	s_cmp_lg_u64 s[2:3], 0
	s_cbranch_scc1 .LBB7_319
; %bb.320:
	v_mbcnt_lo_u32_b32 v0, exec_lo, 0
	v_mbcnt_hi_u32_b32 v0, exec_hi, v0
	v_cmp_eq_u32_e32 vcc, 0, v0
	s_and_saveexec_b64 s[2:3], vcc
	s_xor_b64 s[2:3], exec, s[2:3]
; %bb.321:
	v_mov_b32_e32 v0, 0
	v_mov_b32_e32 v1, s0
	ds_min_i32 v0, v1 offset:5140
.LBB7_322:
	s_or_b64 exec, exec, s[10:11]
	s_waitcnt lgkmcnt(0)
	s_barrier
	s_mov_b64 s[2:3], exec
	v_readlane_b32 s0, v57, 8
	v_readlane_b32 s1, v57, 9
	s_and_b64 s[0:1], s[2:3], s[0:1]
	s_mov_b64 exec, s[0:1]
	s_cbranch_execz .LBB7_324
; %bb.323:
	v_readlane_b32 s10, v57, 0
	v_readlane_b32 s11, v57, 1
	s_mul_i32 s0, s10, s29
	s_mul_hi_u32 s1, s10, s28
	s_add_i32 s0, s1, s0
	s_mul_i32 s1, s11, s28
	s_mul_i32 s9, s10, s28
	v_readlane_b32 s10, v57, 2
	s_add_i32 s8, s0, s1
	v_readlane_b32 s11, v57, 3
	s_mul_i32 s0, s10, s39
	s_mul_hi_u32 s1, s10, s38
	s_add_i32 s0, s1, s0
	s_mul_i32 s1, s11, s38
	s_add_i32 s1, s0, s1
	s_mul_i32 s0, s10, s38
	v_readlane_b32 s10, v57, 4
	v_readlane_b32 s11, v57, 5
	s_add_u32 s9, s10, s9
	s_addc_u32 s10, s11, s8
	v_mov_b32_e32 v2, 0
	s_add_u32 s8, s9, s22
	ds_read_b32 v0, v2 offset:5140
	s_addc_u32 s9, s10, s23
	s_lshl_b64 s[0:1], s[0:1], 3
	v_readlane_b32 s10, v57, 6
	v_readlane_b32 s11, v57, 7
	s_add_u32 s10, s10, s0
	s_addc_u32 s11, s11, s1
	s_lshl_b64 s[0:1], s[34:35], 3
	s_add_u32 s0, s10, s0
	s_addc_u32 s1, s11, s1
	s_waitcnt lgkmcnt(0)
	v_ashrrev_i32_e32 v1, 31, v0
	global_store_dwordx2 v2, v[0:1], s[0:1]
	global_store_byte v2, v46, s[8:9]
.LBB7_324:
	s_or_b64 exec, exec, s[2:3]
.LBB7_325:
	s_or_saveexec_b64 s[0:1], s[6:7]
	s_mov_b64 s[2:3], 0
	s_xor_b64 exec, exec, s[0:1]
	s_cbranch_execnz .LBB7_328
.LBB7_326:
	s_or_b64 exec, exec, s[0:1]
	s_and_b64 s[2:3], s[2:3], exec
	s_andn2_saveexec_b64 s[0:1], s[4:5]
	s_cbranch_execz .LBB7_302
.LBB7_327:
	s_or_b64 s[2:3], s[2:3], exec
	s_trap 2
	s_or_b64 exec, exec, s[0:1]
	s_and_saveexec_b64 s[0:1], s[2:3]
	s_cbranch_execnz .LBB7_303
	s_branch .LBB7_304
.LBB7_328:
	s_mov_b64 s[2:3], exec
	s_trap 2
	s_branch .LBB7_326
	.section	.rodata,"a",@progbits
	.p2align	6, 0x0
	.amdhsa_kernel _ZN2at6native12_GLOBAL__N_114gatherKthValueIhlLin1EEEvNS_4cuda6detail10TensorInfoIKT_T0_EES8_S8_S8_S8_NS5_IS6_S8_EENS5_IlS8_EE
		.amdhsa_group_segment_fixed_size 5144
		.amdhsa_private_segment_fixed_size 0
		.amdhsa_kernarg_size 1536
		.amdhsa_user_sgpr_count 6
		.amdhsa_user_sgpr_private_segment_buffer 1
		.amdhsa_user_sgpr_dispatch_ptr 0
		.amdhsa_user_sgpr_queue_ptr 0
		.amdhsa_user_sgpr_kernarg_segment_ptr 1
		.amdhsa_user_sgpr_dispatch_id 0
		.amdhsa_user_sgpr_flat_scratch_init 0
		.amdhsa_user_sgpr_private_segment_size 0
		.amdhsa_uses_dynamic_stack 0
		.amdhsa_system_sgpr_private_segment_wavefront_offset 0
		.amdhsa_system_sgpr_workgroup_id_x 1
		.amdhsa_system_sgpr_workgroup_id_y 1
		.amdhsa_system_sgpr_workgroup_id_z 1
		.amdhsa_system_sgpr_workgroup_info 0
		.amdhsa_system_vgpr_workitem_id 0
		.amdhsa_next_free_vgpr 58
		.amdhsa_next_free_sgpr 96
		.amdhsa_reserve_vcc 1
		.amdhsa_reserve_flat_scratch 0
		.amdhsa_float_round_mode_32 0
		.amdhsa_float_round_mode_16_64 0
		.amdhsa_float_denorm_mode_32 3
		.amdhsa_float_denorm_mode_16_64 3
		.amdhsa_dx10_clamp 1
		.amdhsa_ieee_mode 1
		.amdhsa_fp16_overflow 0
		.amdhsa_exception_fp_ieee_invalid_op 0
		.amdhsa_exception_fp_denorm_src 0
		.amdhsa_exception_fp_ieee_div_zero 0
		.amdhsa_exception_fp_ieee_overflow 0
		.amdhsa_exception_fp_ieee_underflow 0
		.amdhsa_exception_fp_ieee_inexact 0
		.amdhsa_exception_int_div_zero 0
	.end_amdhsa_kernel
	.section	.text._ZN2at6native12_GLOBAL__N_114gatherKthValueIhlLin1EEEvNS_4cuda6detail10TensorInfoIKT_T0_EES8_S8_S8_S8_NS5_IS6_S8_EENS5_IlS8_EE,"axG",@progbits,_ZN2at6native12_GLOBAL__N_114gatherKthValueIhlLin1EEEvNS_4cuda6detail10TensorInfoIKT_T0_EES8_S8_S8_S8_NS5_IS6_S8_EENS5_IlS8_EE,comdat
.Lfunc_end7:
	.size	_ZN2at6native12_GLOBAL__N_114gatherKthValueIhlLin1EEEvNS_4cuda6detail10TensorInfoIKT_T0_EES8_S8_S8_S8_NS5_IS6_S8_EENS5_IlS8_EE, .Lfunc_end7-_ZN2at6native12_GLOBAL__N_114gatherKthValueIhlLin1EEEvNS_4cuda6detail10TensorInfoIKT_T0_EES8_S8_S8_S8_NS5_IS6_S8_EENS5_IlS8_EE
                                        ; -- End function
	.set _ZN2at6native12_GLOBAL__N_114gatherKthValueIhlLin1EEEvNS_4cuda6detail10TensorInfoIKT_T0_EES8_S8_S8_S8_NS5_IS6_S8_EENS5_IlS8_EE.num_vgpr, 58
	.set _ZN2at6native12_GLOBAL__N_114gatherKthValueIhlLin1EEEvNS_4cuda6detail10TensorInfoIKT_T0_EES8_S8_S8_S8_NS5_IS6_S8_EENS5_IlS8_EE.num_agpr, 0
	.set _ZN2at6native12_GLOBAL__N_114gatherKthValueIhlLin1EEEvNS_4cuda6detail10TensorInfoIKT_T0_EES8_S8_S8_S8_NS5_IS6_S8_EENS5_IlS8_EE.numbered_sgpr, 96
	.set _ZN2at6native12_GLOBAL__N_114gatherKthValueIhlLin1EEEvNS_4cuda6detail10TensorInfoIKT_T0_EES8_S8_S8_S8_NS5_IS6_S8_EENS5_IlS8_EE.num_named_barrier, 0
	.set _ZN2at6native12_GLOBAL__N_114gatherKthValueIhlLin1EEEvNS_4cuda6detail10TensorInfoIKT_T0_EES8_S8_S8_S8_NS5_IS6_S8_EENS5_IlS8_EE.private_seg_size, 0
	.set _ZN2at6native12_GLOBAL__N_114gatherKthValueIhlLin1EEEvNS_4cuda6detail10TensorInfoIKT_T0_EES8_S8_S8_S8_NS5_IS6_S8_EENS5_IlS8_EE.uses_vcc, 1
	.set _ZN2at6native12_GLOBAL__N_114gatherKthValueIhlLin1EEEvNS_4cuda6detail10TensorInfoIKT_T0_EES8_S8_S8_S8_NS5_IS6_S8_EENS5_IlS8_EE.uses_flat_scratch, 0
	.set _ZN2at6native12_GLOBAL__N_114gatherKthValueIhlLin1EEEvNS_4cuda6detail10TensorInfoIKT_T0_EES8_S8_S8_S8_NS5_IS6_S8_EENS5_IlS8_EE.has_dyn_sized_stack, 0
	.set _ZN2at6native12_GLOBAL__N_114gatherKthValueIhlLin1EEEvNS_4cuda6detail10TensorInfoIKT_T0_EES8_S8_S8_S8_NS5_IS6_S8_EENS5_IlS8_EE.has_recursion, 0
	.set _ZN2at6native12_GLOBAL__N_114gatherKthValueIhlLin1EEEvNS_4cuda6detail10TensorInfoIKT_T0_EES8_S8_S8_S8_NS5_IS6_S8_EENS5_IlS8_EE.has_indirect_call, 0
	.section	.AMDGPU.csdata,"",@progbits
; Kernel info:
; codeLenInByte = 19140
; TotalNumSgprs: 100
; NumVgprs: 58
; ScratchSize: 0
; MemoryBound: 0
; FloatMode: 240
; IeeeMode: 1
; LDSByteSize: 5144 bytes/workgroup (compile time only)
; SGPRBlocks: 12
; VGPRBlocks: 14
; NumSGPRsForWavesPerEU: 100
; NumVGPRsForWavesPerEU: 58
; Occupancy: 4
; WaveLimiterHint : 1
; COMPUTE_PGM_RSRC2:SCRATCH_EN: 0
; COMPUTE_PGM_RSRC2:USER_SGPR: 6
; COMPUTE_PGM_RSRC2:TRAP_HANDLER: 0
; COMPUTE_PGM_RSRC2:TGID_X_EN: 1
; COMPUTE_PGM_RSRC2:TGID_Y_EN: 1
; COMPUTE_PGM_RSRC2:TGID_Z_EN: 1
; COMPUTE_PGM_RSRC2:TIDIG_COMP_CNT: 0
	.section	.text._ZN2at6native12_GLOBAL__N_114gatherKthValueIaiLi1EEEvNS_4cuda6detail10TensorInfoIKT_T0_EES8_S8_S8_S8_NS5_IS6_S8_EENS5_IlS8_EE,"axG",@progbits,_ZN2at6native12_GLOBAL__N_114gatherKthValueIaiLi1EEEvNS_4cuda6detail10TensorInfoIKT_T0_EES8_S8_S8_S8_NS5_IS6_S8_EENS5_IlS8_EE,comdat
	.globl	_ZN2at6native12_GLOBAL__N_114gatherKthValueIaiLi1EEEvNS_4cuda6detail10TensorInfoIKT_T0_EES8_S8_S8_S8_NS5_IS6_S8_EENS5_IlS8_EE ; -- Begin function _ZN2at6native12_GLOBAL__N_114gatherKthValueIaiLi1EEEvNS_4cuda6detail10TensorInfoIKT_T0_EES8_S8_S8_S8_NS5_IS6_S8_EENS5_IlS8_EE
	.p2align	8
	.type	_ZN2at6native12_GLOBAL__N_114gatherKthValueIaiLi1EEEvNS_4cuda6detail10TensorInfoIKT_T0_EES8_S8_S8_S8_NS5_IS6_S8_EENS5_IlS8_EE,@function
_ZN2at6native12_GLOBAL__N_114gatherKthValueIaiLi1EEEvNS_4cuda6detail10TensorInfoIKT_T0_EES8_S8_S8_S8_NS5_IS6_S8_EENS5_IlS8_EE: ; @_ZN2at6native12_GLOBAL__N_114gatherKthValueIaiLi1EEEvNS_4cuda6detail10TensorInfoIKT_T0_EES8_S8_S8_S8_NS5_IS6_S8_EENS5_IlS8_EE
; %bb.0:
	s_load_dwordx2 s[12:13], s[4:5], 0x298
	s_load_dwordx4 s[60:63], s[4:5], 0xd8
	s_add_u32 s10, s4, 0x298
	s_addc_u32 s11, s5, 0
	s_waitcnt lgkmcnt(0)
	s_mul_i32 s0, s13, s8
	s_add_i32 s0, s0, s7
	s_mul_i32 s0, s0, s12
	s_add_i32 s7, s0, s6
	s_cmp_ge_i32 s7, s62
	s_cbranch_scc1 .LBB8_234
; %bb.1:
	s_load_dwordx2 s[0:1], s[4:5], 0x1c0
                                        ; implicit-def: $vgpr43 : SGPR spill to VGPR lane
	s_mov_b32 s78, 0
	v_cmp_eq_u32_e64 s[14:15], 0, v0
	s_waitcnt lgkmcnt(0)
	v_writelane_b32 v43, s0, 0
	v_writelane_b32 v43, s1, 1
	s_load_dwordx2 s[0:1], s[4:5], 0xe8
	s_waitcnt lgkmcnt(0)
	v_writelane_b32 v43, s0, 2
	v_writelane_b32 v43, s1, 3
	s_load_dword s0, s[4:5], 0x6c
	s_load_dwordx2 s[2:3], s[4:5], 0x0
	s_mov_b64 s[8:9], exec
	v_writelane_b32 v43, s14, 4
	v_writelane_b32 v43, s15, 5
	s_and_b64 s[14:15], s[8:9], s[14:15]
	s_mov_b64 exec, s[14:15]
; %bb.2:
	v_mov_b32_e32 v1, 0
	v_mov_b32_e32 v2, s60
	;; [unrolled: 1-line block ×3, first 2 shown]
	ds_write_b96 v1, v[1:3] offset:4096
; %bb.3:
	s_or_b64 exec, exec, s[8:9]
	s_load_dword s1, s[4:5], 0x22c
	s_waitcnt lgkmcnt(0)
	s_barrier
	s_mul_i32 s0, s0, s7
	v_writelane_b32 v43, s1, 6
	s_load_dword s1, s[4:5], 0x154
	v_mul_lo_u32 v9, s63, v0
                                        ; kill: killed $sgpr4 killed $sgpr5
	s_ashr_i32 s4, s0, 31
	v_mbcnt_lo_u32_b32 v1, -1, 0
	s_add_u32 s68, s2, s0
	s_waitcnt lgkmcnt(0)
	v_writelane_b32 v43, s1, 7
	s_load_dword s1, s[10:11], 0xc
	v_mbcnt_hi_u32_b32 v11, -1, v1
	s_addc_u32 s69, s3, s4
	v_cmp_gt_u32_e32 vcc, 64, v0
	v_cmp_gt_i32_e64 s[4:5], 4, v11
	s_waitcnt lgkmcnt(0)
	s_and_b32 s62, s1, 0xffff
	s_and_b64 s[70:71], vcc, s[4:5]
	v_mov_b32_e32 v1, s69
	v_add_co_u32_e32 v5, vcc, s68, v9
	s_bfe_u32 s0, s1, 0xa0006
	s_add_i32 s1, s62, -1
	v_addc_co_u32_e32 v6, vcc, 0, v1, vcc
	v_lshlrev_b64 v[1:2], v11, -1
	s_lshl_b32 s33, s62, 2
	s_add_i32 s81, s1, s60
	v_writelane_b32 v43, s7, 8
	s_cmpk_gt_i32 s60, 0xc00
	v_not_b32_e32 v15, v1
	v_lshrrev_b32_e32 v1, 2, v0
	v_writelane_b32 v43, s1, 9
	s_cselect_b64 s[72:73], -1, 0
	v_cmp_gt_u32_e64 s[8:9], s60, v0
	s_cmp_gt_u32 s62, 63
	v_and_b32_e32 v1, 0xf0, v1
	v_writelane_b32 v43, s8, 10
	s_cselect_b64 s[74:75], -1, 0
	v_or_b32_e32 v16, 0xc00, v1
	s_cmp_lt_u32 s6, s12
	v_cvt_f32_u32_e32 v1, s33
	v_writelane_b32 v43, s9, 11
	v_cmp_gt_i32_e64 s[8:9], s60, v0
	s_cselect_b32 s1, 12, 18
	v_writelane_b32 v43, s8, 12
	s_add_u32 s6, s10, s1
	v_writelane_b32 v43, s9, 13
	s_addc_u32 s7, s11, 0
	v_writelane_b32 v43, s6, 14
	s_add_i32 s1, s0, -1
	v_rcp_iflag_f32_e32 v1, v1
	v_writelane_b32 v43, s7, 15
	s_bfe_u32 s6, s62, 0x30006
	s_and_b32 s1, s1, 0xffff
	s_cmp_gt_u32 s1, 6
	s_cselect_b64 s[8:9], -1, 0
	v_writelane_b32 v43, s8, 16
	v_mul_f32_e32 v1, 0x4f7ffffe, v1
	v_writelane_b32 v43, s9, 17
	s_and_b32 s8, s0, 0x3f8
	v_cvt_u32_f32_e32 v1, v1
	s_cmp_lg_u32 s6, 0
	v_writelane_b32 v43, s6, 18
	s_cselect_b64 s[0:1], -1, 0
	v_writelane_b32 v43, s0, 19
	v_writelane_b32 v43, s1, 20
	s_sub_i32 s0, 0, s33
	v_readfirstlane_b32 s1, v1
	s_mul_i32 s0, s0, s1
	s_mul_hi_u32 s0, s1, s0
	s_add_i32 s9, s1, s0
	s_mul_hi_u32 s0, s60, s9
	s_mul_i32 s0, s0, s33
	s_sub_i32 s0, s60, s0
	s_sub_i32 s1, s0, s33
	s_cmp_ge_u32 s0, s33
	s_cselect_b32 s0, s1, s0
	s_sub_i32 s1, s0, s33
	v_not_b32_e32 v14, v2
	s_cmp_ge_u32 s0, s33
	v_cvt_f32_u32_e32 v2, s62
	s_cselect_b32 s0, s1, s0
	s_sub_i32 s79, s60, s0
	v_add_u32_e32 v17, s79, v0
	v_mul_lo_u32 v1, v17, s63
	v_rcp_iflag_f32_e32 v2, v2
	s_sub_i32 s7, 0, s62
	s_abs_i32 s6, s81
	v_ashrrev_i32_e32 v4, 31, v1
	v_add_co_u32_e32 v7, vcc, s68, v1
	v_mul_f32_e32 v1, 0x4f7ffffe, v2
	v_cvt_u32_f32_e32 v1, v1
	s_ashr_i32 s1, s81, 31
	v_lshlrev_b32_e32 v10, 2, v0
	v_lshlrev_b32_e32 v3, 2, v11
	v_readfirstlane_b32 s16, v1
	s_mul_i32 s7, s7, s16
	s_mul_hi_u32 s7, s16, s7
	s_add_i32 s7, s16, s7
	v_writelane_b32 v43, s7, 21
	s_mul_hi_u32 s7, s6, s7
	s_mul_i32 s7, s7, s62
	s_sub_i32 s6, s6, s7
	s_sub_i32 s7, s6, s62
	s_cmp_ge_u32 s6, s62
	s_cselect_b32 s6, s7, s6
	s_sub_i32 s7, s6, s62
	v_mul_lo_u32 v1, s63, v10
	s_cmp_ge_u32 s6, s62
	s_cselect_b32 s6, s7, s6
	s_xor_b32 s6, s6, s1
	s_sub_i32 s1, s1, s6
	v_add_u32_e32 v18, s63, v1
	v_or_b32_e32 v1, 2, v10
	s_add_i32 s81, s81, s1
	v_mul_lo_u32 v19, s63, v1
	v_or_b32_e32 v1, 3, v10
	s_add_i32 s1, s62, s60
	v_mul_lo_u32 v21, s63, v1
	v_add_u32_e32 v1, s1, v0
	v_subrev_u32_e32 v1, s0, v1
	v_mul_lo_u32 v23, s63, v1
	v_mov_b32_e32 v8, s69
	v_cmp_gt_i32_e64 s[6:7], s81, v0
	s_mul_i32 s18, s63, s62
	v_cmp_eq_u32_e64 s[2:3], 0, v11
	v_cmp_gt_u32_e64 s[4:5], 2, v0
	v_mov_b32_e32 v12, 0
	v_and_b32_e32 v13, 0x100, v3
	v_cmp_gt_i32_e64 s[10:11], s79, v10
	v_cmp_gt_u32_e64 s[12:13], s60, v17
	v_addc_co_u32_e32 v8, vcc, v8, v4, vcc
	v_cmp_gt_i32_e64 s[14:15], s60, v17
	v_writelane_b32 v43, s6, 22
	s_lshl_b32 s76, s18, 2
	v_lshlrev_b32_e32 v22, 2, v9
	v_or_b32_e32 v24, 0xc00, v3
	s_mov_b64 s[82:83], 0
	v_mov_b32_e32 v26, 6
	v_mov_b32_e32 v29, s61
	s_movk_i32 s61, 0x80
	v_mov_b32_e32 v25, 8
	v_mov_b32_e32 v28, 0
	;; [unrolled: 1-line block ×4, first 2 shown]
	v_writelane_b32 v43, s7, 23
                                        ; implicit-def: $sgpr84_sgpr85
                                        ; implicit-def: $sgpr88_sgpr89
                                        ; implicit-def: $sgpr86_sgpr87
                                        ; implicit-def: $sgpr92_sgpr93
                                        ; implicit-def: $sgpr94_sgpr95
                                        ; implicit-def: $sgpr90_sgpr91
	s_branch .LBB8_7
.LBB8_4:                                ;   in Loop: Header=BB8_7 Depth=1
	s_or_b64 exec, exec, s[30:31]
	s_and_b64 s[30:31], s[28:29], exec
	s_andn2_b64 s[26:27], s[26:27], exec
	s_andn2_b64 s[24:25], s[24:25], exec
	s_orn2_b64 s[20:21], s[20:21], exec
.LBB8_5:                                ;   in Loop: Header=BB8_7 Depth=1
	s_or_b64 exec, exec, s[22:23]
	s_andn2_b64 s[16:17], s[90:91], exec
	s_and_b64 s[22:23], s[30:31], exec
	s_or_b64 s[90:91], s[16:17], s[22:23]
	s_andn2_b64 s[16:17], s[94:95], exec
	s_and_b64 s[22:23], s[26:27], exec
	s_or_b64 s[94:95], s[16:17], s[22:23]
	;; [unrolled: 3-line block ×3, first 2 shown]
	s_orn2_b64 s[20:21], s[20:21], exec
.LBB8_6:                                ;   in Loop: Header=BB8_7 Depth=1
	s_or_b64 exec, exec, s[6:7]
	s_and_b64 s[6:7], exec, s[20:21]
	s_or_b64 s[82:83], s[6:7], s[82:83]
	s_andn2_b64 s[6:7], s[86:87], exec
	s_and_b64 s[16:17], s[90:91], exec
	s_or_b64 s[86:87], s[6:7], s[16:17]
	s_andn2_b64 s[6:7], s[88:89], exec
	s_and_b64 s[16:17], s[94:95], exec
	;; [unrolled: 3-line block ×3, first 2 shown]
	s_or_b64 s[84:85], s[6:7], s[16:17]
	s_mov_b32 s78, s0
	v_mov_b32_e32 v29, v4
	s_andn2_b64 exec, exec, s[82:83]
	s_cbranch_execz .LBB8_230
.LBB8_7:                                ; =>This Loop Header: Depth=1
                                        ;     Child Loop BB8_12 Depth 2
                                        ;     Child Loop BB8_27 Depth 2
	;; [unrolled: 1-line block ×16, first 2 shown]
	ds_read_b64 v[1:2], v12 offset:4096
	s_waitcnt lgkmcnt(0)
	v_readfirstlane_b32 s77, v1
	s_cmp_gt_i32 s77, 0
	s_cbranch_scc1 .LBB8_34
; %bb.8:                                ;   in Loop: Header=BB8_7 Depth=1
	s_and_b64 vcc, exec, s[72:73]
	s_cbranch_vccz .LBB8_20
; %bb.9:                                ;   in Loop: Header=BB8_7 Depth=1
	s_movk_i32 s0, 0xc01
	v_cmp_gt_i32_e32 vcc, s0, v2
	s_mov_b64 s[20:21], 0
	s_mov_b64 s[6:7], 0
	s_cbranch_vccz .LBB8_21
; %bb.10:                               ;   in Loop: Header=BB8_7 Depth=1
	v_readlane_b32 s0, v43, 14
	v_readlane_b32 s1, v43, 15
	s_nop 4
	global_load_ushort v1, v12, s[0:1]
	global_load_ubyte v4, v[5:6], off
	s_mov_b64 s[22:23], 0
	v_mov_b32_e32 v30, v0
	s_waitcnt vmcnt(1)
	v_add_u32_e32 v2, v0, v1
	v_mul_lo_u32 v2, s63, v2
	v_mul_lo_u32 v3, s63, v1
	s_branch .LBB8_12
.LBB8_11:                               ;   in Loop: Header=BB8_12 Depth=2
	s_or_b64 exec, exec, s[6:7]
	v_cmp_le_i32_e32 vcc, s60, v30
	v_add_u32_e32 v2, v2, v3
	s_or_b64 s[22:23], vcc, s[22:23]
	v_mov_b32_e32 v4, v31
	s_andn2_b64 exec, exec, s[22:23]
	s_cbranch_execz .LBB8_66
.LBB8_12:                               ;   Parent Loop BB8_7 Depth=1
                                        ; =>  This Inner Loop Header: Depth=2
	v_add_u32_e32 v30, v30, v1
	v_cmp_gt_u32_e32 vcc, s60, v30
	s_waitcnt lgkmcnt(0)
	v_mov_b32_e32 v32, 0
	v_mov_b32_e32 v31, 0
	s_and_saveexec_b64 s[6:7], vcc
	s_cbranch_execz .LBB8_14
; %bb.13:                               ;   in Loop: Header=BB8_12 Depth=2
	global_load_ubyte v31, v2, s[68:69]
.LBB8_14:                               ;   in Loop: Header=BB8_12 Depth=2
	s_or_b64 exec, exec, s[6:7]
	s_waitcnt vmcnt(0)
	v_add_u32_sdwa v33, sext(v4), s61 dst_sel:DWORD dst_unused:UNUSED_PAD src0_sel:BYTE_0 src1_sel:DWORD
	v_and_b32_e32 v33, v33, v27
	v_cmp_eq_u32_e32 vcc, v33, v20
	s_cmp_lg_u64 vcc, 0
	s_cselect_b64 s[0:1], -1, 0
	s_and_b64 s[0:1], s[2:3], s[0:1]
	s_and_saveexec_b64 s[24:25], s[0:1]
	s_cbranch_execz .LBB8_18
; %bb.15:                               ;   in Loop: Header=BB8_12 Depth=2
	s_mov_b64 s[28:29], exec
	v_mbcnt_lo_u32_b32 v32, s28, 0
	v_mbcnt_hi_u32_b32 v32, s29, v32
	s_bcnt1_i32_b64 s0, vcc
	v_cmp_eq_u32_e64 s[6:7], 0, v32
                                        ; implicit-def: $vgpr33
	s_and_saveexec_b64 s[26:27], s[6:7]
; %bb.16:                               ;   in Loop: Header=BB8_12 Depth=2
	s_bcnt1_i32_b64 s1, s[28:29]
	s_mul_i32 s1, s0, s1
	v_mov_b32_e32 v33, s1
	ds_add_rtn_u32 v33, v12, v33 offset:4104
; %bb.17:                               ;   in Loop: Header=BB8_12 Depth=2
	s_or_b64 exec, exec, s[26:27]
	s_waitcnt lgkmcnt(0)
	v_readfirstlane_b32 s1, v33
	v_mov_b32_e32 v33, s1
	v_mad_u32_u24 v32, s0, v32, v33
.LBB8_18:                               ;   in Loop: Header=BB8_12 Depth=2
	s_or_b64 exec, exec, s[24:25]
	ds_bpermute_b32 v32, v13, v32
	s_and_saveexec_b64 s[6:7], vcc
	s_cbranch_execz .LBB8_11
; %bb.19:                               ;   in Loop: Header=BB8_12 Depth=2
	v_and_b32_e32 v34, vcc_lo, v15
	v_and_b32_e32 v33, vcc_hi, v14
	v_bcnt_u32_b32 v34, v34, 0
	v_bcnt_u32_b32 v33, v33, v34
	s_waitcnt lgkmcnt(0)
	v_add_u32_e32 v32, v32, v33
	ds_write_b8 v32, v4
	s_branch .LBB8_11
.LBB8_20:                               ;   in Loop: Header=BB8_7 Depth=1
	s_mov_b64 s[20:21], -1
	s_mov_b64 s[6:7], 0
.LBB8_21:                               ;   in Loop: Header=BB8_7 Depth=1
	s_and_b64 vcc, exec, s[20:21]
	s_cbranch_vccz .LBB8_32
.LBB8_22:                               ;   in Loop: Header=BB8_7 Depth=1
	v_mov_b32_e32 v1, 0
	s_mov_b64 s[6:7], exec
	v_readlane_b32 s0, v43, 10
	v_readlane_b32 s1, v43, 11
	s_and_b64 s[0:1], s[6:7], s[0:1]
	s_mov_b64 exec, s[0:1]
	s_cbranch_execz .LBB8_24
; %bb.23:                               ;   in Loop: Header=BB8_7 Depth=1
	global_load_ubyte v1, v[5:6], off
.LBB8_24:                               ;   in Loop: Header=BB8_7 Depth=1
	s_or_b64 exec, exec, s[6:7]
	s_mov_b64 s[6:7], exec
	v_readlane_b32 s0, v43, 12
	v_readlane_b32 s1, v43, 13
	s_and_b64 s[0:1], s[6:7], s[0:1]
	s_mov_b64 exec, s[0:1]
	s_cbranch_execz .LBB8_29
; %bb.25:                               ;   in Loop: Header=BB8_7 Depth=1
	v_readlane_b32 s0, v43, 14
	v_readlane_b32 s1, v43, 15
	s_mov_b64 s[20:21], 0
	v_mov_b32_e32 v30, v0
	s_nop 2
	global_load_ushort v2, v12, s[0:1]
	s_waitcnt vmcnt(0)
	v_add_u32_e32 v3, v0, v2
	v_mul_lo_u32 v3, s63, v3
	v_mul_lo_u32 v4, s63, v2
	s_branch .LBB8_27
.LBB8_26:                               ;   in Loop: Header=BB8_27 Depth=2
	s_or_b64 exec, exec, s[22:23]
	v_cmp_le_i32_e32 vcc, s60, v31
	ds_write_b8 v30, v1
	v_add_u32_e32 v3, v3, v4
	s_or_b64 s[20:21], vcc, s[20:21]
	s_waitcnt vmcnt(0)
	v_mov_b32_e32 v1, v32
	v_mov_b32_e32 v30, v31
	s_andn2_b64 exec, exec, s[20:21]
	s_cbranch_execz .LBB8_29
.LBB8_27:                               ;   Parent Loop BB8_7 Depth=1
                                        ; =>  This Inner Loop Header: Depth=2
	v_add_u32_e32 v31, v30, v2
	v_cmp_gt_u32_e32 vcc, s60, v31
	v_mov_b32_e32 v32, 0
	s_and_saveexec_b64 s[22:23], vcc
	s_cbranch_execz .LBB8_26
; %bb.28:                               ;   in Loop: Header=BB8_27 Depth=2
	global_load_ubyte v32, v3, s[68:69]
	s_branch .LBB8_26
.LBB8_29:                               ;   in Loop: Header=BB8_7 Depth=1
	s_or_b64 exec, exec, s[6:7]
	s_waitcnt vmcnt(0) lgkmcnt(0)
	s_barrier
	s_mov_b64 s[6:7], exec
	v_readlane_b32 s0, v43, 4
	v_readlane_b32 s1, v43, 5
	s_and_b64 s[0:1], s[6:7], s[0:1]
	s_mov_b64 exec, s[0:1]
; %bb.30:                               ;   in Loop: Header=BB8_7 Depth=1
	v_mov_b32_e32 v1, s60
	ds_write_b32 v12, v1 offset:4096
; %bb.31:                               ;   in Loop: Header=BB8_7 Depth=1
	s_or_b64 exec, exec, s[6:7]
	s_mov_b64 s[6:7], -1
	s_waitcnt lgkmcnt(0)
	s_barrier
.LBB8_32:                               ;   in Loop: Header=BB8_7 Depth=1
	s_and_b64 vcc, exec, s[6:7]
	s_cbranch_vccz .LBB8_34
; %bb.33:                               ;   in Loop: Header=BB8_7 Depth=1
	ds_read_b32 v1, v12 offset:4096
	s_waitcnt lgkmcnt(0)
	v_readfirstlane_b32 s77, v1
.LBB8_34:                               ;   in Loop: Header=BB8_7 Depth=1
	s_cmp_lt_i32 s77, 1
	s_mov_b64 s[6:7], -1
                                        ; implicit-def: $vgpr4
	s_cbranch_scc1 .LBB8_44
; %bb.35:                               ;   in Loop: Header=BB8_7 Depth=1
	s_and_b64 vcc, exec, s[6:7]
	s_cbranch_vccnz .LBB8_57
.LBB8_36:                               ;   in Loop: Header=BB8_7 Depth=1
	s_lshl_b32 s0, s78, 6
	s_and_saveexec_b64 s[6:7], s[2:3]
.LBB8_37:                               ;   in Loop: Header=BB8_7 Depth=1
	v_lshl_add_u32 v30, s0, 2, v16
	ds_write_b128 v30, v[1:4]
.LBB8_38:                               ;   in Loop: Header=BB8_7 Depth=1
	s_or_b64 exec, exec, s[6:7]
	s_waitcnt vmcnt(0) lgkmcnt(0)
	s_barrier
	s_and_saveexec_b64 s[6:7], s[70:71]
	s_cbranch_execz .LBB8_74
; %bb.39:                               ;   in Loop: Header=BB8_7 Depth=1
	s_andn2_b64 vcc, exec, s[74:75]
	v_mov_b32_e32 v1, 0
	s_cbranch_vccnz .LBB8_73
; %bb.40:                               ;   in Loop: Header=BB8_7 Depth=1
	v_readlane_b32 s16, v43, 16
	v_readlane_b32 s17, v43, 17
	s_andn2_b64 vcc, exec, s[16:17]
	s_cbranch_vccnz .LBB8_69
; %bb.41:                               ;   in Loop: Header=BB8_7 Depth=1
	v_lshl_add_u32 v2, s78, 8, v24
	s_mov_b32 s1, 0
	v_mov_b32_e32 v1, 0
.LBB8_42:                               ;   Parent Loop BB8_7 Depth=1
                                        ; =>  This Inner Loop Header: Depth=2
	ds_read2_b32 v[3:4], v2 offset1:4
	ds_read2_b32 v[30:31], v2 offset0:8 offset1:12
	ds_read2_b32 v[32:33], v2 offset0:16 offset1:20
	;; [unrolled: 1-line block ×3, first 2 shown]
	s_add_i32 s1, s1, 8
	s_waitcnt lgkmcnt(3)
	v_add3_u32 v1, v3, v1, v4
	s_waitcnt lgkmcnt(2)
	v_add3_u32 v1, v30, v1, v31
	;; [unrolled: 2-line block ×3, first 2 shown]
	v_add_u32_e32 v2, 0x80, v2
	s_cmp_eq_u32 s8, s1
	s_waitcnt lgkmcnt(0)
	v_add3_u32 v1, v34, v1, v35
	s_cbranch_scc0 .LBB8_42
; %bb.43:                               ;   in Loop: Header=BB8_7 Depth=1
	s_mov_b32 s1, s8
	s_branch .LBB8_70
.LBB8_44:                               ;   in Loop: Header=BB8_7 Depth=1
	v_mov_b32_e32 v1, 0
	v_mov_b32_e32 v2, 0
	;; [unrolled: 1-line block ×4, first 2 shown]
	s_and_saveexec_b64 s[64:65], s[10:11]
	s_cbranch_execnz .LBB8_47
; %bb.45:                               ;   in Loop: Header=BB8_7 Depth=1
	s_or_b64 exec, exec, s[64:65]
	v_mov_b32_e32 v32, 0
	s_and_saveexec_b64 s[6:7], s[12:13]
	s_cbranch_execnz .LBB8_50
.LBB8_46:                               ;   in Loop: Header=BB8_7 Depth=1
	s_or_b64 exec, exec, s[6:7]
	s_and_saveexec_b64 s[20:21], s[14:15]
	s_cbranch_execnz .LBB8_51
	s_branch .LBB8_56
.LBB8_47:                               ;   in Loop: Header=BB8_7 Depth=1
	s_mov_b32 s16, 0
	s_mov_b64 s[66:67], 0
	s_mov_b32 s17, 0
	s_mov_b32 s19, 0
	;; [unrolled: 1-line block ×4, first 2 shown]
	v_mov_b32_e32 v30, v10
.LBB8_48:                               ;   Parent Loop BB8_7 Depth=1
                                        ; =>  This Inner Loop Header: Depth=2
	v_add_u32_e32 v2, s16, v22
	v_add_u32_e32 v3, s16, v18
	v_mov_b32_e32 v1, s69
	v_add_u32_e32 v4, s16, v19
	v_add_u32_e32 v31, s16, v21
	v_ashrrev_i32_e32 v33, 31, v2
	v_ashrrev_i32_e32 v35, 31, v3
	v_add_co_u32_e64 v3, s[6:7], s68, v3
	v_add_co_u32_e64 v36, s[24:25], s68, v2
	v_ashrrev_i32_e32 v38, 31, v4
	v_add_co_u32_e64 v32, s[20:21], s68, v4
	v_ashrrev_i32_e32 v39, 31, v31
	v_add_co_u32_e64 v34, s[22:23], s68, v31
	v_addc_co_u32_e64 v37, s[24:25], v1, v33, s[24:25]
	v_addc_co_u32_e64 v4, s[6:7], v1, v35, s[6:7]
	;; [unrolled: 1-line block ×4, first 2 shown]
	global_load_sbyte v1, v[36:37], off
	global_load_sbyte v2, v[3:4], off
	s_nop 0
	global_load_sbyte v3, v[32:33], off
	global_load_sbyte v4, v[34:35], off
	v_add_u32_e32 v30, s33, v30
	s_add_i32 s16, s16, s76
	v_cmp_le_i32_e32 vcc, s79, v30
	s_waitcnt vmcnt(3)
	v_add_u32_e32 v1, 0x80, v1
	s_waitcnt vmcnt(2)
	v_add_u32_e32 v2, 0x80, v2
	v_and_b32_e32 v31, v1, v27
	v_bfe_u32 v1, v1, v26, 2
	s_waitcnt vmcnt(1)
	v_add_u32_e32 v3, 0x80, v3
	v_and_b32_e32 v32, v2, v27
	v_bfe_u32 v2, v2, v26, 2
	v_cmp_eq_u32_e64 s[6:7], v31, v20
	v_cmp_eq_u32_e64 s[26:27], 0, v1
	s_waitcnt vmcnt(0)
	v_add_u32_e32 v4, 0x80, v4
	v_and_b32_e32 v33, v3, v27
	v_bfe_u32 v3, v3, v26, 2
	v_cmp_eq_u32_e64 s[20:21], v32, v20
	v_cmp_eq_u32_e64 s[28:29], 0, v2
	s_and_b64 s[26:27], s[6:7], s[26:27]
	v_and_b32_e32 v34, v4, v27
	v_bfe_u32 v4, v4, v26, 2
	v_cmp_eq_u32_e64 s[22:23], v33, v20
	v_cmp_eq_u32_e64 s[30:31], 0, v3
	;; [unrolled: 1-line block ×5, first 2 shown]
	v_cndmask_b32_e64 v1, 0, 1, s[26:27]
	s_and_b64 s[26:27], s[20:21], s[28:29]
	v_cmp_eq_u32_e64 s[24:25], v34, v20
	v_cmp_eq_u32_e64 s[34:35], 0, v4
	v_cmp_eq_u32_e64 s[38:39], 1, v2
	v_cmp_eq_u32_e64 s[46:47], 2, v2
	v_cmp_eq_u32_e64 s[54:55], 3, v2
	v_cndmask_b32_e64 v2, 0, 1, s[26:27]
	s_and_b64 s[26:27], s[22:23], s[30:31]
	v_cmp_eq_u32_e64 s[40:41], 1, v3
	v_cmp_eq_u32_e64 s[48:49], 2, v3
	;; [unrolled: 1-line block ×3, first 2 shown]
	v_cndmask_b32_e64 v3, 0, 1, s[26:27]
	s_and_b64 s[26:27], s[24:25], s[34:35]
	v_cmp_eq_u32_e64 s[42:43], 1, v4
	v_cmp_eq_u32_e64 s[50:51], 2, v4
	;; [unrolled: 1-line block ×3, first 2 shown]
	v_cndmask_b32_e64 v4, 0, 1, s[26:27]
	s_and_b64 s[26:27], s[6:7], s[36:37]
	v_cndmask_b32_e64 v31, 0, 1, s[26:27]
	s_and_b64 s[26:27], s[20:21], s[38:39]
	;; [unrolled: 2-line block ×5, first 2 shown]
	s_and_b64 s[6:7], s[6:7], s[52:53]
	v_cndmask_b32_e64 v35, 0, 1, s[26:27]
	s_and_b64 s[26:27], s[20:21], s[46:47]
	v_cndmask_b32_e64 v39, 0, 1, s[6:7]
	s_and_b64 s[6:7], s[20:21], s[54:55]
	v_cndmask_b32_e64 v36, 0, 1, s[26:27]
	s_and_b64 s[26:27], s[22:23], s[48:49]
	v_cndmask_b32_e64 v40, 0, 1, s[6:7]
	s_and_b64 s[6:7], s[22:23], s[56:57]
	v_cndmask_b32_e64 v37, 0, 1, s[26:27]
	s_and_b64 s[26:27], s[24:25], s[50:51]
	v_cndmask_b32_e64 v41, 0, 1, s[6:7]
	s_and_b64 s[6:7], s[24:25], s[58:59]
	v_cndmask_b32_e64 v38, 0, 1, s[26:27]
	v_cndmask_b32_e64 v42, 0, 1, s[6:7]
	v_cmp_ne_u32_e64 s[6:7], 0, v1
	v_cmp_ne_u32_e64 s[20:21], 0, v2
	;; [unrolled: 1-line block ×11, first 2 shown]
	s_bcnt1_i32_b64 s1, s[6:7]
	s_bcnt1_i32_b64 s6, s[20:21]
	;; [unrolled: 1-line block ×8, first 2 shown]
	v_cmp_ne_u32_e64 s[40:41], 0, v37
	v_cmp_ne_u32_e64 s[48:49], 0, v41
	s_bcnt1_i32_b64 s23, s[30:31]
	s_bcnt1_i32_b64 s26, s[38:39]
	;; [unrolled: 1-line block ×3, first 2 shown]
	s_add_i32 s0, s0, s1
	s_add_i32 s1, s80, s21
	;; [unrolled: 1-line block ×4, first 2 shown]
	v_cmp_ne_u32_e64 s[34:35], 0, v34
	v_cmp_ne_u32_e64 s[42:43], 0, v38
	;; [unrolled: 1-line block ×3, first 2 shown]
	s_bcnt1_i32_b64 s27, s[40:41]
	s_bcnt1_i32_b64 s31, s[48:49]
	s_add_i32 s0, s0, s6
	s_add_i32 s1, s1, s22
	;; [unrolled: 1-line block ×4, first 2 shown]
	s_bcnt1_i32_b64 s24, s[34:35]
	s_bcnt1_i32_b64 s28, s[42:43]
	;; [unrolled: 1-line block ×3, first 2 shown]
	s_add_i32 s0, s0, s7
	s_add_i32 s1, s1, s23
	;; [unrolled: 1-line block ×8, first 2 shown]
	s_or_b64 s[66:67], vcc, s[66:67]
	v_mov_b32_e32 v1, s0
	v_mov_b32_e32 v2, s80
	;; [unrolled: 1-line block ×4, first 2 shown]
	s_andn2_b64 exec, exec, s[66:67]
	s_cbranch_execnz .LBB8_48
; %bb.49:                               ;   in Loop: Header=BB8_7 Depth=1
	s_or_b64 exec, exec, s[66:67]
	s_or_b64 exec, exec, s[64:65]
	v_mov_b32_e32 v32, 0
	s_and_saveexec_b64 s[6:7], s[12:13]
	s_cbranch_execz .LBB8_46
.LBB8_50:                               ;   in Loop: Header=BB8_7 Depth=1
	global_load_ubyte v32, v[7:8], off
	s_or_b64 exec, exec, s[6:7]
	s_and_saveexec_b64 s[20:21], s[14:15]
	s_cbranch_execz .LBB8_56
.LBB8_51:                               ;   in Loop: Header=BB8_7 Depth=1
	s_mov_b64 s[22:23], 0
	v_mov_b32_e32 v30, v23
	v_mov_b32_e32 v31, v17
	s_branch .LBB8_53
.LBB8_52:                               ;   in Loop: Header=BB8_53 Depth=2
	s_or_b64 exec, exec, s[6:7]
	s_waitcnt vmcnt(0)
	v_add_u32_sdwa v32, sext(v32), s61 dst_sel:DWORD dst_unused:UNUSED_PAD src0_sel:BYTE_0 src1_sel:DWORD
	v_and_b32_e32 v34, v32, v27
	v_bfe_u32 v32, v32, v26, 2
	v_cmp_eq_u32_e32 vcc, v34, v20
	v_cmp_eq_u32_e64 s[6:7], 0, v32
	s_and_b64 s[0:1], vcc, s[6:7]
	v_cndmask_b32_e64 v34, 0, 1, s[0:1]
	v_cmp_ne_u32_e64 s[6:7], 0, v34
	s_bcnt1_i32_b64 s0, s[6:7]
	v_cmp_eq_u32_e64 s[6:7], 1, v32
	v_add_u32_e32 v1, s0, v1
	s_and_b64 s[0:1], vcc, s[6:7]
	v_cndmask_b32_e64 v34, 0, 1, s[0:1]
	v_cmp_ne_u32_e64 s[6:7], 0, v34
	s_bcnt1_i32_b64 s0, s[6:7]
	v_cmp_eq_u32_e64 s[6:7], 2, v32
	v_add_u32_e32 v2, s0, v2
	;; [unrolled: 6-line block ×3, first 2 shown]
	s_and_b64 s[0:1], vcc, s[6:7]
	v_cndmask_b32_e64 v32, 0, 1, s[0:1]
	v_cmp_ne_u32_e32 vcc, 0, v32
	s_bcnt1_i32_b64 s0, vcc
	v_cmp_le_i32_e32 vcc, s60, v31
	v_add_u32_e32 v4, s0, v4
	v_add_u32_e32 v30, s18, v30
	s_or_b64 s[22:23], vcc, s[22:23]
	v_mov_b32_e32 v32, v33
	s_andn2_b64 exec, exec, s[22:23]
	s_cbranch_execz .LBB8_55
.LBB8_53:                               ;   Parent Loop BB8_7 Depth=1
                                        ; =>  This Inner Loop Header: Depth=2
	v_add_u32_e32 v31, s62, v31
	v_cmp_gt_u32_e32 vcc, s60, v31
	v_mov_b32_e32 v33, 0
	s_and_saveexec_b64 s[6:7], vcc
	s_cbranch_execz .LBB8_52
; %bb.54:                               ;   in Loop: Header=BB8_53 Depth=2
	v_ashrrev_i32_e32 v34, 31, v30
	v_mov_b32_e32 v35, s69
	v_add_co_u32_e32 v33, vcc, s68, v30
	v_addc_co_u32_e32 v34, vcc, v35, v34, vcc
	global_load_ubyte v33, v[33:34], off
	s_branch .LBB8_52
.LBB8_55:                               ;   in Loop: Header=BB8_7 Depth=1
	s_or_b64 exec, exec, s[22:23]
.LBB8_56:                               ;   in Loop: Header=BB8_7 Depth=1
	s_or_b64 exec, exec, s[20:21]
	s_branch .LBB8_36
.LBB8_57:                               ;   in Loop: Header=BB8_7 Depth=1
	s_mul_hi_u32 s0, s77, s9
	s_mul_i32 s0, s0, s33
	s_sub_i32 s0, s77, s0
	s_sub_i32 s1, s0, s33
	s_cmp_ge_u32 s0, s33
	s_cselect_b32 s0, s1, s0
	s_sub_i32 s1, s0, s33
	s_cmp_ge_u32 s0, s33
	s_cselect_b32 s0, s1, s0
	s_sub_i32 s0, s77, s0
	v_cmp_gt_u32_e32 vcc, s0, v10
	v_mov_b32_e32 v1, 0
	v_mov_b32_e32 v2, 0
	;; [unrolled: 1-line block ×4, first 2 shown]
	s_and_saveexec_b64 s[64:65], vcc
	s_cbranch_execz .LBB8_61
; %bb.58:                               ;   in Loop: Header=BB8_7 Depth=1
	s_mov_b32 s1, 0
	s_mov_b64 s[66:67], 0
	s_mov_b32 s16, 0
	s_mov_b32 s17, 0
	;; [unrolled: 1-line block ×3, first 2 shown]
	v_mov_b32_e32 v30, v10
.LBB8_59:                               ;   Parent Loop BB8_7 Depth=1
                                        ; =>  This Inner Loop Header: Depth=2
	ds_read_b32 v1, v30
	v_add_u32_e32 v30, s33, v30
	v_cmp_le_i32_e32 vcc, s0, v30
	s_waitcnt lgkmcnt(0)
	v_add_u32_sdwa v2, sext(v1), s61 dst_sel:DWORD dst_unused:UNUSED_PAD src0_sel:BYTE_0 src1_sel:DWORD
	v_add_u32_sdwa v3, sext(v1), s61 dst_sel:DWORD dst_unused:UNUSED_PAD src0_sel:BYTE_1 src1_sel:DWORD
	v_and_b32_e32 v31, v2, v27
	v_bfe_u32 v2, v2, v26, 2
	v_add_u32_sdwa v4, sext(v1), s61 dst_sel:DWORD dst_unused:UNUSED_PAD src0_sel:BYTE_2 src1_sel:DWORD
	v_add_u32_sdwa v1, sext(v1), s61 dst_sel:DWORD dst_unused:UNUSED_PAD src0_sel:BYTE_3 src1_sel:DWORD
	s_waitcnt vmcnt(0)
	v_and_b32_e32 v32, v3, v27
	v_bfe_u32 v3, v3, v26, 2
	v_cmp_eq_u32_e64 s[6:7], v31, v20
	v_cmp_eq_u32_e64 s[26:27], 0, v2
	v_and_b32_e32 v33, v4, v27
	v_and_b32_e32 v34, v1, v27
	v_bfe_u32 v4, v4, v26, 2
	v_bfe_u32 v1, v1, v26, 2
	v_cmp_eq_u32_e64 s[20:21], v32, v20
	v_cmp_eq_u32_e64 s[28:29], 0, v3
	s_and_b64 s[26:27], s[6:7], s[26:27]
	v_cmp_eq_u32_e64 s[22:23], v33, v20
	v_cmp_eq_u32_e64 s[30:31], 0, v4
	;; [unrolled: 1-line block ×6, first 2 shown]
	v_cndmask_b32_e64 v1, 0, 1, s[26:27]
	s_and_b64 s[26:27], s[20:21], s[28:29]
	v_cmp_eq_u32_e64 s[24:25], v34, v20
	v_cmp_eq_u32_e64 s[36:37], 1, v2
	;; [unrolled: 1-line block ×4, first 2 shown]
	v_cndmask_b32_e64 v2, 0, 1, s[26:27]
	s_and_b64 s[26:27], s[22:23], s[30:31]
	v_cmp_eq_u32_e64 s[38:39], 1, v3
	v_cmp_eq_u32_e64 s[46:47], 2, v3
	;; [unrolled: 1-line block ×3, first 2 shown]
	v_cndmask_b32_e64 v3, 0, 1, s[26:27]
	s_and_b64 s[26:27], s[24:25], s[34:35]
	v_cmp_eq_u32_e64 s[40:41], 1, v4
	v_cmp_eq_u32_e64 s[48:49], 2, v4
	;; [unrolled: 1-line block ×3, first 2 shown]
	v_cndmask_b32_e64 v4, 0, 1, s[26:27]
	s_and_b64 s[26:27], s[6:7], s[36:37]
	v_cndmask_b32_e64 v31, 0, 1, s[26:27]
	s_and_b64 s[26:27], s[20:21], s[38:39]
	;; [unrolled: 2-line block ×5, first 2 shown]
	s_and_b64 s[6:7], s[6:7], s[52:53]
	v_cndmask_b32_e64 v35, 0, 1, s[26:27]
	s_and_b64 s[26:27], s[20:21], s[46:47]
	v_cndmask_b32_e64 v39, 0, 1, s[6:7]
	;; [unrolled: 2-line block ×7, first 2 shown]
	v_cndmask_b32_e64 v42, 0, 1, s[6:7]
	v_cmp_ne_u32_e64 s[6:7], 0, v1
	v_cmp_ne_u32_e64 s[20:21], 0, v2
	;; [unrolled: 1-line block ×11, first 2 shown]
	s_bcnt1_i32_b64 s6, s[6:7]
	s_bcnt1_i32_b64 s7, s[20:21]
	;; [unrolled: 1-line block ×8, first 2 shown]
	v_cmp_ne_u32_e64 s[34:35], 0, v34
	v_cmp_ne_u32_e64 s[40:41], 0, v37
	;; [unrolled: 1-line block ×3, first 2 shown]
	s_bcnt1_i32_b64 s23, s[28:29]
	s_bcnt1_i32_b64 s27, s[38:39]
	;; [unrolled: 1-line block ×3, first 2 shown]
	s_add_i32 s6, s19, s6
	s_add_i32 s17, s17, s22
	;; [unrolled: 1-line block ×4, first 2 shown]
	v_cmp_ne_u32_e64 s[42:43], 0, v38
	v_cmp_ne_u32_e64 s[50:51], 0, v42
	s_bcnt1_i32_b64 s25, s[34:35]
	s_bcnt1_i32_b64 s28, s[40:41]
	;; [unrolled: 1-line block ×3, first 2 shown]
	s_add_i32 s6, s6, s7
	s_add_i32 s7, s17, s23
	;; [unrolled: 1-line block ×4, first 2 shown]
	s_bcnt1_i32_b64 s29, s[42:43]
	s_bcnt1_i32_b64 s35, s[50:51]
	s_add_i32 s6, s6, s20
	s_add_i32 s7, s7, s24
	;; [unrolled: 1-line block ×8, first 2 shown]
	s_or_b64 s[66:67], vcc, s[66:67]
	v_mov_b32_e32 v1, s19
	v_mov_b32_e32 v2, s17
	;; [unrolled: 1-line block ×4, first 2 shown]
	s_andn2_b64 exec, exec, s[66:67]
	s_cbranch_execnz .LBB8_59
; %bb.60:                               ;   in Loop: Header=BB8_7 Depth=1
	s_or_b64 exec, exec, s[66:67]
.LBB8_61:                               ;   in Loop: Header=BB8_7 Depth=1
	s_or_b64 exec, exec, s[64:65]
	v_add_u32_e32 v30, s0, v0
	v_cmp_gt_i32_e32 vcc, s77, v30
	s_and_saveexec_b64 s[28:29], vcc
	s_cbranch_execz .LBB8_65
; %bb.62:                               ;   in Loop: Header=BB8_7 Depth=1
	s_mov_b64 s[30:31], 0
.LBB8_63:                               ;   Parent Loop BB8_7 Depth=1
                                        ; =>  This Inner Loop Header: Depth=2
	ds_read_i8 v31, v30
	v_add_u32_e32 v30, s62, v30
	v_cmp_le_i32_e32 vcc, s77, v30
	s_waitcnt lgkmcnt(0)
	v_add_u32_e32 v31, 0x80, v31
	s_waitcnt vmcnt(0)
	v_and_b32_e32 v32, v31, v27
	v_bfe_u32 v31, v31, v26, 2
	v_cmp_eq_u32_e64 s[6:7], v32, v20
	v_cmp_eq_u32_e64 s[20:21], 0, v31
	;; [unrolled: 1-line block ×3, first 2 shown]
	s_and_b64 s[0:1], s[6:7], s[20:21]
	v_cmp_eq_u32_e64 s[24:25], 2, v31
	v_cmp_eq_u32_e64 s[26:27], 3, v31
	v_cndmask_b32_e64 v31, 0, 1, s[0:1]
	s_and_b64 s[0:1], s[6:7], s[22:23]
	v_cndmask_b32_e64 v32, 0, 1, s[0:1]
	s_and_b64 s[0:1], s[6:7], s[24:25]
	;; [unrolled: 2-line block ×3, first 2 shown]
	v_cndmask_b32_e64 v34, 0, 1, s[0:1]
	v_cmp_ne_u32_e64 s[6:7], 0, v31
	v_cmp_ne_u32_e64 s[20:21], 0, v32
	;; [unrolled: 1-line block ×4, first 2 shown]
	s_bcnt1_i32_b64 s0, s[6:7]
	s_bcnt1_i32_b64 s1, s[20:21]
	;; [unrolled: 1-line block ×4, first 2 shown]
	v_add_u32_e32 v1, s0, v1
	v_add_u32_e32 v2, s1, v2
	;; [unrolled: 1-line block ×3, first 2 shown]
	s_or_b64 s[30:31], vcc, s[30:31]
	v_add_u32_e32 v4, s7, v4
	s_andn2_b64 exec, exec, s[30:31]
	s_cbranch_execnz .LBB8_63
; %bb.64:                               ;   in Loop: Header=BB8_7 Depth=1
	s_or_b64 exec, exec, s[30:31]
.LBB8_65:                               ;   in Loop: Header=BB8_7 Depth=1
	s_or_b64 exec, exec, s[28:29]
	s_lshl_b32 s0, s78, 6
	s_and_saveexec_b64 s[6:7], s[2:3]
	s_cbranch_execnz .LBB8_37
	s_branch .LBB8_38
.LBB8_66:                               ;   in Loop: Header=BB8_7 Depth=1
	s_or_b64 exec, exec, s[22:23]
	s_waitcnt lgkmcnt(0)
	s_barrier
	s_mov_b64 s[6:7], exec
	v_readlane_b32 s0, v43, 4
	v_readlane_b32 s1, v43, 5
	s_and_b64 s[0:1], s[6:7], s[0:1]
	s_mov_b64 exec, s[0:1]
	s_cbranch_execz .LBB8_68
; %bb.67:                               ;   in Loop: Header=BB8_7 Depth=1
	ds_read_b32 v1, v12 offset:4104
	s_waitcnt lgkmcnt(0)
	ds_write_b32 v12, v1 offset:4096
.LBB8_68:                               ;   in Loop: Header=BB8_7 Depth=1
	s_or_b64 exec, exec, s[6:7]
	s_waitcnt lgkmcnt(0)
	s_barrier
	s_mov_b64 s[6:7], -1
	s_and_b64 vcc, exec, s[20:21]
	s_cbranch_vccnz .LBB8_22
	s_branch .LBB8_32
.LBB8_69:                               ;   in Loop: Header=BB8_7 Depth=1
	v_mov_b32_e32 v1, 0
	s_mov_b32 s1, 0
.LBB8_70:                               ;   in Loop: Header=BB8_7 Depth=1
	v_readlane_b32 s16, v43, 19
	v_readlane_b32 s17, v43, 20
	s_andn2_b64 vcc, exec, s[16:17]
	s_cbranch_vccnz .LBB8_73
; %bb.71:                               ;   in Loop: Header=BB8_7 Depth=1
	s_lshl_b32 s16, s78, 8
	s_lshl_b32 s1, s1, 4
	s_add_i32 s16, s16, s1
	v_add_u32_e32 v2, s16, v24
	v_readlane_b32 s1, v43, 18
.LBB8_72:                               ;   Parent Loop BB8_7 Depth=1
                                        ; =>  This Inner Loop Header: Depth=2
	ds_read_b32 v3, v2
	s_add_i32 s1, s1, -1
	v_add_u32_e32 v2, 16, v2
	s_cmp_lg_u32 s1, 0
	s_waitcnt lgkmcnt(0)
	v_add_u32_e32 v1, v3, v1
	s_cbranch_scc1 .LBB8_72
.LBB8_73:                               ;   in Loop: Header=BB8_7 Depth=1
	v_add_lshl_u32 v2, s0, v11, 2
	ds_write_b32 v2, v1 offset:3072
.LBB8_74:                               ;   in Loop: Header=BB8_7 Depth=1
	s_or_b64 exec, exec, s[6:7]
	s_lshl_b32 s0, s0, 2
	v_mov_b32_e32 v1, s0
	s_waitcnt lgkmcnt(0)
	s_barrier
	ds_read_b128 v[1:4], v1 offset:3072
	v_cmp_eq_u32_e32 vcc, 1, v29
	s_mov_b64 s[20:21], -1
	s_mov_b64 s[28:29], -1
                                        ; implicit-def: $sgpr26_sgpr27
                                        ; implicit-def: $sgpr24_sgpr25
	s_waitcnt lgkmcnt(0)
	v_readfirstlane_b32 s42, v1
	s_cmp_eq_u32 s42, 1
	v_lshlrev_b32_e64 v1, v26, 3
	s_cselect_b64 s[0:1], -1, 0
	v_readfirstlane_b32 s46, v2
	v_readfirstlane_b32 s54, v3
	;; [unrolled: 1-line block ×3, first 2 shown]
	v_not_b32_e32 v3, v1
	s_and_b64 s[22:23], s[0:1], vcc
	s_and_saveexec_b64 s[6:7], s[22:23]
	s_cbranch_execz .LBB8_100
; %bb.75:                               ;   in Loop: Header=BB8_7 Depth=1
	ds_read_b32 v2, v12 offset:4096
	s_waitcnt lgkmcnt(0)
	s_barrier
	v_readfirstlane_b32 s0, v2
	s_and_saveexec_b64 s[24:25], s[4:5]
; %bb.76:                               ;   in Loop: Header=BB8_7 Depth=1
	ds_write_b8 v0, v12 offset:3072
; %bb.77:                               ;   in Loop: Header=BB8_7 Depth=1
	s_or_b64 exec, exec, s[24:25]
	v_and_b32_e32 v20, v20, v3
	v_or_b32_e32 v27, v27, v1
	s_mov_b64 s[24:25], -1
	s_mov_b64 s[26:27], 0
	s_cmp_lt_i32 s0, 1
	s_mov_b64 s[28:29], 0
	s_mov_b64 s[30:31], -1
	s_waitcnt lgkmcnt(0)
	s_barrier
                                        ; implicit-def: $vgpr28
	s_cbranch_scc0 .LBB8_88
; %bb.78:                               ;   in Loop: Header=BB8_7 Depth=1
	s_mov_b64 s[30:31], 0
                                        ; implicit-def: $vgpr28
	s_mov_b64 s[34:35], exec
	v_readlane_b32 s16, v43, 22
	v_readlane_b32 s17, v43, 23
	s_and_b64 s[16:17], s[34:35], s[16:17]
	s_mov_b64 exec, s[16:17]
	s_cbranch_execz .LBB8_87
; %bb.79:                               ;   in Loop: Header=BB8_7 Depth=1
	v_mov_b32_e32 v2, v9
	v_mov_b32_e32 v4, v0
                                        ; implicit-def: $sgpr36_sgpr37
	s_branch .LBB8_82
.LBB8_80:                               ;   in Loop: Header=BB8_82 Depth=2
	s_or_b64 exec, exec, s[38:39]
	s_waitcnt lgkmcnt(0)
	s_barrier
	ds_read_u16 v28, v12 offset:3072
	s_mov_b64 s[38:39], -1
	s_mov_b64 s[40:41], -1
	s_waitcnt lgkmcnt(0)
	s_barrier
	v_cmp_ne_u32_sdwa s[16:17], v28, v12 src0_sel:BYTE_0 src1_sel:DWORD
	s_and_b64 vcc, exec, s[16:17]
	s_cbranch_vccz .LBB8_85
.LBB8_81:                               ;   in Loop: Header=BB8_82 Depth=2
	s_and_b64 s[16:17], exec, s[38:39]
	s_or_b64 s[28:29], s[16:17], s[28:29]
	s_andn2_b64 s[16:17], s[36:37], exec
	s_and_b64 s[36:37], s[40:41], exec
	s_or_b64 s[36:37], s[16:17], s[36:37]
	s_andn2_b64 exec, exec, s[28:29]
	s_cbranch_execz .LBB8_86
.LBB8_82:                               ;   Parent Loop BB8_7 Depth=1
                                        ; =>  This Inner Loop Header: Depth=2
	v_cmp_gt_i32_e32 vcc, s60, v4
	s_and_saveexec_b64 s[38:39], vcc
	s_cbranch_execz .LBB8_80
; %bb.83:                               ;   in Loop: Header=BB8_82 Depth=2
	v_ashrrev_i32_e32 v28, 31, v2
	v_mov_b32_e32 v31, s69
	v_add_co_u32_e32 v30, vcc, s68, v2
	v_addc_co_u32_e32 v31, vcc, v31, v28, vcc
	global_load_ubyte v28, v[30:31], off
	s_waitcnt vmcnt(0)
	v_add_u32_sdwa v30, sext(v28), s61 dst_sel:DWORD dst_unused:UNUSED_PAD src0_sel:BYTE_0 src1_sel:DWORD
	v_and_b32_e32 v30, v30, v27
	v_cmp_eq_u32_e32 vcc, v30, v20
	s_and_b64 exec, exec, vcc
	s_cbranch_execz .LBB8_80
; %bb.84:                               ;   in Loop: Header=BB8_82 Depth=2
	v_lshlrev_b16_e32 v28, 8, v28
	v_or_b32_e32 v28, 1, v28
	ds_write_b16 v12, v28 offset:3072
	s_branch .LBB8_80
.LBB8_85:                               ;   in Loop: Header=BB8_82 Depth=2
	v_add_u32_e32 v4, s62, v4
	v_cmp_le_i32_e32 vcc, s81, v4
	v_add_u32_e32 v2, s18, v2
	s_mov_b64 s[40:41], 0
	s_orn2_b64 s[38:39], vcc, exec
	s_branch .LBB8_81
.LBB8_86:                               ;   in Loop: Header=BB8_7 Depth=1
	s_or_b64 exec, exec, s[28:29]
	v_lshrrev_b32_sdwa v28, v25, v28 dst_sel:DWORD dst_unused:UNUSED_PAD src0_sel:DWORD src1_sel:WORD_0
	s_and_b64 s[28:29], s[36:37], exec
.LBB8_87:                               ;   in Loop: Header=BB8_7 Depth=1
	s_or_b64 exec, exec, s[34:35]
.LBB8_88:                               ;   in Loop: Header=BB8_7 Depth=1
	s_and_b64 vcc, exec, s[30:31]
	s_cbranch_vccz .LBB8_99
; %bb.89:                               ;   in Loop: Header=BB8_7 Depth=1
	v_readlane_b32 s1, v43, 9
	s_add_i32 s1, s0, s1
	s_abs_i32 s17, s1
	v_readlane_b32 s19, v43, 21
	s_mul_hi_u32 s19, s17, s19
	s_mul_i32 s19, s19, s62
	s_sub_i32 s17, s17, s19
	s_ashr_i32 s16, s1, 31
	s_sub_i32 s19, s17, s62
	s_cmp_ge_u32 s17, s62
	s_cselect_b32 s17, s19, s17
	s_sub_i32 s19, s17, s62
	s_cmp_ge_u32 s17, s62
	s_cselect_b32 s17, s19, s17
	s_xor_b32 s17, s17, s16
	s_sub_i32 s16, s16, s17
	s_add_i32 s1, s1, s16
	v_cmp_gt_i32_e32 vcc, s1, v0
                                        ; implicit-def: $vgpr28
	s_and_saveexec_b64 s[24:25], vcc
	s_cbranch_execz .LBB8_98
; %bb.90:                               ;   in Loop: Header=BB8_7 Depth=1
	s_mov_b64 s[26:27], 0
	v_mov_b32_e32 v2, v0
                                        ; implicit-def: $sgpr30_sgpr31
	s_branch .LBB8_93
.LBB8_91:                               ;   in Loop: Header=BB8_93 Depth=2
	s_or_b64 exec, exec, s[34:35]
	s_waitcnt lgkmcnt(0)
	s_barrier
	ds_read_u16 v4, v12 offset:3072
	s_mov_b64 s[34:35], -1
	s_mov_b64 s[36:37], -1
	s_waitcnt lgkmcnt(0)
	s_barrier
	v_cmp_ne_u32_sdwa s[16:17], v4, v12 src0_sel:BYTE_0 src1_sel:DWORD
	s_and_b64 vcc, exec, s[16:17]
	s_cbranch_vccz .LBB8_96
.LBB8_92:                               ;   in Loop: Header=BB8_93 Depth=2
	s_and_b64 s[16:17], exec, s[34:35]
	s_or_b64 s[26:27], s[16:17], s[26:27]
	s_andn2_b64 s[16:17], s[30:31], exec
	s_and_b64 s[30:31], s[36:37], exec
	s_or_b64 s[30:31], s[16:17], s[30:31]
	s_andn2_b64 exec, exec, s[26:27]
	s_cbranch_execz .LBB8_97
.LBB8_93:                               ;   Parent Loop BB8_7 Depth=1
                                        ; =>  This Inner Loop Header: Depth=2
	v_cmp_gt_i32_e32 vcc, s0, v2
	s_and_saveexec_b64 s[34:35], vcc
	s_cbranch_execz .LBB8_91
; %bb.94:                               ;   in Loop: Header=BB8_93 Depth=2
	ds_read_u8 v4, v2
	s_waitcnt lgkmcnt(0)
	v_add_u32_sdwa v28, sext(v4), s61 dst_sel:DWORD dst_unused:UNUSED_PAD src0_sel:BYTE_0 src1_sel:DWORD
	v_and_b32_e32 v28, v28, v27
	v_cmp_eq_u32_e32 vcc, v28, v20
	s_and_b64 exec, exec, vcc
	s_cbranch_execz .LBB8_91
; %bb.95:                               ;   in Loop: Header=BB8_93 Depth=2
	v_lshlrev_b16_e32 v4, 8, v4
	v_or_b32_e32 v4, 1, v4
	ds_write_b16 v12, v4 offset:3072
	s_branch .LBB8_91
.LBB8_96:                               ;   in Loop: Header=BB8_93 Depth=2
	v_add_u32_e32 v2, s62, v2
	v_cmp_le_i32_e32 vcc, s1, v2
	s_mov_b64 s[36:37], 0
	s_orn2_b64 s[34:35], vcc, exec
	s_branch .LBB8_92
.LBB8_97:                               ;   in Loop: Header=BB8_7 Depth=1
	s_or_b64 exec, exec, s[26:27]
	s_andn2_b64 s[0:1], s[28:29], exec
	s_and_b64 s[16:17], s[30:31], exec
	v_lshrrev_b32_sdwa v28, v25, v4 dst_sel:DWORD dst_unused:UNUSED_PAD src0_sel:DWORD src1_sel:WORD_0
	s_or_b64 s[28:29], s[0:1], s[16:17]
.LBB8_98:                               ;   in Loop: Header=BB8_7 Depth=1
	s_or_b64 exec, exec, s[24:25]
	s_mov_b64 s[24:25], 0
	s_mov_b64 s[26:27], -1
.LBB8_99:                               ;   in Loop: Header=BB8_7 Depth=1
	s_orn2_b64 s[28:29], s[28:29], exec
.LBB8_100:                              ;   in Loop: Header=BB8_7 Depth=1
	s_or_b64 exec, exec, s[6:7]
	s_andn2_b64 s[6:7], s[94:95], exec
	s_and_b64 s[16:17], s[26:27], exec
	s_or_b64 s[94:95], s[6:7], s[16:17]
	s_andn2_b64 s[6:7], s[92:93], exec
	s_and_b64 s[16:17], s[24:25], exec
	v_readfirstlane_b32 s0, v0
	s_andn2_b64 s[90:91], s[90:91], exec
	s_or_b64 s[92:93], s[6:7], s[16:17]
                                        ; implicit-def: $vgpr4
	s_and_saveexec_b64 s[6:7], s[28:29]
	s_cbranch_execz .LBB8_6
; %bb.101:                              ;   in Loop: Header=BB8_7 Depth=1
	s_xor_b64 s[0:1], s[22:23], -1
	s_mov_b64 s[22:23], 0
	v_mov_b32_e32 v4, 1
	v_mov_b32_e32 v2, 1
	s_and_saveexec_b64 s[20:21], s[0:1]
	s_cbranch_execz .LBB8_110
; %bb.102:                              ;   in Loop: Header=BB8_7 Depth=1
	v_cmp_ge_i32_e32 vcc, s42, v29
	s_and_saveexec_b64 s[0:1], vcc
	s_xor_b64 s[22:23], exec, s[0:1]
	s_cbranch_execz .LBB8_107
; %bb.103:                              ;   in Loop: Header=BB8_7 Depth=1
	ds_read_b32 v2, v12 offset:4096
	v_and_b32_e32 v20, v20, v3
	v_or_b32_e32 v27, v27, v1
	s_waitcnt lgkmcnt(0)
	v_cmp_ne_u32_e32 vcc, 0, v2
	s_cbranch_vccnz .LBB8_107
; %bb.104:                              ;   in Loop: Header=BB8_7 Depth=1
	s_mov_b64 s[24:25], exec
	v_readlane_b32 s0, v43, 4
	v_readlane_b32 s1, v43, 5
	s_and_b64 s[0:1], s[24:25], s[0:1]
	s_mov_b64 exec, s[0:1]
; %bb.105:                              ;   in Loop: Header=BB8_7 Depth=1
	v_mov_b32_e32 v2, s42
	ds_write_b32 v12, v2 offset:4100
; %bb.106:                              ;   in Loop: Header=BB8_7 Depth=1
	s_or_b64 exec, exec, s[24:25]
	s_waitcnt lgkmcnt(0)
	s_barrier
.LBB8_107:                              ;   in Loop: Header=BB8_7 Depth=1
	s_or_saveexec_b64 s[22:23], s[22:23]
	s_mov_b64 s[24:25], 0
	v_mov_b32_e32 v2, 8
	s_xor_b64 exec, exec, s[22:23]
; %bb.108:                              ;   in Loop: Header=BB8_7 Depth=1
	s_mov_b64 s[24:25], exec
	v_subrev_u32_e32 v29, s42, v29
	v_mov_b32_e32 v2, 0
; %bb.109:                              ;   in Loop: Header=BB8_7 Depth=1
	s_or_b64 exec, exec, s[22:23]
	s_and_b64 s[22:23], s[24:25], exec
	v_mov_b32_e32 v4, v29
.LBB8_110:                              ;   in Loop: Header=BB8_7 Depth=1
	s_or_b64 exec, exec, s[20:21]
	s_mov_b64 s[20:21], -1
	s_mov_b64 s[28:29], -1
                                        ; implicit-def: $sgpr24_sgpr25
                                        ; implicit-def: $sgpr26_sgpr27
	s_and_saveexec_b64 s[0:1], s[22:23]
	s_xor_b64 s[22:23], exec, s[0:1]
	s_cbranch_execz .LBB8_227
; %bb.111:                              ;   in Loop: Header=BB8_7 Depth=1
	s_cmp_eq_u32 s46, 1
	s_cselect_b64 s[0:1], -1, 0
	v_cmp_eq_u32_e32 vcc, 1, v4
	s_and_b64 s[30:31], s[0:1], vcc
	s_mov_b64 s[34:35], -1
                                        ; implicit-def: $sgpr26_sgpr27
                                        ; implicit-def: $sgpr24_sgpr25
	s_and_saveexec_b64 s[28:29], s[30:31]
	s_cbranch_execz .LBB8_137
; %bb.112:                              ;   in Loop: Header=BB8_7 Depth=1
	ds_read_b32 v28, v12 offset:4096
	s_waitcnt lgkmcnt(0)
	s_barrier
	v_readfirstlane_b32 s0, v28
	s_and_saveexec_b64 s[24:25], s[4:5]
; %bb.113:                              ;   in Loop: Header=BB8_7 Depth=1
	ds_write_b8 v0, v12 offset:3072
; %bb.114:                              ;   in Loop: Header=BB8_7 Depth=1
	s_or_b64 exec, exec, s[24:25]
	v_and_b32_e32 v20, v20, v3
	v_lshl_or_b32 v20, 1, v26, v20
	v_or_b32_e32 v27, v27, v1
	s_mov_b64 s[24:25], -1
	s_mov_b64 s[26:27], 0
	s_cmp_gt_i32 s0, 0
	s_mov_b64 s[34:35], 0
	s_mov_b64 s[36:37], -1
	s_waitcnt lgkmcnt(0)
	s_barrier
                                        ; implicit-def: $vgpr28
	s_cbranch_scc1 .LBB8_125
; %bb.115:                              ;   in Loop: Header=BB8_7 Depth=1
	s_mov_b64 s[36:37], 0
                                        ; implicit-def: $vgpr28
	s_mov_b64 s[38:39], exec
	v_readlane_b32 s16, v43, 22
	v_readlane_b32 s17, v43, 23
	s_and_b64 s[16:17], s[38:39], s[16:17]
	s_mov_b64 exec, s[16:17]
	s_cbranch_execz .LBB8_124
; %bb.116:                              ;   in Loop: Header=BB8_7 Depth=1
	v_mov_b32_e32 v28, v9
	v_mov_b32_e32 v29, v0
                                        ; implicit-def: $sgpr40_sgpr41
	s_branch .LBB8_119
.LBB8_117:                              ;   in Loop: Header=BB8_119 Depth=2
	s_or_b64 exec, exec, s[42:43]
	s_waitcnt lgkmcnt(0)
	s_barrier
	ds_read_u16 v30, v12 offset:3072
	s_mov_b64 s[42:43], -1
	s_mov_b64 s[44:45], -1
	s_waitcnt lgkmcnt(0)
	s_barrier
	v_cmp_ne_u32_sdwa s[16:17], v30, v12 src0_sel:BYTE_0 src1_sel:DWORD
	s_and_b64 vcc, exec, s[16:17]
	s_cbranch_vccz .LBB8_122
.LBB8_118:                              ;   in Loop: Header=BB8_119 Depth=2
	s_and_b64 s[16:17], exec, s[42:43]
	s_or_b64 s[34:35], s[16:17], s[34:35]
	s_andn2_b64 s[16:17], s[40:41], exec
	s_and_b64 s[40:41], s[44:45], exec
	s_or_b64 s[40:41], s[16:17], s[40:41]
	s_andn2_b64 exec, exec, s[34:35]
	s_cbranch_execz .LBB8_123
.LBB8_119:                              ;   Parent Loop BB8_7 Depth=1
                                        ; =>  This Inner Loop Header: Depth=2
	v_cmp_gt_i32_e32 vcc, s60, v29
	s_and_saveexec_b64 s[42:43], vcc
	s_cbranch_execz .LBB8_117
; %bb.120:                              ;   in Loop: Header=BB8_119 Depth=2
	v_ashrrev_i32_e32 v31, 31, v28
	v_mov_b32_e32 v32, s69
	v_add_co_u32_e32 v30, vcc, s68, v28
	v_addc_co_u32_e32 v31, vcc, v32, v31, vcc
	global_load_ubyte v30, v[30:31], off
	s_waitcnt vmcnt(0)
	v_add_u32_sdwa v31, sext(v30), s61 dst_sel:DWORD dst_unused:UNUSED_PAD src0_sel:BYTE_0 src1_sel:DWORD
	v_and_b32_e32 v31, v31, v27
	v_cmp_eq_u32_e32 vcc, v31, v20
	s_and_b64 exec, exec, vcc
	s_cbranch_execz .LBB8_117
; %bb.121:                              ;   in Loop: Header=BB8_119 Depth=2
	v_lshlrev_b16_e32 v30, 8, v30
	v_or_b32_e32 v30, 1, v30
	ds_write_b16 v12, v30 offset:3072
	s_branch .LBB8_117
.LBB8_122:                              ;   in Loop: Header=BB8_119 Depth=2
	v_add_u32_e32 v29, s62, v29
	v_cmp_le_i32_e32 vcc, s81, v29
	v_add_u32_e32 v28, s18, v28
	s_mov_b64 s[44:45], 0
	s_orn2_b64 s[42:43], vcc, exec
	s_branch .LBB8_118
.LBB8_123:                              ;   in Loop: Header=BB8_7 Depth=1
	s_or_b64 exec, exec, s[34:35]
	v_lshrrev_b32_sdwa v28, v25, v30 dst_sel:DWORD dst_unused:UNUSED_PAD src0_sel:DWORD src1_sel:WORD_0
	s_and_b64 s[34:35], s[40:41], exec
.LBB8_124:                              ;   in Loop: Header=BB8_7 Depth=1
	s_or_b64 exec, exec, s[38:39]
.LBB8_125:                              ;   in Loop: Header=BB8_7 Depth=1
	s_and_b64 vcc, exec, s[36:37]
	s_cbranch_vccz .LBB8_136
; %bb.126:                              ;   in Loop: Header=BB8_7 Depth=1
	v_readlane_b32 s1, v43, 9
	s_add_i32 s1, s0, s1
	s_abs_i32 s17, s1
	v_readlane_b32 s19, v43, 21
	s_mul_hi_u32 s19, s17, s19
	s_mul_i32 s19, s19, s62
	s_sub_i32 s17, s17, s19
	s_ashr_i32 s16, s1, 31
	s_sub_i32 s19, s17, s62
	s_cmp_ge_u32 s17, s62
	s_cselect_b32 s17, s19, s17
	s_sub_i32 s19, s17, s62
	s_cmp_ge_u32 s17, s62
	s_cselect_b32 s17, s19, s17
	s_xor_b32 s17, s17, s16
	s_sub_i32 s16, s16, s17
	s_add_i32 s1, s1, s16
	v_cmp_gt_i32_e32 vcc, s1, v0
                                        ; implicit-def: $vgpr28
	s_and_saveexec_b64 s[24:25], vcc
	s_cbranch_execz .LBB8_135
; %bb.127:                              ;   in Loop: Header=BB8_7 Depth=1
	s_mov_b64 s[26:27], 0
	v_mov_b32_e32 v28, v0
                                        ; implicit-def: $sgpr36_sgpr37
	s_branch .LBB8_130
.LBB8_128:                              ;   in Loop: Header=BB8_130 Depth=2
	s_or_b64 exec, exec, s[38:39]
	s_waitcnt lgkmcnt(0)
	s_barrier
	ds_read_u16 v29, v12 offset:3072
	s_mov_b64 s[38:39], -1
	s_mov_b64 s[40:41], -1
	s_waitcnt lgkmcnt(0)
	s_barrier
	v_cmp_eq_u32_sdwa s[16:17], v29, v12 src0_sel:BYTE_0 src1_sel:DWORD
	s_and_b64 vcc, exec, s[16:17]
	s_cbranch_vccnz .LBB8_133
.LBB8_129:                              ;   in Loop: Header=BB8_130 Depth=2
	s_and_b64 s[16:17], exec, s[38:39]
	s_or_b64 s[26:27], s[16:17], s[26:27]
	s_andn2_b64 s[16:17], s[36:37], exec
	s_and_b64 s[36:37], s[40:41], exec
	s_or_b64 s[36:37], s[16:17], s[36:37]
	s_andn2_b64 exec, exec, s[26:27]
	s_cbranch_execz .LBB8_134
.LBB8_130:                              ;   Parent Loop BB8_7 Depth=1
                                        ; =>  This Inner Loop Header: Depth=2
	v_cmp_gt_i32_e32 vcc, s0, v28
	s_and_saveexec_b64 s[38:39], vcc
	s_cbranch_execz .LBB8_128
; %bb.131:                              ;   in Loop: Header=BB8_130 Depth=2
	ds_read_u8 v29, v28
	s_waitcnt lgkmcnt(0)
	v_add_u32_sdwa v30, sext(v29), s61 dst_sel:DWORD dst_unused:UNUSED_PAD src0_sel:BYTE_0 src1_sel:DWORD
	v_and_b32_e32 v30, v30, v27
	v_cmp_eq_u32_e32 vcc, v30, v20
	s_and_b64 exec, exec, vcc
	s_cbranch_execz .LBB8_128
; %bb.132:                              ;   in Loop: Header=BB8_130 Depth=2
	v_lshlrev_b16_e32 v29, 8, v29
	v_or_b32_e32 v29, 1, v29
	ds_write_b16 v12, v29 offset:3072
	s_branch .LBB8_128
.LBB8_133:                              ;   in Loop: Header=BB8_130 Depth=2
	v_add_u32_e32 v28, s62, v28
	v_cmp_le_i32_e32 vcc, s1, v28
	s_mov_b64 s[40:41], 0
	s_orn2_b64 s[38:39], vcc, exec
	s_branch .LBB8_129
.LBB8_134:                              ;   in Loop: Header=BB8_7 Depth=1
	s_or_b64 exec, exec, s[26:27]
	s_andn2_b64 s[0:1], s[34:35], exec
	s_and_b64 s[16:17], s[36:37], exec
	v_lshrrev_b32_sdwa v28, v25, v29 dst_sel:DWORD dst_unused:UNUSED_PAD src0_sel:DWORD src1_sel:WORD_0
	s_or_b64 s[34:35], s[0:1], s[16:17]
.LBB8_135:                              ;   in Loop: Header=BB8_7 Depth=1
	s_or_b64 exec, exec, s[24:25]
	s_mov_b64 s[24:25], 0
	s_mov_b64 s[26:27], -1
.LBB8_136:                              ;   in Loop: Header=BB8_7 Depth=1
	s_orn2_b64 s[34:35], s[34:35], exec
.LBB8_137:                              ;   in Loop: Header=BB8_7 Depth=1
	s_or_b64 exec, exec, s[28:29]
	s_mov_b64 s[36:37], 0
	s_and_saveexec_b64 s[28:29], s[34:35]
	s_cbranch_execz .LBB8_226
; %bb.138:                              ;   in Loop: Header=BB8_7 Depth=1
	s_xor_b64 s[0:1], s[30:31], -1
	s_mov_b64 s[40:41], 0
	v_mov_b32_e32 v29, 1
	v_mov_b32_e32 v2, 1
	s_and_saveexec_b64 s[30:31], s[0:1]
	s_cbranch_execz .LBB8_147
; %bb.139:                              ;   in Loop: Header=BB8_7 Depth=1
	v_cmp_ge_i32_e32 vcc, s46, v4
	s_and_saveexec_b64 s[0:1], vcc
	s_xor_b64 s[34:35], exec, s[0:1]
	s_cbranch_execz .LBB8_144
; %bb.140:                              ;   in Loop: Header=BB8_7 Depth=1
	ds_read_b32 v2, v12 offset:4096
	v_and_b32_e32 v20, v20, v3
	v_lshl_or_b32 v20, 1, v26, v20
	v_or_b32_e32 v27, v27, v1
	s_waitcnt lgkmcnt(0)
	v_cmp_ne_u32_e32 vcc, 0, v2
	s_cbranch_vccnz .LBB8_144
; %bb.141:                              ;   in Loop: Header=BB8_7 Depth=1
	s_mov_b64 s[36:37], exec
	v_readlane_b32 s0, v43, 4
	v_readlane_b32 s1, v43, 5
	s_and_b64 s[0:1], s[36:37], s[0:1]
	s_mov_b64 exec, s[0:1]
; %bb.142:                              ;   in Loop: Header=BB8_7 Depth=1
	v_mov_b32_e32 v2, s46
	ds_write_b32 v12, v2 offset:4100
; %bb.143:                              ;   in Loop: Header=BB8_7 Depth=1
	s_or_b64 exec, exec, s[36:37]
	s_waitcnt lgkmcnt(0)
	s_barrier
.LBB8_144:                              ;   in Loop: Header=BB8_7 Depth=1
	s_or_saveexec_b64 s[34:35], s[34:35]
	s_mov_b64 s[36:37], 0
	v_mov_b32_e32 v2, 8
	s_xor_b64 exec, exec, s[34:35]
; %bb.145:                              ;   in Loop: Header=BB8_7 Depth=1
	s_mov_b64 s[36:37], exec
	v_subrev_u32_e32 v4, s46, v4
	v_mov_b32_e32 v2, 0
; %bb.146:                              ;   in Loop: Header=BB8_7 Depth=1
	s_or_b64 exec, exec, s[34:35]
	s_and_b64 s[40:41], s[36:37], exec
	v_mov_b32_e32 v29, v4
.LBB8_147:                              ;   in Loop: Header=BB8_7 Depth=1
	s_or_b64 exec, exec, s[30:31]
	s_mov_b64 s[38:39], -1
                                        ; implicit-def: $sgpr34_sgpr35
                                        ; implicit-def: $sgpr36_sgpr37
	s_and_saveexec_b64 s[30:31], s[40:41]
	s_cbranch_execz .LBB8_225
; %bb.148:                              ;   in Loop: Header=BB8_7 Depth=1
	s_cmp_eq_u32 s54, 1
	s_cselect_b64 s[0:1], -1, 0
	v_cmp_eq_u32_e32 vcc, 1, v29
	s_and_b64 s[40:41], s[0:1], vcc
	s_mov_b64 s[42:43], -1
                                        ; implicit-def: $sgpr36_sgpr37
                                        ; implicit-def: $sgpr34_sgpr35
	s_and_saveexec_b64 s[38:39], s[40:41]
	s_cbranch_execz .LBB8_174
; %bb.149:                              ;   in Loop: Header=BB8_7 Depth=1
	ds_read_b32 v4, v12 offset:4096
	s_waitcnt lgkmcnt(0)
	s_barrier
	v_readfirstlane_b32 s0, v4
	s_and_saveexec_b64 s[34:35], s[4:5]
; %bb.150:                              ;   in Loop: Header=BB8_7 Depth=1
	ds_write_b8 v0, v12 offset:3072
; %bb.151:                              ;   in Loop: Header=BB8_7 Depth=1
	s_or_b64 exec, exec, s[34:35]
	v_and_b32_e32 v4, v20, v3
	v_lshl_or_b32 v20, 2, v26, v4
	v_or_b32_e32 v27, v27, v1
	s_mov_b64 s[34:35], -1
	s_mov_b64 s[36:37], 0
	s_cmp_gt_i32 s0, 0
	s_mov_b64 s[42:43], 0
	s_mov_b64 s[44:45], -1
	s_waitcnt lgkmcnt(0)
	s_barrier
                                        ; implicit-def: $vgpr28
	s_cbranch_scc1 .LBB8_162
; %bb.152:                              ;   in Loop: Header=BB8_7 Depth=1
	s_mov_b64 s[44:45], 0
                                        ; implicit-def: $vgpr28
	s_mov_b64 s[46:47], exec
	v_readlane_b32 s16, v43, 22
	v_readlane_b32 s17, v43, 23
	s_and_b64 s[16:17], s[46:47], s[16:17]
	s_mov_b64 exec, s[16:17]
	s_cbranch_execz .LBB8_161
; %bb.153:                              ;   in Loop: Header=BB8_7 Depth=1
	v_mov_b32_e32 v4, v9
	v_mov_b32_e32 v28, v0
                                        ; implicit-def: $sgpr48_sgpr49
	s_branch .LBB8_156
.LBB8_154:                              ;   in Loop: Header=BB8_156 Depth=2
	s_or_b64 exec, exec, s[50:51]
	s_waitcnt lgkmcnt(0)
	s_barrier
	ds_read_u16 v30, v12 offset:3072
	s_mov_b64 s[50:51], -1
	s_mov_b64 s[52:53], -1
	s_waitcnt lgkmcnt(0)
	s_barrier
	v_cmp_ne_u32_sdwa s[16:17], v30, v12 src0_sel:BYTE_0 src1_sel:DWORD
	s_and_b64 vcc, exec, s[16:17]
	s_cbranch_vccz .LBB8_159
.LBB8_155:                              ;   in Loop: Header=BB8_156 Depth=2
	s_and_b64 s[16:17], exec, s[50:51]
	s_or_b64 s[42:43], s[16:17], s[42:43]
	s_andn2_b64 s[16:17], s[48:49], exec
	s_and_b64 s[48:49], s[52:53], exec
	s_or_b64 s[48:49], s[16:17], s[48:49]
	s_andn2_b64 exec, exec, s[42:43]
	s_cbranch_execz .LBB8_160
.LBB8_156:                              ;   Parent Loop BB8_7 Depth=1
                                        ; =>  This Inner Loop Header: Depth=2
	v_cmp_gt_i32_e32 vcc, s60, v28
	s_and_saveexec_b64 s[50:51], vcc
	s_cbranch_execz .LBB8_154
; %bb.157:                              ;   in Loop: Header=BB8_156 Depth=2
	v_ashrrev_i32_e32 v31, 31, v4
	v_mov_b32_e32 v32, s69
	v_add_co_u32_e32 v30, vcc, s68, v4
	v_addc_co_u32_e32 v31, vcc, v32, v31, vcc
	global_load_ubyte v30, v[30:31], off
	s_waitcnt vmcnt(0)
	v_add_u32_sdwa v31, sext(v30), s61 dst_sel:DWORD dst_unused:UNUSED_PAD src0_sel:BYTE_0 src1_sel:DWORD
	v_and_b32_e32 v31, v31, v27
	v_cmp_eq_u32_e32 vcc, v31, v20
	s_and_b64 exec, exec, vcc
	s_cbranch_execz .LBB8_154
; %bb.158:                              ;   in Loop: Header=BB8_156 Depth=2
	v_lshlrev_b16_e32 v30, 8, v30
	v_or_b32_e32 v30, 1, v30
	ds_write_b16 v12, v30 offset:3072
	s_branch .LBB8_154
.LBB8_159:                              ;   in Loop: Header=BB8_156 Depth=2
	v_add_u32_e32 v28, s62, v28
	v_cmp_le_i32_e32 vcc, s81, v28
	v_add_u32_e32 v4, s18, v4
	s_mov_b64 s[52:53], 0
	s_orn2_b64 s[50:51], vcc, exec
	s_branch .LBB8_155
.LBB8_160:                              ;   in Loop: Header=BB8_7 Depth=1
	s_or_b64 exec, exec, s[42:43]
	v_lshrrev_b32_sdwa v28, v25, v30 dst_sel:DWORD dst_unused:UNUSED_PAD src0_sel:DWORD src1_sel:WORD_0
	s_and_b64 s[42:43], s[48:49], exec
.LBB8_161:                              ;   in Loop: Header=BB8_7 Depth=1
	s_or_b64 exec, exec, s[46:47]
.LBB8_162:                              ;   in Loop: Header=BB8_7 Depth=1
	s_and_b64 vcc, exec, s[44:45]
	s_cbranch_vccz .LBB8_173
; %bb.163:                              ;   in Loop: Header=BB8_7 Depth=1
	v_readlane_b32 s1, v43, 9
	s_add_i32 s1, s0, s1
	s_abs_i32 s17, s1
	v_readlane_b32 s19, v43, 21
	s_mul_hi_u32 s19, s17, s19
	s_mul_i32 s19, s19, s62
	s_sub_i32 s17, s17, s19
	s_ashr_i32 s16, s1, 31
	s_sub_i32 s19, s17, s62
	s_cmp_ge_u32 s17, s62
	s_cselect_b32 s17, s19, s17
	s_sub_i32 s19, s17, s62
	s_cmp_ge_u32 s17, s62
	s_cselect_b32 s17, s19, s17
	s_xor_b32 s17, s17, s16
	s_sub_i32 s16, s16, s17
	s_add_i32 s1, s1, s16
	v_cmp_gt_i32_e32 vcc, s1, v0
                                        ; implicit-def: $vgpr28
	s_and_saveexec_b64 s[34:35], vcc
	s_cbranch_execz .LBB8_172
; %bb.164:                              ;   in Loop: Header=BB8_7 Depth=1
	s_mov_b64 s[36:37], 0
	v_mov_b32_e32 v4, v0
                                        ; implicit-def: $sgpr44_sgpr45
	s_branch .LBB8_167
.LBB8_165:                              ;   in Loop: Header=BB8_167 Depth=2
	s_or_b64 exec, exec, s[46:47]
	s_waitcnt lgkmcnt(0)
	s_barrier
	ds_read_u16 v28, v12 offset:3072
	s_mov_b64 s[46:47], -1
	s_mov_b64 s[48:49], -1
	s_waitcnt lgkmcnt(0)
	s_barrier
	v_cmp_eq_u32_sdwa s[16:17], v28, v12 src0_sel:BYTE_0 src1_sel:DWORD
	s_and_b64 vcc, exec, s[16:17]
	s_cbranch_vccnz .LBB8_170
.LBB8_166:                              ;   in Loop: Header=BB8_167 Depth=2
	s_and_b64 s[16:17], exec, s[46:47]
	s_or_b64 s[36:37], s[16:17], s[36:37]
	s_andn2_b64 s[16:17], s[44:45], exec
	s_and_b64 s[44:45], s[48:49], exec
	s_or_b64 s[44:45], s[16:17], s[44:45]
	s_andn2_b64 exec, exec, s[36:37]
	s_cbranch_execz .LBB8_171
.LBB8_167:                              ;   Parent Loop BB8_7 Depth=1
                                        ; =>  This Inner Loop Header: Depth=2
	v_cmp_gt_i32_e32 vcc, s0, v4
	s_and_saveexec_b64 s[46:47], vcc
	s_cbranch_execz .LBB8_165
; %bb.168:                              ;   in Loop: Header=BB8_167 Depth=2
	ds_read_u8 v28, v4
	s_waitcnt lgkmcnt(0)
	v_add_u32_sdwa v30, sext(v28), s61 dst_sel:DWORD dst_unused:UNUSED_PAD src0_sel:BYTE_0 src1_sel:DWORD
	v_and_b32_e32 v30, v30, v27
	v_cmp_eq_u32_e32 vcc, v30, v20
	s_and_b64 exec, exec, vcc
	s_cbranch_execz .LBB8_165
; %bb.169:                              ;   in Loop: Header=BB8_167 Depth=2
	v_lshlrev_b16_e32 v28, 8, v28
	v_or_b32_e32 v28, 1, v28
	ds_write_b16 v12, v28 offset:3072
	s_branch .LBB8_165
.LBB8_170:                              ;   in Loop: Header=BB8_167 Depth=2
	v_add_u32_e32 v4, s62, v4
	v_cmp_le_i32_e32 vcc, s1, v4
	s_mov_b64 s[48:49], 0
	s_orn2_b64 s[46:47], vcc, exec
	s_branch .LBB8_166
.LBB8_171:                              ;   in Loop: Header=BB8_7 Depth=1
	s_or_b64 exec, exec, s[36:37]
	s_andn2_b64 s[0:1], s[42:43], exec
	s_and_b64 s[16:17], s[44:45], exec
	v_lshrrev_b32_sdwa v28, v25, v28 dst_sel:DWORD dst_unused:UNUSED_PAD src0_sel:DWORD src1_sel:WORD_0
	s_or_b64 s[42:43], s[0:1], s[16:17]
.LBB8_172:                              ;   in Loop: Header=BB8_7 Depth=1
	s_or_b64 exec, exec, s[34:35]
	s_mov_b64 s[34:35], 0
	s_mov_b64 s[36:37], -1
.LBB8_173:                              ;   in Loop: Header=BB8_7 Depth=1
	s_orn2_b64 s[42:43], s[42:43], exec
.LBB8_174:                              ;   in Loop: Header=BB8_7 Depth=1
	s_or_b64 exec, exec, s[38:39]
	s_mov_b64 s[44:45], 0
	s_and_saveexec_b64 s[38:39], s[42:43]
	s_cbranch_execz .LBB8_224
; %bb.175:                              ;   in Loop: Header=BB8_7 Depth=1
	s_xor_b64 s[0:1], s[40:41], -1
	s_mov_b64 s[48:49], 0
	v_mov_b32_e32 v4, 1
	v_mov_b32_e32 v2, 1
	s_and_saveexec_b64 s[40:41], s[0:1]
	s_cbranch_execz .LBB8_184
; %bb.176:                              ;   in Loop: Header=BB8_7 Depth=1
	v_cmp_ge_i32_e32 vcc, s54, v29
	s_and_saveexec_b64 s[0:1], vcc
	s_xor_b64 s[42:43], exec, s[0:1]
	s_cbranch_execz .LBB8_181
; %bb.177:                              ;   in Loop: Header=BB8_7 Depth=1
	ds_read_b32 v2, v12 offset:4096
	v_and_b32_e32 v3, v20, v3
	v_lshl_or_b32 v20, 2, v26, v3
	v_or_b32_e32 v27, v27, v1
	s_waitcnt lgkmcnt(0)
	v_cmp_ne_u32_e32 vcc, 0, v2
	s_cbranch_vccnz .LBB8_181
; %bb.178:                              ;   in Loop: Header=BB8_7 Depth=1
	s_mov_b64 s[44:45], exec
	v_readlane_b32 s0, v43, 4
	v_readlane_b32 s1, v43, 5
	s_and_b64 s[0:1], s[44:45], s[0:1]
	s_mov_b64 exec, s[0:1]
; %bb.179:                              ;   in Loop: Header=BB8_7 Depth=1
	v_mov_b32_e32 v2, s54
	ds_write_b32 v12, v2 offset:4100
; %bb.180:                              ;   in Loop: Header=BB8_7 Depth=1
	s_or_b64 exec, exec, s[44:45]
	s_waitcnt lgkmcnt(0)
	s_barrier
.LBB8_181:                              ;   in Loop: Header=BB8_7 Depth=1
	s_or_saveexec_b64 s[42:43], s[42:43]
	s_mov_b64 s[44:45], 0
	v_mov_b32_e32 v2, 8
	s_xor_b64 exec, exec, s[42:43]
; %bb.182:                              ;   in Loop: Header=BB8_7 Depth=1
	s_mov_b64 s[44:45], exec
	v_subrev_u32_e32 v29, s54, v29
	v_mov_b32_e32 v2, 0
; %bb.183:                              ;   in Loop: Header=BB8_7 Depth=1
	s_or_b64 exec, exec, s[42:43]
	s_and_b64 s[48:49], s[44:45], exec
	v_mov_b32_e32 v4, v29
.LBB8_184:                              ;   in Loop: Header=BB8_7 Depth=1
	s_or_b64 exec, exec, s[40:41]
	s_mov_b64 s[46:47], -1
                                        ; implicit-def: $sgpr44_sgpr45
                                        ; implicit-def: $sgpr42_sgpr43
	s_and_saveexec_b64 s[40:41], s[48:49]
	s_cbranch_execz .LBB8_223
; %bb.185:                              ;   in Loop: Header=BB8_7 Depth=1
	s_cmp_eq_u32 s66, 1
	s_cselect_b64 s[0:1], -1, 0
	v_cmp_eq_u32_e32 vcc, 1, v4
	s_and_b64 s[46:47], s[0:1], vcc
	s_mov_b64 s[50:51], -1
                                        ; implicit-def: $sgpr44_sgpr45
                                        ; implicit-def: $sgpr42_sgpr43
	s_and_saveexec_b64 s[48:49], s[46:47]
	s_cbranch_execz .LBB8_211
; %bb.186:                              ;   in Loop: Header=BB8_7 Depth=1
	ds_read_b32 v3, v12 offset:4096
	s_waitcnt lgkmcnt(0)
	s_barrier
	v_readfirstlane_b32 s0, v3
	s_and_saveexec_b64 s[42:43], s[4:5]
; %bb.187:                              ;   in Loop: Header=BB8_7 Depth=1
	ds_write_b8 v0, v12 offset:3072
; %bb.188:                              ;   in Loop: Header=BB8_7 Depth=1
	s_or_b64 exec, exec, s[42:43]
	v_or_b32_e32 v20, v20, v1
	v_or_b32_e32 v27, v27, v1
	s_mov_b64 s[42:43], -1
	s_mov_b64 s[44:45], 0
	s_cmp_gt_i32 s0, 0
	s_mov_b64 s[50:51], 0
	s_mov_b64 s[52:53], -1
	s_waitcnt lgkmcnt(0)
	s_barrier
                                        ; implicit-def: $vgpr28
	s_cbranch_scc1 .LBB8_199
; %bb.189:                              ;   in Loop: Header=BB8_7 Depth=1
	s_mov_b64 s[52:53], 0
                                        ; implicit-def: $vgpr28
	s_mov_b64 s[54:55], exec
	v_readlane_b32 s16, v43, 22
	v_readlane_b32 s17, v43, 23
	s_and_b64 s[16:17], s[54:55], s[16:17]
	s_mov_b64 exec, s[16:17]
	s_cbranch_execz .LBB8_198
; %bb.190:                              ;   in Loop: Header=BB8_7 Depth=1
	v_mov_b32_e32 v3, v9
	v_mov_b32_e32 v28, v0
                                        ; implicit-def: $sgpr56_sgpr57
	s_branch .LBB8_193
.LBB8_191:                              ;   in Loop: Header=BB8_193 Depth=2
	s_or_b64 exec, exec, s[58:59]
	s_waitcnt lgkmcnt(0)
	s_barrier
	ds_read_u16 v29, v12 offset:3072
	s_mov_b64 s[58:59], -1
	s_mov_b64 s[64:65], -1
	s_waitcnt lgkmcnt(0)
	s_barrier
	v_cmp_ne_u32_sdwa s[16:17], v29, v12 src0_sel:BYTE_0 src1_sel:DWORD
	s_and_b64 vcc, exec, s[16:17]
	s_cbranch_vccz .LBB8_196
.LBB8_192:                              ;   in Loop: Header=BB8_193 Depth=2
	s_and_b64 s[16:17], exec, s[58:59]
	s_or_b64 s[50:51], s[16:17], s[50:51]
	s_andn2_b64 s[16:17], s[56:57], exec
	s_and_b64 s[56:57], s[64:65], exec
	s_or_b64 s[56:57], s[16:17], s[56:57]
	s_andn2_b64 exec, exec, s[50:51]
	s_cbranch_execz .LBB8_197
.LBB8_193:                              ;   Parent Loop BB8_7 Depth=1
                                        ; =>  This Inner Loop Header: Depth=2
	v_cmp_gt_i32_e32 vcc, s60, v28
	s_and_saveexec_b64 s[58:59], vcc
	s_cbranch_execz .LBB8_191
; %bb.194:                              ;   in Loop: Header=BB8_193 Depth=2
	v_ashrrev_i32_e32 v30, 31, v3
	v_mov_b32_e32 v31, s69
	v_add_co_u32_e32 v29, vcc, s68, v3
	v_addc_co_u32_e32 v30, vcc, v31, v30, vcc
	global_load_ubyte v29, v[29:30], off
	s_waitcnt vmcnt(0)
	v_add_u32_sdwa v30, sext(v29), s61 dst_sel:DWORD dst_unused:UNUSED_PAD src0_sel:BYTE_0 src1_sel:DWORD
	v_and_b32_e32 v30, v30, v27
	v_cmp_eq_u32_e32 vcc, v30, v20
	s_and_b64 exec, exec, vcc
	s_cbranch_execz .LBB8_191
; %bb.195:                              ;   in Loop: Header=BB8_193 Depth=2
	v_lshlrev_b16_e32 v29, 8, v29
	v_or_b32_e32 v29, 1, v29
	ds_write_b16 v12, v29 offset:3072
	s_branch .LBB8_191
.LBB8_196:                              ;   in Loop: Header=BB8_193 Depth=2
	v_add_u32_e32 v28, s62, v28
	v_cmp_le_i32_e32 vcc, s81, v28
	v_add_u32_e32 v3, s18, v3
	s_mov_b64 s[64:65], 0
	s_orn2_b64 s[58:59], vcc, exec
	s_branch .LBB8_192
.LBB8_197:                              ;   in Loop: Header=BB8_7 Depth=1
	s_or_b64 exec, exec, s[50:51]
	v_lshrrev_b32_sdwa v28, v25, v29 dst_sel:DWORD dst_unused:UNUSED_PAD src0_sel:DWORD src1_sel:WORD_0
	s_and_b64 s[50:51], s[56:57], exec
.LBB8_198:                              ;   in Loop: Header=BB8_7 Depth=1
	s_or_b64 exec, exec, s[54:55]
.LBB8_199:                              ;   in Loop: Header=BB8_7 Depth=1
	s_and_b64 vcc, exec, s[52:53]
	s_cbranch_vccz .LBB8_210
; %bb.200:                              ;   in Loop: Header=BB8_7 Depth=1
	v_readlane_b32 s1, v43, 9
	s_add_i32 s1, s0, s1
	s_abs_i32 s17, s1
	v_readlane_b32 s19, v43, 21
	s_mul_hi_u32 s19, s17, s19
	s_mul_i32 s19, s19, s62
	s_sub_i32 s17, s17, s19
	s_ashr_i32 s16, s1, 31
	s_sub_i32 s19, s17, s62
	s_cmp_ge_u32 s17, s62
	s_cselect_b32 s17, s19, s17
	s_sub_i32 s19, s17, s62
	s_cmp_ge_u32 s17, s62
	s_cselect_b32 s17, s19, s17
	s_xor_b32 s17, s17, s16
	s_sub_i32 s16, s16, s17
	s_add_i32 s1, s1, s16
	v_cmp_gt_i32_e32 vcc, s1, v0
                                        ; implicit-def: $vgpr28
	s_and_saveexec_b64 s[42:43], vcc
	s_cbranch_execz .LBB8_209
; %bb.201:                              ;   in Loop: Header=BB8_7 Depth=1
	s_mov_b64 s[44:45], 0
	v_mov_b32_e32 v3, v0
                                        ; implicit-def: $sgpr52_sgpr53
	s_branch .LBB8_204
.LBB8_202:                              ;   in Loop: Header=BB8_204 Depth=2
	s_or_b64 exec, exec, s[54:55]
	s_waitcnt lgkmcnt(0)
	s_barrier
	ds_read_u16 v28, v12 offset:3072
	s_mov_b64 s[54:55], -1
	s_mov_b64 s[56:57], -1
	s_waitcnt lgkmcnt(0)
	s_barrier
	v_cmp_eq_u32_sdwa s[16:17], v28, v12 src0_sel:BYTE_0 src1_sel:DWORD
	s_and_b64 vcc, exec, s[16:17]
	s_cbranch_vccnz .LBB8_207
.LBB8_203:                              ;   in Loop: Header=BB8_204 Depth=2
	s_and_b64 s[16:17], exec, s[54:55]
	s_or_b64 s[44:45], s[16:17], s[44:45]
	s_andn2_b64 s[16:17], s[52:53], exec
	s_and_b64 s[52:53], s[56:57], exec
	s_or_b64 s[52:53], s[16:17], s[52:53]
	s_andn2_b64 exec, exec, s[44:45]
	s_cbranch_execz .LBB8_208
.LBB8_204:                              ;   Parent Loop BB8_7 Depth=1
                                        ; =>  This Inner Loop Header: Depth=2
	v_cmp_gt_i32_e32 vcc, s0, v3
	s_and_saveexec_b64 s[54:55], vcc
	s_cbranch_execz .LBB8_202
; %bb.205:                              ;   in Loop: Header=BB8_204 Depth=2
	ds_read_u8 v28, v3
	s_waitcnt lgkmcnt(0)
	v_add_u32_sdwa v29, sext(v28), s61 dst_sel:DWORD dst_unused:UNUSED_PAD src0_sel:BYTE_0 src1_sel:DWORD
	v_and_b32_e32 v29, v29, v27
	v_cmp_eq_u32_e32 vcc, v29, v20
	s_and_b64 exec, exec, vcc
	s_cbranch_execz .LBB8_202
; %bb.206:                              ;   in Loop: Header=BB8_204 Depth=2
	v_lshlrev_b16_e32 v28, 8, v28
	v_or_b32_e32 v28, 1, v28
	ds_write_b16 v12, v28 offset:3072
	s_branch .LBB8_202
.LBB8_207:                              ;   in Loop: Header=BB8_204 Depth=2
	v_add_u32_e32 v3, s62, v3
	v_cmp_le_i32_e32 vcc, s1, v3
	s_mov_b64 s[56:57], 0
	s_orn2_b64 s[54:55], vcc, exec
	s_branch .LBB8_203
.LBB8_208:                              ;   in Loop: Header=BB8_7 Depth=1
	s_or_b64 exec, exec, s[44:45]
	s_andn2_b64 s[0:1], s[50:51], exec
	s_and_b64 s[16:17], s[52:53], exec
	v_lshrrev_b32_sdwa v28, v25, v28 dst_sel:DWORD dst_unused:UNUSED_PAD src0_sel:DWORD src1_sel:WORD_0
	s_or_b64 s[50:51], s[0:1], s[16:17]
.LBB8_209:                              ;   in Loop: Header=BB8_7 Depth=1
	s_or_b64 exec, exec, s[42:43]
	s_mov_b64 s[42:43], 0
	s_mov_b64 s[44:45], -1
.LBB8_210:                              ;   in Loop: Header=BB8_7 Depth=1
	s_orn2_b64 s[50:51], s[50:51], exec
.LBB8_211:                              ;   in Loop: Header=BB8_7 Depth=1
	s_or_b64 exec, exec, s[48:49]
	s_mov_b64 s[52:53], 0
	s_and_saveexec_b64 s[48:49], s[50:51]
	s_cbranch_execz .LBB8_222
; %bb.212:                              ;   in Loop: Header=BB8_7 Depth=1
	s_xor_b64 s[0:1], s[46:47], -1
	v_mov_b32_e32 v2, 1
	v_mov_b32_e32 v3, 1
	s_and_saveexec_b64 s[46:47], s[0:1]
	s_cbranch_execz .LBB8_221
; %bb.213:                              ;   in Loop: Header=BB8_7 Depth=1
	v_cmp_ge_i32_e32 vcc, s66, v4
	s_and_saveexec_b64 s[0:1], vcc
	s_xor_b64 s[50:51], exec, s[0:1]
	s_cbranch_execz .LBB8_218
; %bb.214:                              ;   in Loop: Header=BB8_7 Depth=1
	ds_read_b32 v2, v12 offset:4096
	v_or_b32_e32 v20, v20, v1
	v_or_b32_e32 v27, v27, v1
	s_waitcnt lgkmcnt(0)
	v_cmp_ne_u32_e32 vcc, 0, v2
	s_cbranch_vccnz .LBB8_218
; %bb.215:                              ;   in Loop: Header=BB8_7 Depth=1
	s_mov_b64 s[52:53], exec
	v_readlane_b32 s0, v43, 4
	v_readlane_b32 s1, v43, 5
	s_and_b64 s[0:1], s[52:53], s[0:1]
	s_mov_b64 exec, s[0:1]
; %bb.216:                              ;   in Loop: Header=BB8_7 Depth=1
	v_mov_b32_e32 v1, s66
	ds_write_b32 v12, v1 offset:4100
; %bb.217:                              ;   in Loop: Header=BB8_7 Depth=1
	s_or_b64 exec, exec, s[52:53]
	s_waitcnt lgkmcnt(0)
	s_barrier
.LBB8_218:                              ;   in Loop: Header=BB8_7 Depth=1
	s_andn2_saveexec_b64 s[50:51], s[50:51]
; %bb.219:                              ;   in Loop: Header=BB8_7 Depth=1
	v_subrev_u32_e32 v4, s66, v4
; %bb.220:                              ;   in Loop: Header=BB8_7 Depth=1
	s_or_b64 exec, exec, s[50:51]
	v_mov_b32_e32 v2, 8
	v_mov_b32_e32 v3, v4
.LBB8_221:                              ;   in Loop: Header=BB8_7 Depth=1
	s_or_b64 exec, exec, s[46:47]
	s_mov_b64 s[52:53], exec
	v_mov_b32_e32 v4, v3
.LBB8_222:                              ;   in Loop: Header=BB8_7 Depth=1
	s_or_b64 exec, exec, s[48:49]
	s_orn2_b64 s[46:47], s[52:53], exec
.LBB8_223:                              ;   in Loop: Header=BB8_7 Depth=1
	s_or_b64 exec, exec, s[40:41]
	s_andn2_b64 s[0:1], s[36:37], exec
	s_and_b64 s[16:17], s[44:45], exec
	s_or_b64 s[36:37], s[0:1], s[16:17]
	s_andn2_b64 s[0:1], s[34:35], exec
	s_and_b64 s[16:17], s[42:43], exec
	s_or_b64 s[34:35], s[0:1], s[16:17]
	s_and_b64 s[44:45], s[46:47], exec
	v_mov_b32_e32 v29, v4
.LBB8_224:                              ;   in Loop: Header=BB8_7 Depth=1
	s_or_b64 exec, exec, s[38:39]
	s_orn2_b64 s[38:39], s[44:45], exec
.LBB8_225:                              ;   in Loop: Header=BB8_7 Depth=1
	s_or_b64 exec, exec, s[30:31]
	s_andn2_b64 s[0:1], s[26:27], exec
	s_and_b64 s[16:17], s[36:37], exec
	s_or_b64 s[26:27], s[0:1], s[16:17]
	s_andn2_b64 s[0:1], s[24:25], exec
	s_and_b64 s[16:17], s[34:35], exec
	s_or_b64 s[24:25], s[0:1], s[16:17]
	s_and_b64 s[36:37], s[38:39], exec
	v_mov_b32_e32 v4, v29
.LBB8_226:                              ;   in Loop: Header=BB8_7 Depth=1
	s_or_b64 exec, exec, s[28:29]
	s_orn2_b64 s[28:29], s[36:37], exec
.LBB8_227:                              ;   in Loop: Header=BB8_7 Depth=1
	s_or_b64 exec, exec, s[22:23]
	s_mov_b64 s[30:31], 0
                                        ; implicit-def: $sgpr0
	s_and_saveexec_b64 s[16:17], s[28:29]
	s_xor_b64 s[22:23], exec, s[16:17]
	s_cbranch_execz .LBB8_5
; %bb.228:                              ;   in Loop: Header=BB8_7 Depth=1
	v_and_b32_e32 v1, 7, v2
	v_cmp_eq_u32_e32 vcc, 0, v1
	s_mov_b64 s[20:21], -1
	s_mov_b64 s[28:29], -1
                                        ; implicit-def: $sgpr0
	s_and_saveexec_b64 s[30:31], vcc
	s_cbranch_execz .LBB8_4
; %bb.229:                              ;   in Loop: Header=BB8_7 Depth=1
	v_add_u32_e32 v1, -2, v26
	v_cmp_eq_u32_e32 vcc, 0, v26
	s_xor_b32 s0, s78, 1
	s_xor_b64 s[28:29], exec, -1
	s_orn2_b64 s[20:21], vcc, exec
	v_mov_b32_e32 v26, v1
	s_branch .LBB8_4
.LBB8_230:
	s_or_b64 exec, exec, s[82:83]
	s_xor_b64 s[8:9], s[88:89], -1
	s_xor_b64 s[0:1], s[84:85], -1
	;; [unrolled: 1-line block ×3, first 2 shown]
	s_mov_b64 s[4:5], 0
	s_and_saveexec_b64 s[2:3], s[0:1]
	s_xor_b64 s[2:3], exec, s[2:3]
	s_cbranch_execnz .LBB8_235
; %bb.231:
	s_andn2_saveexec_b64 s[0:1], s[2:3]
	s_cbranch_execnz .LBB8_255
.LBB8_232:
	s_or_b64 exec, exec, s[0:1]
	s_and_saveexec_b64 s[0:1], s[4:5]
.LBB8_233:
	; divergent unreachable
.LBB8_234:
	s_endpgm
.LBB8_235:
	s_and_saveexec_b64 s[0:1], s[8:9]
	s_xor_b64 s[4:5], exec, s[0:1]
	s_cbranch_execz .LBB8_253
; %bb.236:
	s_and_saveexec_b64 s[0:1], s[6:7]
	s_xor_b64 s[6:7], exec, s[0:1]
; %bb.237:
	v_xor_b32_e32 v28, 0xffffff80, v20
; %bb.238:
	s_or_b64 exec, exec, s[6:7]
	s_mov_b64 s[6:7], exec
	v_readlane_b32 s0, v43, 4
	v_readlane_b32 s1, v43, 5
	s_and_b64 s[0:1], s[6:7], s[0:1]
	s_mov_b64 exec, s[0:1]
; %bb.239:
	v_mov_b32_e32 v1, 0
	v_mov_b32_e32 v2, s60
	ds_write_b32 v1, v2 offset:4108
; %bb.240:
	s_or_b64 exec, exec, s[6:7]
	v_mov_b32_e32 v1, 0
	s_waitcnt lgkmcnt(0)
	s_barrier
	ds_read_b32 v1, v1 offset:4108
	s_waitcnt lgkmcnt(0)
	v_min_i32_e32 v2, s60, v1
	v_cmp_lt_i32_e32 vcc, v0, v2
	s_and_saveexec_b64 s[6:7], vcc
	s_cbranch_execz .LBB8_250
; %bb.241:
	s_mov_b64 s[8:9], 0
	v_mov_b32_e32 v3, s69
                                        ; implicit-def: $sgpr10_sgpr11
                                        ; implicit-def: $sgpr14_sgpr15
                                        ; implicit-def: $sgpr12_sgpr13
	s_branch .LBB8_243
.LBB8_242:                              ;   in Loop: Header=BB8_243 Depth=1
	s_or_b64 exec, exec, s[16:17]
	s_and_b64 s[0:1], exec, s[14:15]
	s_or_b64 s[8:9], s[0:1], s[8:9]
	s_andn2_b64 s[0:1], s[10:11], exec
	s_and_b64 s[10:11], s[12:13], exec
	s_or_b64 s[10:11], s[0:1], s[10:11]
	s_andn2_b64 exec, exec, s[8:9]
	s_cbranch_execz .LBB8_245
.LBB8_243:                              ; =>This Inner Loop Header: Depth=1
	v_ashrrev_i32_e32 v1, 31, v9
	v_add_co_u32_e32 v4, vcc, s68, v9
	v_addc_co_u32_e32 v5, vcc, v3, v1, vcc
	global_load_ubyte v4, v[4:5], off
	v_mov_b32_e32 v1, v0
	s_or_b64 s[12:13], s[12:13], exec
	s_or_b64 s[14:15], s[14:15], exec
                                        ; implicit-def: $vgpr0
	s_waitcnt vmcnt(0)
	v_cmp_ne_u16_sdwa s[0:1], v4, v28 src0_sel:DWORD src1_sel:BYTE_0
	s_and_saveexec_b64 s[16:17], s[0:1]
	s_cbranch_execz .LBB8_242
; %bb.244:                              ;   in Loop: Header=BB8_243 Depth=1
	v_add_u32_e32 v0, s62, v1
	v_cmp_ge_i32_e32 vcc, v0, v2
	s_andn2_b64 s[0:1], s[14:15], exec
	s_and_b64 s[14:15], vcc, exec
	v_add_u32_e32 v9, s18, v9
	s_andn2_b64 s[12:13], s[12:13], exec
	s_or_b64 s[14:15], s[0:1], s[14:15]
	s_branch .LBB8_242
.LBB8_245:
	s_or_b64 exec, exec, s[8:9]
	s_and_saveexec_b64 s[0:1], s[10:11]
	s_xor_b64 s[0:1], exec, s[0:1]
	s_cbranch_execz .LBB8_250
; %bb.246:
	s_mov_b64 s[8:9], exec
	s_brev_b32 s0, -2
.LBB8_247:                              ; =>This Inner Loop Header: Depth=1
	s_ff1_i32_b64 s1, s[8:9]
	v_readlane_b32 s12, v1, s1
	s_lshl_b64 s[10:11], 1, s1
	s_min_i32 s0, s0, s12
	s_andn2_b64 s[8:9], s[8:9], s[10:11]
	s_cmp_lg_u64 s[8:9], 0
	s_cbranch_scc1 .LBB8_247
; %bb.248:
	v_mbcnt_lo_u32_b32 v0, exec_lo, 0
	v_mbcnt_hi_u32_b32 v0, exec_hi, v0
	v_cmp_eq_u32_e32 vcc, 0, v0
	s_and_saveexec_b64 s[8:9], vcc
	s_xor_b64 s[8:9], exec, s[8:9]
; %bb.249:
	v_mov_b32_e32 v0, 0
	v_mov_b32_e32 v1, s0
	ds_min_i32 v0, v1 offset:4108
.LBB8_250:
	s_or_b64 exec, exec, s[6:7]
	s_waitcnt lgkmcnt(0)
	s_barrier
	s_mov_b64 s[6:7], exec
	v_readlane_b32 s0, v43, 4
	v_readlane_b32 s1, v43, 5
	s_and_b64 s[0:1], s[6:7], s[0:1]
	s_mov_b64 exec, s[0:1]
	s_cbranch_execz .LBB8_252
; %bb.251:
	v_readlane_b32 s0, v43, 8
	v_readlane_b32 s1, v43, 7
	s_mul_i32 s1, s1, s0
	v_mov_b32_e32 v2, 0
	v_readlane_b32 s8, v43, 6
	s_ashr_i32 s9, s1, 31
	v_readlane_b32 s10, v43, 2
	ds_read_b32 v0, v2 offset:4108
	s_mul_i32 s0, s8, s0
	v_readlane_b32 s11, v43, 3
	s_add_u32 s8, s10, s1
	s_addc_u32 s9, s11, s9
	s_ashr_i32 s1, s0, 31
	s_lshl_b64 s[0:1], s[0:1], 3
	v_readlane_b32 s10, v43, 0
	v_readlane_b32 s11, v43, 1
	s_add_u32 s0, s10, s0
	s_addc_u32 s1, s11, s1
	s_waitcnt lgkmcnt(0)
	v_ashrrev_i32_e32 v1, 31, v0
	global_store_dwordx2 v2, v[0:1], s[0:1]
	global_store_byte v2, v28, s[8:9]
.LBB8_252:
	s_or_b64 exec, exec, s[6:7]
.LBB8_253:
	s_or_saveexec_b64 s[0:1], s[4:5]
	s_mov_b64 s[4:5], 0
	s_xor_b64 exec, exec, s[0:1]
	s_cbranch_execnz .LBB8_256
.LBB8_254:
	s_or_b64 exec, exec, s[0:1]
	s_and_b64 s[4:5], s[4:5], exec
	s_andn2_saveexec_b64 s[0:1], s[2:3]
	s_cbranch_execz .LBB8_232
.LBB8_255:
	s_or_b64 s[4:5], s[4:5], exec
	s_trap 2
	s_or_b64 exec, exec, s[0:1]
	s_and_saveexec_b64 s[0:1], s[4:5]
	s_cbranch_execnz .LBB8_233
	s_branch .LBB8_234
.LBB8_256:
	s_mov_b64 s[4:5], exec
	s_trap 2
	s_branch .LBB8_254
	.section	.rodata,"a",@progbits
	.p2align	6, 0x0
	.amdhsa_kernel _ZN2at6native12_GLOBAL__N_114gatherKthValueIaiLi1EEEvNS_4cuda6detail10TensorInfoIKT_T0_EES8_S8_S8_S8_NS5_IS6_S8_EENS5_IlS8_EE
		.amdhsa_group_segment_fixed_size 4112
		.amdhsa_private_segment_fixed_size 0
		.amdhsa_kernarg_size 920
		.amdhsa_user_sgpr_count 6
		.amdhsa_user_sgpr_private_segment_buffer 1
		.amdhsa_user_sgpr_dispatch_ptr 0
		.amdhsa_user_sgpr_queue_ptr 0
		.amdhsa_user_sgpr_kernarg_segment_ptr 1
		.amdhsa_user_sgpr_dispatch_id 0
		.amdhsa_user_sgpr_flat_scratch_init 0
		.amdhsa_user_sgpr_private_segment_size 0
		.amdhsa_uses_dynamic_stack 0
		.amdhsa_system_sgpr_private_segment_wavefront_offset 0
		.amdhsa_system_sgpr_workgroup_id_x 1
		.amdhsa_system_sgpr_workgroup_id_y 1
		.amdhsa_system_sgpr_workgroup_id_z 1
		.amdhsa_system_sgpr_workgroup_info 0
		.amdhsa_system_vgpr_workitem_id 0
		.amdhsa_next_free_vgpr 44
		.amdhsa_next_free_sgpr 96
		.amdhsa_reserve_vcc 1
		.amdhsa_reserve_flat_scratch 0
		.amdhsa_float_round_mode_32 0
		.amdhsa_float_round_mode_16_64 0
		.amdhsa_float_denorm_mode_32 3
		.amdhsa_float_denorm_mode_16_64 3
		.amdhsa_dx10_clamp 1
		.amdhsa_ieee_mode 1
		.amdhsa_fp16_overflow 0
		.amdhsa_exception_fp_ieee_invalid_op 0
		.amdhsa_exception_fp_denorm_src 0
		.amdhsa_exception_fp_ieee_div_zero 0
		.amdhsa_exception_fp_ieee_overflow 0
		.amdhsa_exception_fp_ieee_underflow 0
		.amdhsa_exception_fp_ieee_inexact 0
		.amdhsa_exception_int_div_zero 0
	.end_amdhsa_kernel
	.section	.text._ZN2at6native12_GLOBAL__N_114gatherKthValueIaiLi1EEEvNS_4cuda6detail10TensorInfoIKT_T0_EES8_S8_S8_S8_NS5_IS6_S8_EENS5_IlS8_EE,"axG",@progbits,_ZN2at6native12_GLOBAL__N_114gatherKthValueIaiLi1EEEvNS_4cuda6detail10TensorInfoIKT_T0_EES8_S8_S8_S8_NS5_IS6_S8_EENS5_IlS8_EE,comdat
.Lfunc_end8:
	.size	_ZN2at6native12_GLOBAL__N_114gatherKthValueIaiLi1EEEvNS_4cuda6detail10TensorInfoIKT_T0_EES8_S8_S8_S8_NS5_IS6_S8_EENS5_IlS8_EE, .Lfunc_end8-_ZN2at6native12_GLOBAL__N_114gatherKthValueIaiLi1EEEvNS_4cuda6detail10TensorInfoIKT_T0_EES8_S8_S8_S8_NS5_IS6_S8_EENS5_IlS8_EE
                                        ; -- End function
	.set _ZN2at6native12_GLOBAL__N_114gatherKthValueIaiLi1EEEvNS_4cuda6detail10TensorInfoIKT_T0_EES8_S8_S8_S8_NS5_IS6_S8_EENS5_IlS8_EE.num_vgpr, 44
	.set _ZN2at6native12_GLOBAL__N_114gatherKthValueIaiLi1EEEvNS_4cuda6detail10TensorInfoIKT_T0_EES8_S8_S8_S8_NS5_IS6_S8_EENS5_IlS8_EE.num_agpr, 0
	.set _ZN2at6native12_GLOBAL__N_114gatherKthValueIaiLi1EEEvNS_4cuda6detail10TensorInfoIKT_T0_EES8_S8_S8_S8_NS5_IS6_S8_EENS5_IlS8_EE.numbered_sgpr, 96
	.set _ZN2at6native12_GLOBAL__N_114gatherKthValueIaiLi1EEEvNS_4cuda6detail10TensorInfoIKT_T0_EES8_S8_S8_S8_NS5_IS6_S8_EENS5_IlS8_EE.num_named_barrier, 0
	.set _ZN2at6native12_GLOBAL__N_114gatherKthValueIaiLi1EEEvNS_4cuda6detail10TensorInfoIKT_T0_EES8_S8_S8_S8_NS5_IS6_S8_EENS5_IlS8_EE.private_seg_size, 0
	.set _ZN2at6native12_GLOBAL__N_114gatherKthValueIaiLi1EEEvNS_4cuda6detail10TensorInfoIKT_T0_EES8_S8_S8_S8_NS5_IS6_S8_EENS5_IlS8_EE.uses_vcc, 1
	.set _ZN2at6native12_GLOBAL__N_114gatherKthValueIaiLi1EEEvNS_4cuda6detail10TensorInfoIKT_T0_EES8_S8_S8_S8_NS5_IS6_S8_EENS5_IlS8_EE.uses_flat_scratch, 0
	.set _ZN2at6native12_GLOBAL__N_114gatherKthValueIaiLi1EEEvNS_4cuda6detail10TensorInfoIKT_T0_EES8_S8_S8_S8_NS5_IS6_S8_EENS5_IlS8_EE.has_dyn_sized_stack, 0
	.set _ZN2at6native12_GLOBAL__N_114gatherKthValueIaiLi1EEEvNS_4cuda6detail10TensorInfoIKT_T0_EES8_S8_S8_S8_NS5_IS6_S8_EENS5_IlS8_EE.has_recursion, 0
	.set _ZN2at6native12_GLOBAL__N_114gatherKthValueIaiLi1EEEvNS_4cuda6detail10TensorInfoIKT_T0_EES8_S8_S8_S8_NS5_IS6_S8_EENS5_IlS8_EE.has_indirect_call, 0
	.section	.AMDGPU.csdata,"",@progbits
; Kernel info:
; codeLenInByte = 8992
; TotalNumSgprs: 100
; NumVgprs: 44
; ScratchSize: 0
; MemoryBound: 0
; FloatMode: 240
; IeeeMode: 1
; LDSByteSize: 4112 bytes/workgroup (compile time only)
; SGPRBlocks: 12
; VGPRBlocks: 10
; NumSGPRsForWavesPerEU: 100
; NumVGPRsForWavesPerEU: 44
; Occupancy: 5
; WaveLimiterHint : 1
; COMPUTE_PGM_RSRC2:SCRATCH_EN: 0
; COMPUTE_PGM_RSRC2:USER_SGPR: 6
; COMPUTE_PGM_RSRC2:TRAP_HANDLER: 0
; COMPUTE_PGM_RSRC2:TGID_X_EN: 1
; COMPUTE_PGM_RSRC2:TGID_Y_EN: 1
; COMPUTE_PGM_RSRC2:TGID_Z_EN: 1
; COMPUTE_PGM_RSRC2:TIDIG_COMP_CNT: 0
	.section	.text._ZN2at6native12_GLOBAL__N_114gatherKthValueIaiLi2EEEvNS_4cuda6detail10TensorInfoIKT_T0_EES8_S8_S8_S8_NS5_IS6_S8_EENS5_IlS8_EE,"axG",@progbits,_ZN2at6native12_GLOBAL__N_114gatherKthValueIaiLi2EEEvNS_4cuda6detail10TensorInfoIKT_T0_EES8_S8_S8_S8_NS5_IS6_S8_EENS5_IlS8_EE,comdat
	.globl	_ZN2at6native12_GLOBAL__N_114gatherKthValueIaiLi2EEEvNS_4cuda6detail10TensorInfoIKT_T0_EES8_S8_S8_S8_NS5_IS6_S8_EENS5_IlS8_EE ; -- Begin function _ZN2at6native12_GLOBAL__N_114gatherKthValueIaiLi2EEEvNS_4cuda6detail10TensorInfoIKT_T0_EES8_S8_S8_S8_NS5_IS6_S8_EENS5_IlS8_EE
	.p2align	8
	.type	_ZN2at6native12_GLOBAL__N_114gatherKthValueIaiLi2EEEvNS_4cuda6detail10TensorInfoIKT_T0_EES8_S8_S8_S8_NS5_IS6_S8_EENS5_IlS8_EE,@function
_ZN2at6native12_GLOBAL__N_114gatherKthValueIaiLi2EEEvNS_4cuda6detail10TensorInfoIKT_T0_EES8_S8_S8_S8_NS5_IS6_S8_EENS5_IlS8_EE: ; @_ZN2at6native12_GLOBAL__N_114gatherKthValueIaiLi2EEEvNS_4cuda6detail10TensorInfoIKT_T0_EES8_S8_S8_S8_NS5_IS6_S8_EENS5_IlS8_EE
; %bb.0:
	s_load_dwordx2 s[12:13], s[4:5], 0x298
	s_load_dwordx4 s[60:63], s[4:5], 0xd8
	s_add_u32 s10, s4, 0x298
	s_addc_u32 s11, s5, 0
	s_waitcnt lgkmcnt(0)
	s_mul_i32 s0, s13, s8
	s_add_i32 s0, s0, s7
	s_mul_i32 s0, s0, s12
	s_add_i32 s16, s0, s6
	s_cmp_ge_i32 s16, s62
	s_cbranch_scc1 .LBB9_234
; %bb.1:
	s_load_dword s0, s[4:5], 0xc
	s_load_dwordx2 s[2:3], s[4:5], 0xe8
                                        ; implicit-def: $vgpr43 : SGPR spill to VGPR lane
                                        ; kill: killed $sgpr4 killed $sgpr5
	s_abs_i32 s19, s16
	s_ashr_i32 s18, s16, 31
	s_mov_b32 s82, 0
	s_waitcnt lgkmcnt(0)
	s_abs_i32 s1, s0
	v_writelane_b32 v43, s2, 0
	v_writelane_b32 v43, s3, 1
	s_load_dwordx2 s[8:9], s[4:5], 0x6c
	s_load_dwordx2 s[2:3], s[4:5], 0x0
	;; [unrolled: 1-line block ×3, first 2 shown]
	v_cvt_f32_u32_e32 v1, s1
	s_ashr_i32 s7, s0, 31
	s_load_dword s20, s[4:5], 0xf4
	s_waitcnt lgkmcnt(0)
	v_writelane_b32 v43, s14, 2
	v_writelane_b32 v43, s15, 3
	s_load_dword s17, s[4:5], 0x1cc
	s_load_dwordx2 s[14:15], s[4:5], 0x1c0
	v_rcp_iflag_f32_e32 v1, v1
	s_waitcnt lgkmcnt(0)
	v_writelane_b32 v43, s14, 4
	v_writelane_b32 v43, s15, 5
	s_load_dwordx2 s[14:15], s[4:5], 0x154
	v_mul_f32_e32 v1, 0x4f7ffffe, v1
	v_cvt_u32_f32_e32 v1, v1
	s_sub_i32 s4, 0, s1
	s_waitcnt lgkmcnt(0)
	v_writelane_b32 v43, s14, 6
	v_writelane_b32 v43, s15, 7
	s_abs_i32 s15, s20
	v_cvt_f32_u32_e32 v2, s15
	v_readfirstlane_b32 s5, v1
	s_abs_i32 s14, s17
	s_mul_i32 s4, s4, s5
	v_rcp_iflag_f32_e32 v1, v2
	v_cvt_f32_u32_e32 v2, s14
	s_mul_hi_u32 s4, s5, s4
	s_add_i32 s5, s5, s4
	v_mul_f32_e32 v1, 0x4f7ffffe, v1
	v_cvt_u32_f32_e32 v1, v1
	v_rcp_iflag_f32_e32 v2, v2
	s_mul_hi_u32 s13, s19, s5
	s_sub_i32 s4, 0, s15
	v_readfirstlane_b32 s5, v1
	v_mul_f32_e32 v1, 0x4f7ffffe, v2
	s_mul_i32 s4, s4, s5
	v_cvt_u32_f32_e32 v1, v1
	s_mul_hi_u32 s4, s5, s4
	s_add_i32 s5, s5, s4
	v_writelane_b32 v43, s15, 8
	s_mul_hi_u32 s4, s19, s5
	v_writelane_b32 v43, s4, 9
	s_sub_i32 s4, 0, s14
	v_readfirstlane_b32 s5, v1
	s_mul_i32 s4, s4, s5
	s_mul_hi_u32 s4, s5, s4
	s_add_i32 s5, s5, s4
	v_writelane_b32 v43, s14, 10
	s_mul_hi_u32 s4, s19, s5
	v_writelane_b32 v43, s4, 11
	v_cmp_eq_u32_e64 s[14:15], 0, v0
	s_mov_b64 s[4:5], exec
	v_writelane_b32 v43, s14, 12
	v_writelane_b32 v43, s15, 13
	s_and_b64 s[14:15], s[4:5], s[14:15]
	s_mov_b64 exec, s[14:15]
; %bb.2:
	v_mov_b32_e32 v1, 0
	v_mov_b32_e32 v2, s60
	;; [unrolled: 1-line block ×3, first 2 shown]
	ds_write_b96 v1, v[1:3] offset:4096
; %bb.3:
	s_or_b64 exec, exec, s[4:5]
	v_writelane_b32 v43, s20, 14
	s_ashr_i32 s4, s20, 31
	v_writelane_b32 v43, s4, 15
	s_mul_i32 s5, s13, s1
	v_writelane_b32 v43, s17, 16
	s_ashr_i32 s4, s17, 31
	s_sub_i32 s5, s19, s5
	v_writelane_b32 v43, s4, 17
	s_xor_b32 s4, s18, s7
	s_add_i32 s7, s13, 1
	s_sub_i32 s14, s5, s1
	s_cmp_ge_u32 s5, s1
	s_cselect_b32 s7, s7, s13
	s_cselect_b32 s5, s14, s5
	s_add_i32 s13, s7, 1
	s_cmp_ge_u32 s5, s1
	s_cselect_b32 s1, s13, s7
	s_xor_b32 s1, s1, s4
	s_sub_i32 s1, s1, s4
	s_mul_i32 s0, s1, s0
	s_sub_i32 s0, s16, s0
	s_waitcnt lgkmcnt(0)
	s_barrier
	s_load_dword s4, s[10:11], 0xc
	s_mul_i32 s0, s0, s9
	s_mul_i32 s1, s1, s8
	s_add_i32 s1, s1, s0
	v_mul_lo_u32 v9, s63, v0
	s_ashr_i32 s0, s1, 31
	v_mbcnt_lo_u32_b32 v1, -1, 0
	s_add_u32 s72, s2, s1
	v_mbcnt_hi_u32_b32 v11, -1, v1
	s_addc_u32 s73, s3, s0
	s_waitcnt lgkmcnt(0)
	s_and_b32 s62, s4, 0xffff
	s_bfe_u32 s0, s4, 0xa0006
	v_cmp_gt_u32_e32 vcc, 64, v0
	v_cmp_gt_i32_e64 s[4:5], 4, v11
	s_and_b64 s[74:75], vcc, s[4:5]
	v_mov_b32_e32 v1, s73
	v_add_co_u32_e32 v5, vcc, s72, v9
	v_addc_co_u32_e32 v6, vcc, 0, v1, vcc
	v_lshlrev_b64 v[1:2], v11, -1
	v_writelane_b32 v43, s18, 18
	s_add_i32 s1, s62, -1
	v_writelane_b32 v43, s19, 19
	s_lshl_b32 s33, s62, 2
	s_add_i32 s85, s1, s60
	v_not_b32_e32 v15, v1
	v_lshrrev_b32_e32 v1, 2, v0
	v_writelane_b32 v43, s16, 20
	s_cmpk_gt_i32 s60, 0xc00
	v_and_b32_e32 v1, 0xf0, v1
	v_writelane_b32 v43, s1, 21
	s_cselect_b64 s[76:77], -1, 0
	v_cmp_gt_u32_e64 s[8:9], s60, v0
	s_cmp_gt_u32 s62, 63
	v_or_b32_e32 v16, 0xc00, v1
	v_cvt_f32_u32_e32 v1, s33
	v_writelane_b32 v43, s8, 22
	s_cselect_b64 s[78:79], -1, 0
	s_cmp_lt_u32 s6, s12
	v_writelane_b32 v43, s9, 23
	v_cmp_gt_i32_e64 s[8:9], s60, v0
	s_cselect_b32 s1, 12, 18
	v_writelane_b32 v43, s8, 24
	s_add_u32 s6, s10, s1
	v_writelane_b32 v43, s9, 25
	s_addc_u32 s7, s11, 0
	v_rcp_iflag_f32_e32 v1, v1
	v_writelane_b32 v43, s6, 26
	s_add_i32 s1, s0, -1
	v_writelane_b32 v43, s7, 27
	s_bfe_u32 s6, s62, 0x30006
	s_and_b32 s1, s1, 0xffff
	s_cmp_gt_u32 s1, 6
	s_cselect_b64 s[8:9], -1, 0
	v_mul_f32_e32 v1, 0x4f7ffffe, v1
	v_writelane_b32 v43, s8, 28
	s_and_b32 s83, s0, 0x3f8
	v_cvt_u32_f32_e32 v1, v1
	v_writelane_b32 v43, s9, 29
	s_cmp_lg_u32 s6, 0
	v_writelane_b32 v43, s6, 30
	s_cselect_b64 s[0:1], -1, 0
	v_writelane_b32 v43, s0, 31
	v_writelane_b32 v43, s1, 32
	s_sub_i32 s0, 0, s33
	v_readfirstlane_b32 s1, v1
	s_mul_i32 s0, s0, s1
	s_mul_hi_u32 s0, s1, s0
	s_add_i32 s8, s1, s0
	s_mul_hi_u32 s0, s60, s8
	s_mul_i32 s0, s0, s33
	s_sub_i32 s0, s60, s0
	s_sub_i32 s1, s0, s33
	s_cmp_ge_u32 s0, s33
	s_cselect_b32 s0, s1, s0
	s_sub_i32 s1, s0, s33
	v_not_b32_e32 v14, v2
	s_cmp_ge_u32 s0, s33
	v_cvt_f32_u32_e32 v2, s62
	s_cselect_b32 s0, s1, s0
	s_sub_i32 s9, s60, s0
	v_add_u32_e32 v17, s9, v0
	v_mul_lo_u32 v1, v17, s63
	v_rcp_iflag_f32_e32 v2, v2
	s_sub_i32 s7, 0, s62
	s_abs_i32 s6, s85
	v_ashrrev_i32_e32 v4, 31, v1
	v_add_co_u32_e32 v7, vcc, s72, v1
	v_mul_f32_e32 v1, 0x4f7ffffe, v2
	v_cvt_u32_f32_e32 v1, v1
	s_ashr_i32 s1, s85, 31
	v_lshlrev_b32_e32 v10, 2, v0
	v_lshlrev_b32_e32 v3, 2, v11
	v_readfirstlane_b32 s16, v1
	s_mul_i32 s7, s7, s16
	s_mul_hi_u32 s7, s16, s7
	s_add_i32 s7, s16, s7
	v_writelane_b32 v43, s7, 33
	s_mul_hi_u32 s7, s6, s7
	s_mul_i32 s7, s7, s62
	s_sub_i32 s6, s6, s7
	s_sub_i32 s7, s6, s62
	s_cmp_ge_u32 s6, s62
	s_cselect_b32 s6, s7, s6
	s_sub_i32 s7, s6, s62
	v_mul_lo_u32 v1, s63, v10
	s_cmp_ge_u32 s6, s62
	s_cselect_b32 s6, s7, s6
	s_xor_b32 s6, s6, s1
	s_sub_i32 s1, s1, s6
	v_add_u32_e32 v18, s63, v1
	v_or_b32_e32 v1, 2, v10
	s_add_i32 s85, s85, s1
	v_mul_lo_u32 v19, s63, v1
	v_or_b32_e32 v1, 3, v10
	s_add_i32 s1, s62, s60
	v_mul_lo_u32 v21, s63, v1
	v_add_u32_e32 v1, s1, v0
	v_subrev_u32_e32 v1, s0, v1
	v_mul_lo_u32 v23, s63, v1
	v_mov_b32_e32 v8, s73
	v_cmp_gt_i32_e64 s[6:7], s85, v0
	s_mul_i32 s18, s63, s62
	v_cmp_eq_u32_e64 s[2:3], 0, v11
	v_cmp_gt_u32_e64 s[4:5], 2, v0
	v_mov_b32_e32 v12, 0
	v_and_b32_e32 v13, 0x100, v3
	v_cmp_gt_i32_e64 s[10:11], s9, v10
	v_cmp_gt_u32_e64 s[12:13], s60, v17
	v_addc_co_u32_e32 v8, vcc, v8, v4, vcc
	v_cmp_gt_i32_e64 s[14:15], s60, v17
	v_writelane_b32 v43, s6, 34
	s_lshl_b32 s80, s18, 2
	v_lshlrev_b32_e32 v22, 2, v9
	v_or_b32_e32 v24, 0xc00, v3
	s_mov_b64 s[86:87], 0
	v_mov_b32_e32 v26, 6
	v_mov_b32_e32 v29, s61
	s_movk_i32 s61, 0x80
	v_mov_b32_e32 v25, 8
	v_mov_b32_e32 v28, 0
	;; [unrolled: 1-line block ×4, first 2 shown]
	v_writelane_b32 v43, s7, 35
                                        ; implicit-def: $sgpr88_sgpr89
                                        ; implicit-def: $sgpr92_sgpr93
                                        ; implicit-def: $sgpr90_sgpr91
                                        ; implicit-def: $sgpr64_sgpr65
                                        ; implicit-def: $sgpr66_sgpr67
                                        ; implicit-def: $sgpr94_sgpr95
	s_branch .LBB9_7
.LBB9_4:                                ;   in Loop: Header=BB9_7 Depth=1
	s_or_b64 exec, exec, s[30:31]
	s_and_b64 s[30:31], s[28:29], exec
	s_andn2_b64 s[26:27], s[26:27], exec
	s_andn2_b64 s[24:25], s[24:25], exec
	s_orn2_b64 s[20:21], s[20:21], exec
.LBB9_5:                                ;   in Loop: Header=BB9_7 Depth=1
	s_or_b64 exec, exec, s[22:23]
	s_andn2_b64 s[16:17], s[94:95], exec
	s_and_b64 s[22:23], s[30:31], exec
	s_or_b64 s[94:95], s[16:17], s[22:23]
	s_andn2_b64 s[16:17], s[66:67], exec
	s_and_b64 s[22:23], s[26:27], exec
	s_or_b64 s[66:67], s[16:17], s[22:23]
	;; [unrolled: 3-line block ×3, first 2 shown]
	s_orn2_b64 s[20:21], s[20:21], exec
.LBB9_6:                                ;   in Loop: Header=BB9_7 Depth=1
	s_or_b64 exec, exec, s[6:7]
	s_and_b64 s[6:7], exec, s[20:21]
	s_or_b64 s[86:87], s[6:7], s[86:87]
	s_andn2_b64 s[6:7], s[90:91], exec
	s_and_b64 s[16:17], s[94:95], exec
	s_or_b64 s[90:91], s[6:7], s[16:17]
	s_andn2_b64 s[6:7], s[92:93], exec
	s_and_b64 s[16:17], s[66:67], exec
	;; [unrolled: 3-line block ×3, first 2 shown]
	s_or_b64 s[88:89], s[6:7], s[16:17]
	s_mov_b32 s82, s0
	v_mov_b32_e32 v29, v4
	s_andn2_b64 exec, exec, s[86:87]
	s_cbranch_execz .LBB9_230
.LBB9_7:                                ; =>This Loop Header: Depth=1
                                        ;     Child Loop BB9_12 Depth 2
                                        ;     Child Loop BB9_27 Depth 2
	;; [unrolled: 1-line block ×16, first 2 shown]
	ds_read_b64 v[1:2], v12 offset:4096
	s_waitcnt lgkmcnt(0)
	v_readfirstlane_b32 s81, v1
	s_cmp_gt_i32 s81, 0
	s_cbranch_scc1 .LBB9_34
; %bb.8:                                ;   in Loop: Header=BB9_7 Depth=1
	s_and_b64 vcc, exec, s[76:77]
	s_cbranch_vccz .LBB9_20
; %bb.9:                                ;   in Loop: Header=BB9_7 Depth=1
	s_movk_i32 s0, 0xc01
	v_cmp_gt_i32_e32 vcc, s0, v2
	s_mov_b64 s[20:21], 0
	s_mov_b64 s[6:7], 0
	s_cbranch_vccz .LBB9_21
; %bb.10:                               ;   in Loop: Header=BB9_7 Depth=1
	v_readlane_b32 s0, v43, 26
	v_readlane_b32 s1, v43, 27
	s_nop 4
	global_load_ushort v1, v12, s[0:1]
	global_load_ubyte v4, v[5:6], off
	s_mov_b64 s[22:23], 0
	v_mov_b32_e32 v30, v0
	s_waitcnt vmcnt(1)
	v_add_u32_e32 v2, v0, v1
	v_mul_lo_u32 v2, s63, v2
	v_mul_lo_u32 v3, s63, v1
	s_branch .LBB9_12
.LBB9_11:                               ;   in Loop: Header=BB9_12 Depth=2
	s_or_b64 exec, exec, s[6:7]
	v_cmp_le_i32_e32 vcc, s60, v30
	v_add_u32_e32 v2, v2, v3
	s_or_b64 s[22:23], vcc, s[22:23]
	v_mov_b32_e32 v4, v31
	s_andn2_b64 exec, exec, s[22:23]
	s_cbranch_execz .LBB9_66
.LBB9_12:                               ;   Parent Loop BB9_7 Depth=1
                                        ; =>  This Inner Loop Header: Depth=2
	v_add_u32_e32 v30, v30, v1
	v_cmp_gt_u32_e32 vcc, s60, v30
	s_waitcnt lgkmcnt(0)
	v_mov_b32_e32 v32, 0
	v_mov_b32_e32 v31, 0
	s_and_saveexec_b64 s[6:7], vcc
	s_cbranch_execz .LBB9_14
; %bb.13:                               ;   in Loop: Header=BB9_12 Depth=2
	global_load_ubyte v31, v2, s[72:73]
.LBB9_14:                               ;   in Loop: Header=BB9_12 Depth=2
	s_or_b64 exec, exec, s[6:7]
	s_waitcnt vmcnt(0)
	v_add_u32_sdwa v33, sext(v4), s61 dst_sel:DWORD dst_unused:UNUSED_PAD src0_sel:BYTE_0 src1_sel:DWORD
	v_and_b32_e32 v33, v33, v27
	v_cmp_eq_u32_e32 vcc, v33, v20
	s_cmp_lg_u64 vcc, 0
	s_cselect_b64 s[0:1], -1, 0
	s_and_b64 s[0:1], s[2:3], s[0:1]
	s_and_saveexec_b64 s[24:25], s[0:1]
	s_cbranch_execz .LBB9_18
; %bb.15:                               ;   in Loop: Header=BB9_12 Depth=2
	s_mov_b64 s[28:29], exec
	v_mbcnt_lo_u32_b32 v32, s28, 0
	v_mbcnt_hi_u32_b32 v32, s29, v32
	s_bcnt1_i32_b64 s0, vcc
	v_cmp_eq_u32_e64 s[6:7], 0, v32
                                        ; implicit-def: $vgpr33
	s_and_saveexec_b64 s[26:27], s[6:7]
; %bb.16:                               ;   in Loop: Header=BB9_12 Depth=2
	s_bcnt1_i32_b64 s1, s[28:29]
	s_mul_i32 s1, s0, s1
	v_mov_b32_e32 v33, s1
	ds_add_rtn_u32 v33, v12, v33 offset:4104
; %bb.17:                               ;   in Loop: Header=BB9_12 Depth=2
	s_or_b64 exec, exec, s[26:27]
	s_waitcnt lgkmcnt(0)
	v_readfirstlane_b32 s1, v33
	v_mov_b32_e32 v33, s1
	v_mad_u32_u24 v32, s0, v32, v33
.LBB9_18:                               ;   in Loop: Header=BB9_12 Depth=2
	s_or_b64 exec, exec, s[24:25]
	ds_bpermute_b32 v32, v13, v32
	s_and_saveexec_b64 s[6:7], vcc
	s_cbranch_execz .LBB9_11
; %bb.19:                               ;   in Loop: Header=BB9_12 Depth=2
	v_and_b32_e32 v34, vcc_lo, v15
	v_and_b32_e32 v33, vcc_hi, v14
	v_bcnt_u32_b32 v34, v34, 0
	v_bcnt_u32_b32 v33, v33, v34
	s_waitcnt lgkmcnt(0)
	v_add_u32_e32 v32, v32, v33
	ds_write_b8 v32, v4
	s_branch .LBB9_11
.LBB9_20:                               ;   in Loop: Header=BB9_7 Depth=1
	s_mov_b64 s[20:21], -1
	s_mov_b64 s[6:7], 0
.LBB9_21:                               ;   in Loop: Header=BB9_7 Depth=1
	s_and_b64 vcc, exec, s[20:21]
	s_cbranch_vccz .LBB9_32
.LBB9_22:                               ;   in Loop: Header=BB9_7 Depth=1
	v_mov_b32_e32 v1, 0
	s_mov_b64 s[6:7], exec
	v_readlane_b32 s0, v43, 22
	v_readlane_b32 s1, v43, 23
	s_and_b64 s[0:1], s[6:7], s[0:1]
	s_mov_b64 exec, s[0:1]
	s_cbranch_execz .LBB9_24
; %bb.23:                               ;   in Loop: Header=BB9_7 Depth=1
	global_load_ubyte v1, v[5:6], off
.LBB9_24:                               ;   in Loop: Header=BB9_7 Depth=1
	s_or_b64 exec, exec, s[6:7]
	s_mov_b64 s[6:7], exec
	v_readlane_b32 s0, v43, 24
	v_readlane_b32 s1, v43, 25
	s_and_b64 s[0:1], s[6:7], s[0:1]
	s_mov_b64 exec, s[0:1]
	s_cbranch_execz .LBB9_29
; %bb.25:                               ;   in Loop: Header=BB9_7 Depth=1
	v_readlane_b32 s0, v43, 26
	v_readlane_b32 s1, v43, 27
	s_mov_b64 s[20:21], 0
	v_mov_b32_e32 v30, v0
	s_nop 2
	global_load_ushort v2, v12, s[0:1]
	s_waitcnt vmcnt(0)
	v_add_u32_e32 v3, v0, v2
	v_mul_lo_u32 v3, s63, v3
	v_mul_lo_u32 v4, s63, v2
	s_branch .LBB9_27
.LBB9_26:                               ;   in Loop: Header=BB9_27 Depth=2
	s_or_b64 exec, exec, s[22:23]
	v_cmp_le_i32_e32 vcc, s60, v31
	ds_write_b8 v30, v1
	v_add_u32_e32 v3, v3, v4
	s_or_b64 s[20:21], vcc, s[20:21]
	s_waitcnt vmcnt(0)
	v_mov_b32_e32 v1, v32
	v_mov_b32_e32 v30, v31
	s_andn2_b64 exec, exec, s[20:21]
	s_cbranch_execz .LBB9_29
.LBB9_27:                               ;   Parent Loop BB9_7 Depth=1
                                        ; =>  This Inner Loop Header: Depth=2
	v_add_u32_e32 v31, v30, v2
	v_cmp_gt_u32_e32 vcc, s60, v31
	v_mov_b32_e32 v32, 0
	s_and_saveexec_b64 s[22:23], vcc
	s_cbranch_execz .LBB9_26
; %bb.28:                               ;   in Loop: Header=BB9_27 Depth=2
	global_load_ubyte v32, v3, s[72:73]
	s_branch .LBB9_26
.LBB9_29:                               ;   in Loop: Header=BB9_7 Depth=1
	s_or_b64 exec, exec, s[6:7]
	s_waitcnt vmcnt(0) lgkmcnt(0)
	s_barrier
	s_mov_b64 s[6:7], exec
	v_readlane_b32 s0, v43, 12
	v_readlane_b32 s1, v43, 13
	s_and_b64 s[0:1], s[6:7], s[0:1]
	s_mov_b64 exec, s[0:1]
; %bb.30:                               ;   in Loop: Header=BB9_7 Depth=1
	v_mov_b32_e32 v1, s60
	ds_write_b32 v12, v1 offset:4096
; %bb.31:                               ;   in Loop: Header=BB9_7 Depth=1
	s_or_b64 exec, exec, s[6:7]
	s_mov_b64 s[6:7], -1
	s_waitcnt lgkmcnt(0)
	s_barrier
.LBB9_32:                               ;   in Loop: Header=BB9_7 Depth=1
	s_and_b64 vcc, exec, s[6:7]
	s_cbranch_vccz .LBB9_34
; %bb.33:                               ;   in Loop: Header=BB9_7 Depth=1
	ds_read_b32 v1, v12 offset:4096
	s_waitcnt lgkmcnt(0)
	v_readfirstlane_b32 s81, v1
.LBB9_34:                               ;   in Loop: Header=BB9_7 Depth=1
	s_cmp_lt_i32 s81, 1
	s_mov_b64 s[6:7], -1
                                        ; implicit-def: $vgpr4
	s_cbranch_scc1 .LBB9_44
; %bb.35:                               ;   in Loop: Header=BB9_7 Depth=1
	s_and_b64 vcc, exec, s[6:7]
	s_cbranch_vccnz .LBB9_57
.LBB9_36:                               ;   in Loop: Header=BB9_7 Depth=1
	s_lshl_b32 s0, s82, 6
	s_and_saveexec_b64 s[6:7], s[2:3]
.LBB9_37:                               ;   in Loop: Header=BB9_7 Depth=1
	v_lshl_add_u32 v30, s0, 2, v16
	ds_write_b128 v30, v[1:4]
.LBB9_38:                               ;   in Loop: Header=BB9_7 Depth=1
	s_or_b64 exec, exec, s[6:7]
	s_waitcnt vmcnt(0) lgkmcnt(0)
	s_barrier
	s_and_saveexec_b64 s[6:7], s[74:75]
	s_cbranch_execz .LBB9_74
; %bb.39:                               ;   in Loop: Header=BB9_7 Depth=1
	s_andn2_b64 vcc, exec, s[78:79]
	v_mov_b32_e32 v1, 0
	s_cbranch_vccnz .LBB9_73
; %bb.40:                               ;   in Loop: Header=BB9_7 Depth=1
	v_readlane_b32 s16, v43, 28
	v_readlane_b32 s17, v43, 29
	s_andn2_b64 vcc, exec, s[16:17]
	s_cbranch_vccnz .LBB9_69
; %bb.41:                               ;   in Loop: Header=BB9_7 Depth=1
	v_lshl_add_u32 v2, s82, 8, v24
	s_mov_b32 s1, 0
	v_mov_b32_e32 v1, 0
.LBB9_42:                               ;   Parent Loop BB9_7 Depth=1
                                        ; =>  This Inner Loop Header: Depth=2
	ds_read2_b32 v[3:4], v2 offset1:4
	ds_read2_b32 v[30:31], v2 offset0:8 offset1:12
	ds_read2_b32 v[32:33], v2 offset0:16 offset1:20
	;; [unrolled: 1-line block ×3, first 2 shown]
	s_add_i32 s1, s1, 8
	s_waitcnt lgkmcnt(3)
	v_add3_u32 v1, v3, v1, v4
	s_waitcnt lgkmcnt(2)
	v_add3_u32 v1, v30, v1, v31
	;; [unrolled: 2-line block ×3, first 2 shown]
	v_add_u32_e32 v2, 0x80, v2
	s_cmp_eq_u32 s83, s1
	s_waitcnt lgkmcnt(0)
	v_add3_u32 v1, v34, v1, v35
	s_cbranch_scc0 .LBB9_42
; %bb.43:                               ;   in Loop: Header=BB9_7 Depth=1
	s_mov_b32 s1, s83
	s_branch .LBB9_70
.LBB9_44:                               ;   in Loop: Header=BB9_7 Depth=1
	v_mov_b32_e32 v1, 0
	v_mov_b32_e32 v2, 0
	;; [unrolled: 1-line block ×4, first 2 shown]
	s_and_saveexec_b64 s[68:69], s[10:11]
	s_cbranch_execnz .LBB9_47
; %bb.45:                               ;   in Loop: Header=BB9_7 Depth=1
	s_or_b64 exec, exec, s[68:69]
	v_mov_b32_e32 v32, 0
	s_and_saveexec_b64 s[6:7], s[12:13]
	s_cbranch_execnz .LBB9_50
.LBB9_46:                               ;   in Loop: Header=BB9_7 Depth=1
	s_or_b64 exec, exec, s[6:7]
	s_and_saveexec_b64 s[20:21], s[14:15]
	s_cbranch_execnz .LBB9_51
	s_branch .LBB9_56
.LBB9_47:                               ;   in Loop: Header=BB9_7 Depth=1
	s_mov_b32 s16, 0
	s_mov_b64 s[70:71], 0
	s_mov_b32 s17, 0
	s_mov_b32 s19, 0
	;; [unrolled: 1-line block ×4, first 2 shown]
	v_mov_b32_e32 v30, v10
.LBB9_48:                               ;   Parent Loop BB9_7 Depth=1
                                        ; =>  This Inner Loop Header: Depth=2
	v_add_u32_e32 v2, s16, v22
	v_add_u32_e32 v3, s16, v18
	v_mov_b32_e32 v1, s73
	v_add_u32_e32 v4, s16, v19
	v_add_u32_e32 v31, s16, v21
	v_ashrrev_i32_e32 v33, 31, v2
	v_ashrrev_i32_e32 v35, 31, v3
	v_add_co_u32_e64 v3, s[6:7], s72, v3
	v_add_co_u32_e64 v36, s[24:25], s72, v2
	v_ashrrev_i32_e32 v38, 31, v4
	v_add_co_u32_e64 v32, s[20:21], s72, v4
	v_ashrrev_i32_e32 v39, 31, v31
	v_add_co_u32_e64 v34, s[22:23], s72, v31
	v_addc_co_u32_e64 v37, s[24:25], v1, v33, s[24:25]
	v_addc_co_u32_e64 v4, s[6:7], v1, v35, s[6:7]
	;; [unrolled: 1-line block ×4, first 2 shown]
	global_load_sbyte v1, v[36:37], off
	global_load_sbyte v2, v[3:4], off
	s_nop 0
	global_load_sbyte v3, v[32:33], off
	global_load_sbyte v4, v[34:35], off
	v_add_u32_e32 v30, s33, v30
	s_add_i32 s16, s16, s80
	v_cmp_le_i32_e32 vcc, s9, v30
	s_waitcnt vmcnt(3)
	v_add_u32_e32 v1, 0x80, v1
	s_waitcnt vmcnt(2)
	v_add_u32_e32 v2, 0x80, v2
	v_and_b32_e32 v31, v1, v27
	v_bfe_u32 v1, v1, v26, 2
	s_waitcnt vmcnt(1)
	v_add_u32_e32 v3, 0x80, v3
	v_and_b32_e32 v32, v2, v27
	v_bfe_u32 v2, v2, v26, 2
	v_cmp_eq_u32_e64 s[6:7], v31, v20
	v_cmp_eq_u32_e64 s[26:27], 0, v1
	s_waitcnt vmcnt(0)
	v_add_u32_e32 v4, 0x80, v4
	v_and_b32_e32 v33, v3, v27
	v_bfe_u32 v3, v3, v26, 2
	v_cmp_eq_u32_e64 s[20:21], v32, v20
	v_cmp_eq_u32_e64 s[28:29], 0, v2
	s_and_b64 s[26:27], s[6:7], s[26:27]
	v_and_b32_e32 v34, v4, v27
	v_bfe_u32 v4, v4, v26, 2
	v_cmp_eq_u32_e64 s[22:23], v33, v20
	v_cmp_eq_u32_e64 s[30:31], 0, v3
	;; [unrolled: 1-line block ×5, first 2 shown]
	v_cndmask_b32_e64 v1, 0, 1, s[26:27]
	s_and_b64 s[26:27], s[20:21], s[28:29]
	v_cmp_eq_u32_e64 s[24:25], v34, v20
	v_cmp_eq_u32_e64 s[34:35], 0, v4
	;; [unrolled: 1-line block ×5, first 2 shown]
	v_cndmask_b32_e64 v2, 0, 1, s[26:27]
	s_and_b64 s[26:27], s[22:23], s[30:31]
	v_cmp_eq_u32_e64 s[40:41], 1, v3
	v_cmp_eq_u32_e64 s[48:49], 2, v3
	v_cmp_eq_u32_e64 s[56:57], 3, v3
	v_cndmask_b32_e64 v3, 0, 1, s[26:27]
	s_and_b64 s[26:27], s[24:25], s[34:35]
	v_cmp_eq_u32_e64 s[42:43], 1, v4
	v_cmp_eq_u32_e64 s[50:51], 2, v4
	;; [unrolled: 1-line block ×3, first 2 shown]
	v_cndmask_b32_e64 v4, 0, 1, s[26:27]
	s_and_b64 s[26:27], s[6:7], s[36:37]
	v_cndmask_b32_e64 v31, 0, 1, s[26:27]
	s_and_b64 s[26:27], s[20:21], s[38:39]
	;; [unrolled: 2-line block ×5, first 2 shown]
	s_and_b64 s[6:7], s[6:7], s[52:53]
	v_cndmask_b32_e64 v35, 0, 1, s[26:27]
	s_and_b64 s[26:27], s[20:21], s[46:47]
	v_cndmask_b32_e64 v39, 0, 1, s[6:7]
	;; [unrolled: 2-line block ×7, first 2 shown]
	v_cndmask_b32_e64 v42, 0, 1, s[6:7]
	v_cmp_ne_u32_e64 s[6:7], 0, v1
	v_cmp_ne_u32_e64 s[20:21], 0, v2
	;; [unrolled: 1-line block ×11, first 2 shown]
	s_bcnt1_i32_b64 s1, s[6:7]
	s_bcnt1_i32_b64 s6, s[20:21]
	;; [unrolled: 1-line block ×8, first 2 shown]
	v_cmp_ne_u32_e64 s[40:41], 0, v37
	v_cmp_ne_u32_e64 s[48:49], 0, v41
	s_bcnt1_i32_b64 s23, s[30:31]
	s_bcnt1_i32_b64 s26, s[38:39]
	;; [unrolled: 1-line block ×3, first 2 shown]
	s_add_i32 s0, s0, s1
	s_add_i32 s1, s84, s21
	;; [unrolled: 1-line block ×4, first 2 shown]
	v_cmp_ne_u32_e64 s[34:35], 0, v34
	v_cmp_ne_u32_e64 s[42:43], 0, v38
	;; [unrolled: 1-line block ×3, first 2 shown]
	s_bcnt1_i32_b64 s27, s[40:41]
	s_bcnt1_i32_b64 s31, s[48:49]
	s_add_i32 s0, s0, s6
	s_add_i32 s1, s1, s22
	;; [unrolled: 1-line block ×4, first 2 shown]
	s_bcnt1_i32_b64 s24, s[34:35]
	s_bcnt1_i32_b64 s28, s[42:43]
	;; [unrolled: 1-line block ×3, first 2 shown]
	s_add_i32 s0, s0, s7
	s_add_i32 s1, s1, s23
	;; [unrolled: 1-line block ×8, first 2 shown]
	s_or_b64 s[70:71], vcc, s[70:71]
	v_mov_b32_e32 v1, s0
	v_mov_b32_e32 v2, s84
	;; [unrolled: 1-line block ×4, first 2 shown]
	s_andn2_b64 exec, exec, s[70:71]
	s_cbranch_execnz .LBB9_48
; %bb.49:                               ;   in Loop: Header=BB9_7 Depth=1
	s_or_b64 exec, exec, s[70:71]
	s_or_b64 exec, exec, s[68:69]
	v_mov_b32_e32 v32, 0
	s_and_saveexec_b64 s[6:7], s[12:13]
	s_cbranch_execz .LBB9_46
.LBB9_50:                               ;   in Loop: Header=BB9_7 Depth=1
	global_load_ubyte v32, v[7:8], off
	s_or_b64 exec, exec, s[6:7]
	s_and_saveexec_b64 s[20:21], s[14:15]
	s_cbranch_execz .LBB9_56
.LBB9_51:                               ;   in Loop: Header=BB9_7 Depth=1
	s_mov_b64 s[22:23], 0
	v_mov_b32_e32 v30, v23
	v_mov_b32_e32 v31, v17
	s_branch .LBB9_53
.LBB9_52:                               ;   in Loop: Header=BB9_53 Depth=2
	s_or_b64 exec, exec, s[6:7]
	s_waitcnt vmcnt(0)
	v_add_u32_sdwa v32, sext(v32), s61 dst_sel:DWORD dst_unused:UNUSED_PAD src0_sel:BYTE_0 src1_sel:DWORD
	v_and_b32_e32 v34, v32, v27
	v_bfe_u32 v32, v32, v26, 2
	v_cmp_eq_u32_e32 vcc, v34, v20
	v_cmp_eq_u32_e64 s[6:7], 0, v32
	s_and_b64 s[0:1], vcc, s[6:7]
	v_cndmask_b32_e64 v34, 0, 1, s[0:1]
	v_cmp_ne_u32_e64 s[6:7], 0, v34
	s_bcnt1_i32_b64 s0, s[6:7]
	v_cmp_eq_u32_e64 s[6:7], 1, v32
	v_add_u32_e32 v1, s0, v1
	s_and_b64 s[0:1], vcc, s[6:7]
	v_cndmask_b32_e64 v34, 0, 1, s[0:1]
	v_cmp_ne_u32_e64 s[6:7], 0, v34
	s_bcnt1_i32_b64 s0, s[6:7]
	v_cmp_eq_u32_e64 s[6:7], 2, v32
	v_add_u32_e32 v2, s0, v2
	s_and_b64 s[0:1], vcc, s[6:7]
	v_cndmask_b32_e64 v34, 0, 1, s[0:1]
	v_cmp_ne_u32_e64 s[6:7], 0, v34
	s_bcnt1_i32_b64 s0, s[6:7]
	v_cmp_eq_u32_e64 s[6:7], 3, v32
	v_add_u32_e32 v3, s0, v3
	s_and_b64 s[0:1], vcc, s[6:7]
	v_cndmask_b32_e64 v32, 0, 1, s[0:1]
	v_cmp_ne_u32_e32 vcc, 0, v32
	s_bcnt1_i32_b64 s0, vcc
	v_cmp_le_i32_e32 vcc, s60, v31
	v_add_u32_e32 v4, s0, v4
	v_add_u32_e32 v30, s18, v30
	s_or_b64 s[22:23], vcc, s[22:23]
	v_mov_b32_e32 v32, v33
	s_andn2_b64 exec, exec, s[22:23]
	s_cbranch_execz .LBB9_55
.LBB9_53:                               ;   Parent Loop BB9_7 Depth=1
                                        ; =>  This Inner Loop Header: Depth=2
	v_add_u32_e32 v31, s62, v31
	v_cmp_gt_u32_e32 vcc, s60, v31
	v_mov_b32_e32 v33, 0
	s_and_saveexec_b64 s[6:7], vcc
	s_cbranch_execz .LBB9_52
; %bb.54:                               ;   in Loop: Header=BB9_53 Depth=2
	v_ashrrev_i32_e32 v34, 31, v30
	v_mov_b32_e32 v35, s73
	v_add_co_u32_e32 v33, vcc, s72, v30
	v_addc_co_u32_e32 v34, vcc, v35, v34, vcc
	global_load_ubyte v33, v[33:34], off
	s_branch .LBB9_52
.LBB9_55:                               ;   in Loop: Header=BB9_7 Depth=1
	s_or_b64 exec, exec, s[22:23]
.LBB9_56:                               ;   in Loop: Header=BB9_7 Depth=1
	s_or_b64 exec, exec, s[20:21]
	s_branch .LBB9_36
.LBB9_57:                               ;   in Loop: Header=BB9_7 Depth=1
	s_mul_hi_u32 s0, s81, s8
	s_mul_i32 s0, s0, s33
	s_sub_i32 s0, s81, s0
	s_sub_i32 s1, s0, s33
	s_cmp_ge_u32 s0, s33
	s_cselect_b32 s0, s1, s0
	s_sub_i32 s1, s0, s33
	s_cmp_ge_u32 s0, s33
	s_cselect_b32 s0, s1, s0
	s_sub_i32 s0, s81, s0
	v_cmp_gt_u32_e32 vcc, s0, v10
	v_mov_b32_e32 v1, 0
	v_mov_b32_e32 v2, 0
	;; [unrolled: 1-line block ×4, first 2 shown]
	s_and_saveexec_b64 s[68:69], vcc
	s_cbranch_execz .LBB9_61
; %bb.58:                               ;   in Loop: Header=BB9_7 Depth=1
	s_mov_b32 s1, 0
	s_mov_b64 s[70:71], 0
	s_mov_b32 s16, 0
	s_mov_b32 s17, 0
	;; [unrolled: 1-line block ×3, first 2 shown]
	v_mov_b32_e32 v30, v10
.LBB9_59:                               ;   Parent Loop BB9_7 Depth=1
                                        ; =>  This Inner Loop Header: Depth=2
	ds_read_b32 v1, v30
	v_add_u32_e32 v30, s33, v30
	v_cmp_le_i32_e32 vcc, s0, v30
	s_waitcnt lgkmcnt(0)
	v_add_u32_sdwa v2, sext(v1), s61 dst_sel:DWORD dst_unused:UNUSED_PAD src0_sel:BYTE_0 src1_sel:DWORD
	v_add_u32_sdwa v3, sext(v1), s61 dst_sel:DWORD dst_unused:UNUSED_PAD src0_sel:BYTE_1 src1_sel:DWORD
	v_and_b32_e32 v31, v2, v27
	v_bfe_u32 v2, v2, v26, 2
	v_add_u32_sdwa v4, sext(v1), s61 dst_sel:DWORD dst_unused:UNUSED_PAD src0_sel:BYTE_2 src1_sel:DWORD
	v_add_u32_sdwa v1, sext(v1), s61 dst_sel:DWORD dst_unused:UNUSED_PAD src0_sel:BYTE_3 src1_sel:DWORD
	s_waitcnt vmcnt(0)
	v_and_b32_e32 v32, v3, v27
	v_bfe_u32 v3, v3, v26, 2
	v_cmp_eq_u32_e64 s[6:7], v31, v20
	v_cmp_eq_u32_e64 s[26:27], 0, v2
	v_and_b32_e32 v33, v4, v27
	v_and_b32_e32 v34, v1, v27
	v_bfe_u32 v4, v4, v26, 2
	v_bfe_u32 v1, v1, v26, 2
	v_cmp_eq_u32_e64 s[20:21], v32, v20
	v_cmp_eq_u32_e64 s[28:29], 0, v3
	s_and_b64 s[26:27], s[6:7], s[26:27]
	v_cmp_eq_u32_e64 s[22:23], v33, v20
	v_cmp_eq_u32_e64 s[30:31], 0, v4
	;; [unrolled: 1-line block ×6, first 2 shown]
	v_cndmask_b32_e64 v1, 0, 1, s[26:27]
	s_and_b64 s[26:27], s[20:21], s[28:29]
	v_cmp_eq_u32_e64 s[24:25], v34, v20
	v_cmp_eq_u32_e64 s[36:37], 1, v2
	;; [unrolled: 1-line block ×4, first 2 shown]
	v_cndmask_b32_e64 v2, 0, 1, s[26:27]
	s_and_b64 s[26:27], s[22:23], s[30:31]
	v_cmp_eq_u32_e64 s[38:39], 1, v3
	v_cmp_eq_u32_e64 s[46:47], 2, v3
	;; [unrolled: 1-line block ×3, first 2 shown]
	v_cndmask_b32_e64 v3, 0, 1, s[26:27]
	s_and_b64 s[26:27], s[24:25], s[34:35]
	v_cmp_eq_u32_e64 s[40:41], 1, v4
	v_cmp_eq_u32_e64 s[48:49], 2, v4
	;; [unrolled: 1-line block ×3, first 2 shown]
	v_cndmask_b32_e64 v4, 0, 1, s[26:27]
	s_and_b64 s[26:27], s[6:7], s[36:37]
	v_cndmask_b32_e64 v31, 0, 1, s[26:27]
	s_and_b64 s[26:27], s[20:21], s[38:39]
	;; [unrolled: 2-line block ×5, first 2 shown]
	s_and_b64 s[6:7], s[6:7], s[52:53]
	v_cndmask_b32_e64 v35, 0, 1, s[26:27]
	s_and_b64 s[26:27], s[20:21], s[46:47]
	v_cndmask_b32_e64 v39, 0, 1, s[6:7]
	;; [unrolled: 2-line block ×7, first 2 shown]
	v_cndmask_b32_e64 v42, 0, 1, s[6:7]
	v_cmp_ne_u32_e64 s[6:7], 0, v1
	v_cmp_ne_u32_e64 s[20:21], 0, v2
	;; [unrolled: 1-line block ×11, first 2 shown]
	s_bcnt1_i32_b64 s6, s[6:7]
	s_bcnt1_i32_b64 s7, s[20:21]
	;; [unrolled: 1-line block ×8, first 2 shown]
	v_cmp_ne_u32_e64 s[34:35], 0, v34
	v_cmp_ne_u32_e64 s[40:41], 0, v37
	;; [unrolled: 1-line block ×3, first 2 shown]
	s_bcnt1_i32_b64 s23, s[28:29]
	s_bcnt1_i32_b64 s27, s[38:39]
	;; [unrolled: 1-line block ×3, first 2 shown]
	s_add_i32 s6, s19, s6
	s_add_i32 s17, s17, s22
	s_add_i32 s16, s16, s26
	s_add_i32 s1, s1, s30
	v_cmp_ne_u32_e64 s[42:43], 0, v38
	v_cmp_ne_u32_e64 s[50:51], 0, v42
	s_bcnt1_i32_b64 s25, s[34:35]
	s_bcnt1_i32_b64 s28, s[40:41]
	s_bcnt1_i32_b64 s34, s[48:49]
	s_add_i32 s6, s6, s7
	s_add_i32 s7, s17, s23
	s_add_i32 s16, s16, s27
	s_add_i32 s1, s1, s31
	s_bcnt1_i32_b64 s29, s[42:43]
	s_bcnt1_i32_b64 s35, s[50:51]
	s_add_i32 s6, s6, s20
	s_add_i32 s7, s7, s24
	;; [unrolled: 1-line block ×8, first 2 shown]
	s_or_b64 s[70:71], vcc, s[70:71]
	v_mov_b32_e32 v1, s19
	v_mov_b32_e32 v2, s17
	;; [unrolled: 1-line block ×4, first 2 shown]
	s_andn2_b64 exec, exec, s[70:71]
	s_cbranch_execnz .LBB9_59
; %bb.60:                               ;   in Loop: Header=BB9_7 Depth=1
	s_or_b64 exec, exec, s[70:71]
.LBB9_61:                               ;   in Loop: Header=BB9_7 Depth=1
	s_or_b64 exec, exec, s[68:69]
	v_add_u32_e32 v30, s0, v0
	v_cmp_gt_i32_e32 vcc, s81, v30
	s_and_saveexec_b64 s[28:29], vcc
	s_cbranch_execz .LBB9_65
; %bb.62:                               ;   in Loop: Header=BB9_7 Depth=1
	s_mov_b64 s[30:31], 0
.LBB9_63:                               ;   Parent Loop BB9_7 Depth=1
                                        ; =>  This Inner Loop Header: Depth=2
	ds_read_i8 v31, v30
	v_add_u32_e32 v30, s62, v30
	v_cmp_le_i32_e32 vcc, s81, v30
	s_waitcnt lgkmcnt(0)
	v_add_u32_e32 v31, 0x80, v31
	s_waitcnt vmcnt(0)
	v_and_b32_e32 v32, v31, v27
	v_bfe_u32 v31, v31, v26, 2
	v_cmp_eq_u32_e64 s[6:7], v32, v20
	v_cmp_eq_u32_e64 s[20:21], 0, v31
	;; [unrolled: 1-line block ×3, first 2 shown]
	s_and_b64 s[0:1], s[6:7], s[20:21]
	v_cmp_eq_u32_e64 s[24:25], 2, v31
	v_cmp_eq_u32_e64 s[26:27], 3, v31
	v_cndmask_b32_e64 v31, 0, 1, s[0:1]
	s_and_b64 s[0:1], s[6:7], s[22:23]
	v_cndmask_b32_e64 v32, 0, 1, s[0:1]
	s_and_b64 s[0:1], s[6:7], s[24:25]
	;; [unrolled: 2-line block ×3, first 2 shown]
	v_cndmask_b32_e64 v34, 0, 1, s[0:1]
	v_cmp_ne_u32_e64 s[6:7], 0, v31
	v_cmp_ne_u32_e64 s[20:21], 0, v32
	;; [unrolled: 1-line block ×4, first 2 shown]
	s_bcnt1_i32_b64 s0, s[6:7]
	s_bcnt1_i32_b64 s1, s[20:21]
	;; [unrolled: 1-line block ×4, first 2 shown]
	v_add_u32_e32 v1, s0, v1
	v_add_u32_e32 v2, s1, v2
	;; [unrolled: 1-line block ×3, first 2 shown]
	s_or_b64 s[30:31], vcc, s[30:31]
	v_add_u32_e32 v4, s7, v4
	s_andn2_b64 exec, exec, s[30:31]
	s_cbranch_execnz .LBB9_63
; %bb.64:                               ;   in Loop: Header=BB9_7 Depth=1
	s_or_b64 exec, exec, s[30:31]
.LBB9_65:                               ;   in Loop: Header=BB9_7 Depth=1
	s_or_b64 exec, exec, s[28:29]
	s_lshl_b32 s0, s82, 6
	s_and_saveexec_b64 s[6:7], s[2:3]
	s_cbranch_execnz .LBB9_37
	s_branch .LBB9_38
.LBB9_66:                               ;   in Loop: Header=BB9_7 Depth=1
	s_or_b64 exec, exec, s[22:23]
	s_waitcnt lgkmcnt(0)
	s_barrier
	s_mov_b64 s[6:7], exec
	v_readlane_b32 s0, v43, 12
	v_readlane_b32 s1, v43, 13
	s_and_b64 s[0:1], s[6:7], s[0:1]
	s_mov_b64 exec, s[0:1]
	s_cbranch_execz .LBB9_68
; %bb.67:                               ;   in Loop: Header=BB9_7 Depth=1
	ds_read_b32 v1, v12 offset:4104
	s_waitcnt lgkmcnt(0)
	ds_write_b32 v12, v1 offset:4096
.LBB9_68:                               ;   in Loop: Header=BB9_7 Depth=1
	s_or_b64 exec, exec, s[6:7]
	s_waitcnt lgkmcnt(0)
	s_barrier
	s_mov_b64 s[6:7], -1
	s_and_b64 vcc, exec, s[20:21]
	s_cbranch_vccnz .LBB9_22
	s_branch .LBB9_32
.LBB9_69:                               ;   in Loop: Header=BB9_7 Depth=1
	v_mov_b32_e32 v1, 0
	s_mov_b32 s1, 0
.LBB9_70:                               ;   in Loop: Header=BB9_7 Depth=1
	v_readlane_b32 s16, v43, 31
	v_readlane_b32 s17, v43, 32
	s_andn2_b64 vcc, exec, s[16:17]
	s_cbranch_vccnz .LBB9_73
; %bb.71:                               ;   in Loop: Header=BB9_7 Depth=1
	s_lshl_b32 s16, s82, 8
	s_lshl_b32 s1, s1, 4
	s_add_i32 s16, s16, s1
	v_add_u32_e32 v2, s16, v24
	v_readlane_b32 s1, v43, 30
.LBB9_72:                               ;   Parent Loop BB9_7 Depth=1
                                        ; =>  This Inner Loop Header: Depth=2
	ds_read_b32 v3, v2
	s_add_i32 s1, s1, -1
	v_add_u32_e32 v2, 16, v2
	s_cmp_lg_u32 s1, 0
	s_waitcnt lgkmcnt(0)
	v_add_u32_e32 v1, v3, v1
	s_cbranch_scc1 .LBB9_72
.LBB9_73:                               ;   in Loop: Header=BB9_7 Depth=1
	v_add_lshl_u32 v2, s0, v11, 2
	ds_write_b32 v2, v1 offset:3072
.LBB9_74:                               ;   in Loop: Header=BB9_7 Depth=1
	s_or_b64 exec, exec, s[6:7]
	s_lshl_b32 s0, s0, 2
	v_mov_b32_e32 v1, s0
	s_waitcnt lgkmcnt(0)
	s_barrier
	ds_read_b128 v[1:4], v1 offset:3072
	v_cmp_eq_u32_e32 vcc, 1, v29
	s_mov_b64 s[20:21], -1
	s_mov_b64 s[28:29], -1
                                        ; implicit-def: $sgpr26_sgpr27
                                        ; implicit-def: $sgpr24_sgpr25
	s_waitcnt lgkmcnt(0)
	v_readfirstlane_b32 s42, v1
	s_cmp_eq_u32 s42, 1
	v_lshlrev_b32_e64 v1, v26, 3
	s_cselect_b64 s[0:1], -1, 0
	v_readfirstlane_b32 s46, v2
	v_readfirstlane_b32 s54, v3
	;; [unrolled: 1-line block ×3, first 2 shown]
	v_not_b32_e32 v3, v1
	s_and_b64 s[22:23], s[0:1], vcc
	s_and_saveexec_b64 s[6:7], s[22:23]
	s_cbranch_execz .LBB9_100
; %bb.75:                               ;   in Loop: Header=BB9_7 Depth=1
	ds_read_b32 v2, v12 offset:4096
	s_waitcnt lgkmcnt(0)
	s_barrier
	v_readfirstlane_b32 s0, v2
	s_and_saveexec_b64 s[24:25], s[4:5]
; %bb.76:                               ;   in Loop: Header=BB9_7 Depth=1
	ds_write_b8 v0, v12 offset:3072
; %bb.77:                               ;   in Loop: Header=BB9_7 Depth=1
	s_or_b64 exec, exec, s[24:25]
	v_and_b32_e32 v20, v20, v3
	v_or_b32_e32 v27, v27, v1
	s_mov_b64 s[24:25], -1
	s_mov_b64 s[26:27], 0
	s_cmp_lt_i32 s0, 1
	s_mov_b64 s[28:29], 0
	s_mov_b64 s[30:31], -1
	s_waitcnt lgkmcnt(0)
	s_barrier
                                        ; implicit-def: $vgpr28
	s_cbranch_scc0 .LBB9_88
; %bb.78:                               ;   in Loop: Header=BB9_7 Depth=1
	s_mov_b64 s[30:31], 0
                                        ; implicit-def: $vgpr28
	s_mov_b64 s[34:35], exec
	v_readlane_b32 s16, v43, 34
	v_readlane_b32 s17, v43, 35
	s_and_b64 s[16:17], s[34:35], s[16:17]
	s_mov_b64 exec, s[16:17]
	s_cbranch_execz .LBB9_87
; %bb.79:                               ;   in Loop: Header=BB9_7 Depth=1
	v_mov_b32_e32 v2, v9
	v_mov_b32_e32 v4, v0
                                        ; implicit-def: $sgpr36_sgpr37
	s_branch .LBB9_82
.LBB9_80:                               ;   in Loop: Header=BB9_82 Depth=2
	s_or_b64 exec, exec, s[38:39]
	s_waitcnt lgkmcnt(0)
	s_barrier
	ds_read_u16 v28, v12 offset:3072
	s_mov_b64 s[38:39], -1
	s_mov_b64 s[40:41], -1
	s_waitcnt lgkmcnt(0)
	s_barrier
	v_cmp_ne_u32_sdwa s[16:17], v28, v12 src0_sel:BYTE_0 src1_sel:DWORD
	s_and_b64 vcc, exec, s[16:17]
	s_cbranch_vccz .LBB9_85
.LBB9_81:                               ;   in Loop: Header=BB9_82 Depth=2
	s_and_b64 s[16:17], exec, s[38:39]
	s_or_b64 s[28:29], s[16:17], s[28:29]
	s_andn2_b64 s[16:17], s[36:37], exec
	s_and_b64 s[36:37], s[40:41], exec
	s_or_b64 s[36:37], s[16:17], s[36:37]
	s_andn2_b64 exec, exec, s[28:29]
	s_cbranch_execz .LBB9_86
.LBB9_82:                               ;   Parent Loop BB9_7 Depth=1
                                        ; =>  This Inner Loop Header: Depth=2
	v_cmp_gt_i32_e32 vcc, s60, v4
	s_and_saveexec_b64 s[38:39], vcc
	s_cbranch_execz .LBB9_80
; %bb.83:                               ;   in Loop: Header=BB9_82 Depth=2
	v_ashrrev_i32_e32 v28, 31, v2
	v_mov_b32_e32 v31, s73
	v_add_co_u32_e32 v30, vcc, s72, v2
	v_addc_co_u32_e32 v31, vcc, v31, v28, vcc
	global_load_ubyte v28, v[30:31], off
	s_waitcnt vmcnt(0)
	v_add_u32_sdwa v30, sext(v28), s61 dst_sel:DWORD dst_unused:UNUSED_PAD src0_sel:BYTE_0 src1_sel:DWORD
	v_and_b32_e32 v30, v30, v27
	v_cmp_eq_u32_e32 vcc, v30, v20
	s_and_b64 exec, exec, vcc
	s_cbranch_execz .LBB9_80
; %bb.84:                               ;   in Loop: Header=BB9_82 Depth=2
	v_lshlrev_b16_e32 v28, 8, v28
	v_or_b32_e32 v28, 1, v28
	ds_write_b16 v12, v28 offset:3072
	s_branch .LBB9_80
.LBB9_85:                               ;   in Loop: Header=BB9_82 Depth=2
	v_add_u32_e32 v4, s62, v4
	v_cmp_le_i32_e32 vcc, s85, v4
	v_add_u32_e32 v2, s18, v2
	s_mov_b64 s[40:41], 0
	s_orn2_b64 s[38:39], vcc, exec
	s_branch .LBB9_81
.LBB9_86:                               ;   in Loop: Header=BB9_7 Depth=1
	s_or_b64 exec, exec, s[28:29]
	v_lshrrev_b32_sdwa v28, v25, v28 dst_sel:DWORD dst_unused:UNUSED_PAD src0_sel:DWORD src1_sel:WORD_0
	s_and_b64 s[28:29], s[36:37], exec
.LBB9_87:                               ;   in Loop: Header=BB9_7 Depth=1
	s_or_b64 exec, exec, s[34:35]
.LBB9_88:                               ;   in Loop: Header=BB9_7 Depth=1
	s_and_b64 vcc, exec, s[30:31]
	s_cbranch_vccz .LBB9_99
; %bb.89:                               ;   in Loop: Header=BB9_7 Depth=1
	v_readlane_b32 s1, v43, 21
	s_add_i32 s1, s0, s1
	s_abs_i32 s17, s1
	v_readlane_b32 s19, v43, 33
	s_mul_hi_u32 s19, s17, s19
	s_mul_i32 s19, s19, s62
	s_sub_i32 s17, s17, s19
	s_ashr_i32 s16, s1, 31
	s_sub_i32 s19, s17, s62
	s_cmp_ge_u32 s17, s62
	s_cselect_b32 s17, s19, s17
	s_sub_i32 s19, s17, s62
	s_cmp_ge_u32 s17, s62
	s_cselect_b32 s17, s19, s17
	s_xor_b32 s17, s17, s16
	s_sub_i32 s16, s16, s17
	s_add_i32 s1, s1, s16
	v_cmp_gt_i32_e32 vcc, s1, v0
                                        ; implicit-def: $vgpr28
	s_and_saveexec_b64 s[24:25], vcc
	s_cbranch_execz .LBB9_98
; %bb.90:                               ;   in Loop: Header=BB9_7 Depth=1
	s_mov_b64 s[26:27], 0
	v_mov_b32_e32 v2, v0
                                        ; implicit-def: $sgpr30_sgpr31
	s_branch .LBB9_93
.LBB9_91:                               ;   in Loop: Header=BB9_93 Depth=2
	s_or_b64 exec, exec, s[34:35]
	s_waitcnt lgkmcnt(0)
	s_barrier
	ds_read_u16 v4, v12 offset:3072
	s_mov_b64 s[34:35], -1
	s_mov_b64 s[36:37], -1
	s_waitcnt lgkmcnt(0)
	s_barrier
	v_cmp_ne_u32_sdwa s[16:17], v4, v12 src0_sel:BYTE_0 src1_sel:DWORD
	s_and_b64 vcc, exec, s[16:17]
	s_cbranch_vccz .LBB9_96
.LBB9_92:                               ;   in Loop: Header=BB9_93 Depth=2
	s_and_b64 s[16:17], exec, s[34:35]
	s_or_b64 s[26:27], s[16:17], s[26:27]
	s_andn2_b64 s[16:17], s[30:31], exec
	s_and_b64 s[30:31], s[36:37], exec
	s_or_b64 s[30:31], s[16:17], s[30:31]
	s_andn2_b64 exec, exec, s[26:27]
	s_cbranch_execz .LBB9_97
.LBB9_93:                               ;   Parent Loop BB9_7 Depth=1
                                        ; =>  This Inner Loop Header: Depth=2
	v_cmp_gt_i32_e32 vcc, s0, v2
	s_and_saveexec_b64 s[34:35], vcc
	s_cbranch_execz .LBB9_91
; %bb.94:                               ;   in Loop: Header=BB9_93 Depth=2
	ds_read_u8 v4, v2
	s_waitcnt lgkmcnt(0)
	v_add_u32_sdwa v28, sext(v4), s61 dst_sel:DWORD dst_unused:UNUSED_PAD src0_sel:BYTE_0 src1_sel:DWORD
	v_and_b32_e32 v28, v28, v27
	v_cmp_eq_u32_e32 vcc, v28, v20
	s_and_b64 exec, exec, vcc
	s_cbranch_execz .LBB9_91
; %bb.95:                               ;   in Loop: Header=BB9_93 Depth=2
	v_lshlrev_b16_e32 v4, 8, v4
	v_or_b32_e32 v4, 1, v4
	ds_write_b16 v12, v4 offset:3072
	s_branch .LBB9_91
.LBB9_96:                               ;   in Loop: Header=BB9_93 Depth=2
	v_add_u32_e32 v2, s62, v2
	v_cmp_le_i32_e32 vcc, s1, v2
	s_mov_b64 s[36:37], 0
	s_orn2_b64 s[34:35], vcc, exec
	s_branch .LBB9_92
.LBB9_97:                               ;   in Loop: Header=BB9_7 Depth=1
	s_or_b64 exec, exec, s[26:27]
	s_andn2_b64 s[0:1], s[28:29], exec
	s_and_b64 s[16:17], s[30:31], exec
	v_lshrrev_b32_sdwa v28, v25, v4 dst_sel:DWORD dst_unused:UNUSED_PAD src0_sel:DWORD src1_sel:WORD_0
	s_or_b64 s[28:29], s[0:1], s[16:17]
.LBB9_98:                               ;   in Loop: Header=BB9_7 Depth=1
	s_or_b64 exec, exec, s[24:25]
	s_mov_b64 s[24:25], 0
	s_mov_b64 s[26:27], -1
.LBB9_99:                               ;   in Loop: Header=BB9_7 Depth=1
	s_orn2_b64 s[28:29], s[28:29], exec
.LBB9_100:                              ;   in Loop: Header=BB9_7 Depth=1
	s_or_b64 exec, exec, s[6:7]
	s_andn2_b64 s[6:7], s[66:67], exec
	s_and_b64 s[16:17], s[26:27], exec
	s_or_b64 s[66:67], s[6:7], s[16:17]
	s_andn2_b64 s[6:7], s[64:65], exec
	s_and_b64 s[16:17], s[24:25], exec
	v_readfirstlane_b32 s0, v0
	s_andn2_b64 s[94:95], s[94:95], exec
	s_or_b64 s[64:65], s[6:7], s[16:17]
                                        ; implicit-def: $vgpr4
	s_and_saveexec_b64 s[6:7], s[28:29]
	s_cbranch_execz .LBB9_6
; %bb.101:                              ;   in Loop: Header=BB9_7 Depth=1
	s_xor_b64 s[0:1], s[22:23], -1
	s_mov_b64 s[22:23], 0
	v_mov_b32_e32 v4, 1
	v_mov_b32_e32 v2, 1
	s_and_saveexec_b64 s[20:21], s[0:1]
	s_cbranch_execz .LBB9_110
; %bb.102:                              ;   in Loop: Header=BB9_7 Depth=1
	v_cmp_ge_i32_e32 vcc, s42, v29
	s_and_saveexec_b64 s[0:1], vcc
	s_xor_b64 s[22:23], exec, s[0:1]
	s_cbranch_execz .LBB9_107
; %bb.103:                              ;   in Loop: Header=BB9_7 Depth=1
	ds_read_b32 v2, v12 offset:4096
	v_and_b32_e32 v20, v20, v3
	v_or_b32_e32 v27, v27, v1
	s_waitcnt lgkmcnt(0)
	v_cmp_ne_u32_e32 vcc, 0, v2
	s_cbranch_vccnz .LBB9_107
; %bb.104:                              ;   in Loop: Header=BB9_7 Depth=1
	s_mov_b64 s[24:25], exec
	v_readlane_b32 s0, v43, 12
	v_readlane_b32 s1, v43, 13
	s_and_b64 s[0:1], s[24:25], s[0:1]
	s_mov_b64 exec, s[0:1]
; %bb.105:                              ;   in Loop: Header=BB9_7 Depth=1
	v_mov_b32_e32 v2, s42
	ds_write_b32 v12, v2 offset:4100
; %bb.106:                              ;   in Loop: Header=BB9_7 Depth=1
	s_or_b64 exec, exec, s[24:25]
	s_waitcnt lgkmcnt(0)
	s_barrier
.LBB9_107:                              ;   in Loop: Header=BB9_7 Depth=1
	s_or_saveexec_b64 s[22:23], s[22:23]
	s_mov_b64 s[24:25], 0
	v_mov_b32_e32 v2, 8
	s_xor_b64 exec, exec, s[22:23]
; %bb.108:                              ;   in Loop: Header=BB9_7 Depth=1
	s_mov_b64 s[24:25], exec
	v_subrev_u32_e32 v29, s42, v29
	v_mov_b32_e32 v2, 0
; %bb.109:                              ;   in Loop: Header=BB9_7 Depth=1
	s_or_b64 exec, exec, s[22:23]
	s_and_b64 s[22:23], s[24:25], exec
	v_mov_b32_e32 v4, v29
.LBB9_110:                              ;   in Loop: Header=BB9_7 Depth=1
	s_or_b64 exec, exec, s[20:21]
	s_mov_b64 s[20:21], -1
	s_mov_b64 s[28:29], -1
                                        ; implicit-def: $sgpr24_sgpr25
                                        ; implicit-def: $sgpr26_sgpr27
	s_and_saveexec_b64 s[0:1], s[22:23]
	s_xor_b64 s[22:23], exec, s[0:1]
	s_cbranch_execz .LBB9_227
; %bb.111:                              ;   in Loop: Header=BB9_7 Depth=1
	s_cmp_eq_u32 s46, 1
	s_cselect_b64 s[0:1], -1, 0
	v_cmp_eq_u32_e32 vcc, 1, v4
	s_and_b64 s[30:31], s[0:1], vcc
	s_mov_b64 s[34:35], -1
                                        ; implicit-def: $sgpr26_sgpr27
                                        ; implicit-def: $sgpr24_sgpr25
	s_and_saveexec_b64 s[28:29], s[30:31]
	s_cbranch_execz .LBB9_137
; %bb.112:                              ;   in Loop: Header=BB9_7 Depth=1
	ds_read_b32 v28, v12 offset:4096
	s_waitcnt lgkmcnt(0)
	s_barrier
	v_readfirstlane_b32 s0, v28
	s_and_saveexec_b64 s[24:25], s[4:5]
; %bb.113:                              ;   in Loop: Header=BB9_7 Depth=1
	ds_write_b8 v0, v12 offset:3072
; %bb.114:                              ;   in Loop: Header=BB9_7 Depth=1
	s_or_b64 exec, exec, s[24:25]
	v_and_b32_e32 v20, v20, v3
	v_lshl_or_b32 v20, 1, v26, v20
	v_or_b32_e32 v27, v27, v1
	s_mov_b64 s[24:25], -1
	s_mov_b64 s[26:27], 0
	s_cmp_gt_i32 s0, 0
	s_mov_b64 s[34:35], 0
	s_mov_b64 s[36:37], -1
	s_waitcnt lgkmcnt(0)
	s_barrier
                                        ; implicit-def: $vgpr28
	s_cbranch_scc1 .LBB9_125
; %bb.115:                              ;   in Loop: Header=BB9_7 Depth=1
	s_mov_b64 s[36:37], 0
                                        ; implicit-def: $vgpr28
	s_mov_b64 s[38:39], exec
	v_readlane_b32 s16, v43, 34
	v_readlane_b32 s17, v43, 35
	s_and_b64 s[16:17], s[38:39], s[16:17]
	s_mov_b64 exec, s[16:17]
	s_cbranch_execz .LBB9_124
; %bb.116:                              ;   in Loop: Header=BB9_7 Depth=1
	v_mov_b32_e32 v28, v9
	v_mov_b32_e32 v29, v0
                                        ; implicit-def: $sgpr40_sgpr41
	s_branch .LBB9_119
.LBB9_117:                              ;   in Loop: Header=BB9_119 Depth=2
	s_or_b64 exec, exec, s[42:43]
	s_waitcnt lgkmcnt(0)
	s_barrier
	ds_read_u16 v30, v12 offset:3072
	s_mov_b64 s[42:43], -1
	s_mov_b64 s[44:45], -1
	s_waitcnt lgkmcnt(0)
	s_barrier
	v_cmp_ne_u32_sdwa s[16:17], v30, v12 src0_sel:BYTE_0 src1_sel:DWORD
	s_and_b64 vcc, exec, s[16:17]
	s_cbranch_vccz .LBB9_122
.LBB9_118:                              ;   in Loop: Header=BB9_119 Depth=2
	s_and_b64 s[16:17], exec, s[42:43]
	s_or_b64 s[34:35], s[16:17], s[34:35]
	s_andn2_b64 s[16:17], s[40:41], exec
	s_and_b64 s[40:41], s[44:45], exec
	s_or_b64 s[40:41], s[16:17], s[40:41]
	s_andn2_b64 exec, exec, s[34:35]
	s_cbranch_execz .LBB9_123
.LBB9_119:                              ;   Parent Loop BB9_7 Depth=1
                                        ; =>  This Inner Loop Header: Depth=2
	v_cmp_gt_i32_e32 vcc, s60, v29
	s_and_saveexec_b64 s[42:43], vcc
	s_cbranch_execz .LBB9_117
; %bb.120:                              ;   in Loop: Header=BB9_119 Depth=2
	v_ashrrev_i32_e32 v31, 31, v28
	v_mov_b32_e32 v32, s73
	v_add_co_u32_e32 v30, vcc, s72, v28
	v_addc_co_u32_e32 v31, vcc, v32, v31, vcc
	global_load_ubyte v30, v[30:31], off
	s_waitcnt vmcnt(0)
	v_add_u32_sdwa v31, sext(v30), s61 dst_sel:DWORD dst_unused:UNUSED_PAD src0_sel:BYTE_0 src1_sel:DWORD
	v_and_b32_e32 v31, v31, v27
	v_cmp_eq_u32_e32 vcc, v31, v20
	s_and_b64 exec, exec, vcc
	s_cbranch_execz .LBB9_117
; %bb.121:                              ;   in Loop: Header=BB9_119 Depth=2
	v_lshlrev_b16_e32 v30, 8, v30
	v_or_b32_e32 v30, 1, v30
	ds_write_b16 v12, v30 offset:3072
	s_branch .LBB9_117
.LBB9_122:                              ;   in Loop: Header=BB9_119 Depth=2
	v_add_u32_e32 v29, s62, v29
	v_cmp_le_i32_e32 vcc, s85, v29
	v_add_u32_e32 v28, s18, v28
	s_mov_b64 s[44:45], 0
	s_orn2_b64 s[42:43], vcc, exec
	s_branch .LBB9_118
.LBB9_123:                              ;   in Loop: Header=BB9_7 Depth=1
	s_or_b64 exec, exec, s[34:35]
	v_lshrrev_b32_sdwa v28, v25, v30 dst_sel:DWORD dst_unused:UNUSED_PAD src0_sel:DWORD src1_sel:WORD_0
	s_and_b64 s[34:35], s[40:41], exec
.LBB9_124:                              ;   in Loop: Header=BB9_7 Depth=1
	s_or_b64 exec, exec, s[38:39]
.LBB9_125:                              ;   in Loop: Header=BB9_7 Depth=1
	s_and_b64 vcc, exec, s[36:37]
	s_cbranch_vccz .LBB9_136
; %bb.126:                              ;   in Loop: Header=BB9_7 Depth=1
	v_readlane_b32 s1, v43, 21
	s_add_i32 s1, s0, s1
	s_abs_i32 s17, s1
	v_readlane_b32 s19, v43, 33
	s_mul_hi_u32 s19, s17, s19
	s_mul_i32 s19, s19, s62
	s_sub_i32 s17, s17, s19
	s_ashr_i32 s16, s1, 31
	s_sub_i32 s19, s17, s62
	s_cmp_ge_u32 s17, s62
	s_cselect_b32 s17, s19, s17
	s_sub_i32 s19, s17, s62
	s_cmp_ge_u32 s17, s62
	s_cselect_b32 s17, s19, s17
	s_xor_b32 s17, s17, s16
	s_sub_i32 s16, s16, s17
	s_add_i32 s1, s1, s16
	v_cmp_gt_i32_e32 vcc, s1, v0
                                        ; implicit-def: $vgpr28
	s_and_saveexec_b64 s[24:25], vcc
	s_cbranch_execz .LBB9_135
; %bb.127:                              ;   in Loop: Header=BB9_7 Depth=1
	s_mov_b64 s[26:27], 0
	v_mov_b32_e32 v28, v0
                                        ; implicit-def: $sgpr36_sgpr37
	s_branch .LBB9_130
.LBB9_128:                              ;   in Loop: Header=BB9_130 Depth=2
	s_or_b64 exec, exec, s[38:39]
	s_waitcnt lgkmcnt(0)
	s_barrier
	ds_read_u16 v29, v12 offset:3072
	s_mov_b64 s[38:39], -1
	s_mov_b64 s[40:41], -1
	s_waitcnt lgkmcnt(0)
	s_barrier
	v_cmp_eq_u32_sdwa s[16:17], v29, v12 src0_sel:BYTE_0 src1_sel:DWORD
	s_and_b64 vcc, exec, s[16:17]
	s_cbranch_vccnz .LBB9_133
.LBB9_129:                              ;   in Loop: Header=BB9_130 Depth=2
	s_and_b64 s[16:17], exec, s[38:39]
	s_or_b64 s[26:27], s[16:17], s[26:27]
	s_andn2_b64 s[16:17], s[36:37], exec
	s_and_b64 s[36:37], s[40:41], exec
	s_or_b64 s[36:37], s[16:17], s[36:37]
	s_andn2_b64 exec, exec, s[26:27]
	s_cbranch_execz .LBB9_134
.LBB9_130:                              ;   Parent Loop BB9_7 Depth=1
                                        ; =>  This Inner Loop Header: Depth=2
	v_cmp_gt_i32_e32 vcc, s0, v28
	s_and_saveexec_b64 s[38:39], vcc
	s_cbranch_execz .LBB9_128
; %bb.131:                              ;   in Loop: Header=BB9_130 Depth=2
	ds_read_u8 v29, v28
	s_waitcnt lgkmcnt(0)
	v_add_u32_sdwa v30, sext(v29), s61 dst_sel:DWORD dst_unused:UNUSED_PAD src0_sel:BYTE_0 src1_sel:DWORD
	v_and_b32_e32 v30, v30, v27
	v_cmp_eq_u32_e32 vcc, v30, v20
	s_and_b64 exec, exec, vcc
	s_cbranch_execz .LBB9_128
; %bb.132:                              ;   in Loop: Header=BB9_130 Depth=2
	v_lshlrev_b16_e32 v29, 8, v29
	v_or_b32_e32 v29, 1, v29
	ds_write_b16 v12, v29 offset:3072
	s_branch .LBB9_128
.LBB9_133:                              ;   in Loop: Header=BB9_130 Depth=2
	v_add_u32_e32 v28, s62, v28
	v_cmp_le_i32_e32 vcc, s1, v28
	s_mov_b64 s[40:41], 0
	s_orn2_b64 s[38:39], vcc, exec
	s_branch .LBB9_129
.LBB9_134:                              ;   in Loop: Header=BB9_7 Depth=1
	s_or_b64 exec, exec, s[26:27]
	s_andn2_b64 s[0:1], s[34:35], exec
	s_and_b64 s[16:17], s[36:37], exec
	v_lshrrev_b32_sdwa v28, v25, v29 dst_sel:DWORD dst_unused:UNUSED_PAD src0_sel:DWORD src1_sel:WORD_0
	s_or_b64 s[34:35], s[0:1], s[16:17]
.LBB9_135:                              ;   in Loop: Header=BB9_7 Depth=1
	s_or_b64 exec, exec, s[24:25]
	s_mov_b64 s[24:25], 0
	s_mov_b64 s[26:27], -1
.LBB9_136:                              ;   in Loop: Header=BB9_7 Depth=1
	s_orn2_b64 s[34:35], s[34:35], exec
.LBB9_137:                              ;   in Loop: Header=BB9_7 Depth=1
	s_or_b64 exec, exec, s[28:29]
	s_mov_b64 s[36:37], 0
	s_and_saveexec_b64 s[28:29], s[34:35]
	s_cbranch_execz .LBB9_226
; %bb.138:                              ;   in Loop: Header=BB9_7 Depth=1
	s_xor_b64 s[0:1], s[30:31], -1
	s_mov_b64 s[40:41], 0
	v_mov_b32_e32 v29, 1
	v_mov_b32_e32 v2, 1
	s_and_saveexec_b64 s[30:31], s[0:1]
	s_cbranch_execz .LBB9_147
; %bb.139:                              ;   in Loop: Header=BB9_7 Depth=1
	v_cmp_ge_i32_e32 vcc, s46, v4
	s_and_saveexec_b64 s[0:1], vcc
	s_xor_b64 s[34:35], exec, s[0:1]
	s_cbranch_execz .LBB9_144
; %bb.140:                              ;   in Loop: Header=BB9_7 Depth=1
	ds_read_b32 v2, v12 offset:4096
	v_and_b32_e32 v20, v20, v3
	v_lshl_or_b32 v20, 1, v26, v20
	v_or_b32_e32 v27, v27, v1
	s_waitcnt lgkmcnt(0)
	v_cmp_ne_u32_e32 vcc, 0, v2
	s_cbranch_vccnz .LBB9_144
; %bb.141:                              ;   in Loop: Header=BB9_7 Depth=1
	s_mov_b64 s[36:37], exec
	v_readlane_b32 s0, v43, 12
	v_readlane_b32 s1, v43, 13
	s_and_b64 s[0:1], s[36:37], s[0:1]
	s_mov_b64 exec, s[0:1]
; %bb.142:                              ;   in Loop: Header=BB9_7 Depth=1
	v_mov_b32_e32 v2, s46
	ds_write_b32 v12, v2 offset:4100
; %bb.143:                              ;   in Loop: Header=BB9_7 Depth=1
	s_or_b64 exec, exec, s[36:37]
	s_waitcnt lgkmcnt(0)
	s_barrier
.LBB9_144:                              ;   in Loop: Header=BB9_7 Depth=1
	s_or_saveexec_b64 s[34:35], s[34:35]
	s_mov_b64 s[36:37], 0
	v_mov_b32_e32 v2, 8
	s_xor_b64 exec, exec, s[34:35]
; %bb.145:                              ;   in Loop: Header=BB9_7 Depth=1
	s_mov_b64 s[36:37], exec
	v_subrev_u32_e32 v4, s46, v4
	v_mov_b32_e32 v2, 0
; %bb.146:                              ;   in Loop: Header=BB9_7 Depth=1
	s_or_b64 exec, exec, s[34:35]
	s_and_b64 s[40:41], s[36:37], exec
	v_mov_b32_e32 v29, v4
.LBB9_147:                              ;   in Loop: Header=BB9_7 Depth=1
	s_or_b64 exec, exec, s[30:31]
	s_mov_b64 s[38:39], -1
                                        ; implicit-def: $sgpr34_sgpr35
                                        ; implicit-def: $sgpr36_sgpr37
	s_and_saveexec_b64 s[30:31], s[40:41]
	s_cbranch_execz .LBB9_225
; %bb.148:                              ;   in Loop: Header=BB9_7 Depth=1
	s_cmp_eq_u32 s54, 1
	s_cselect_b64 s[0:1], -1, 0
	v_cmp_eq_u32_e32 vcc, 1, v29
	s_and_b64 s[40:41], s[0:1], vcc
	s_mov_b64 s[42:43], -1
                                        ; implicit-def: $sgpr36_sgpr37
                                        ; implicit-def: $sgpr34_sgpr35
	s_and_saveexec_b64 s[38:39], s[40:41]
	s_cbranch_execz .LBB9_174
; %bb.149:                              ;   in Loop: Header=BB9_7 Depth=1
	ds_read_b32 v4, v12 offset:4096
	s_waitcnt lgkmcnt(0)
	s_barrier
	v_readfirstlane_b32 s0, v4
	s_and_saveexec_b64 s[34:35], s[4:5]
; %bb.150:                              ;   in Loop: Header=BB9_7 Depth=1
	ds_write_b8 v0, v12 offset:3072
; %bb.151:                              ;   in Loop: Header=BB9_7 Depth=1
	s_or_b64 exec, exec, s[34:35]
	v_and_b32_e32 v4, v20, v3
	v_lshl_or_b32 v20, 2, v26, v4
	v_or_b32_e32 v27, v27, v1
	s_mov_b64 s[34:35], -1
	s_mov_b64 s[36:37], 0
	s_cmp_gt_i32 s0, 0
	s_mov_b64 s[42:43], 0
	s_mov_b64 s[44:45], -1
	s_waitcnt lgkmcnt(0)
	s_barrier
                                        ; implicit-def: $vgpr28
	s_cbranch_scc1 .LBB9_162
; %bb.152:                              ;   in Loop: Header=BB9_7 Depth=1
	s_mov_b64 s[44:45], 0
                                        ; implicit-def: $vgpr28
	s_mov_b64 s[46:47], exec
	v_readlane_b32 s16, v43, 34
	v_readlane_b32 s17, v43, 35
	s_and_b64 s[16:17], s[46:47], s[16:17]
	s_mov_b64 exec, s[16:17]
	s_cbranch_execz .LBB9_161
; %bb.153:                              ;   in Loop: Header=BB9_7 Depth=1
	v_mov_b32_e32 v4, v9
	v_mov_b32_e32 v28, v0
                                        ; implicit-def: $sgpr48_sgpr49
	s_branch .LBB9_156
.LBB9_154:                              ;   in Loop: Header=BB9_156 Depth=2
	s_or_b64 exec, exec, s[50:51]
	s_waitcnt lgkmcnt(0)
	s_barrier
	ds_read_u16 v30, v12 offset:3072
	s_mov_b64 s[50:51], -1
	s_mov_b64 s[52:53], -1
	s_waitcnt lgkmcnt(0)
	s_barrier
	v_cmp_ne_u32_sdwa s[16:17], v30, v12 src0_sel:BYTE_0 src1_sel:DWORD
	s_and_b64 vcc, exec, s[16:17]
	s_cbranch_vccz .LBB9_159
.LBB9_155:                              ;   in Loop: Header=BB9_156 Depth=2
	s_and_b64 s[16:17], exec, s[50:51]
	s_or_b64 s[42:43], s[16:17], s[42:43]
	s_andn2_b64 s[16:17], s[48:49], exec
	s_and_b64 s[48:49], s[52:53], exec
	s_or_b64 s[48:49], s[16:17], s[48:49]
	s_andn2_b64 exec, exec, s[42:43]
	s_cbranch_execz .LBB9_160
.LBB9_156:                              ;   Parent Loop BB9_7 Depth=1
                                        ; =>  This Inner Loop Header: Depth=2
	v_cmp_gt_i32_e32 vcc, s60, v28
	s_and_saveexec_b64 s[50:51], vcc
	s_cbranch_execz .LBB9_154
; %bb.157:                              ;   in Loop: Header=BB9_156 Depth=2
	v_ashrrev_i32_e32 v31, 31, v4
	v_mov_b32_e32 v32, s73
	v_add_co_u32_e32 v30, vcc, s72, v4
	v_addc_co_u32_e32 v31, vcc, v32, v31, vcc
	global_load_ubyte v30, v[30:31], off
	s_waitcnt vmcnt(0)
	v_add_u32_sdwa v31, sext(v30), s61 dst_sel:DWORD dst_unused:UNUSED_PAD src0_sel:BYTE_0 src1_sel:DWORD
	v_and_b32_e32 v31, v31, v27
	v_cmp_eq_u32_e32 vcc, v31, v20
	s_and_b64 exec, exec, vcc
	s_cbranch_execz .LBB9_154
; %bb.158:                              ;   in Loop: Header=BB9_156 Depth=2
	v_lshlrev_b16_e32 v30, 8, v30
	v_or_b32_e32 v30, 1, v30
	ds_write_b16 v12, v30 offset:3072
	s_branch .LBB9_154
.LBB9_159:                              ;   in Loop: Header=BB9_156 Depth=2
	v_add_u32_e32 v28, s62, v28
	v_cmp_le_i32_e32 vcc, s85, v28
	v_add_u32_e32 v4, s18, v4
	s_mov_b64 s[52:53], 0
	s_orn2_b64 s[50:51], vcc, exec
	s_branch .LBB9_155
.LBB9_160:                              ;   in Loop: Header=BB9_7 Depth=1
	s_or_b64 exec, exec, s[42:43]
	v_lshrrev_b32_sdwa v28, v25, v30 dst_sel:DWORD dst_unused:UNUSED_PAD src0_sel:DWORD src1_sel:WORD_0
	s_and_b64 s[42:43], s[48:49], exec
.LBB9_161:                              ;   in Loop: Header=BB9_7 Depth=1
	s_or_b64 exec, exec, s[46:47]
.LBB9_162:                              ;   in Loop: Header=BB9_7 Depth=1
	s_and_b64 vcc, exec, s[44:45]
	s_cbranch_vccz .LBB9_173
; %bb.163:                              ;   in Loop: Header=BB9_7 Depth=1
	v_readlane_b32 s1, v43, 21
	s_add_i32 s1, s0, s1
	s_abs_i32 s17, s1
	v_readlane_b32 s19, v43, 33
	s_mul_hi_u32 s19, s17, s19
	s_mul_i32 s19, s19, s62
	s_sub_i32 s17, s17, s19
	s_ashr_i32 s16, s1, 31
	s_sub_i32 s19, s17, s62
	s_cmp_ge_u32 s17, s62
	s_cselect_b32 s17, s19, s17
	s_sub_i32 s19, s17, s62
	s_cmp_ge_u32 s17, s62
	s_cselect_b32 s17, s19, s17
	s_xor_b32 s17, s17, s16
	s_sub_i32 s16, s16, s17
	s_add_i32 s1, s1, s16
	v_cmp_gt_i32_e32 vcc, s1, v0
                                        ; implicit-def: $vgpr28
	s_and_saveexec_b64 s[34:35], vcc
	s_cbranch_execz .LBB9_172
; %bb.164:                              ;   in Loop: Header=BB9_7 Depth=1
	s_mov_b64 s[36:37], 0
	v_mov_b32_e32 v4, v0
                                        ; implicit-def: $sgpr44_sgpr45
	s_branch .LBB9_167
.LBB9_165:                              ;   in Loop: Header=BB9_167 Depth=2
	s_or_b64 exec, exec, s[46:47]
	s_waitcnt lgkmcnt(0)
	s_barrier
	ds_read_u16 v28, v12 offset:3072
	s_mov_b64 s[46:47], -1
	s_mov_b64 s[48:49], -1
	s_waitcnt lgkmcnt(0)
	s_barrier
	v_cmp_eq_u32_sdwa s[16:17], v28, v12 src0_sel:BYTE_0 src1_sel:DWORD
	s_and_b64 vcc, exec, s[16:17]
	s_cbranch_vccnz .LBB9_170
.LBB9_166:                              ;   in Loop: Header=BB9_167 Depth=2
	s_and_b64 s[16:17], exec, s[46:47]
	s_or_b64 s[36:37], s[16:17], s[36:37]
	s_andn2_b64 s[16:17], s[44:45], exec
	s_and_b64 s[44:45], s[48:49], exec
	s_or_b64 s[44:45], s[16:17], s[44:45]
	s_andn2_b64 exec, exec, s[36:37]
	s_cbranch_execz .LBB9_171
.LBB9_167:                              ;   Parent Loop BB9_7 Depth=1
                                        ; =>  This Inner Loop Header: Depth=2
	v_cmp_gt_i32_e32 vcc, s0, v4
	s_and_saveexec_b64 s[46:47], vcc
	s_cbranch_execz .LBB9_165
; %bb.168:                              ;   in Loop: Header=BB9_167 Depth=2
	ds_read_u8 v28, v4
	s_waitcnt lgkmcnt(0)
	v_add_u32_sdwa v30, sext(v28), s61 dst_sel:DWORD dst_unused:UNUSED_PAD src0_sel:BYTE_0 src1_sel:DWORD
	v_and_b32_e32 v30, v30, v27
	v_cmp_eq_u32_e32 vcc, v30, v20
	s_and_b64 exec, exec, vcc
	s_cbranch_execz .LBB9_165
; %bb.169:                              ;   in Loop: Header=BB9_167 Depth=2
	v_lshlrev_b16_e32 v28, 8, v28
	v_or_b32_e32 v28, 1, v28
	ds_write_b16 v12, v28 offset:3072
	s_branch .LBB9_165
.LBB9_170:                              ;   in Loop: Header=BB9_167 Depth=2
	v_add_u32_e32 v4, s62, v4
	v_cmp_le_i32_e32 vcc, s1, v4
	s_mov_b64 s[48:49], 0
	s_orn2_b64 s[46:47], vcc, exec
	s_branch .LBB9_166
.LBB9_171:                              ;   in Loop: Header=BB9_7 Depth=1
	s_or_b64 exec, exec, s[36:37]
	s_andn2_b64 s[0:1], s[42:43], exec
	s_and_b64 s[16:17], s[44:45], exec
	v_lshrrev_b32_sdwa v28, v25, v28 dst_sel:DWORD dst_unused:UNUSED_PAD src0_sel:DWORD src1_sel:WORD_0
	s_or_b64 s[42:43], s[0:1], s[16:17]
.LBB9_172:                              ;   in Loop: Header=BB9_7 Depth=1
	s_or_b64 exec, exec, s[34:35]
	s_mov_b64 s[34:35], 0
	s_mov_b64 s[36:37], -1
.LBB9_173:                              ;   in Loop: Header=BB9_7 Depth=1
	s_orn2_b64 s[42:43], s[42:43], exec
.LBB9_174:                              ;   in Loop: Header=BB9_7 Depth=1
	s_or_b64 exec, exec, s[38:39]
	s_mov_b64 s[44:45], 0
	s_and_saveexec_b64 s[38:39], s[42:43]
	s_cbranch_execz .LBB9_224
; %bb.175:                              ;   in Loop: Header=BB9_7 Depth=1
	s_xor_b64 s[0:1], s[40:41], -1
	s_mov_b64 s[48:49], 0
	v_mov_b32_e32 v4, 1
	v_mov_b32_e32 v2, 1
	s_and_saveexec_b64 s[40:41], s[0:1]
	s_cbranch_execz .LBB9_184
; %bb.176:                              ;   in Loop: Header=BB9_7 Depth=1
	v_cmp_ge_i32_e32 vcc, s54, v29
	s_and_saveexec_b64 s[0:1], vcc
	s_xor_b64 s[42:43], exec, s[0:1]
	s_cbranch_execz .LBB9_181
; %bb.177:                              ;   in Loop: Header=BB9_7 Depth=1
	ds_read_b32 v2, v12 offset:4096
	v_and_b32_e32 v3, v20, v3
	v_lshl_or_b32 v20, 2, v26, v3
	v_or_b32_e32 v27, v27, v1
	s_waitcnt lgkmcnt(0)
	v_cmp_ne_u32_e32 vcc, 0, v2
	s_cbranch_vccnz .LBB9_181
; %bb.178:                              ;   in Loop: Header=BB9_7 Depth=1
	s_mov_b64 s[44:45], exec
	v_readlane_b32 s0, v43, 12
	v_readlane_b32 s1, v43, 13
	s_and_b64 s[0:1], s[44:45], s[0:1]
	s_mov_b64 exec, s[0:1]
; %bb.179:                              ;   in Loop: Header=BB9_7 Depth=1
	v_mov_b32_e32 v2, s54
	ds_write_b32 v12, v2 offset:4100
; %bb.180:                              ;   in Loop: Header=BB9_7 Depth=1
	s_or_b64 exec, exec, s[44:45]
	s_waitcnt lgkmcnt(0)
	s_barrier
.LBB9_181:                              ;   in Loop: Header=BB9_7 Depth=1
	s_or_saveexec_b64 s[42:43], s[42:43]
	s_mov_b64 s[44:45], 0
	v_mov_b32_e32 v2, 8
	s_xor_b64 exec, exec, s[42:43]
; %bb.182:                              ;   in Loop: Header=BB9_7 Depth=1
	s_mov_b64 s[44:45], exec
	v_subrev_u32_e32 v29, s54, v29
	v_mov_b32_e32 v2, 0
; %bb.183:                              ;   in Loop: Header=BB9_7 Depth=1
	s_or_b64 exec, exec, s[42:43]
	s_and_b64 s[48:49], s[44:45], exec
	v_mov_b32_e32 v4, v29
.LBB9_184:                              ;   in Loop: Header=BB9_7 Depth=1
	s_or_b64 exec, exec, s[40:41]
	s_mov_b64 s[46:47], -1
                                        ; implicit-def: $sgpr44_sgpr45
                                        ; implicit-def: $sgpr42_sgpr43
	s_and_saveexec_b64 s[40:41], s[48:49]
	s_cbranch_execz .LBB9_223
; %bb.185:                              ;   in Loop: Header=BB9_7 Depth=1
	s_cmp_eq_u32 s70, 1
	s_cselect_b64 s[0:1], -1, 0
	v_cmp_eq_u32_e32 vcc, 1, v4
	s_and_b64 s[46:47], s[0:1], vcc
	s_mov_b64 s[50:51], -1
                                        ; implicit-def: $sgpr44_sgpr45
                                        ; implicit-def: $sgpr42_sgpr43
	s_and_saveexec_b64 s[48:49], s[46:47]
	s_cbranch_execz .LBB9_211
; %bb.186:                              ;   in Loop: Header=BB9_7 Depth=1
	ds_read_b32 v3, v12 offset:4096
	s_waitcnt lgkmcnt(0)
	s_barrier
	v_readfirstlane_b32 s0, v3
	s_and_saveexec_b64 s[42:43], s[4:5]
; %bb.187:                              ;   in Loop: Header=BB9_7 Depth=1
	ds_write_b8 v0, v12 offset:3072
; %bb.188:                              ;   in Loop: Header=BB9_7 Depth=1
	s_or_b64 exec, exec, s[42:43]
	v_or_b32_e32 v20, v20, v1
	v_or_b32_e32 v27, v27, v1
	s_mov_b64 s[42:43], -1
	s_mov_b64 s[44:45], 0
	s_cmp_gt_i32 s0, 0
	s_mov_b64 s[50:51], 0
	s_mov_b64 s[52:53], -1
	s_waitcnt lgkmcnt(0)
	s_barrier
                                        ; implicit-def: $vgpr28
	s_cbranch_scc1 .LBB9_199
; %bb.189:                              ;   in Loop: Header=BB9_7 Depth=1
	s_mov_b64 s[52:53], 0
                                        ; implicit-def: $vgpr28
	s_mov_b64 s[54:55], exec
	v_readlane_b32 s16, v43, 34
	v_readlane_b32 s17, v43, 35
	s_and_b64 s[16:17], s[54:55], s[16:17]
	s_mov_b64 exec, s[16:17]
	s_cbranch_execz .LBB9_198
; %bb.190:                              ;   in Loop: Header=BB9_7 Depth=1
	v_mov_b32_e32 v3, v9
	v_mov_b32_e32 v28, v0
                                        ; implicit-def: $sgpr56_sgpr57
	s_branch .LBB9_193
.LBB9_191:                              ;   in Loop: Header=BB9_193 Depth=2
	s_or_b64 exec, exec, s[58:59]
	s_waitcnt lgkmcnt(0)
	s_barrier
	ds_read_u16 v29, v12 offset:3072
	s_mov_b64 s[58:59], -1
	s_mov_b64 s[68:69], -1
	s_waitcnt lgkmcnt(0)
	s_barrier
	v_cmp_ne_u32_sdwa s[16:17], v29, v12 src0_sel:BYTE_0 src1_sel:DWORD
	s_and_b64 vcc, exec, s[16:17]
	s_cbranch_vccz .LBB9_196
.LBB9_192:                              ;   in Loop: Header=BB9_193 Depth=2
	s_and_b64 s[16:17], exec, s[58:59]
	s_or_b64 s[50:51], s[16:17], s[50:51]
	s_andn2_b64 s[16:17], s[56:57], exec
	s_and_b64 s[56:57], s[68:69], exec
	s_or_b64 s[56:57], s[16:17], s[56:57]
	s_andn2_b64 exec, exec, s[50:51]
	s_cbranch_execz .LBB9_197
.LBB9_193:                              ;   Parent Loop BB9_7 Depth=1
                                        ; =>  This Inner Loop Header: Depth=2
	v_cmp_gt_i32_e32 vcc, s60, v28
	s_and_saveexec_b64 s[58:59], vcc
	s_cbranch_execz .LBB9_191
; %bb.194:                              ;   in Loop: Header=BB9_193 Depth=2
	v_ashrrev_i32_e32 v30, 31, v3
	v_mov_b32_e32 v31, s73
	v_add_co_u32_e32 v29, vcc, s72, v3
	v_addc_co_u32_e32 v30, vcc, v31, v30, vcc
	global_load_ubyte v29, v[29:30], off
	s_waitcnt vmcnt(0)
	v_add_u32_sdwa v30, sext(v29), s61 dst_sel:DWORD dst_unused:UNUSED_PAD src0_sel:BYTE_0 src1_sel:DWORD
	v_and_b32_e32 v30, v30, v27
	v_cmp_eq_u32_e32 vcc, v30, v20
	s_and_b64 exec, exec, vcc
	s_cbranch_execz .LBB9_191
; %bb.195:                              ;   in Loop: Header=BB9_193 Depth=2
	v_lshlrev_b16_e32 v29, 8, v29
	v_or_b32_e32 v29, 1, v29
	ds_write_b16 v12, v29 offset:3072
	s_branch .LBB9_191
.LBB9_196:                              ;   in Loop: Header=BB9_193 Depth=2
	v_add_u32_e32 v28, s62, v28
	v_cmp_le_i32_e32 vcc, s85, v28
	v_add_u32_e32 v3, s18, v3
	s_mov_b64 s[68:69], 0
	s_orn2_b64 s[58:59], vcc, exec
	s_branch .LBB9_192
.LBB9_197:                              ;   in Loop: Header=BB9_7 Depth=1
	s_or_b64 exec, exec, s[50:51]
	v_lshrrev_b32_sdwa v28, v25, v29 dst_sel:DWORD dst_unused:UNUSED_PAD src0_sel:DWORD src1_sel:WORD_0
	s_and_b64 s[50:51], s[56:57], exec
.LBB9_198:                              ;   in Loop: Header=BB9_7 Depth=1
	s_or_b64 exec, exec, s[54:55]
.LBB9_199:                              ;   in Loop: Header=BB9_7 Depth=1
	s_and_b64 vcc, exec, s[52:53]
	s_cbranch_vccz .LBB9_210
; %bb.200:                              ;   in Loop: Header=BB9_7 Depth=1
	v_readlane_b32 s1, v43, 21
	s_add_i32 s1, s0, s1
	s_abs_i32 s17, s1
	v_readlane_b32 s19, v43, 33
	s_mul_hi_u32 s19, s17, s19
	s_mul_i32 s19, s19, s62
	s_sub_i32 s17, s17, s19
	s_ashr_i32 s16, s1, 31
	s_sub_i32 s19, s17, s62
	s_cmp_ge_u32 s17, s62
	s_cselect_b32 s17, s19, s17
	s_sub_i32 s19, s17, s62
	s_cmp_ge_u32 s17, s62
	s_cselect_b32 s17, s19, s17
	s_xor_b32 s17, s17, s16
	s_sub_i32 s16, s16, s17
	s_add_i32 s1, s1, s16
	v_cmp_gt_i32_e32 vcc, s1, v0
                                        ; implicit-def: $vgpr28
	s_and_saveexec_b64 s[42:43], vcc
	s_cbranch_execz .LBB9_209
; %bb.201:                              ;   in Loop: Header=BB9_7 Depth=1
	s_mov_b64 s[44:45], 0
	v_mov_b32_e32 v3, v0
                                        ; implicit-def: $sgpr52_sgpr53
	s_branch .LBB9_204
.LBB9_202:                              ;   in Loop: Header=BB9_204 Depth=2
	s_or_b64 exec, exec, s[54:55]
	s_waitcnt lgkmcnt(0)
	s_barrier
	ds_read_u16 v28, v12 offset:3072
	s_mov_b64 s[54:55], -1
	s_mov_b64 s[56:57], -1
	s_waitcnt lgkmcnt(0)
	s_barrier
	v_cmp_eq_u32_sdwa s[16:17], v28, v12 src0_sel:BYTE_0 src1_sel:DWORD
	s_and_b64 vcc, exec, s[16:17]
	s_cbranch_vccnz .LBB9_207
.LBB9_203:                              ;   in Loop: Header=BB9_204 Depth=2
	s_and_b64 s[16:17], exec, s[54:55]
	s_or_b64 s[44:45], s[16:17], s[44:45]
	s_andn2_b64 s[16:17], s[52:53], exec
	s_and_b64 s[52:53], s[56:57], exec
	s_or_b64 s[52:53], s[16:17], s[52:53]
	s_andn2_b64 exec, exec, s[44:45]
	s_cbranch_execz .LBB9_208
.LBB9_204:                              ;   Parent Loop BB9_7 Depth=1
                                        ; =>  This Inner Loop Header: Depth=2
	v_cmp_gt_i32_e32 vcc, s0, v3
	s_and_saveexec_b64 s[54:55], vcc
	s_cbranch_execz .LBB9_202
; %bb.205:                              ;   in Loop: Header=BB9_204 Depth=2
	ds_read_u8 v28, v3
	s_waitcnt lgkmcnt(0)
	v_add_u32_sdwa v29, sext(v28), s61 dst_sel:DWORD dst_unused:UNUSED_PAD src0_sel:BYTE_0 src1_sel:DWORD
	v_and_b32_e32 v29, v29, v27
	v_cmp_eq_u32_e32 vcc, v29, v20
	s_and_b64 exec, exec, vcc
	s_cbranch_execz .LBB9_202
; %bb.206:                              ;   in Loop: Header=BB9_204 Depth=2
	v_lshlrev_b16_e32 v28, 8, v28
	v_or_b32_e32 v28, 1, v28
	ds_write_b16 v12, v28 offset:3072
	s_branch .LBB9_202
.LBB9_207:                              ;   in Loop: Header=BB9_204 Depth=2
	v_add_u32_e32 v3, s62, v3
	v_cmp_le_i32_e32 vcc, s1, v3
	s_mov_b64 s[56:57], 0
	s_orn2_b64 s[54:55], vcc, exec
	s_branch .LBB9_203
.LBB9_208:                              ;   in Loop: Header=BB9_7 Depth=1
	s_or_b64 exec, exec, s[44:45]
	s_andn2_b64 s[0:1], s[50:51], exec
	s_and_b64 s[16:17], s[52:53], exec
	v_lshrrev_b32_sdwa v28, v25, v28 dst_sel:DWORD dst_unused:UNUSED_PAD src0_sel:DWORD src1_sel:WORD_0
	s_or_b64 s[50:51], s[0:1], s[16:17]
.LBB9_209:                              ;   in Loop: Header=BB9_7 Depth=1
	s_or_b64 exec, exec, s[42:43]
	s_mov_b64 s[42:43], 0
	s_mov_b64 s[44:45], -1
.LBB9_210:                              ;   in Loop: Header=BB9_7 Depth=1
	s_orn2_b64 s[50:51], s[50:51], exec
.LBB9_211:                              ;   in Loop: Header=BB9_7 Depth=1
	s_or_b64 exec, exec, s[48:49]
	s_mov_b64 s[52:53], 0
	s_and_saveexec_b64 s[48:49], s[50:51]
	s_cbranch_execz .LBB9_222
; %bb.212:                              ;   in Loop: Header=BB9_7 Depth=1
	s_xor_b64 s[0:1], s[46:47], -1
	v_mov_b32_e32 v2, 1
	v_mov_b32_e32 v3, 1
	s_and_saveexec_b64 s[46:47], s[0:1]
	s_cbranch_execz .LBB9_221
; %bb.213:                              ;   in Loop: Header=BB9_7 Depth=1
	v_cmp_ge_i32_e32 vcc, s70, v4
	s_and_saveexec_b64 s[0:1], vcc
	s_xor_b64 s[50:51], exec, s[0:1]
	s_cbranch_execz .LBB9_218
; %bb.214:                              ;   in Loop: Header=BB9_7 Depth=1
	ds_read_b32 v2, v12 offset:4096
	v_or_b32_e32 v20, v20, v1
	v_or_b32_e32 v27, v27, v1
	s_waitcnt lgkmcnt(0)
	v_cmp_ne_u32_e32 vcc, 0, v2
	s_cbranch_vccnz .LBB9_218
; %bb.215:                              ;   in Loop: Header=BB9_7 Depth=1
	s_mov_b64 s[52:53], exec
	v_readlane_b32 s0, v43, 12
	v_readlane_b32 s1, v43, 13
	s_and_b64 s[0:1], s[52:53], s[0:1]
	s_mov_b64 exec, s[0:1]
; %bb.216:                              ;   in Loop: Header=BB9_7 Depth=1
	v_mov_b32_e32 v1, s70
	ds_write_b32 v12, v1 offset:4100
; %bb.217:                              ;   in Loop: Header=BB9_7 Depth=1
	s_or_b64 exec, exec, s[52:53]
	s_waitcnt lgkmcnt(0)
	s_barrier
.LBB9_218:                              ;   in Loop: Header=BB9_7 Depth=1
	s_andn2_saveexec_b64 s[50:51], s[50:51]
; %bb.219:                              ;   in Loop: Header=BB9_7 Depth=1
	v_subrev_u32_e32 v4, s70, v4
; %bb.220:                              ;   in Loop: Header=BB9_7 Depth=1
	s_or_b64 exec, exec, s[50:51]
	v_mov_b32_e32 v2, 8
	v_mov_b32_e32 v3, v4
.LBB9_221:                              ;   in Loop: Header=BB9_7 Depth=1
	s_or_b64 exec, exec, s[46:47]
	s_mov_b64 s[52:53], exec
	v_mov_b32_e32 v4, v3
.LBB9_222:                              ;   in Loop: Header=BB9_7 Depth=1
	s_or_b64 exec, exec, s[48:49]
	s_orn2_b64 s[46:47], s[52:53], exec
.LBB9_223:                              ;   in Loop: Header=BB9_7 Depth=1
	s_or_b64 exec, exec, s[40:41]
	s_andn2_b64 s[0:1], s[36:37], exec
	s_and_b64 s[16:17], s[44:45], exec
	s_or_b64 s[36:37], s[0:1], s[16:17]
	s_andn2_b64 s[0:1], s[34:35], exec
	s_and_b64 s[16:17], s[42:43], exec
	s_or_b64 s[34:35], s[0:1], s[16:17]
	s_and_b64 s[44:45], s[46:47], exec
	v_mov_b32_e32 v29, v4
.LBB9_224:                              ;   in Loop: Header=BB9_7 Depth=1
	s_or_b64 exec, exec, s[38:39]
	s_orn2_b64 s[38:39], s[44:45], exec
.LBB9_225:                              ;   in Loop: Header=BB9_7 Depth=1
	s_or_b64 exec, exec, s[30:31]
	s_andn2_b64 s[0:1], s[26:27], exec
	s_and_b64 s[16:17], s[36:37], exec
	s_or_b64 s[26:27], s[0:1], s[16:17]
	s_andn2_b64 s[0:1], s[24:25], exec
	s_and_b64 s[16:17], s[34:35], exec
	s_or_b64 s[24:25], s[0:1], s[16:17]
	s_and_b64 s[36:37], s[38:39], exec
	v_mov_b32_e32 v4, v29
.LBB9_226:                              ;   in Loop: Header=BB9_7 Depth=1
	s_or_b64 exec, exec, s[28:29]
	s_orn2_b64 s[28:29], s[36:37], exec
.LBB9_227:                              ;   in Loop: Header=BB9_7 Depth=1
	s_or_b64 exec, exec, s[22:23]
	s_mov_b64 s[30:31], 0
                                        ; implicit-def: $sgpr0
	s_and_saveexec_b64 s[16:17], s[28:29]
	s_xor_b64 s[22:23], exec, s[16:17]
	s_cbranch_execz .LBB9_5
; %bb.228:                              ;   in Loop: Header=BB9_7 Depth=1
	v_and_b32_e32 v1, 7, v2
	v_cmp_eq_u32_e32 vcc, 0, v1
	s_mov_b64 s[20:21], -1
	s_mov_b64 s[28:29], -1
                                        ; implicit-def: $sgpr0
	s_and_saveexec_b64 s[30:31], vcc
	s_cbranch_execz .LBB9_4
; %bb.229:                              ;   in Loop: Header=BB9_7 Depth=1
	v_add_u32_e32 v1, -2, v26
	v_cmp_eq_u32_e32 vcc, 0, v26
	s_xor_b32 s0, s82, 1
	s_xor_b64 s[28:29], exec, -1
	s_orn2_b64 s[20:21], vcc, exec
	v_mov_b32_e32 v26, v1
	s_branch .LBB9_4
.LBB9_230:
	s_or_b64 exec, exec, s[86:87]
	s_xor_b64 s[8:9], s[92:93], -1
	s_xor_b64 s[0:1], s[88:89], -1
	;; [unrolled: 1-line block ×3, first 2 shown]
	s_mov_b64 s[4:5], 0
	s_and_saveexec_b64 s[2:3], s[0:1]
	s_xor_b64 s[2:3], exec, s[2:3]
	s_cbranch_execnz .LBB9_235
; %bb.231:
	s_andn2_saveexec_b64 s[0:1], s[2:3]
	s_cbranch_execnz .LBB9_255
.LBB9_232:
	s_or_b64 exec, exec, s[0:1]
	s_and_saveexec_b64 s[0:1], s[4:5]
.LBB9_233:
	; divergent unreachable
.LBB9_234:
	s_endpgm
.LBB9_235:
	s_and_saveexec_b64 s[0:1], s[8:9]
	s_xor_b64 s[4:5], exec, s[0:1]
	s_cbranch_execz .LBB9_253
; %bb.236:
	s_and_saveexec_b64 s[0:1], s[6:7]
	s_xor_b64 s[6:7], exec, s[0:1]
; %bb.237:
	v_xor_b32_e32 v28, 0xffffff80, v20
; %bb.238:
	s_or_b64 exec, exec, s[6:7]
	s_mov_b64 s[6:7], exec
	v_readlane_b32 s0, v43, 12
	v_readlane_b32 s1, v43, 13
	s_and_b64 s[0:1], s[6:7], s[0:1]
	v_readlane_b32 s19, v43, 20
	v_readlane_b32 s20, v43, 16
	;; [unrolled: 1-line block ×5, first 2 shown]
	s_mov_b64 exec, s[0:1]
; %bb.239:
	v_mov_b32_e32 v1, 0
	v_mov_b32_e32 v2, s60
	ds_write_b32 v1, v2 offset:4108
; %bb.240:
	s_or_b64 exec, exec, s[6:7]
	v_mov_b32_e32 v1, 0
	s_waitcnt lgkmcnt(0)
	s_barrier
	ds_read_b32 v1, v1 offset:4108
	s_waitcnt lgkmcnt(0)
	v_min_i32_e32 v2, s60, v1
	v_cmp_lt_i32_e32 vcc, v0, v2
	s_and_saveexec_b64 s[6:7], vcc
	s_cbranch_execz .LBB9_250
; %bb.241:
	s_mov_b64 s[8:9], 0
	v_mov_b32_e32 v3, s73
                                        ; implicit-def: $sgpr10_sgpr11
                                        ; implicit-def: $sgpr14_sgpr15
                                        ; implicit-def: $sgpr12_sgpr13
	s_branch .LBB9_243
.LBB9_242:                              ;   in Loop: Header=BB9_243 Depth=1
	s_or_b64 exec, exec, s[16:17]
	s_and_b64 s[0:1], exec, s[14:15]
	s_or_b64 s[8:9], s[0:1], s[8:9]
	s_andn2_b64 s[0:1], s[10:11], exec
	s_and_b64 s[10:11], s[12:13], exec
	s_or_b64 s[10:11], s[0:1], s[10:11]
	s_andn2_b64 exec, exec, s[8:9]
	s_cbranch_execz .LBB9_245
.LBB9_243:                              ; =>This Inner Loop Header: Depth=1
	v_ashrrev_i32_e32 v1, 31, v9
	v_add_co_u32_e32 v4, vcc, s72, v9
	v_addc_co_u32_e32 v5, vcc, v3, v1, vcc
	global_load_ubyte v4, v[4:5], off
	v_mov_b32_e32 v1, v0
	s_or_b64 s[12:13], s[12:13], exec
	s_or_b64 s[14:15], s[14:15], exec
                                        ; implicit-def: $vgpr0
	s_waitcnt vmcnt(0)
	v_cmp_ne_u16_sdwa s[0:1], v4, v28 src0_sel:DWORD src1_sel:BYTE_0
	s_and_saveexec_b64 s[16:17], s[0:1]
	s_cbranch_execz .LBB9_242
; %bb.244:                              ;   in Loop: Header=BB9_243 Depth=1
	v_add_u32_e32 v0, s62, v1
	v_cmp_ge_i32_e32 vcc, v0, v2
	s_andn2_b64 s[0:1], s[14:15], exec
	s_and_b64 s[14:15], vcc, exec
	v_add_u32_e32 v9, s18, v9
	s_andn2_b64 s[12:13], s[12:13], exec
	s_or_b64 s[14:15], s[0:1], s[14:15]
	s_branch .LBB9_242
.LBB9_245:
	s_or_b64 exec, exec, s[8:9]
	s_and_saveexec_b64 s[0:1], s[10:11]
	s_xor_b64 s[0:1], exec, s[0:1]
	s_cbranch_execz .LBB9_250
; %bb.246:
	s_mov_b64 s[8:9], exec
	s_brev_b32 s0, -2
.LBB9_247:                              ; =>This Inner Loop Header: Depth=1
	s_ff1_i32_b64 s1, s[8:9]
	v_readlane_b32 s12, v1, s1
	s_lshl_b64 s[10:11], 1, s1
	s_min_i32 s0, s0, s12
	s_andn2_b64 s[8:9], s[8:9], s[10:11]
	s_cmp_lg_u64 s[8:9], 0
	s_cbranch_scc1 .LBB9_247
; %bb.248:
	v_mbcnt_lo_u32_b32 v0, exec_lo, 0
	v_mbcnt_hi_u32_b32 v0, exec_hi, v0
	v_cmp_eq_u32_e32 vcc, 0, v0
	s_and_saveexec_b64 s[8:9], vcc
	s_xor_b64 s[8:9], exec, s[8:9]
; %bb.249:
	v_mov_b32_e32 v0, 0
	v_mov_b32_e32 v1, s0
	ds_min_i32 v0, v1 offset:4108
.LBB9_250:
	s_or_b64 exec, exec, s[6:7]
	s_waitcnt lgkmcnt(0)
	s_barrier
	s_mov_b64 s[6:7], exec
	v_readlane_b32 s0, v43, 12
	v_readlane_b32 s1, v43, 13
	s_and_b64 s[0:1], s[6:7], s[0:1]
	s_mov_b64 exec, s[0:1]
	s_cbranch_execz .LBB9_252
; %bb.251:
	v_readlane_b32 s10, v43, 8
	v_readlane_b32 s11, v43, 9
	s_mul_i32 s1, s11, s10
	v_readlane_b32 s0, v43, 15
	s_sub_i32 s1, s22, s1
	s_xor_b32 s0, s21, s0
	s_add_i32 s8, s11, 1
	s_sub_i32 s9, s1, s10
	s_cmp_ge_u32 s1, s10
	s_cselect_b32 s8, s8, s11
	s_cselect_b32 s1, s9, s1
	s_add_i32 s9, s8, 1
	s_cmp_ge_u32 s1, s10
	s_cselect_b32 s1, s9, s8
	s_xor_b32 s1, s1, s0
	s_sub_i32 s0, s1, s0
	s_mul_i32 s1, s0, s23
	v_readlane_b32 s8, v43, 6
	s_sub_i32 s1, s19, s1
	v_readlane_b32 s9, v43, 7
	v_readlane_b32 s11, v43, 10
	;; [unrolled: 1-line block ×3, first 2 shown]
	s_mul_i32 s1, s1, s9
	s_mul_i32 s0, s0, s8
	s_mul_i32 s8, s12, s11
	s_add_i32 s1, s0, s1
	v_readlane_b32 s0, v43, 17
	s_sub_i32 s8, s22, s8
	s_xor_b32 s0, s21, s0
	s_add_i32 s9, s12, 1
	s_sub_i32 s10, s8, s11
	s_cmp_ge_u32 s8, s11
	s_cselect_b32 s9, s9, s12
	s_cselect_b32 s8, s10, s8
	s_add_i32 s10, s9, 1
	s_cmp_ge_u32 s8, s11
	s_cselect_b32 s8, s10, s9
	s_xor_b32 s8, s8, s0
	s_sub_i32 s0, s8, s0
	s_mul_i32 s8, s0, s20
	v_readlane_b32 s10, v43, 2
	s_sub_i32 s8, s19, s8
	v_readlane_b32 s11, v43, 3
	s_mul_i32 s8, s8, s11
	s_mul_i32 s0, s0, s10
	v_mov_b32_e32 v2, 0
	s_add_i32 s0, s0, s8
	s_ashr_i32 s9, s1, 31
	v_readlane_b32 s10, v43, 0
	ds_read_b32 v0, v2 offset:4108
	v_readlane_b32 s11, v43, 1
	s_add_u32 s8, s10, s1
	s_addc_u32 s9, s11, s9
	s_ashr_i32 s1, s0, 31
	s_lshl_b64 s[0:1], s[0:1], 3
	v_readlane_b32 s10, v43, 4
	v_readlane_b32 s11, v43, 5
	s_add_u32 s0, s10, s0
	s_addc_u32 s1, s11, s1
	s_waitcnt lgkmcnt(0)
	v_ashrrev_i32_e32 v1, 31, v0
	global_store_dwordx2 v2, v[0:1], s[0:1]
	global_store_byte v2, v28, s[8:9]
.LBB9_252:
	s_or_b64 exec, exec, s[6:7]
.LBB9_253:
	s_or_saveexec_b64 s[0:1], s[4:5]
	s_mov_b64 s[4:5], 0
	s_xor_b64 exec, exec, s[0:1]
	s_cbranch_execnz .LBB9_256
.LBB9_254:
	s_or_b64 exec, exec, s[0:1]
	s_and_b64 s[4:5], s[4:5], exec
	s_andn2_saveexec_b64 s[0:1], s[2:3]
	s_cbranch_execz .LBB9_232
.LBB9_255:
	s_or_b64 s[4:5], s[4:5], exec
	s_trap 2
	s_or_b64 exec, exec, s[0:1]
	s_and_saveexec_b64 s[0:1], s[4:5]
	s_cbranch_execnz .LBB9_233
	s_branch .LBB9_234
.LBB9_256:
	s_mov_b64 s[4:5], exec
	s_trap 2
	s_branch .LBB9_254
	.section	.rodata,"a",@progbits
	.p2align	6, 0x0
	.amdhsa_kernel _ZN2at6native12_GLOBAL__N_114gatherKthValueIaiLi2EEEvNS_4cuda6detail10TensorInfoIKT_T0_EES8_S8_S8_S8_NS5_IS6_S8_EENS5_IlS8_EE
		.amdhsa_group_segment_fixed_size 4112
		.amdhsa_private_segment_fixed_size 0
		.amdhsa_kernarg_size 920
		.amdhsa_user_sgpr_count 6
		.amdhsa_user_sgpr_private_segment_buffer 1
		.amdhsa_user_sgpr_dispatch_ptr 0
		.amdhsa_user_sgpr_queue_ptr 0
		.amdhsa_user_sgpr_kernarg_segment_ptr 1
		.amdhsa_user_sgpr_dispatch_id 0
		.amdhsa_user_sgpr_flat_scratch_init 0
		.amdhsa_user_sgpr_private_segment_size 0
		.amdhsa_uses_dynamic_stack 0
		.amdhsa_system_sgpr_private_segment_wavefront_offset 0
		.amdhsa_system_sgpr_workgroup_id_x 1
		.amdhsa_system_sgpr_workgroup_id_y 1
		.amdhsa_system_sgpr_workgroup_id_z 1
		.amdhsa_system_sgpr_workgroup_info 0
		.amdhsa_system_vgpr_workitem_id 0
		.amdhsa_next_free_vgpr 44
		.amdhsa_next_free_sgpr 96
		.amdhsa_reserve_vcc 1
		.amdhsa_reserve_flat_scratch 0
		.amdhsa_float_round_mode_32 0
		.amdhsa_float_round_mode_16_64 0
		.amdhsa_float_denorm_mode_32 3
		.amdhsa_float_denorm_mode_16_64 3
		.amdhsa_dx10_clamp 1
		.amdhsa_ieee_mode 1
		.amdhsa_fp16_overflow 0
		.amdhsa_exception_fp_ieee_invalid_op 0
		.amdhsa_exception_fp_denorm_src 0
		.amdhsa_exception_fp_ieee_div_zero 0
		.amdhsa_exception_fp_ieee_overflow 0
		.amdhsa_exception_fp_ieee_underflow 0
		.amdhsa_exception_fp_ieee_inexact 0
		.amdhsa_exception_int_div_zero 0
	.end_amdhsa_kernel
	.section	.text._ZN2at6native12_GLOBAL__N_114gatherKthValueIaiLi2EEEvNS_4cuda6detail10TensorInfoIKT_T0_EES8_S8_S8_S8_NS5_IS6_S8_EENS5_IlS8_EE,"axG",@progbits,_ZN2at6native12_GLOBAL__N_114gatherKthValueIaiLi2EEEvNS_4cuda6detail10TensorInfoIKT_T0_EES8_S8_S8_S8_NS5_IS6_S8_EENS5_IlS8_EE,comdat
.Lfunc_end9:
	.size	_ZN2at6native12_GLOBAL__N_114gatherKthValueIaiLi2EEEvNS_4cuda6detail10TensorInfoIKT_T0_EES8_S8_S8_S8_NS5_IS6_S8_EENS5_IlS8_EE, .Lfunc_end9-_ZN2at6native12_GLOBAL__N_114gatherKthValueIaiLi2EEEvNS_4cuda6detail10TensorInfoIKT_T0_EES8_S8_S8_S8_NS5_IS6_S8_EENS5_IlS8_EE
                                        ; -- End function
	.set _ZN2at6native12_GLOBAL__N_114gatherKthValueIaiLi2EEEvNS_4cuda6detail10TensorInfoIKT_T0_EES8_S8_S8_S8_NS5_IS6_S8_EENS5_IlS8_EE.num_vgpr, 44
	.set _ZN2at6native12_GLOBAL__N_114gatherKthValueIaiLi2EEEvNS_4cuda6detail10TensorInfoIKT_T0_EES8_S8_S8_S8_NS5_IS6_S8_EENS5_IlS8_EE.num_agpr, 0
	.set _ZN2at6native12_GLOBAL__N_114gatherKthValueIaiLi2EEEvNS_4cuda6detail10TensorInfoIKT_T0_EES8_S8_S8_S8_NS5_IS6_S8_EENS5_IlS8_EE.numbered_sgpr, 96
	.set _ZN2at6native12_GLOBAL__N_114gatherKthValueIaiLi2EEEvNS_4cuda6detail10TensorInfoIKT_T0_EES8_S8_S8_S8_NS5_IS6_S8_EENS5_IlS8_EE.num_named_barrier, 0
	.set _ZN2at6native12_GLOBAL__N_114gatherKthValueIaiLi2EEEvNS_4cuda6detail10TensorInfoIKT_T0_EES8_S8_S8_S8_NS5_IS6_S8_EENS5_IlS8_EE.private_seg_size, 0
	.set _ZN2at6native12_GLOBAL__N_114gatherKthValueIaiLi2EEEvNS_4cuda6detail10TensorInfoIKT_T0_EES8_S8_S8_S8_NS5_IS6_S8_EENS5_IlS8_EE.uses_vcc, 1
	.set _ZN2at6native12_GLOBAL__N_114gatherKthValueIaiLi2EEEvNS_4cuda6detail10TensorInfoIKT_T0_EES8_S8_S8_S8_NS5_IS6_S8_EENS5_IlS8_EE.uses_flat_scratch, 0
	.set _ZN2at6native12_GLOBAL__N_114gatherKthValueIaiLi2EEEvNS_4cuda6detail10TensorInfoIKT_T0_EES8_S8_S8_S8_NS5_IS6_S8_EENS5_IlS8_EE.has_dyn_sized_stack, 0
	.set _ZN2at6native12_GLOBAL__N_114gatherKthValueIaiLi2EEEvNS_4cuda6detail10TensorInfoIKT_T0_EES8_S8_S8_S8_NS5_IS6_S8_EENS5_IlS8_EE.has_recursion, 0
	.set _ZN2at6native12_GLOBAL__N_114gatherKthValueIaiLi2EEEvNS_4cuda6detail10TensorInfoIKT_T0_EES8_S8_S8_S8_NS5_IS6_S8_EENS5_IlS8_EE.has_indirect_call, 0
	.section	.AMDGPU.csdata,"",@progbits
; Kernel info:
; codeLenInByte = 9580
; TotalNumSgprs: 100
; NumVgprs: 44
; ScratchSize: 0
; MemoryBound: 0
; FloatMode: 240
; IeeeMode: 1
; LDSByteSize: 4112 bytes/workgroup (compile time only)
; SGPRBlocks: 12
; VGPRBlocks: 10
; NumSGPRsForWavesPerEU: 100
; NumVGPRsForWavesPerEU: 44
; Occupancy: 5
; WaveLimiterHint : 1
; COMPUTE_PGM_RSRC2:SCRATCH_EN: 0
; COMPUTE_PGM_RSRC2:USER_SGPR: 6
; COMPUTE_PGM_RSRC2:TRAP_HANDLER: 0
; COMPUTE_PGM_RSRC2:TGID_X_EN: 1
; COMPUTE_PGM_RSRC2:TGID_Y_EN: 1
; COMPUTE_PGM_RSRC2:TGID_Z_EN: 1
; COMPUTE_PGM_RSRC2:TIDIG_COMP_CNT: 0
	.section	.text._ZN2at6native12_GLOBAL__N_114gatherKthValueIaiLi3EEEvNS_4cuda6detail10TensorInfoIKT_T0_EES8_S8_S8_S8_NS5_IS6_S8_EENS5_IlS8_EE,"axG",@progbits,_ZN2at6native12_GLOBAL__N_114gatherKthValueIaiLi3EEEvNS_4cuda6detail10TensorInfoIKT_T0_EES8_S8_S8_S8_NS5_IS6_S8_EENS5_IlS8_EE,comdat
	.globl	_ZN2at6native12_GLOBAL__N_114gatherKthValueIaiLi3EEEvNS_4cuda6detail10TensorInfoIKT_T0_EES8_S8_S8_S8_NS5_IS6_S8_EENS5_IlS8_EE ; -- Begin function _ZN2at6native12_GLOBAL__N_114gatherKthValueIaiLi3EEEvNS_4cuda6detail10TensorInfoIKT_T0_EES8_S8_S8_S8_NS5_IS6_S8_EENS5_IlS8_EE
	.p2align	8
	.type	_ZN2at6native12_GLOBAL__N_114gatherKthValueIaiLi3EEEvNS_4cuda6detail10TensorInfoIKT_T0_EES8_S8_S8_S8_NS5_IS6_S8_EENS5_IlS8_EE,@function
_ZN2at6native12_GLOBAL__N_114gatherKthValueIaiLi3EEEvNS_4cuda6detail10TensorInfoIKT_T0_EES8_S8_S8_S8_NS5_IS6_S8_EENS5_IlS8_EE: ; @_ZN2at6native12_GLOBAL__N_114gatherKthValueIaiLi3EEEvNS_4cuda6detail10TensorInfoIKT_T0_EES8_S8_S8_S8_NS5_IS6_S8_EENS5_IlS8_EE
; %bb.0:
	s_load_dwordx2 s[14:15], s[4:5], 0x298
	s_load_dwordx4 s[68:71], s[4:5], 0xd8
	s_add_u32 s12, s4, 0x298
	s_addc_u32 s13, s5, 0
	s_waitcnt lgkmcnt(0)
	s_mul_i32 s0, s15, s8
	s_add_i32 s0, s0, s7
	s_mul_i32 s0, s0, s14
	s_add_i32 s23, s0, s6
	s_cmp_ge_i32 s23, s70
	s_cbranch_scc1 .LBB10_234
; %bb.1:
	s_load_dwordx2 s[2:3], s[4:5], 0xc
	s_load_dwordx2 s[24:25], s[4:5], 0xf4
	s_ashr_i32 s8, s23, 31
	s_abs_i32 s9, s23
	s_load_dwordx4 s[28:31], s[4:5], 0x154
	s_waitcnt lgkmcnt(0)
	s_abs_i32 s0, s3
	v_cvt_f32_u32_e32 v1, s0
	s_ashr_i32 s1, s3, 31
	s_xor_b32 s7, s8, s1
	s_sub_i32 s1, 0, s0
	v_rcp_iflag_f32_e32 v1, v1
                                        ; implicit-def: $vgpr43 : SGPR spill to VGPR lane
                                        ; kill: killed $sgpr4 killed $sgpr5
	s_mov_b32 s90, 0
	v_writelane_b32 v43, s28, 0
	v_writelane_b32 v43, s29, 1
	v_mul_f32_e32 v1, 0x4f7ffffe, v1
	v_cvt_u32_f32_e32 v1, v1
	v_writelane_b32 v43, s30, 2
	v_writelane_b32 v43, s31, 3
	v_readfirstlane_b32 s10, v1
	s_mul_i32 s1, s1, s10
	s_mul_hi_u32 s1, s10, s1
	s_add_i32 s10, s10, s1
	s_mul_hi_u32 s1, s9, s10
	s_mul_i32 s10, s1, s0
	s_sub_i32 s10, s9, s10
	s_add_i32 s11, s1, 1
	s_sub_i32 s15, s10, s0
	s_cmp_ge_u32 s10, s0
	s_cselect_b32 s1, s11, s1
	s_cselect_b32 s10, s15, s10
	s_add_i32 s11, s1, 1
	s_cmp_ge_u32 s10, s0
	s_cselect_b32 s10, s11, s1
	s_abs_i32 s0, s2
	v_cvt_f32_u32_e32 v1, s0
	s_abs_i32 s16, s25
	v_cvt_f32_u32_e32 v2, s16
	s_xor_b32 s10, s10, s7
	v_rcp_iflag_f32_e32 v1, v1
	s_sub_i32 s17, 0, s0
	v_rcp_iflag_f32_e32 v2, v2
	s_sub_i32 s7, s10, s7
	v_mul_f32_e32 v1, 0x4f7ffffe, v1
	v_cvt_u32_f32_e32 v1, v1
	v_mul_f32_e32 v2, 0x4f7ffffe, v2
	v_cvt_u32_f32_e32 v2, v2
	s_ashr_i32 s11, s25, 31
	v_readfirstlane_b32 s10, v1
	s_mul_i32 s17, s17, s10
	s_mul_hi_u32 s17, s10, s17
	s_add_i32 s19, s10, s17
	s_sub_i32 s10, 0, s16
	v_readfirstlane_b32 s17, v2
	s_mul_i32 s10, s10, s17
	s_mul_hi_u32 s10, s17, s10
	s_add_i32 s17, s17, s10
	s_mul_hi_u32 s10, s9, s17
	s_mul_i32 s17, s10, s16
	s_sub_i32 s17, s9, s17
	s_ashr_i32 s1, s2, 31
	s_xor_b32 s11, s8, s11
	s_ashr_i32 s15, s7, 31
	s_abs_i32 s18, s7
	s_add_i32 s20, s10, 1
	s_sub_i32 s21, s17, s16
	s_cmp_ge_u32 s17, s16
	s_cselect_b32 s10, s20, s10
	s_cselect_b32 s17, s21, s17
	s_add_i32 s20, s10, 1
	s_cmp_ge_u32 s17, s16
	s_cselect_b32 s10, s20, s10
	s_abs_i32 s22, s24
	v_cvt_f32_u32_e32 v1, s22
	s_load_dwordx2 s[16:17], s[4:5], 0x0
	s_load_dwordx4 s[28:31], s[4:5], 0x22c
	s_load_dwordx2 s[26:27], s[4:5], 0x1cc
	s_load_dwordx2 s[20:21], s[4:5], 0x1c0
	s_xor_b32 s10, s10, s11
	v_rcp_iflag_f32_e32 v1, v1
	s_waitcnt lgkmcnt(0)
	v_writelane_b32 v43, s28, 4
	v_writelane_b32 v43, s29, 5
	;; [unrolled: 1-line block ×4, first 2 shown]
	s_sub_i32 s28, s10, s11
	v_mul_f32_e32 v1, 0x4f7ffffe, v1
	s_abs_i32 s10, s27
	v_cvt_u32_f32_e32 v1, v1
	v_cvt_f32_u32_e32 v2, s10
	v_writelane_b32 v43, s20, 8
	v_writelane_b32 v43, s21, 9
	v_readfirstlane_b32 s20, v1
	v_rcp_iflag_f32_e32 v1, v2
	s_sub_i32 s11, 0, s22
	s_mul_i32 s11, s11, s20
	s_mul_hi_u32 s11, s20, s11
	v_mul_f32_e32 v1, 0x4f7ffffe, v1
	v_cvt_u32_f32_e32 v1, v1
	s_add_i32 s20, s20, s11
	s_ashr_i32 s11, s27, 31
	s_xor_b32 s21, s8, s11
	s_sub_i32 s8, 0, s10
	v_readfirstlane_b32 s11, v1
	s_mul_i32 s8, s8, s11
	s_mul_hi_u32 s8, s11, s8
	s_add_i32 s11, s11, s8
	s_mul_hi_u32 s8, s9, s11
	s_mul_i32 s11, s8, s10
	s_sub_i32 s9, s9, s11
	s_abs_i32 s29, s28
	v_writelane_b32 v43, s22, 10
	s_add_i32 s11, s8, 1
	s_sub_i32 s22, s9, s10
	s_cmp_ge_u32 s9, s10
	s_cselect_b32 s8, s11, s8
	s_cselect_b32 s9, s22, s9
	s_add_i32 s11, s8, 1
	s_cmp_ge_u32 s9, s10
	s_cselect_b32 s22, s11, s8
	s_abs_i32 s30, s26
	v_cvt_f32_u32_e32 v1, s30
	s_load_dwordx2 s[8:9], s[4:5], 0xe8
	v_rcp_iflag_f32_e32 v1, v1
	s_waitcnt lgkmcnt(0)
	v_writelane_b32 v43, s8, 11
	v_writelane_b32 v43, s9, 12
	v_mul_f32_e32 v1, 0x4f7ffffe, v1
	v_cvt_u32_f32_e32 v1, v1
	s_load_dwordx4 s[8:11], s[4:5], 0x6c
	v_writelane_b32 v43, s29, 13
	s_mul_hi_u32 s4, s29, s20
	v_writelane_b32 v43, s4, 14
	s_xor_b32 s4, s22, s21
	s_waitcnt lgkmcnt(0)
	s_mul_hi_u32 s11, s18, s19
	s_sub_i32 s19, s4, s21
	s_sub_i32 s4, 0, s30
	v_readfirstlane_b32 s5, v1
	s_mul_i32 s4, s4, s5
	s_mul_hi_u32 s4, s5, s4
	s_abs_i32 s20, s19
	v_writelane_b32 v43, s30, 15
	s_add_i32 s5, s5, s4
	v_writelane_b32 v43, s20, 16
	s_mul_hi_u32 s4, s20, s5
	v_writelane_b32 v43, s4, 17
	v_cmp_eq_u32_e64 s[20:21], 0, v0
	s_mov_b64 s[4:5], exec
	v_writelane_b32 v43, s20, 18
	v_writelane_b32 v43, s21, 19
	s_and_b64 s[20:21], s[4:5], s[20:21]
	s_mov_b64 exec, s[20:21]
; %bb.2:
	v_mov_b32_e32 v1, 0
	v_mov_b32_e32 v2, s68
	;; [unrolled: 1-line block ×3, first 2 shown]
	ds_write_b96 v1, v[1:3] offset:4096
; %bb.3:
	s_or_b64 exec, exec, s[4:5]
	v_writelane_b32 v43, s28, 20
	s_ashr_i32 s4, s28, 31
	v_writelane_b32 v43, s4, 21
	v_writelane_b32 v43, s24, 22
	;; [unrolled: 1-line block ×3, first 2 shown]
	s_ashr_i32 s4, s24, 31
	v_writelane_b32 v43, s4, 24
	v_writelane_b32 v43, s19, 25
	s_ashr_i32 s4, s19, 31
	v_writelane_b32 v43, s4, 26
	v_writelane_b32 v43, s26, 27
	;; [unrolled: 1-line block ×3, first 2 shown]
	s_ashr_i32 s4, s26, 31
	v_writelane_b32 v43, s4, 29
	s_mul_i32 s3, s7, s3
	s_mul_i32 s4, s11, s0
	s_sub_i32 s3, s23, s3
	s_sub_i32 s4, s18, s4
	s_mul_i32 s3, s3, s10
	s_xor_b32 s1, s15, s1
	s_add_i32 s5, s11, 1
	s_sub_i32 s10, s4, s0
	s_cmp_ge_u32 s4, s0
	s_cselect_b32 s5, s5, s11
	s_cselect_b32 s4, s10, s4
	s_add_i32 s10, s5, 1
	s_cmp_ge_u32 s4, s0
	s_cselect_b32 s0, s10, s5
	s_xor_b32 s0, s0, s1
	s_sub_i32 s0, s0, s1
	s_mul_i32 s1, s0, s2
	s_sub_i32 s1, s7, s1
	s_mul_i32 s1, s1, s9
	s_add_i32 s1, s1, s3
	s_mul_i32 s0, s0, s8
	s_waitcnt lgkmcnt(0)
	s_barrier
	s_load_dword s2, s[12:13], 0xc
	s_add_i32 s1, s1, s0
	v_mul_lo_u32 v9, s71, v0
	s_ashr_i32 s0, s1, 31
	v_mbcnt_lo_u32_b32 v1, -1, 0
	s_add_u32 s80, s16, s1
	v_mbcnt_hi_u32_b32 v11, -1, v1
	s_addc_u32 s81, s17, s0
	v_cmp_gt_u32_e32 vcc, 64, v0
	v_cmp_gt_i32_e64 s[4:5], 4, v11
	s_and_b64 s[82:83], vcc, s[4:5]
	v_mov_b32_e32 v1, s81
	v_add_co_u32_e32 v5, vcc, s80, v9
	s_waitcnt lgkmcnt(0)
	s_and_b32 s70, s2, 0xffff
	v_addc_co_u32_e32 v6, vcc, 0, v1, vcc
	v_lshlrev_b64 v[1:2], v11, -1
	s_add_i32 s1, s70, -1
	s_lshl_b32 s33, s70, 2
	s_bfe_u32 s0, s2, 0xa0006
	s_add_i32 s93, s1, s68
	v_not_b32_e32 v15, v1
	v_lshrrev_b32_e32 v1, 2, v0
	v_writelane_b32 v43, s23, 30
	s_cmpk_gt_i32 s68, 0xc00
	v_and_b32_e32 v1, 0xf0, v1
	v_writelane_b32 v43, s1, 31
	s_cselect_b64 s[84:85], -1, 0
	v_cmp_gt_u32_e64 s[8:9], s68, v0
	s_cmp_gt_u32 s70, 63
	v_or_b32_e32 v16, 0xc00, v1
	v_cvt_f32_u32_e32 v1, s33
	v_writelane_b32 v43, s8, 32
	s_cselect_b64 s[86:87], -1, 0
	s_cmp_lt_u32 s6, s14
	v_writelane_b32 v43, s9, 33
	v_cmp_gt_i32_e64 s[8:9], s68, v0
	s_cselect_b32 s1, 12, 18
	v_writelane_b32 v43, s8, 34
	s_add_u32 s6, s12, s1
	v_writelane_b32 v43, s9, 35
	s_addc_u32 s7, s13, 0
	v_rcp_iflag_f32_e32 v1, v1
	v_writelane_b32 v43, s6, 36
	s_add_i32 s1, s0, -1
	v_writelane_b32 v43, s7, 37
	s_bfe_u32 s6, s70, 0x30006
	s_and_b32 s1, s1, 0xffff
	s_cmp_gt_u32 s1, 6
	s_cselect_b64 s[8:9], -1, 0
	v_mul_f32_e32 v1, 0x4f7ffffe, v1
	v_writelane_b32 v43, s8, 38
	s_and_b32 s91, s0, 0x3f8
	v_cvt_u32_f32_e32 v1, v1
	v_writelane_b32 v43, s9, 39
	s_cmp_lg_u32 s6, 0
	v_writelane_b32 v43, s6, 40
	s_cselect_b64 s[0:1], -1, 0
	v_writelane_b32 v43, s0, 41
	v_writelane_b32 v43, s1, 42
	s_sub_i32 s0, 0, s33
	v_readfirstlane_b32 s1, v1
	s_mul_i32 s0, s0, s1
	s_mul_hi_u32 s0, s1, s0
	s_add_i32 s8, s1, s0
	s_mul_hi_u32 s0, s68, s8
	s_mul_i32 s0, s0, s33
	s_sub_i32 s0, s68, s0
	s_sub_i32 s1, s0, s33
	s_cmp_ge_u32 s0, s33
	s_cselect_b32 s0, s1, s0
	s_sub_i32 s1, s0, s33
	v_not_b32_e32 v14, v2
	s_cmp_ge_u32 s0, s33
	v_cvt_f32_u32_e32 v2, s70
	s_cselect_b32 s0, s1, s0
	s_sub_i32 s9, s68, s0
	v_add_u32_e32 v17, s9, v0
	v_mul_lo_u32 v1, v17, s71
	v_rcp_iflag_f32_e32 v2, v2
	s_sub_i32 s7, 0, s70
	s_abs_i32 s6, s93
	v_ashrrev_i32_e32 v4, 31, v1
	v_add_co_u32_e32 v7, vcc, s80, v1
	v_mul_f32_e32 v1, 0x4f7ffffe, v2
	v_cvt_u32_f32_e32 v1, v1
	s_ashr_i32 s1, s93, 31
	v_lshlrev_b32_e32 v10, 2, v0
	v_lshlrev_b32_e32 v3, 2, v11
	v_readfirstlane_b32 s16, v1
	s_mul_i32 s7, s7, s16
	s_mul_hi_u32 s7, s16, s7
	s_add_i32 s7, s16, s7
	v_writelane_b32 v43, s7, 43
	s_mul_hi_u32 s7, s6, s7
	s_mul_i32 s7, s7, s70
	s_sub_i32 s6, s6, s7
	s_sub_i32 s7, s6, s70
	s_cmp_ge_u32 s6, s70
	s_cselect_b32 s6, s7, s6
	s_sub_i32 s7, s6, s70
	v_mul_lo_u32 v1, s71, v10
	s_cmp_ge_u32 s6, s70
	s_cselect_b32 s6, s7, s6
	s_xor_b32 s6, s6, s1
	s_sub_i32 s1, s1, s6
	v_add_u32_e32 v18, s71, v1
	v_or_b32_e32 v1, 2, v10
	s_add_i32 s93, s93, s1
	v_mul_lo_u32 v19, s71, v1
	v_or_b32_e32 v1, 3, v10
	s_add_i32 s1, s70, s68
	v_mul_lo_u32 v21, s71, v1
	v_add_u32_e32 v1, s1, v0
	v_subrev_u32_e32 v1, s0, v1
	v_mul_lo_u32 v23, s71, v1
	v_mov_b32_e32 v8, s81
	v_cmp_gt_i32_e64 s[6:7], s93, v0
	s_mul_i32 s18, s71, s70
	v_cmp_eq_u32_e64 s[2:3], 0, v11
	v_cmp_gt_u32_e64 s[4:5], 2, v0
	v_mov_b32_e32 v12, 0
	v_and_b32_e32 v13, 0x100, v3
	v_cmp_gt_i32_e64 s[10:11], s9, v10
	v_cmp_gt_u32_e64 s[12:13], s68, v17
	v_addc_co_u32_e32 v8, vcc, v8, v4, vcc
	v_cmp_gt_i32_e64 s[14:15], s68, v17
	v_writelane_b32 v43, s6, 44
	s_lshl_b32 s88, s18, 2
	v_lshlrev_b32_e32 v22, 2, v9
	v_or_b32_e32 v24, 0xc00, v3
	s_mov_b64 s[94:95], 0
	v_mov_b32_e32 v26, 6
	v_mov_b32_e32 v29, s69
	s_movk_i32 s69, 0x80
	v_mov_b32_e32 v25, 8
	v_mov_b32_e32 v28, 0
	;; [unrolled: 1-line block ×4, first 2 shown]
	v_writelane_b32 v43, s7, 45
                                        ; implicit-def: $sgpr74_sgpr75
                                        ; implicit-def: $sgpr60_sgpr61
                                        ; implicit-def: $sgpr78_sgpr79
                                        ; implicit-def: $sgpr64_sgpr65
                                        ; implicit-def: $sgpr66_sgpr67
                                        ; implicit-def: $sgpr62_sgpr63
	s_branch .LBB10_7
.LBB10_4:                               ;   in Loop: Header=BB10_7 Depth=1
	s_or_b64 exec, exec, s[30:31]
	s_and_b64 s[30:31], s[28:29], exec
	s_andn2_b64 s[26:27], s[26:27], exec
	s_andn2_b64 s[24:25], s[24:25], exec
	s_orn2_b64 s[20:21], s[20:21], exec
.LBB10_5:                               ;   in Loop: Header=BB10_7 Depth=1
	s_or_b64 exec, exec, s[22:23]
	s_andn2_b64 s[16:17], s[62:63], exec
	s_and_b64 s[22:23], s[30:31], exec
	s_or_b64 s[62:63], s[16:17], s[22:23]
	s_andn2_b64 s[16:17], s[66:67], exec
	s_and_b64 s[22:23], s[26:27], exec
	s_or_b64 s[66:67], s[16:17], s[22:23]
	;; [unrolled: 3-line block ×3, first 2 shown]
	s_orn2_b64 s[20:21], s[20:21], exec
.LBB10_6:                               ;   in Loop: Header=BB10_7 Depth=1
	s_or_b64 exec, exec, s[6:7]
	s_and_b64 s[6:7], exec, s[20:21]
	s_or_b64 s[94:95], s[6:7], s[94:95]
	s_andn2_b64 s[6:7], s[78:79], exec
	s_and_b64 s[16:17], s[62:63], exec
	s_or_b64 s[78:79], s[6:7], s[16:17]
	s_andn2_b64 s[6:7], s[60:61], exec
	s_and_b64 s[16:17], s[66:67], exec
	;; [unrolled: 3-line block ×3, first 2 shown]
	s_or_b64 s[74:75], s[6:7], s[16:17]
	s_mov_b32 s90, s0
	v_mov_b32_e32 v29, v4
	s_andn2_b64 exec, exec, s[94:95]
	s_cbranch_execz .LBB10_230
.LBB10_7:                               ; =>This Loop Header: Depth=1
                                        ;     Child Loop BB10_12 Depth 2
                                        ;     Child Loop BB10_27 Depth 2
	;; [unrolled: 1-line block ×16, first 2 shown]
	ds_read_b64 v[1:2], v12 offset:4096
	s_waitcnt lgkmcnt(0)
	v_readfirstlane_b32 s89, v1
	s_cmp_gt_i32 s89, 0
	s_cbranch_scc1 .LBB10_34
; %bb.8:                                ;   in Loop: Header=BB10_7 Depth=1
	s_and_b64 vcc, exec, s[84:85]
	s_cbranch_vccz .LBB10_20
; %bb.9:                                ;   in Loop: Header=BB10_7 Depth=1
	s_movk_i32 s0, 0xc01
	v_cmp_gt_i32_e32 vcc, s0, v2
	s_mov_b64 s[20:21], 0
	s_mov_b64 s[6:7], 0
	s_cbranch_vccz .LBB10_21
; %bb.10:                               ;   in Loop: Header=BB10_7 Depth=1
	v_readlane_b32 s0, v43, 36
	v_readlane_b32 s1, v43, 37
	s_nop 4
	global_load_ushort v1, v12, s[0:1]
	global_load_ubyte v4, v[5:6], off
	s_mov_b64 s[22:23], 0
	v_mov_b32_e32 v30, v0
	s_waitcnt vmcnt(1)
	v_add_u32_e32 v2, v0, v1
	v_mul_lo_u32 v2, s71, v2
	v_mul_lo_u32 v3, s71, v1
	s_branch .LBB10_12
.LBB10_11:                              ;   in Loop: Header=BB10_12 Depth=2
	s_or_b64 exec, exec, s[6:7]
	v_cmp_le_i32_e32 vcc, s68, v30
	v_add_u32_e32 v2, v2, v3
	s_or_b64 s[22:23], vcc, s[22:23]
	v_mov_b32_e32 v4, v31
	s_andn2_b64 exec, exec, s[22:23]
	s_cbranch_execz .LBB10_66
.LBB10_12:                              ;   Parent Loop BB10_7 Depth=1
                                        ; =>  This Inner Loop Header: Depth=2
	v_add_u32_e32 v30, v30, v1
	v_cmp_gt_u32_e32 vcc, s68, v30
	s_waitcnt lgkmcnt(0)
	v_mov_b32_e32 v32, 0
	v_mov_b32_e32 v31, 0
	s_and_saveexec_b64 s[6:7], vcc
	s_cbranch_execz .LBB10_14
; %bb.13:                               ;   in Loop: Header=BB10_12 Depth=2
	global_load_ubyte v31, v2, s[80:81]
.LBB10_14:                              ;   in Loop: Header=BB10_12 Depth=2
	s_or_b64 exec, exec, s[6:7]
	s_waitcnt vmcnt(0)
	v_add_u32_sdwa v33, sext(v4), s69 dst_sel:DWORD dst_unused:UNUSED_PAD src0_sel:BYTE_0 src1_sel:DWORD
	v_and_b32_e32 v33, v33, v27
	v_cmp_eq_u32_e32 vcc, v33, v20
	s_cmp_lg_u64 vcc, 0
	s_cselect_b64 s[0:1], -1, 0
	s_and_b64 s[0:1], s[2:3], s[0:1]
	s_and_saveexec_b64 s[24:25], s[0:1]
	s_cbranch_execz .LBB10_18
; %bb.15:                               ;   in Loop: Header=BB10_12 Depth=2
	s_mov_b64 s[28:29], exec
	v_mbcnt_lo_u32_b32 v32, s28, 0
	v_mbcnt_hi_u32_b32 v32, s29, v32
	s_bcnt1_i32_b64 s0, vcc
	v_cmp_eq_u32_e64 s[6:7], 0, v32
                                        ; implicit-def: $vgpr33
	s_and_saveexec_b64 s[26:27], s[6:7]
; %bb.16:                               ;   in Loop: Header=BB10_12 Depth=2
	s_bcnt1_i32_b64 s1, s[28:29]
	s_mul_i32 s1, s0, s1
	v_mov_b32_e32 v33, s1
	ds_add_rtn_u32 v33, v12, v33 offset:4104
; %bb.17:                               ;   in Loop: Header=BB10_12 Depth=2
	s_or_b64 exec, exec, s[26:27]
	s_waitcnt lgkmcnt(0)
	v_readfirstlane_b32 s1, v33
	v_mov_b32_e32 v33, s1
	v_mad_u32_u24 v32, s0, v32, v33
.LBB10_18:                              ;   in Loop: Header=BB10_12 Depth=2
	s_or_b64 exec, exec, s[24:25]
	ds_bpermute_b32 v32, v13, v32
	s_and_saveexec_b64 s[6:7], vcc
	s_cbranch_execz .LBB10_11
; %bb.19:                               ;   in Loop: Header=BB10_12 Depth=2
	v_and_b32_e32 v34, vcc_lo, v15
	v_and_b32_e32 v33, vcc_hi, v14
	v_bcnt_u32_b32 v34, v34, 0
	v_bcnt_u32_b32 v33, v33, v34
	s_waitcnt lgkmcnt(0)
	v_add_u32_e32 v32, v32, v33
	ds_write_b8 v32, v4
	s_branch .LBB10_11
.LBB10_20:                              ;   in Loop: Header=BB10_7 Depth=1
	s_mov_b64 s[20:21], -1
	s_mov_b64 s[6:7], 0
.LBB10_21:                              ;   in Loop: Header=BB10_7 Depth=1
	s_and_b64 vcc, exec, s[20:21]
	s_cbranch_vccz .LBB10_32
.LBB10_22:                              ;   in Loop: Header=BB10_7 Depth=1
	v_mov_b32_e32 v1, 0
	s_mov_b64 s[6:7], exec
	v_readlane_b32 s0, v43, 32
	v_readlane_b32 s1, v43, 33
	s_and_b64 s[0:1], s[6:7], s[0:1]
	s_mov_b64 exec, s[0:1]
	s_cbranch_execz .LBB10_24
; %bb.23:                               ;   in Loop: Header=BB10_7 Depth=1
	global_load_ubyte v1, v[5:6], off
.LBB10_24:                              ;   in Loop: Header=BB10_7 Depth=1
	s_or_b64 exec, exec, s[6:7]
	s_mov_b64 s[6:7], exec
	v_readlane_b32 s0, v43, 34
	v_readlane_b32 s1, v43, 35
	s_and_b64 s[0:1], s[6:7], s[0:1]
	s_mov_b64 exec, s[0:1]
	s_cbranch_execz .LBB10_29
; %bb.25:                               ;   in Loop: Header=BB10_7 Depth=1
	v_readlane_b32 s0, v43, 36
	v_readlane_b32 s1, v43, 37
	s_mov_b64 s[20:21], 0
	v_mov_b32_e32 v30, v0
	s_nop 2
	global_load_ushort v2, v12, s[0:1]
	s_waitcnt vmcnt(0)
	v_add_u32_e32 v3, v0, v2
	v_mul_lo_u32 v3, s71, v3
	v_mul_lo_u32 v4, s71, v2
	s_branch .LBB10_27
.LBB10_26:                              ;   in Loop: Header=BB10_27 Depth=2
	s_or_b64 exec, exec, s[22:23]
	v_cmp_le_i32_e32 vcc, s68, v31
	ds_write_b8 v30, v1
	v_add_u32_e32 v3, v3, v4
	s_or_b64 s[20:21], vcc, s[20:21]
	s_waitcnt vmcnt(0)
	v_mov_b32_e32 v1, v32
	v_mov_b32_e32 v30, v31
	s_andn2_b64 exec, exec, s[20:21]
	s_cbranch_execz .LBB10_29
.LBB10_27:                              ;   Parent Loop BB10_7 Depth=1
                                        ; =>  This Inner Loop Header: Depth=2
	v_add_u32_e32 v31, v30, v2
	v_cmp_gt_u32_e32 vcc, s68, v31
	v_mov_b32_e32 v32, 0
	s_and_saveexec_b64 s[22:23], vcc
	s_cbranch_execz .LBB10_26
; %bb.28:                               ;   in Loop: Header=BB10_27 Depth=2
	global_load_ubyte v32, v3, s[80:81]
	s_branch .LBB10_26
.LBB10_29:                              ;   in Loop: Header=BB10_7 Depth=1
	s_or_b64 exec, exec, s[6:7]
	s_waitcnt vmcnt(0) lgkmcnt(0)
	s_barrier
	s_mov_b64 s[6:7], exec
	v_readlane_b32 s0, v43, 18
	v_readlane_b32 s1, v43, 19
	s_and_b64 s[0:1], s[6:7], s[0:1]
	s_mov_b64 exec, s[0:1]
; %bb.30:                               ;   in Loop: Header=BB10_7 Depth=1
	v_mov_b32_e32 v1, s68
	ds_write_b32 v12, v1 offset:4096
; %bb.31:                               ;   in Loop: Header=BB10_7 Depth=1
	s_or_b64 exec, exec, s[6:7]
	s_mov_b64 s[6:7], -1
	s_waitcnt lgkmcnt(0)
	s_barrier
.LBB10_32:                              ;   in Loop: Header=BB10_7 Depth=1
	s_and_b64 vcc, exec, s[6:7]
	s_cbranch_vccz .LBB10_34
; %bb.33:                               ;   in Loop: Header=BB10_7 Depth=1
	ds_read_b32 v1, v12 offset:4096
	s_waitcnt lgkmcnt(0)
	v_readfirstlane_b32 s89, v1
.LBB10_34:                              ;   in Loop: Header=BB10_7 Depth=1
	s_cmp_lt_i32 s89, 1
	s_mov_b64 s[6:7], -1
                                        ; implicit-def: $vgpr4
	s_cbranch_scc1 .LBB10_44
; %bb.35:                               ;   in Loop: Header=BB10_7 Depth=1
	s_and_b64 vcc, exec, s[6:7]
	s_cbranch_vccnz .LBB10_57
.LBB10_36:                              ;   in Loop: Header=BB10_7 Depth=1
	s_lshl_b32 s0, s90, 6
	s_and_saveexec_b64 s[6:7], s[2:3]
.LBB10_37:                              ;   in Loop: Header=BB10_7 Depth=1
	v_lshl_add_u32 v30, s0, 2, v16
	ds_write_b128 v30, v[1:4]
.LBB10_38:                              ;   in Loop: Header=BB10_7 Depth=1
	s_or_b64 exec, exec, s[6:7]
	s_waitcnt vmcnt(0) lgkmcnt(0)
	s_barrier
	s_and_saveexec_b64 s[6:7], s[82:83]
	s_cbranch_execz .LBB10_74
; %bb.39:                               ;   in Loop: Header=BB10_7 Depth=1
	s_andn2_b64 vcc, exec, s[86:87]
	v_mov_b32_e32 v1, 0
	s_cbranch_vccnz .LBB10_73
; %bb.40:                               ;   in Loop: Header=BB10_7 Depth=1
	v_readlane_b32 s16, v43, 38
	v_readlane_b32 s17, v43, 39
	s_andn2_b64 vcc, exec, s[16:17]
	s_cbranch_vccnz .LBB10_69
; %bb.41:                               ;   in Loop: Header=BB10_7 Depth=1
	v_lshl_add_u32 v2, s90, 8, v24
	s_mov_b32 s1, 0
	v_mov_b32_e32 v1, 0
.LBB10_42:                              ;   Parent Loop BB10_7 Depth=1
                                        ; =>  This Inner Loop Header: Depth=2
	ds_read2_b32 v[3:4], v2 offset1:4
	ds_read2_b32 v[30:31], v2 offset0:8 offset1:12
	ds_read2_b32 v[32:33], v2 offset0:16 offset1:20
	;; [unrolled: 1-line block ×3, first 2 shown]
	s_add_i32 s1, s1, 8
	s_waitcnt lgkmcnt(3)
	v_add3_u32 v1, v3, v1, v4
	s_waitcnt lgkmcnt(2)
	v_add3_u32 v1, v30, v1, v31
	s_waitcnt lgkmcnt(1)
	v_add3_u32 v1, v32, v1, v33
	v_add_u32_e32 v2, 0x80, v2
	s_cmp_eq_u32 s91, s1
	s_waitcnt lgkmcnt(0)
	v_add3_u32 v1, v34, v1, v35
	s_cbranch_scc0 .LBB10_42
; %bb.43:                               ;   in Loop: Header=BB10_7 Depth=1
	s_mov_b32 s1, s91
	s_branch .LBB10_70
.LBB10_44:                              ;   in Loop: Header=BB10_7 Depth=1
	v_mov_b32_e32 v1, 0
	v_mov_b32_e32 v2, 0
	;; [unrolled: 1-line block ×4, first 2 shown]
	s_and_saveexec_b64 s[72:73], s[10:11]
	s_cbranch_execnz .LBB10_47
; %bb.45:                               ;   in Loop: Header=BB10_7 Depth=1
	s_or_b64 exec, exec, s[72:73]
	v_mov_b32_e32 v32, 0
	s_and_saveexec_b64 s[6:7], s[12:13]
	s_cbranch_execnz .LBB10_50
.LBB10_46:                              ;   in Loop: Header=BB10_7 Depth=1
	s_or_b64 exec, exec, s[6:7]
	s_and_saveexec_b64 s[20:21], s[14:15]
	s_cbranch_execnz .LBB10_51
	s_branch .LBB10_56
.LBB10_47:                              ;   in Loop: Header=BB10_7 Depth=1
	s_mov_b32 s16, 0
	s_mov_b64 s[76:77], 0
	s_mov_b32 s17, 0
	s_mov_b32 s19, 0
	;; [unrolled: 1-line block ×4, first 2 shown]
	v_mov_b32_e32 v30, v10
.LBB10_48:                              ;   Parent Loop BB10_7 Depth=1
                                        ; =>  This Inner Loop Header: Depth=2
	v_add_u32_e32 v2, s16, v22
	v_add_u32_e32 v3, s16, v18
	v_mov_b32_e32 v1, s81
	v_add_u32_e32 v4, s16, v19
	v_add_u32_e32 v31, s16, v21
	v_ashrrev_i32_e32 v33, 31, v2
	v_ashrrev_i32_e32 v35, 31, v3
	v_add_co_u32_e64 v3, s[6:7], s80, v3
	v_add_co_u32_e64 v36, s[24:25], s80, v2
	v_ashrrev_i32_e32 v38, 31, v4
	v_add_co_u32_e64 v32, s[20:21], s80, v4
	v_ashrrev_i32_e32 v39, 31, v31
	v_add_co_u32_e64 v34, s[22:23], s80, v31
	v_addc_co_u32_e64 v37, s[24:25], v1, v33, s[24:25]
	v_addc_co_u32_e64 v4, s[6:7], v1, v35, s[6:7]
	;; [unrolled: 1-line block ×4, first 2 shown]
	global_load_sbyte v1, v[36:37], off
	global_load_sbyte v2, v[3:4], off
	s_nop 0
	global_load_sbyte v3, v[32:33], off
	global_load_sbyte v4, v[34:35], off
	v_add_u32_e32 v30, s33, v30
	s_add_i32 s16, s16, s88
	v_cmp_le_i32_e32 vcc, s9, v30
	s_waitcnt vmcnt(3)
	v_add_u32_e32 v1, 0x80, v1
	s_waitcnt vmcnt(2)
	v_add_u32_e32 v2, 0x80, v2
	v_and_b32_e32 v31, v1, v27
	v_bfe_u32 v1, v1, v26, 2
	s_waitcnt vmcnt(1)
	v_add_u32_e32 v3, 0x80, v3
	v_and_b32_e32 v32, v2, v27
	v_bfe_u32 v2, v2, v26, 2
	v_cmp_eq_u32_e64 s[6:7], v31, v20
	v_cmp_eq_u32_e64 s[26:27], 0, v1
	s_waitcnt vmcnt(0)
	v_add_u32_e32 v4, 0x80, v4
	v_and_b32_e32 v33, v3, v27
	v_bfe_u32 v3, v3, v26, 2
	v_cmp_eq_u32_e64 s[20:21], v32, v20
	v_cmp_eq_u32_e64 s[28:29], 0, v2
	s_and_b64 s[26:27], s[6:7], s[26:27]
	v_and_b32_e32 v34, v4, v27
	v_bfe_u32 v4, v4, v26, 2
	v_cmp_eq_u32_e64 s[22:23], v33, v20
	v_cmp_eq_u32_e64 s[30:31], 0, v3
	;; [unrolled: 1-line block ×5, first 2 shown]
	v_cndmask_b32_e64 v1, 0, 1, s[26:27]
	s_and_b64 s[26:27], s[20:21], s[28:29]
	v_cmp_eq_u32_e64 s[24:25], v34, v20
	v_cmp_eq_u32_e64 s[34:35], 0, v4
	;; [unrolled: 1-line block ×5, first 2 shown]
	v_cndmask_b32_e64 v2, 0, 1, s[26:27]
	s_and_b64 s[26:27], s[22:23], s[30:31]
	v_cmp_eq_u32_e64 s[40:41], 1, v3
	v_cmp_eq_u32_e64 s[48:49], 2, v3
	v_cmp_eq_u32_e64 s[56:57], 3, v3
	v_cndmask_b32_e64 v3, 0, 1, s[26:27]
	s_and_b64 s[26:27], s[24:25], s[34:35]
	v_cmp_eq_u32_e64 s[42:43], 1, v4
	v_cmp_eq_u32_e64 s[50:51], 2, v4
	;; [unrolled: 1-line block ×3, first 2 shown]
	v_cndmask_b32_e64 v4, 0, 1, s[26:27]
	s_and_b64 s[26:27], s[6:7], s[36:37]
	v_cndmask_b32_e64 v31, 0, 1, s[26:27]
	s_and_b64 s[26:27], s[20:21], s[38:39]
	;; [unrolled: 2-line block ×5, first 2 shown]
	s_and_b64 s[6:7], s[6:7], s[52:53]
	v_cndmask_b32_e64 v35, 0, 1, s[26:27]
	s_and_b64 s[26:27], s[20:21], s[46:47]
	v_cndmask_b32_e64 v39, 0, 1, s[6:7]
	s_and_b64 s[6:7], s[20:21], s[54:55]
	v_cndmask_b32_e64 v36, 0, 1, s[26:27]
	s_and_b64 s[26:27], s[22:23], s[48:49]
	v_cndmask_b32_e64 v40, 0, 1, s[6:7]
	s_and_b64 s[6:7], s[22:23], s[56:57]
	v_cndmask_b32_e64 v37, 0, 1, s[26:27]
	s_and_b64 s[26:27], s[24:25], s[50:51]
	v_cndmask_b32_e64 v41, 0, 1, s[6:7]
	s_and_b64 s[6:7], s[24:25], s[58:59]
	v_cndmask_b32_e64 v38, 0, 1, s[26:27]
	v_cndmask_b32_e64 v42, 0, 1, s[6:7]
	v_cmp_ne_u32_e64 s[6:7], 0, v1
	v_cmp_ne_u32_e64 s[20:21], 0, v2
	;; [unrolled: 1-line block ×11, first 2 shown]
	s_bcnt1_i32_b64 s1, s[6:7]
	s_bcnt1_i32_b64 s6, s[20:21]
	s_bcnt1_i32_b64 s7, s[22:23]
	s_bcnt1_i32_b64 s20, s[24:25]
	s_bcnt1_i32_b64 s21, s[26:27]
	s_bcnt1_i32_b64 s22, s[28:29]
	s_bcnt1_i32_b64 s25, s[36:37]
	s_bcnt1_i32_b64 s29, s[44:45]
	v_cmp_ne_u32_e64 s[40:41], 0, v37
	v_cmp_ne_u32_e64 s[48:49], 0, v41
	s_bcnt1_i32_b64 s23, s[30:31]
	s_bcnt1_i32_b64 s26, s[38:39]
	;; [unrolled: 1-line block ×3, first 2 shown]
	s_add_i32 s0, s0, s1
	s_add_i32 s1, s92, s21
	s_add_i32 s19, s19, s25
	s_add_i32 s17, s17, s29
	v_cmp_ne_u32_e64 s[34:35], 0, v34
	v_cmp_ne_u32_e64 s[42:43], 0, v38
	;; [unrolled: 1-line block ×3, first 2 shown]
	s_bcnt1_i32_b64 s27, s[40:41]
	s_bcnt1_i32_b64 s31, s[48:49]
	s_add_i32 s0, s0, s6
	s_add_i32 s1, s1, s22
	;; [unrolled: 1-line block ×4, first 2 shown]
	s_bcnt1_i32_b64 s24, s[34:35]
	s_bcnt1_i32_b64 s28, s[42:43]
	;; [unrolled: 1-line block ×3, first 2 shown]
	s_add_i32 s0, s0, s7
	s_add_i32 s1, s1, s23
	;; [unrolled: 1-line block ×8, first 2 shown]
	s_or_b64 s[76:77], vcc, s[76:77]
	v_mov_b32_e32 v1, s0
	v_mov_b32_e32 v2, s92
	;; [unrolled: 1-line block ×4, first 2 shown]
	s_andn2_b64 exec, exec, s[76:77]
	s_cbranch_execnz .LBB10_48
; %bb.49:                               ;   in Loop: Header=BB10_7 Depth=1
	s_or_b64 exec, exec, s[76:77]
	s_or_b64 exec, exec, s[72:73]
	v_mov_b32_e32 v32, 0
	s_and_saveexec_b64 s[6:7], s[12:13]
	s_cbranch_execz .LBB10_46
.LBB10_50:                              ;   in Loop: Header=BB10_7 Depth=1
	global_load_ubyte v32, v[7:8], off
	s_or_b64 exec, exec, s[6:7]
	s_and_saveexec_b64 s[20:21], s[14:15]
	s_cbranch_execz .LBB10_56
.LBB10_51:                              ;   in Loop: Header=BB10_7 Depth=1
	s_mov_b64 s[22:23], 0
	v_mov_b32_e32 v30, v23
	v_mov_b32_e32 v31, v17
	s_branch .LBB10_53
.LBB10_52:                              ;   in Loop: Header=BB10_53 Depth=2
	s_or_b64 exec, exec, s[6:7]
	s_waitcnt vmcnt(0)
	v_add_u32_sdwa v32, sext(v32), s69 dst_sel:DWORD dst_unused:UNUSED_PAD src0_sel:BYTE_0 src1_sel:DWORD
	v_and_b32_e32 v34, v32, v27
	v_bfe_u32 v32, v32, v26, 2
	v_cmp_eq_u32_e32 vcc, v34, v20
	v_cmp_eq_u32_e64 s[6:7], 0, v32
	s_and_b64 s[0:1], vcc, s[6:7]
	v_cndmask_b32_e64 v34, 0, 1, s[0:1]
	v_cmp_ne_u32_e64 s[6:7], 0, v34
	s_bcnt1_i32_b64 s0, s[6:7]
	v_cmp_eq_u32_e64 s[6:7], 1, v32
	v_add_u32_e32 v1, s0, v1
	s_and_b64 s[0:1], vcc, s[6:7]
	v_cndmask_b32_e64 v34, 0, 1, s[0:1]
	v_cmp_ne_u32_e64 s[6:7], 0, v34
	s_bcnt1_i32_b64 s0, s[6:7]
	v_cmp_eq_u32_e64 s[6:7], 2, v32
	v_add_u32_e32 v2, s0, v2
	;; [unrolled: 6-line block ×3, first 2 shown]
	s_and_b64 s[0:1], vcc, s[6:7]
	v_cndmask_b32_e64 v32, 0, 1, s[0:1]
	v_cmp_ne_u32_e32 vcc, 0, v32
	s_bcnt1_i32_b64 s0, vcc
	v_cmp_le_i32_e32 vcc, s68, v31
	v_add_u32_e32 v4, s0, v4
	v_add_u32_e32 v30, s18, v30
	s_or_b64 s[22:23], vcc, s[22:23]
	v_mov_b32_e32 v32, v33
	s_andn2_b64 exec, exec, s[22:23]
	s_cbranch_execz .LBB10_55
.LBB10_53:                              ;   Parent Loop BB10_7 Depth=1
                                        ; =>  This Inner Loop Header: Depth=2
	v_add_u32_e32 v31, s70, v31
	v_cmp_gt_u32_e32 vcc, s68, v31
	v_mov_b32_e32 v33, 0
	s_and_saveexec_b64 s[6:7], vcc
	s_cbranch_execz .LBB10_52
; %bb.54:                               ;   in Loop: Header=BB10_53 Depth=2
	v_ashrrev_i32_e32 v34, 31, v30
	v_mov_b32_e32 v35, s81
	v_add_co_u32_e32 v33, vcc, s80, v30
	v_addc_co_u32_e32 v34, vcc, v35, v34, vcc
	global_load_ubyte v33, v[33:34], off
	s_branch .LBB10_52
.LBB10_55:                              ;   in Loop: Header=BB10_7 Depth=1
	s_or_b64 exec, exec, s[22:23]
.LBB10_56:                              ;   in Loop: Header=BB10_7 Depth=1
	s_or_b64 exec, exec, s[20:21]
	s_branch .LBB10_36
.LBB10_57:                              ;   in Loop: Header=BB10_7 Depth=1
	s_mul_hi_u32 s0, s89, s8
	s_mul_i32 s0, s0, s33
	s_sub_i32 s0, s89, s0
	s_sub_i32 s1, s0, s33
	s_cmp_ge_u32 s0, s33
	s_cselect_b32 s0, s1, s0
	s_sub_i32 s1, s0, s33
	s_cmp_ge_u32 s0, s33
	s_cselect_b32 s0, s1, s0
	s_sub_i32 s0, s89, s0
	v_cmp_gt_u32_e32 vcc, s0, v10
	v_mov_b32_e32 v1, 0
	v_mov_b32_e32 v2, 0
	;; [unrolled: 1-line block ×4, first 2 shown]
	s_and_saveexec_b64 s[72:73], vcc
	s_cbranch_execz .LBB10_61
; %bb.58:                               ;   in Loop: Header=BB10_7 Depth=1
	s_mov_b32 s1, 0
	s_mov_b64 s[76:77], 0
	s_mov_b32 s16, 0
	s_mov_b32 s17, 0
	;; [unrolled: 1-line block ×3, first 2 shown]
	v_mov_b32_e32 v30, v10
.LBB10_59:                              ;   Parent Loop BB10_7 Depth=1
                                        ; =>  This Inner Loop Header: Depth=2
	ds_read_b32 v1, v30
	v_add_u32_e32 v30, s33, v30
	v_cmp_le_i32_e32 vcc, s0, v30
	s_waitcnt lgkmcnt(0)
	v_add_u32_sdwa v2, sext(v1), s69 dst_sel:DWORD dst_unused:UNUSED_PAD src0_sel:BYTE_0 src1_sel:DWORD
	v_add_u32_sdwa v3, sext(v1), s69 dst_sel:DWORD dst_unused:UNUSED_PAD src0_sel:BYTE_1 src1_sel:DWORD
	v_and_b32_e32 v31, v2, v27
	v_bfe_u32 v2, v2, v26, 2
	v_add_u32_sdwa v4, sext(v1), s69 dst_sel:DWORD dst_unused:UNUSED_PAD src0_sel:BYTE_2 src1_sel:DWORD
	v_add_u32_sdwa v1, sext(v1), s69 dst_sel:DWORD dst_unused:UNUSED_PAD src0_sel:BYTE_3 src1_sel:DWORD
	s_waitcnt vmcnt(0)
	v_and_b32_e32 v32, v3, v27
	v_bfe_u32 v3, v3, v26, 2
	v_cmp_eq_u32_e64 s[6:7], v31, v20
	v_cmp_eq_u32_e64 s[26:27], 0, v2
	v_and_b32_e32 v33, v4, v27
	v_and_b32_e32 v34, v1, v27
	v_bfe_u32 v4, v4, v26, 2
	v_bfe_u32 v1, v1, v26, 2
	v_cmp_eq_u32_e64 s[20:21], v32, v20
	v_cmp_eq_u32_e64 s[28:29], 0, v3
	s_and_b64 s[26:27], s[6:7], s[26:27]
	v_cmp_eq_u32_e64 s[22:23], v33, v20
	v_cmp_eq_u32_e64 s[30:31], 0, v4
	;; [unrolled: 1-line block ×6, first 2 shown]
	v_cndmask_b32_e64 v1, 0, 1, s[26:27]
	s_and_b64 s[26:27], s[20:21], s[28:29]
	v_cmp_eq_u32_e64 s[24:25], v34, v20
	v_cmp_eq_u32_e64 s[36:37], 1, v2
	;; [unrolled: 1-line block ×4, first 2 shown]
	v_cndmask_b32_e64 v2, 0, 1, s[26:27]
	s_and_b64 s[26:27], s[22:23], s[30:31]
	v_cmp_eq_u32_e64 s[38:39], 1, v3
	v_cmp_eq_u32_e64 s[46:47], 2, v3
	;; [unrolled: 1-line block ×3, first 2 shown]
	v_cndmask_b32_e64 v3, 0, 1, s[26:27]
	s_and_b64 s[26:27], s[24:25], s[34:35]
	v_cmp_eq_u32_e64 s[40:41], 1, v4
	v_cmp_eq_u32_e64 s[48:49], 2, v4
	;; [unrolled: 1-line block ×3, first 2 shown]
	v_cndmask_b32_e64 v4, 0, 1, s[26:27]
	s_and_b64 s[26:27], s[6:7], s[36:37]
	v_cndmask_b32_e64 v31, 0, 1, s[26:27]
	s_and_b64 s[26:27], s[20:21], s[38:39]
	;; [unrolled: 2-line block ×5, first 2 shown]
	s_and_b64 s[6:7], s[6:7], s[52:53]
	v_cndmask_b32_e64 v35, 0, 1, s[26:27]
	s_and_b64 s[26:27], s[20:21], s[46:47]
	v_cndmask_b32_e64 v39, 0, 1, s[6:7]
	;; [unrolled: 2-line block ×7, first 2 shown]
	v_cndmask_b32_e64 v42, 0, 1, s[6:7]
	v_cmp_ne_u32_e64 s[6:7], 0, v1
	v_cmp_ne_u32_e64 s[20:21], 0, v2
	;; [unrolled: 1-line block ×11, first 2 shown]
	s_bcnt1_i32_b64 s6, s[6:7]
	s_bcnt1_i32_b64 s7, s[20:21]
	;; [unrolled: 1-line block ×8, first 2 shown]
	v_cmp_ne_u32_e64 s[34:35], 0, v34
	v_cmp_ne_u32_e64 s[40:41], 0, v37
	;; [unrolled: 1-line block ×3, first 2 shown]
	s_bcnt1_i32_b64 s23, s[28:29]
	s_bcnt1_i32_b64 s27, s[38:39]
	;; [unrolled: 1-line block ×3, first 2 shown]
	s_add_i32 s6, s19, s6
	s_add_i32 s17, s17, s22
	;; [unrolled: 1-line block ×4, first 2 shown]
	v_cmp_ne_u32_e64 s[42:43], 0, v38
	v_cmp_ne_u32_e64 s[50:51], 0, v42
	s_bcnt1_i32_b64 s25, s[34:35]
	s_bcnt1_i32_b64 s28, s[40:41]
	;; [unrolled: 1-line block ×3, first 2 shown]
	s_add_i32 s6, s6, s7
	s_add_i32 s7, s17, s23
	;; [unrolled: 1-line block ×4, first 2 shown]
	s_bcnt1_i32_b64 s29, s[42:43]
	s_bcnt1_i32_b64 s35, s[50:51]
	s_add_i32 s6, s6, s20
	s_add_i32 s7, s7, s24
	;; [unrolled: 1-line block ×8, first 2 shown]
	s_or_b64 s[76:77], vcc, s[76:77]
	v_mov_b32_e32 v1, s19
	v_mov_b32_e32 v2, s17
	;; [unrolled: 1-line block ×4, first 2 shown]
	s_andn2_b64 exec, exec, s[76:77]
	s_cbranch_execnz .LBB10_59
; %bb.60:                               ;   in Loop: Header=BB10_7 Depth=1
	s_or_b64 exec, exec, s[76:77]
.LBB10_61:                              ;   in Loop: Header=BB10_7 Depth=1
	s_or_b64 exec, exec, s[72:73]
	v_add_u32_e32 v30, s0, v0
	v_cmp_gt_i32_e32 vcc, s89, v30
	s_and_saveexec_b64 s[28:29], vcc
	s_cbranch_execz .LBB10_65
; %bb.62:                               ;   in Loop: Header=BB10_7 Depth=1
	s_mov_b64 s[30:31], 0
.LBB10_63:                              ;   Parent Loop BB10_7 Depth=1
                                        ; =>  This Inner Loop Header: Depth=2
	ds_read_i8 v31, v30
	v_add_u32_e32 v30, s70, v30
	v_cmp_le_i32_e32 vcc, s89, v30
	s_waitcnt lgkmcnt(0)
	v_add_u32_e32 v31, 0x80, v31
	s_waitcnt vmcnt(0)
	v_and_b32_e32 v32, v31, v27
	v_bfe_u32 v31, v31, v26, 2
	v_cmp_eq_u32_e64 s[6:7], v32, v20
	v_cmp_eq_u32_e64 s[20:21], 0, v31
	;; [unrolled: 1-line block ×3, first 2 shown]
	s_and_b64 s[0:1], s[6:7], s[20:21]
	v_cmp_eq_u32_e64 s[24:25], 2, v31
	v_cmp_eq_u32_e64 s[26:27], 3, v31
	v_cndmask_b32_e64 v31, 0, 1, s[0:1]
	s_and_b64 s[0:1], s[6:7], s[22:23]
	v_cndmask_b32_e64 v32, 0, 1, s[0:1]
	s_and_b64 s[0:1], s[6:7], s[24:25]
	v_cndmask_b32_e64 v33, 0, 1, s[0:1]
	s_and_b64 s[0:1], s[6:7], s[26:27]
	v_cndmask_b32_e64 v34, 0, 1, s[0:1]
	v_cmp_ne_u32_e64 s[6:7], 0, v31
	v_cmp_ne_u32_e64 s[20:21], 0, v32
	;; [unrolled: 1-line block ×4, first 2 shown]
	s_bcnt1_i32_b64 s0, s[6:7]
	s_bcnt1_i32_b64 s1, s[20:21]
	;; [unrolled: 1-line block ×4, first 2 shown]
	v_add_u32_e32 v1, s0, v1
	v_add_u32_e32 v2, s1, v2
	;; [unrolled: 1-line block ×3, first 2 shown]
	s_or_b64 s[30:31], vcc, s[30:31]
	v_add_u32_e32 v4, s7, v4
	s_andn2_b64 exec, exec, s[30:31]
	s_cbranch_execnz .LBB10_63
; %bb.64:                               ;   in Loop: Header=BB10_7 Depth=1
	s_or_b64 exec, exec, s[30:31]
.LBB10_65:                              ;   in Loop: Header=BB10_7 Depth=1
	s_or_b64 exec, exec, s[28:29]
	s_lshl_b32 s0, s90, 6
	s_and_saveexec_b64 s[6:7], s[2:3]
	s_cbranch_execnz .LBB10_37
	s_branch .LBB10_38
.LBB10_66:                              ;   in Loop: Header=BB10_7 Depth=1
	s_or_b64 exec, exec, s[22:23]
	s_waitcnt lgkmcnt(0)
	s_barrier
	s_mov_b64 s[6:7], exec
	v_readlane_b32 s0, v43, 18
	v_readlane_b32 s1, v43, 19
	s_and_b64 s[0:1], s[6:7], s[0:1]
	s_mov_b64 exec, s[0:1]
	s_cbranch_execz .LBB10_68
; %bb.67:                               ;   in Loop: Header=BB10_7 Depth=1
	ds_read_b32 v1, v12 offset:4104
	s_waitcnt lgkmcnt(0)
	ds_write_b32 v12, v1 offset:4096
.LBB10_68:                              ;   in Loop: Header=BB10_7 Depth=1
	s_or_b64 exec, exec, s[6:7]
	s_waitcnt lgkmcnt(0)
	s_barrier
	s_mov_b64 s[6:7], -1
	s_and_b64 vcc, exec, s[20:21]
	s_cbranch_vccnz .LBB10_22
	s_branch .LBB10_32
.LBB10_69:                              ;   in Loop: Header=BB10_7 Depth=1
	v_mov_b32_e32 v1, 0
	s_mov_b32 s1, 0
.LBB10_70:                              ;   in Loop: Header=BB10_7 Depth=1
	v_readlane_b32 s16, v43, 41
	v_readlane_b32 s17, v43, 42
	s_andn2_b64 vcc, exec, s[16:17]
	s_cbranch_vccnz .LBB10_73
; %bb.71:                               ;   in Loop: Header=BB10_7 Depth=1
	s_lshl_b32 s16, s90, 8
	s_lshl_b32 s1, s1, 4
	s_add_i32 s16, s16, s1
	v_add_u32_e32 v2, s16, v24
	v_readlane_b32 s1, v43, 40
.LBB10_72:                              ;   Parent Loop BB10_7 Depth=1
                                        ; =>  This Inner Loop Header: Depth=2
	ds_read_b32 v3, v2
	s_add_i32 s1, s1, -1
	v_add_u32_e32 v2, 16, v2
	s_cmp_lg_u32 s1, 0
	s_waitcnt lgkmcnt(0)
	v_add_u32_e32 v1, v3, v1
	s_cbranch_scc1 .LBB10_72
.LBB10_73:                              ;   in Loop: Header=BB10_7 Depth=1
	v_add_lshl_u32 v2, s0, v11, 2
	ds_write_b32 v2, v1 offset:3072
.LBB10_74:                              ;   in Loop: Header=BB10_7 Depth=1
	s_or_b64 exec, exec, s[6:7]
	s_lshl_b32 s0, s0, 2
	v_mov_b32_e32 v1, s0
	s_waitcnt lgkmcnt(0)
	s_barrier
	ds_read_b128 v[1:4], v1 offset:3072
	v_cmp_eq_u32_e32 vcc, 1, v29
	s_mov_b64 s[20:21], -1
	s_mov_b64 s[28:29], -1
                                        ; implicit-def: $sgpr26_sgpr27
                                        ; implicit-def: $sgpr24_sgpr25
	s_waitcnt lgkmcnt(0)
	v_readfirstlane_b32 s42, v1
	s_cmp_eq_u32 s42, 1
	v_lshlrev_b32_e64 v1, v26, 3
	s_cselect_b64 s[0:1], -1, 0
	v_readfirstlane_b32 s46, v2
	v_readfirstlane_b32 s54, v3
	;; [unrolled: 1-line block ×3, first 2 shown]
	v_not_b32_e32 v3, v1
	s_and_b64 s[22:23], s[0:1], vcc
	s_and_saveexec_b64 s[6:7], s[22:23]
	s_cbranch_execz .LBB10_100
; %bb.75:                               ;   in Loop: Header=BB10_7 Depth=1
	ds_read_b32 v2, v12 offset:4096
	s_waitcnt lgkmcnt(0)
	s_barrier
	v_readfirstlane_b32 s0, v2
	s_and_saveexec_b64 s[24:25], s[4:5]
; %bb.76:                               ;   in Loop: Header=BB10_7 Depth=1
	ds_write_b8 v0, v12 offset:3072
; %bb.77:                               ;   in Loop: Header=BB10_7 Depth=1
	s_or_b64 exec, exec, s[24:25]
	v_and_b32_e32 v20, v20, v3
	v_or_b32_e32 v27, v27, v1
	s_mov_b64 s[24:25], -1
	s_mov_b64 s[26:27], 0
	s_cmp_lt_i32 s0, 1
	s_mov_b64 s[28:29], 0
	s_mov_b64 s[30:31], -1
	s_waitcnt lgkmcnt(0)
	s_barrier
                                        ; implicit-def: $vgpr28
	s_cbranch_scc0 .LBB10_88
; %bb.78:                               ;   in Loop: Header=BB10_7 Depth=1
	s_mov_b64 s[30:31], 0
                                        ; implicit-def: $vgpr28
	s_mov_b64 s[34:35], exec
	v_readlane_b32 s16, v43, 44
	v_readlane_b32 s17, v43, 45
	s_and_b64 s[16:17], s[34:35], s[16:17]
	s_mov_b64 exec, s[16:17]
	s_cbranch_execz .LBB10_87
; %bb.79:                               ;   in Loop: Header=BB10_7 Depth=1
	v_mov_b32_e32 v2, v9
	v_mov_b32_e32 v4, v0
                                        ; implicit-def: $sgpr36_sgpr37
	s_branch .LBB10_82
.LBB10_80:                              ;   in Loop: Header=BB10_82 Depth=2
	s_or_b64 exec, exec, s[38:39]
	s_waitcnt lgkmcnt(0)
	s_barrier
	ds_read_u16 v28, v12 offset:3072
	s_mov_b64 s[38:39], -1
	s_mov_b64 s[40:41], -1
	s_waitcnt lgkmcnt(0)
	s_barrier
	v_cmp_ne_u32_sdwa s[16:17], v28, v12 src0_sel:BYTE_0 src1_sel:DWORD
	s_and_b64 vcc, exec, s[16:17]
	s_cbranch_vccz .LBB10_85
.LBB10_81:                              ;   in Loop: Header=BB10_82 Depth=2
	s_and_b64 s[16:17], exec, s[38:39]
	s_or_b64 s[28:29], s[16:17], s[28:29]
	s_andn2_b64 s[16:17], s[36:37], exec
	s_and_b64 s[36:37], s[40:41], exec
	s_or_b64 s[36:37], s[16:17], s[36:37]
	s_andn2_b64 exec, exec, s[28:29]
	s_cbranch_execz .LBB10_86
.LBB10_82:                              ;   Parent Loop BB10_7 Depth=1
                                        ; =>  This Inner Loop Header: Depth=2
	v_cmp_gt_i32_e32 vcc, s68, v4
	s_and_saveexec_b64 s[38:39], vcc
	s_cbranch_execz .LBB10_80
; %bb.83:                               ;   in Loop: Header=BB10_82 Depth=2
	v_ashrrev_i32_e32 v28, 31, v2
	v_mov_b32_e32 v31, s81
	v_add_co_u32_e32 v30, vcc, s80, v2
	v_addc_co_u32_e32 v31, vcc, v31, v28, vcc
	global_load_ubyte v28, v[30:31], off
	s_waitcnt vmcnt(0)
	v_add_u32_sdwa v30, sext(v28), s69 dst_sel:DWORD dst_unused:UNUSED_PAD src0_sel:BYTE_0 src1_sel:DWORD
	v_and_b32_e32 v30, v30, v27
	v_cmp_eq_u32_e32 vcc, v30, v20
	s_and_b64 exec, exec, vcc
	s_cbranch_execz .LBB10_80
; %bb.84:                               ;   in Loop: Header=BB10_82 Depth=2
	v_lshlrev_b16_e32 v28, 8, v28
	v_or_b32_e32 v28, 1, v28
	ds_write_b16 v12, v28 offset:3072
	s_branch .LBB10_80
.LBB10_85:                              ;   in Loop: Header=BB10_82 Depth=2
	v_add_u32_e32 v4, s70, v4
	v_cmp_le_i32_e32 vcc, s93, v4
	v_add_u32_e32 v2, s18, v2
	s_mov_b64 s[40:41], 0
	s_orn2_b64 s[38:39], vcc, exec
	s_branch .LBB10_81
.LBB10_86:                              ;   in Loop: Header=BB10_7 Depth=1
	s_or_b64 exec, exec, s[28:29]
	v_lshrrev_b32_sdwa v28, v25, v28 dst_sel:DWORD dst_unused:UNUSED_PAD src0_sel:DWORD src1_sel:WORD_0
	s_and_b64 s[28:29], s[36:37], exec
.LBB10_87:                              ;   in Loop: Header=BB10_7 Depth=1
	s_or_b64 exec, exec, s[34:35]
.LBB10_88:                              ;   in Loop: Header=BB10_7 Depth=1
	s_and_b64 vcc, exec, s[30:31]
	s_cbranch_vccz .LBB10_99
; %bb.89:                               ;   in Loop: Header=BB10_7 Depth=1
	v_readlane_b32 s1, v43, 31
	s_add_i32 s1, s0, s1
	s_abs_i32 s17, s1
	v_readlane_b32 s19, v43, 43
	s_mul_hi_u32 s19, s17, s19
	s_mul_i32 s19, s19, s70
	s_sub_i32 s17, s17, s19
	s_ashr_i32 s16, s1, 31
	s_sub_i32 s19, s17, s70
	s_cmp_ge_u32 s17, s70
	s_cselect_b32 s17, s19, s17
	s_sub_i32 s19, s17, s70
	s_cmp_ge_u32 s17, s70
	s_cselect_b32 s17, s19, s17
	s_xor_b32 s17, s17, s16
	s_sub_i32 s16, s16, s17
	s_add_i32 s1, s1, s16
	v_cmp_gt_i32_e32 vcc, s1, v0
                                        ; implicit-def: $vgpr28
	s_and_saveexec_b64 s[24:25], vcc
	s_cbranch_execz .LBB10_98
; %bb.90:                               ;   in Loop: Header=BB10_7 Depth=1
	s_mov_b64 s[26:27], 0
	v_mov_b32_e32 v2, v0
                                        ; implicit-def: $sgpr30_sgpr31
	s_branch .LBB10_93
.LBB10_91:                              ;   in Loop: Header=BB10_93 Depth=2
	s_or_b64 exec, exec, s[34:35]
	s_waitcnt lgkmcnt(0)
	s_barrier
	ds_read_u16 v4, v12 offset:3072
	s_mov_b64 s[34:35], -1
	s_mov_b64 s[36:37], -1
	s_waitcnt lgkmcnt(0)
	s_barrier
	v_cmp_ne_u32_sdwa s[16:17], v4, v12 src0_sel:BYTE_0 src1_sel:DWORD
	s_and_b64 vcc, exec, s[16:17]
	s_cbranch_vccz .LBB10_96
.LBB10_92:                              ;   in Loop: Header=BB10_93 Depth=2
	s_and_b64 s[16:17], exec, s[34:35]
	s_or_b64 s[26:27], s[16:17], s[26:27]
	s_andn2_b64 s[16:17], s[30:31], exec
	s_and_b64 s[30:31], s[36:37], exec
	s_or_b64 s[30:31], s[16:17], s[30:31]
	s_andn2_b64 exec, exec, s[26:27]
	s_cbranch_execz .LBB10_97
.LBB10_93:                              ;   Parent Loop BB10_7 Depth=1
                                        ; =>  This Inner Loop Header: Depth=2
	v_cmp_gt_i32_e32 vcc, s0, v2
	s_and_saveexec_b64 s[34:35], vcc
	s_cbranch_execz .LBB10_91
; %bb.94:                               ;   in Loop: Header=BB10_93 Depth=2
	ds_read_u8 v4, v2
	s_waitcnt lgkmcnt(0)
	v_add_u32_sdwa v28, sext(v4), s69 dst_sel:DWORD dst_unused:UNUSED_PAD src0_sel:BYTE_0 src1_sel:DWORD
	v_and_b32_e32 v28, v28, v27
	v_cmp_eq_u32_e32 vcc, v28, v20
	s_and_b64 exec, exec, vcc
	s_cbranch_execz .LBB10_91
; %bb.95:                               ;   in Loop: Header=BB10_93 Depth=2
	v_lshlrev_b16_e32 v4, 8, v4
	v_or_b32_e32 v4, 1, v4
	ds_write_b16 v12, v4 offset:3072
	s_branch .LBB10_91
.LBB10_96:                              ;   in Loop: Header=BB10_93 Depth=2
	v_add_u32_e32 v2, s70, v2
	v_cmp_le_i32_e32 vcc, s1, v2
	s_mov_b64 s[36:37], 0
	s_orn2_b64 s[34:35], vcc, exec
	s_branch .LBB10_92
.LBB10_97:                              ;   in Loop: Header=BB10_7 Depth=1
	s_or_b64 exec, exec, s[26:27]
	s_andn2_b64 s[0:1], s[28:29], exec
	s_and_b64 s[16:17], s[30:31], exec
	v_lshrrev_b32_sdwa v28, v25, v4 dst_sel:DWORD dst_unused:UNUSED_PAD src0_sel:DWORD src1_sel:WORD_0
	s_or_b64 s[28:29], s[0:1], s[16:17]
.LBB10_98:                              ;   in Loop: Header=BB10_7 Depth=1
	s_or_b64 exec, exec, s[24:25]
	s_mov_b64 s[24:25], 0
	s_mov_b64 s[26:27], -1
.LBB10_99:                              ;   in Loop: Header=BB10_7 Depth=1
	s_orn2_b64 s[28:29], s[28:29], exec
.LBB10_100:                             ;   in Loop: Header=BB10_7 Depth=1
	s_or_b64 exec, exec, s[6:7]
	s_andn2_b64 s[6:7], s[66:67], exec
	s_and_b64 s[16:17], s[26:27], exec
	s_or_b64 s[66:67], s[6:7], s[16:17]
	s_andn2_b64 s[6:7], s[64:65], exec
	s_and_b64 s[16:17], s[24:25], exec
	v_readfirstlane_b32 s0, v0
	s_andn2_b64 s[62:63], s[62:63], exec
	s_or_b64 s[64:65], s[6:7], s[16:17]
                                        ; implicit-def: $vgpr4
	s_and_saveexec_b64 s[6:7], s[28:29]
	s_cbranch_execz .LBB10_6
; %bb.101:                              ;   in Loop: Header=BB10_7 Depth=1
	s_xor_b64 s[0:1], s[22:23], -1
	s_mov_b64 s[22:23], 0
	v_mov_b32_e32 v4, 1
	v_mov_b32_e32 v2, 1
	s_and_saveexec_b64 s[20:21], s[0:1]
	s_cbranch_execz .LBB10_110
; %bb.102:                              ;   in Loop: Header=BB10_7 Depth=1
	v_cmp_ge_i32_e32 vcc, s42, v29
	s_and_saveexec_b64 s[0:1], vcc
	s_xor_b64 s[22:23], exec, s[0:1]
	s_cbranch_execz .LBB10_107
; %bb.103:                              ;   in Loop: Header=BB10_7 Depth=1
	ds_read_b32 v2, v12 offset:4096
	v_and_b32_e32 v20, v20, v3
	v_or_b32_e32 v27, v27, v1
	s_waitcnt lgkmcnt(0)
	v_cmp_ne_u32_e32 vcc, 0, v2
	s_cbranch_vccnz .LBB10_107
; %bb.104:                              ;   in Loop: Header=BB10_7 Depth=1
	s_mov_b64 s[24:25], exec
	v_readlane_b32 s0, v43, 18
	v_readlane_b32 s1, v43, 19
	s_and_b64 s[0:1], s[24:25], s[0:1]
	s_mov_b64 exec, s[0:1]
; %bb.105:                              ;   in Loop: Header=BB10_7 Depth=1
	v_mov_b32_e32 v2, s42
	ds_write_b32 v12, v2 offset:4100
; %bb.106:                              ;   in Loop: Header=BB10_7 Depth=1
	s_or_b64 exec, exec, s[24:25]
	s_waitcnt lgkmcnt(0)
	s_barrier
.LBB10_107:                             ;   in Loop: Header=BB10_7 Depth=1
	s_or_saveexec_b64 s[22:23], s[22:23]
	s_mov_b64 s[24:25], 0
	v_mov_b32_e32 v2, 8
	s_xor_b64 exec, exec, s[22:23]
; %bb.108:                              ;   in Loop: Header=BB10_7 Depth=1
	s_mov_b64 s[24:25], exec
	v_subrev_u32_e32 v29, s42, v29
	v_mov_b32_e32 v2, 0
; %bb.109:                              ;   in Loop: Header=BB10_7 Depth=1
	s_or_b64 exec, exec, s[22:23]
	s_and_b64 s[22:23], s[24:25], exec
	v_mov_b32_e32 v4, v29
.LBB10_110:                             ;   in Loop: Header=BB10_7 Depth=1
	s_or_b64 exec, exec, s[20:21]
	s_mov_b64 s[20:21], -1
	s_mov_b64 s[28:29], -1
                                        ; implicit-def: $sgpr24_sgpr25
                                        ; implicit-def: $sgpr26_sgpr27
	s_and_saveexec_b64 s[0:1], s[22:23]
	s_xor_b64 s[22:23], exec, s[0:1]
	s_cbranch_execz .LBB10_227
; %bb.111:                              ;   in Loop: Header=BB10_7 Depth=1
	s_cmp_eq_u32 s46, 1
	s_cselect_b64 s[0:1], -1, 0
	v_cmp_eq_u32_e32 vcc, 1, v4
	s_and_b64 s[30:31], s[0:1], vcc
	s_mov_b64 s[34:35], -1
                                        ; implicit-def: $sgpr26_sgpr27
                                        ; implicit-def: $sgpr24_sgpr25
	s_and_saveexec_b64 s[28:29], s[30:31]
	s_cbranch_execz .LBB10_137
; %bb.112:                              ;   in Loop: Header=BB10_7 Depth=1
	ds_read_b32 v28, v12 offset:4096
	s_waitcnt lgkmcnt(0)
	s_barrier
	v_readfirstlane_b32 s0, v28
	s_and_saveexec_b64 s[24:25], s[4:5]
; %bb.113:                              ;   in Loop: Header=BB10_7 Depth=1
	ds_write_b8 v0, v12 offset:3072
; %bb.114:                              ;   in Loop: Header=BB10_7 Depth=1
	s_or_b64 exec, exec, s[24:25]
	v_and_b32_e32 v20, v20, v3
	v_lshl_or_b32 v20, 1, v26, v20
	v_or_b32_e32 v27, v27, v1
	s_mov_b64 s[24:25], -1
	s_mov_b64 s[26:27], 0
	s_cmp_gt_i32 s0, 0
	s_mov_b64 s[34:35], 0
	s_mov_b64 s[36:37], -1
	s_waitcnt lgkmcnt(0)
	s_barrier
                                        ; implicit-def: $vgpr28
	s_cbranch_scc1 .LBB10_125
; %bb.115:                              ;   in Loop: Header=BB10_7 Depth=1
	s_mov_b64 s[36:37], 0
                                        ; implicit-def: $vgpr28
	s_mov_b64 s[38:39], exec
	v_readlane_b32 s16, v43, 44
	v_readlane_b32 s17, v43, 45
	s_and_b64 s[16:17], s[38:39], s[16:17]
	s_mov_b64 exec, s[16:17]
	s_cbranch_execz .LBB10_124
; %bb.116:                              ;   in Loop: Header=BB10_7 Depth=1
	v_mov_b32_e32 v28, v9
	v_mov_b32_e32 v29, v0
                                        ; implicit-def: $sgpr40_sgpr41
	s_branch .LBB10_119
.LBB10_117:                             ;   in Loop: Header=BB10_119 Depth=2
	s_or_b64 exec, exec, s[42:43]
	s_waitcnt lgkmcnt(0)
	s_barrier
	ds_read_u16 v30, v12 offset:3072
	s_mov_b64 s[42:43], -1
	s_mov_b64 s[44:45], -1
	s_waitcnt lgkmcnt(0)
	s_barrier
	v_cmp_ne_u32_sdwa s[16:17], v30, v12 src0_sel:BYTE_0 src1_sel:DWORD
	s_and_b64 vcc, exec, s[16:17]
	s_cbranch_vccz .LBB10_122
.LBB10_118:                             ;   in Loop: Header=BB10_119 Depth=2
	s_and_b64 s[16:17], exec, s[42:43]
	s_or_b64 s[34:35], s[16:17], s[34:35]
	s_andn2_b64 s[16:17], s[40:41], exec
	s_and_b64 s[40:41], s[44:45], exec
	s_or_b64 s[40:41], s[16:17], s[40:41]
	s_andn2_b64 exec, exec, s[34:35]
	s_cbranch_execz .LBB10_123
.LBB10_119:                             ;   Parent Loop BB10_7 Depth=1
                                        ; =>  This Inner Loop Header: Depth=2
	v_cmp_gt_i32_e32 vcc, s68, v29
	s_and_saveexec_b64 s[42:43], vcc
	s_cbranch_execz .LBB10_117
; %bb.120:                              ;   in Loop: Header=BB10_119 Depth=2
	v_ashrrev_i32_e32 v31, 31, v28
	v_mov_b32_e32 v32, s81
	v_add_co_u32_e32 v30, vcc, s80, v28
	v_addc_co_u32_e32 v31, vcc, v32, v31, vcc
	global_load_ubyte v30, v[30:31], off
	s_waitcnt vmcnt(0)
	v_add_u32_sdwa v31, sext(v30), s69 dst_sel:DWORD dst_unused:UNUSED_PAD src0_sel:BYTE_0 src1_sel:DWORD
	v_and_b32_e32 v31, v31, v27
	v_cmp_eq_u32_e32 vcc, v31, v20
	s_and_b64 exec, exec, vcc
	s_cbranch_execz .LBB10_117
; %bb.121:                              ;   in Loop: Header=BB10_119 Depth=2
	v_lshlrev_b16_e32 v30, 8, v30
	v_or_b32_e32 v30, 1, v30
	ds_write_b16 v12, v30 offset:3072
	s_branch .LBB10_117
.LBB10_122:                             ;   in Loop: Header=BB10_119 Depth=2
	v_add_u32_e32 v29, s70, v29
	v_cmp_le_i32_e32 vcc, s93, v29
	v_add_u32_e32 v28, s18, v28
	s_mov_b64 s[44:45], 0
	s_orn2_b64 s[42:43], vcc, exec
	s_branch .LBB10_118
.LBB10_123:                             ;   in Loop: Header=BB10_7 Depth=1
	s_or_b64 exec, exec, s[34:35]
	v_lshrrev_b32_sdwa v28, v25, v30 dst_sel:DWORD dst_unused:UNUSED_PAD src0_sel:DWORD src1_sel:WORD_0
	s_and_b64 s[34:35], s[40:41], exec
.LBB10_124:                             ;   in Loop: Header=BB10_7 Depth=1
	s_or_b64 exec, exec, s[38:39]
.LBB10_125:                             ;   in Loop: Header=BB10_7 Depth=1
	s_and_b64 vcc, exec, s[36:37]
	s_cbranch_vccz .LBB10_136
; %bb.126:                              ;   in Loop: Header=BB10_7 Depth=1
	v_readlane_b32 s1, v43, 31
	s_add_i32 s1, s0, s1
	s_abs_i32 s17, s1
	v_readlane_b32 s19, v43, 43
	s_mul_hi_u32 s19, s17, s19
	s_mul_i32 s19, s19, s70
	s_sub_i32 s17, s17, s19
	s_ashr_i32 s16, s1, 31
	s_sub_i32 s19, s17, s70
	s_cmp_ge_u32 s17, s70
	s_cselect_b32 s17, s19, s17
	s_sub_i32 s19, s17, s70
	s_cmp_ge_u32 s17, s70
	s_cselect_b32 s17, s19, s17
	s_xor_b32 s17, s17, s16
	s_sub_i32 s16, s16, s17
	s_add_i32 s1, s1, s16
	v_cmp_gt_i32_e32 vcc, s1, v0
                                        ; implicit-def: $vgpr28
	s_and_saveexec_b64 s[24:25], vcc
	s_cbranch_execz .LBB10_135
; %bb.127:                              ;   in Loop: Header=BB10_7 Depth=1
	s_mov_b64 s[26:27], 0
	v_mov_b32_e32 v28, v0
                                        ; implicit-def: $sgpr36_sgpr37
	s_branch .LBB10_130
.LBB10_128:                             ;   in Loop: Header=BB10_130 Depth=2
	s_or_b64 exec, exec, s[38:39]
	s_waitcnt lgkmcnt(0)
	s_barrier
	ds_read_u16 v29, v12 offset:3072
	s_mov_b64 s[38:39], -1
	s_mov_b64 s[40:41], -1
	s_waitcnt lgkmcnt(0)
	s_barrier
	v_cmp_eq_u32_sdwa s[16:17], v29, v12 src0_sel:BYTE_0 src1_sel:DWORD
	s_and_b64 vcc, exec, s[16:17]
	s_cbranch_vccnz .LBB10_133
.LBB10_129:                             ;   in Loop: Header=BB10_130 Depth=2
	s_and_b64 s[16:17], exec, s[38:39]
	s_or_b64 s[26:27], s[16:17], s[26:27]
	s_andn2_b64 s[16:17], s[36:37], exec
	s_and_b64 s[36:37], s[40:41], exec
	s_or_b64 s[36:37], s[16:17], s[36:37]
	s_andn2_b64 exec, exec, s[26:27]
	s_cbranch_execz .LBB10_134
.LBB10_130:                             ;   Parent Loop BB10_7 Depth=1
                                        ; =>  This Inner Loop Header: Depth=2
	v_cmp_gt_i32_e32 vcc, s0, v28
	s_and_saveexec_b64 s[38:39], vcc
	s_cbranch_execz .LBB10_128
; %bb.131:                              ;   in Loop: Header=BB10_130 Depth=2
	ds_read_u8 v29, v28
	s_waitcnt lgkmcnt(0)
	v_add_u32_sdwa v30, sext(v29), s69 dst_sel:DWORD dst_unused:UNUSED_PAD src0_sel:BYTE_0 src1_sel:DWORD
	v_and_b32_e32 v30, v30, v27
	v_cmp_eq_u32_e32 vcc, v30, v20
	s_and_b64 exec, exec, vcc
	s_cbranch_execz .LBB10_128
; %bb.132:                              ;   in Loop: Header=BB10_130 Depth=2
	v_lshlrev_b16_e32 v29, 8, v29
	v_or_b32_e32 v29, 1, v29
	ds_write_b16 v12, v29 offset:3072
	s_branch .LBB10_128
.LBB10_133:                             ;   in Loop: Header=BB10_130 Depth=2
	v_add_u32_e32 v28, s70, v28
	v_cmp_le_i32_e32 vcc, s1, v28
	s_mov_b64 s[40:41], 0
	s_orn2_b64 s[38:39], vcc, exec
	s_branch .LBB10_129
.LBB10_134:                             ;   in Loop: Header=BB10_7 Depth=1
	s_or_b64 exec, exec, s[26:27]
	s_andn2_b64 s[0:1], s[34:35], exec
	s_and_b64 s[16:17], s[36:37], exec
	v_lshrrev_b32_sdwa v28, v25, v29 dst_sel:DWORD dst_unused:UNUSED_PAD src0_sel:DWORD src1_sel:WORD_0
	s_or_b64 s[34:35], s[0:1], s[16:17]
.LBB10_135:                             ;   in Loop: Header=BB10_7 Depth=1
	s_or_b64 exec, exec, s[24:25]
	s_mov_b64 s[24:25], 0
	s_mov_b64 s[26:27], -1
.LBB10_136:                             ;   in Loop: Header=BB10_7 Depth=1
	s_orn2_b64 s[34:35], s[34:35], exec
.LBB10_137:                             ;   in Loop: Header=BB10_7 Depth=1
	s_or_b64 exec, exec, s[28:29]
	s_mov_b64 s[36:37], 0
	s_and_saveexec_b64 s[28:29], s[34:35]
	s_cbranch_execz .LBB10_226
; %bb.138:                              ;   in Loop: Header=BB10_7 Depth=1
	s_xor_b64 s[0:1], s[30:31], -1
	s_mov_b64 s[40:41], 0
	v_mov_b32_e32 v29, 1
	v_mov_b32_e32 v2, 1
	s_and_saveexec_b64 s[30:31], s[0:1]
	s_cbranch_execz .LBB10_147
; %bb.139:                              ;   in Loop: Header=BB10_7 Depth=1
	v_cmp_ge_i32_e32 vcc, s46, v4
	s_and_saveexec_b64 s[0:1], vcc
	s_xor_b64 s[34:35], exec, s[0:1]
	s_cbranch_execz .LBB10_144
; %bb.140:                              ;   in Loop: Header=BB10_7 Depth=1
	ds_read_b32 v2, v12 offset:4096
	v_and_b32_e32 v20, v20, v3
	v_lshl_or_b32 v20, 1, v26, v20
	v_or_b32_e32 v27, v27, v1
	s_waitcnt lgkmcnt(0)
	v_cmp_ne_u32_e32 vcc, 0, v2
	s_cbranch_vccnz .LBB10_144
; %bb.141:                              ;   in Loop: Header=BB10_7 Depth=1
	s_mov_b64 s[36:37], exec
	v_readlane_b32 s0, v43, 18
	v_readlane_b32 s1, v43, 19
	s_and_b64 s[0:1], s[36:37], s[0:1]
	s_mov_b64 exec, s[0:1]
; %bb.142:                              ;   in Loop: Header=BB10_7 Depth=1
	v_mov_b32_e32 v2, s46
	ds_write_b32 v12, v2 offset:4100
; %bb.143:                              ;   in Loop: Header=BB10_7 Depth=1
	s_or_b64 exec, exec, s[36:37]
	s_waitcnt lgkmcnt(0)
	s_barrier
.LBB10_144:                             ;   in Loop: Header=BB10_7 Depth=1
	s_or_saveexec_b64 s[34:35], s[34:35]
	s_mov_b64 s[36:37], 0
	v_mov_b32_e32 v2, 8
	s_xor_b64 exec, exec, s[34:35]
; %bb.145:                              ;   in Loop: Header=BB10_7 Depth=1
	s_mov_b64 s[36:37], exec
	v_subrev_u32_e32 v4, s46, v4
	v_mov_b32_e32 v2, 0
; %bb.146:                              ;   in Loop: Header=BB10_7 Depth=1
	s_or_b64 exec, exec, s[34:35]
	s_and_b64 s[40:41], s[36:37], exec
	v_mov_b32_e32 v29, v4
.LBB10_147:                             ;   in Loop: Header=BB10_7 Depth=1
	s_or_b64 exec, exec, s[30:31]
	s_mov_b64 s[38:39], -1
                                        ; implicit-def: $sgpr34_sgpr35
                                        ; implicit-def: $sgpr36_sgpr37
	s_and_saveexec_b64 s[30:31], s[40:41]
	s_cbranch_execz .LBB10_225
; %bb.148:                              ;   in Loop: Header=BB10_7 Depth=1
	s_cmp_eq_u32 s54, 1
	s_cselect_b64 s[0:1], -1, 0
	v_cmp_eq_u32_e32 vcc, 1, v29
	s_and_b64 s[40:41], s[0:1], vcc
	s_mov_b64 s[42:43], -1
                                        ; implicit-def: $sgpr36_sgpr37
                                        ; implicit-def: $sgpr34_sgpr35
	s_and_saveexec_b64 s[38:39], s[40:41]
	s_cbranch_execz .LBB10_174
; %bb.149:                              ;   in Loop: Header=BB10_7 Depth=1
	ds_read_b32 v4, v12 offset:4096
	s_waitcnt lgkmcnt(0)
	s_barrier
	v_readfirstlane_b32 s0, v4
	s_and_saveexec_b64 s[34:35], s[4:5]
; %bb.150:                              ;   in Loop: Header=BB10_7 Depth=1
	ds_write_b8 v0, v12 offset:3072
; %bb.151:                              ;   in Loop: Header=BB10_7 Depth=1
	s_or_b64 exec, exec, s[34:35]
	v_and_b32_e32 v4, v20, v3
	v_lshl_or_b32 v20, 2, v26, v4
	v_or_b32_e32 v27, v27, v1
	s_mov_b64 s[34:35], -1
	s_mov_b64 s[36:37], 0
	s_cmp_gt_i32 s0, 0
	s_mov_b64 s[42:43], 0
	s_mov_b64 s[44:45], -1
	s_waitcnt lgkmcnt(0)
	s_barrier
                                        ; implicit-def: $vgpr28
	s_cbranch_scc1 .LBB10_162
; %bb.152:                              ;   in Loop: Header=BB10_7 Depth=1
	s_mov_b64 s[44:45], 0
                                        ; implicit-def: $vgpr28
	s_mov_b64 s[46:47], exec
	v_readlane_b32 s16, v43, 44
	v_readlane_b32 s17, v43, 45
	s_and_b64 s[16:17], s[46:47], s[16:17]
	s_mov_b64 exec, s[16:17]
	s_cbranch_execz .LBB10_161
; %bb.153:                              ;   in Loop: Header=BB10_7 Depth=1
	v_mov_b32_e32 v4, v9
	v_mov_b32_e32 v28, v0
                                        ; implicit-def: $sgpr48_sgpr49
	s_branch .LBB10_156
.LBB10_154:                             ;   in Loop: Header=BB10_156 Depth=2
	s_or_b64 exec, exec, s[50:51]
	s_waitcnt lgkmcnt(0)
	s_barrier
	ds_read_u16 v30, v12 offset:3072
	s_mov_b64 s[50:51], -1
	s_mov_b64 s[52:53], -1
	s_waitcnt lgkmcnt(0)
	s_barrier
	v_cmp_ne_u32_sdwa s[16:17], v30, v12 src0_sel:BYTE_0 src1_sel:DWORD
	s_and_b64 vcc, exec, s[16:17]
	s_cbranch_vccz .LBB10_159
.LBB10_155:                             ;   in Loop: Header=BB10_156 Depth=2
	s_and_b64 s[16:17], exec, s[50:51]
	s_or_b64 s[42:43], s[16:17], s[42:43]
	s_andn2_b64 s[16:17], s[48:49], exec
	s_and_b64 s[48:49], s[52:53], exec
	s_or_b64 s[48:49], s[16:17], s[48:49]
	s_andn2_b64 exec, exec, s[42:43]
	s_cbranch_execz .LBB10_160
.LBB10_156:                             ;   Parent Loop BB10_7 Depth=1
                                        ; =>  This Inner Loop Header: Depth=2
	v_cmp_gt_i32_e32 vcc, s68, v28
	s_and_saveexec_b64 s[50:51], vcc
	s_cbranch_execz .LBB10_154
; %bb.157:                              ;   in Loop: Header=BB10_156 Depth=2
	v_ashrrev_i32_e32 v31, 31, v4
	v_mov_b32_e32 v32, s81
	v_add_co_u32_e32 v30, vcc, s80, v4
	v_addc_co_u32_e32 v31, vcc, v32, v31, vcc
	global_load_ubyte v30, v[30:31], off
	s_waitcnt vmcnt(0)
	v_add_u32_sdwa v31, sext(v30), s69 dst_sel:DWORD dst_unused:UNUSED_PAD src0_sel:BYTE_0 src1_sel:DWORD
	v_and_b32_e32 v31, v31, v27
	v_cmp_eq_u32_e32 vcc, v31, v20
	s_and_b64 exec, exec, vcc
	s_cbranch_execz .LBB10_154
; %bb.158:                              ;   in Loop: Header=BB10_156 Depth=2
	v_lshlrev_b16_e32 v30, 8, v30
	v_or_b32_e32 v30, 1, v30
	ds_write_b16 v12, v30 offset:3072
	s_branch .LBB10_154
.LBB10_159:                             ;   in Loop: Header=BB10_156 Depth=2
	v_add_u32_e32 v28, s70, v28
	v_cmp_le_i32_e32 vcc, s93, v28
	v_add_u32_e32 v4, s18, v4
	s_mov_b64 s[52:53], 0
	s_orn2_b64 s[50:51], vcc, exec
	s_branch .LBB10_155
.LBB10_160:                             ;   in Loop: Header=BB10_7 Depth=1
	s_or_b64 exec, exec, s[42:43]
	v_lshrrev_b32_sdwa v28, v25, v30 dst_sel:DWORD dst_unused:UNUSED_PAD src0_sel:DWORD src1_sel:WORD_0
	s_and_b64 s[42:43], s[48:49], exec
.LBB10_161:                             ;   in Loop: Header=BB10_7 Depth=1
	s_or_b64 exec, exec, s[46:47]
.LBB10_162:                             ;   in Loop: Header=BB10_7 Depth=1
	s_and_b64 vcc, exec, s[44:45]
	s_cbranch_vccz .LBB10_173
; %bb.163:                              ;   in Loop: Header=BB10_7 Depth=1
	v_readlane_b32 s1, v43, 31
	s_add_i32 s1, s0, s1
	s_abs_i32 s17, s1
	v_readlane_b32 s19, v43, 43
	s_mul_hi_u32 s19, s17, s19
	s_mul_i32 s19, s19, s70
	s_sub_i32 s17, s17, s19
	s_ashr_i32 s16, s1, 31
	s_sub_i32 s19, s17, s70
	s_cmp_ge_u32 s17, s70
	s_cselect_b32 s17, s19, s17
	s_sub_i32 s19, s17, s70
	s_cmp_ge_u32 s17, s70
	s_cselect_b32 s17, s19, s17
	s_xor_b32 s17, s17, s16
	s_sub_i32 s16, s16, s17
	s_add_i32 s1, s1, s16
	v_cmp_gt_i32_e32 vcc, s1, v0
                                        ; implicit-def: $vgpr28
	s_and_saveexec_b64 s[34:35], vcc
	s_cbranch_execz .LBB10_172
; %bb.164:                              ;   in Loop: Header=BB10_7 Depth=1
	s_mov_b64 s[36:37], 0
	v_mov_b32_e32 v4, v0
                                        ; implicit-def: $sgpr44_sgpr45
	s_branch .LBB10_167
.LBB10_165:                             ;   in Loop: Header=BB10_167 Depth=2
	s_or_b64 exec, exec, s[46:47]
	s_waitcnt lgkmcnt(0)
	s_barrier
	ds_read_u16 v28, v12 offset:3072
	s_mov_b64 s[46:47], -1
	s_mov_b64 s[48:49], -1
	s_waitcnt lgkmcnt(0)
	s_barrier
	v_cmp_eq_u32_sdwa s[16:17], v28, v12 src0_sel:BYTE_0 src1_sel:DWORD
	s_and_b64 vcc, exec, s[16:17]
	s_cbranch_vccnz .LBB10_170
.LBB10_166:                             ;   in Loop: Header=BB10_167 Depth=2
	s_and_b64 s[16:17], exec, s[46:47]
	s_or_b64 s[36:37], s[16:17], s[36:37]
	s_andn2_b64 s[16:17], s[44:45], exec
	s_and_b64 s[44:45], s[48:49], exec
	s_or_b64 s[44:45], s[16:17], s[44:45]
	s_andn2_b64 exec, exec, s[36:37]
	s_cbranch_execz .LBB10_171
.LBB10_167:                             ;   Parent Loop BB10_7 Depth=1
                                        ; =>  This Inner Loop Header: Depth=2
	v_cmp_gt_i32_e32 vcc, s0, v4
	s_and_saveexec_b64 s[46:47], vcc
	s_cbranch_execz .LBB10_165
; %bb.168:                              ;   in Loop: Header=BB10_167 Depth=2
	ds_read_u8 v28, v4
	s_waitcnt lgkmcnt(0)
	v_add_u32_sdwa v30, sext(v28), s69 dst_sel:DWORD dst_unused:UNUSED_PAD src0_sel:BYTE_0 src1_sel:DWORD
	v_and_b32_e32 v30, v30, v27
	v_cmp_eq_u32_e32 vcc, v30, v20
	s_and_b64 exec, exec, vcc
	s_cbranch_execz .LBB10_165
; %bb.169:                              ;   in Loop: Header=BB10_167 Depth=2
	v_lshlrev_b16_e32 v28, 8, v28
	v_or_b32_e32 v28, 1, v28
	ds_write_b16 v12, v28 offset:3072
	s_branch .LBB10_165
.LBB10_170:                             ;   in Loop: Header=BB10_167 Depth=2
	v_add_u32_e32 v4, s70, v4
	v_cmp_le_i32_e32 vcc, s1, v4
	s_mov_b64 s[48:49], 0
	s_orn2_b64 s[46:47], vcc, exec
	s_branch .LBB10_166
.LBB10_171:                             ;   in Loop: Header=BB10_7 Depth=1
	s_or_b64 exec, exec, s[36:37]
	s_andn2_b64 s[0:1], s[42:43], exec
	s_and_b64 s[16:17], s[44:45], exec
	v_lshrrev_b32_sdwa v28, v25, v28 dst_sel:DWORD dst_unused:UNUSED_PAD src0_sel:DWORD src1_sel:WORD_0
	s_or_b64 s[42:43], s[0:1], s[16:17]
.LBB10_172:                             ;   in Loop: Header=BB10_7 Depth=1
	s_or_b64 exec, exec, s[34:35]
	s_mov_b64 s[34:35], 0
	s_mov_b64 s[36:37], -1
.LBB10_173:                             ;   in Loop: Header=BB10_7 Depth=1
	s_orn2_b64 s[42:43], s[42:43], exec
.LBB10_174:                             ;   in Loop: Header=BB10_7 Depth=1
	s_or_b64 exec, exec, s[38:39]
	s_mov_b64 s[44:45], 0
	s_and_saveexec_b64 s[38:39], s[42:43]
	s_cbranch_execz .LBB10_224
; %bb.175:                              ;   in Loop: Header=BB10_7 Depth=1
	s_xor_b64 s[0:1], s[40:41], -1
	s_mov_b64 s[48:49], 0
	v_mov_b32_e32 v4, 1
	v_mov_b32_e32 v2, 1
	s_and_saveexec_b64 s[40:41], s[0:1]
	s_cbranch_execz .LBB10_184
; %bb.176:                              ;   in Loop: Header=BB10_7 Depth=1
	v_cmp_ge_i32_e32 vcc, s54, v29
	s_and_saveexec_b64 s[0:1], vcc
	s_xor_b64 s[42:43], exec, s[0:1]
	s_cbranch_execz .LBB10_181
; %bb.177:                              ;   in Loop: Header=BB10_7 Depth=1
	ds_read_b32 v2, v12 offset:4096
	v_and_b32_e32 v3, v20, v3
	v_lshl_or_b32 v20, 2, v26, v3
	v_or_b32_e32 v27, v27, v1
	s_waitcnt lgkmcnt(0)
	v_cmp_ne_u32_e32 vcc, 0, v2
	s_cbranch_vccnz .LBB10_181
; %bb.178:                              ;   in Loop: Header=BB10_7 Depth=1
	s_mov_b64 s[44:45], exec
	v_readlane_b32 s0, v43, 18
	v_readlane_b32 s1, v43, 19
	s_and_b64 s[0:1], s[44:45], s[0:1]
	s_mov_b64 exec, s[0:1]
; %bb.179:                              ;   in Loop: Header=BB10_7 Depth=1
	v_mov_b32_e32 v2, s54
	ds_write_b32 v12, v2 offset:4100
; %bb.180:                              ;   in Loop: Header=BB10_7 Depth=1
	s_or_b64 exec, exec, s[44:45]
	s_waitcnt lgkmcnt(0)
	s_barrier
.LBB10_181:                             ;   in Loop: Header=BB10_7 Depth=1
	s_or_saveexec_b64 s[42:43], s[42:43]
	s_mov_b64 s[44:45], 0
	v_mov_b32_e32 v2, 8
	s_xor_b64 exec, exec, s[42:43]
; %bb.182:                              ;   in Loop: Header=BB10_7 Depth=1
	s_mov_b64 s[44:45], exec
	v_subrev_u32_e32 v29, s54, v29
	v_mov_b32_e32 v2, 0
; %bb.183:                              ;   in Loop: Header=BB10_7 Depth=1
	s_or_b64 exec, exec, s[42:43]
	s_and_b64 s[48:49], s[44:45], exec
	v_mov_b32_e32 v4, v29
.LBB10_184:                             ;   in Loop: Header=BB10_7 Depth=1
	s_or_b64 exec, exec, s[40:41]
	s_mov_b64 s[46:47], -1
                                        ; implicit-def: $sgpr44_sgpr45
                                        ; implicit-def: $sgpr42_sgpr43
	s_and_saveexec_b64 s[40:41], s[48:49]
	s_cbranch_execz .LBB10_223
; %bb.185:                              ;   in Loop: Header=BB10_7 Depth=1
	s_cmp_eq_u32 s76, 1
	s_cselect_b64 s[0:1], -1, 0
	v_cmp_eq_u32_e32 vcc, 1, v4
	s_and_b64 s[46:47], s[0:1], vcc
	s_mov_b64 s[50:51], -1
                                        ; implicit-def: $sgpr44_sgpr45
                                        ; implicit-def: $sgpr42_sgpr43
	s_and_saveexec_b64 s[48:49], s[46:47]
	s_cbranch_execz .LBB10_211
; %bb.186:                              ;   in Loop: Header=BB10_7 Depth=1
	ds_read_b32 v3, v12 offset:4096
	s_waitcnt lgkmcnt(0)
	s_barrier
	v_readfirstlane_b32 s0, v3
	s_and_saveexec_b64 s[42:43], s[4:5]
; %bb.187:                              ;   in Loop: Header=BB10_7 Depth=1
	ds_write_b8 v0, v12 offset:3072
; %bb.188:                              ;   in Loop: Header=BB10_7 Depth=1
	s_or_b64 exec, exec, s[42:43]
	v_or_b32_e32 v20, v20, v1
	v_or_b32_e32 v27, v27, v1
	s_mov_b64 s[42:43], -1
	s_mov_b64 s[44:45], 0
	s_cmp_gt_i32 s0, 0
	s_mov_b64 s[50:51], 0
	s_mov_b64 s[52:53], -1
	s_waitcnt lgkmcnt(0)
	s_barrier
                                        ; implicit-def: $vgpr28
	s_cbranch_scc1 .LBB10_199
; %bb.189:                              ;   in Loop: Header=BB10_7 Depth=1
	s_mov_b64 s[52:53], 0
                                        ; implicit-def: $vgpr28
	s_mov_b64 s[54:55], exec
	v_readlane_b32 s16, v43, 44
	v_readlane_b32 s17, v43, 45
	s_and_b64 s[16:17], s[54:55], s[16:17]
	s_mov_b64 exec, s[16:17]
	s_cbranch_execz .LBB10_198
; %bb.190:                              ;   in Loop: Header=BB10_7 Depth=1
	v_mov_b32_e32 v3, v9
	v_mov_b32_e32 v28, v0
                                        ; implicit-def: $sgpr56_sgpr57
	s_branch .LBB10_193
.LBB10_191:                             ;   in Loop: Header=BB10_193 Depth=2
	s_or_b64 exec, exec, s[58:59]
	s_waitcnt lgkmcnt(0)
	s_barrier
	ds_read_u16 v29, v12 offset:3072
	s_mov_b64 s[58:59], -1
	s_mov_b64 s[72:73], -1
	s_waitcnt lgkmcnt(0)
	s_barrier
	v_cmp_ne_u32_sdwa s[16:17], v29, v12 src0_sel:BYTE_0 src1_sel:DWORD
	s_and_b64 vcc, exec, s[16:17]
	s_cbranch_vccz .LBB10_196
.LBB10_192:                             ;   in Loop: Header=BB10_193 Depth=2
	s_and_b64 s[16:17], exec, s[58:59]
	s_or_b64 s[50:51], s[16:17], s[50:51]
	s_andn2_b64 s[16:17], s[56:57], exec
	s_and_b64 s[56:57], s[72:73], exec
	s_or_b64 s[56:57], s[16:17], s[56:57]
	s_andn2_b64 exec, exec, s[50:51]
	s_cbranch_execz .LBB10_197
.LBB10_193:                             ;   Parent Loop BB10_7 Depth=1
                                        ; =>  This Inner Loop Header: Depth=2
	v_cmp_gt_i32_e32 vcc, s68, v28
	s_and_saveexec_b64 s[58:59], vcc
	s_cbranch_execz .LBB10_191
; %bb.194:                              ;   in Loop: Header=BB10_193 Depth=2
	v_ashrrev_i32_e32 v30, 31, v3
	v_mov_b32_e32 v31, s81
	v_add_co_u32_e32 v29, vcc, s80, v3
	v_addc_co_u32_e32 v30, vcc, v31, v30, vcc
	global_load_ubyte v29, v[29:30], off
	s_waitcnt vmcnt(0)
	v_add_u32_sdwa v30, sext(v29), s69 dst_sel:DWORD dst_unused:UNUSED_PAD src0_sel:BYTE_0 src1_sel:DWORD
	v_and_b32_e32 v30, v30, v27
	v_cmp_eq_u32_e32 vcc, v30, v20
	s_and_b64 exec, exec, vcc
	s_cbranch_execz .LBB10_191
; %bb.195:                              ;   in Loop: Header=BB10_193 Depth=2
	v_lshlrev_b16_e32 v29, 8, v29
	v_or_b32_e32 v29, 1, v29
	ds_write_b16 v12, v29 offset:3072
	s_branch .LBB10_191
.LBB10_196:                             ;   in Loop: Header=BB10_193 Depth=2
	v_add_u32_e32 v28, s70, v28
	v_cmp_le_i32_e32 vcc, s93, v28
	v_add_u32_e32 v3, s18, v3
	s_mov_b64 s[72:73], 0
	s_orn2_b64 s[58:59], vcc, exec
	s_branch .LBB10_192
.LBB10_197:                             ;   in Loop: Header=BB10_7 Depth=1
	s_or_b64 exec, exec, s[50:51]
	v_lshrrev_b32_sdwa v28, v25, v29 dst_sel:DWORD dst_unused:UNUSED_PAD src0_sel:DWORD src1_sel:WORD_0
	s_and_b64 s[50:51], s[56:57], exec
.LBB10_198:                             ;   in Loop: Header=BB10_7 Depth=1
	s_or_b64 exec, exec, s[54:55]
.LBB10_199:                             ;   in Loop: Header=BB10_7 Depth=1
	s_and_b64 vcc, exec, s[52:53]
	s_cbranch_vccz .LBB10_210
; %bb.200:                              ;   in Loop: Header=BB10_7 Depth=1
	v_readlane_b32 s1, v43, 31
	s_add_i32 s1, s0, s1
	s_abs_i32 s17, s1
	v_readlane_b32 s19, v43, 43
	s_mul_hi_u32 s19, s17, s19
	s_mul_i32 s19, s19, s70
	s_sub_i32 s17, s17, s19
	s_ashr_i32 s16, s1, 31
	s_sub_i32 s19, s17, s70
	s_cmp_ge_u32 s17, s70
	s_cselect_b32 s17, s19, s17
	s_sub_i32 s19, s17, s70
	s_cmp_ge_u32 s17, s70
	s_cselect_b32 s17, s19, s17
	s_xor_b32 s17, s17, s16
	s_sub_i32 s16, s16, s17
	s_add_i32 s1, s1, s16
	v_cmp_gt_i32_e32 vcc, s1, v0
                                        ; implicit-def: $vgpr28
	s_and_saveexec_b64 s[42:43], vcc
	s_cbranch_execz .LBB10_209
; %bb.201:                              ;   in Loop: Header=BB10_7 Depth=1
	s_mov_b64 s[44:45], 0
	v_mov_b32_e32 v3, v0
                                        ; implicit-def: $sgpr52_sgpr53
	s_branch .LBB10_204
.LBB10_202:                             ;   in Loop: Header=BB10_204 Depth=2
	s_or_b64 exec, exec, s[54:55]
	s_waitcnt lgkmcnt(0)
	s_barrier
	ds_read_u16 v28, v12 offset:3072
	s_mov_b64 s[54:55], -1
	s_mov_b64 s[56:57], -1
	s_waitcnt lgkmcnt(0)
	s_barrier
	v_cmp_eq_u32_sdwa s[16:17], v28, v12 src0_sel:BYTE_0 src1_sel:DWORD
	s_and_b64 vcc, exec, s[16:17]
	s_cbranch_vccnz .LBB10_207
.LBB10_203:                             ;   in Loop: Header=BB10_204 Depth=2
	s_and_b64 s[16:17], exec, s[54:55]
	s_or_b64 s[44:45], s[16:17], s[44:45]
	s_andn2_b64 s[16:17], s[52:53], exec
	s_and_b64 s[52:53], s[56:57], exec
	s_or_b64 s[52:53], s[16:17], s[52:53]
	s_andn2_b64 exec, exec, s[44:45]
	s_cbranch_execz .LBB10_208
.LBB10_204:                             ;   Parent Loop BB10_7 Depth=1
                                        ; =>  This Inner Loop Header: Depth=2
	v_cmp_gt_i32_e32 vcc, s0, v3
	s_and_saveexec_b64 s[54:55], vcc
	s_cbranch_execz .LBB10_202
; %bb.205:                              ;   in Loop: Header=BB10_204 Depth=2
	ds_read_u8 v28, v3
	s_waitcnt lgkmcnt(0)
	v_add_u32_sdwa v29, sext(v28), s69 dst_sel:DWORD dst_unused:UNUSED_PAD src0_sel:BYTE_0 src1_sel:DWORD
	v_and_b32_e32 v29, v29, v27
	v_cmp_eq_u32_e32 vcc, v29, v20
	s_and_b64 exec, exec, vcc
	s_cbranch_execz .LBB10_202
; %bb.206:                              ;   in Loop: Header=BB10_204 Depth=2
	v_lshlrev_b16_e32 v28, 8, v28
	v_or_b32_e32 v28, 1, v28
	ds_write_b16 v12, v28 offset:3072
	s_branch .LBB10_202
.LBB10_207:                             ;   in Loop: Header=BB10_204 Depth=2
	v_add_u32_e32 v3, s70, v3
	v_cmp_le_i32_e32 vcc, s1, v3
	s_mov_b64 s[56:57], 0
	s_orn2_b64 s[54:55], vcc, exec
	s_branch .LBB10_203
.LBB10_208:                             ;   in Loop: Header=BB10_7 Depth=1
	s_or_b64 exec, exec, s[44:45]
	s_andn2_b64 s[0:1], s[50:51], exec
	s_and_b64 s[16:17], s[52:53], exec
	v_lshrrev_b32_sdwa v28, v25, v28 dst_sel:DWORD dst_unused:UNUSED_PAD src0_sel:DWORD src1_sel:WORD_0
	s_or_b64 s[50:51], s[0:1], s[16:17]
.LBB10_209:                             ;   in Loop: Header=BB10_7 Depth=1
	s_or_b64 exec, exec, s[42:43]
	s_mov_b64 s[42:43], 0
	s_mov_b64 s[44:45], -1
.LBB10_210:                             ;   in Loop: Header=BB10_7 Depth=1
	s_orn2_b64 s[50:51], s[50:51], exec
.LBB10_211:                             ;   in Loop: Header=BB10_7 Depth=1
	s_or_b64 exec, exec, s[48:49]
	s_mov_b64 s[52:53], 0
	s_and_saveexec_b64 s[48:49], s[50:51]
	s_cbranch_execz .LBB10_222
; %bb.212:                              ;   in Loop: Header=BB10_7 Depth=1
	s_xor_b64 s[0:1], s[46:47], -1
	v_mov_b32_e32 v2, 1
	v_mov_b32_e32 v3, 1
	s_and_saveexec_b64 s[46:47], s[0:1]
	s_cbranch_execz .LBB10_221
; %bb.213:                              ;   in Loop: Header=BB10_7 Depth=1
	v_cmp_ge_i32_e32 vcc, s76, v4
	s_and_saveexec_b64 s[0:1], vcc
	s_xor_b64 s[50:51], exec, s[0:1]
	s_cbranch_execz .LBB10_218
; %bb.214:                              ;   in Loop: Header=BB10_7 Depth=1
	ds_read_b32 v2, v12 offset:4096
	v_or_b32_e32 v20, v20, v1
	v_or_b32_e32 v27, v27, v1
	s_waitcnt lgkmcnt(0)
	v_cmp_ne_u32_e32 vcc, 0, v2
	s_cbranch_vccnz .LBB10_218
; %bb.215:                              ;   in Loop: Header=BB10_7 Depth=1
	s_mov_b64 s[52:53], exec
	v_readlane_b32 s0, v43, 18
	v_readlane_b32 s1, v43, 19
	s_and_b64 s[0:1], s[52:53], s[0:1]
	s_mov_b64 exec, s[0:1]
; %bb.216:                              ;   in Loop: Header=BB10_7 Depth=1
	v_mov_b32_e32 v1, s76
	ds_write_b32 v12, v1 offset:4100
; %bb.217:                              ;   in Loop: Header=BB10_7 Depth=1
	s_or_b64 exec, exec, s[52:53]
	s_waitcnt lgkmcnt(0)
	s_barrier
.LBB10_218:                             ;   in Loop: Header=BB10_7 Depth=1
	s_andn2_saveexec_b64 s[50:51], s[50:51]
; %bb.219:                              ;   in Loop: Header=BB10_7 Depth=1
	v_subrev_u32_e32 v4, s76, v4
; %bb.220:                              ;   in Loop: Header=BB10_7 Depth=1
	s_or_b64 exec, exec, s[50:51]
	v_mov_b32_e32 v2, 8
	v_mov_b32_e32 v3, v4
.LBB10_221:                             ;   in Loop: Header=BB10_7 Depth=1
	s_or_b64 exec, exec, s[46:47]
	s_mov_b64 s[52:53], exec
	v_mov_b32_e32 v4, v3
.LBB10_222:                             ;   in Loop: Header=BB10_7 Depth=1
	s_or_b64 exec, exec, s[48:49]
	s_orn2_b64 s[46:47], s[52:53], exec
.LBB10_223:                             ;   in Loop: Header=BB10_7 Depth=1
	s_or_b64 exec, exec, s[40:41]
	s_andn2_b64 s[0:1], s[36:37], exec
	s_and_b64 s[16:17], s[44:45], exec
	s_or_b64 s[36:37], s[0:1], s[16:17]
	s_andn2_b64 s[0:1], s[34:35], exec
	s_and_b64 s[16:17], s[42:43], exec
	s_or_b64 s[34:35], s[0:1], s[16:17]
	s_and_b64 s[44:45], s[46:47], exec
	v_mov_b32_e32 v29, v4
.LBB10_224:                             ;   in Loop: Header=BB10_7 Depth=1
	s_or_b64 exec, exec, s[38:39]
	s_orn2_b64 s[38:39], s[44:45], exec
.LBB10_225:                             ;   in Loop: Header=BB10_7 Depth=1
	s_or_b64 exec, exec, s[30:31]
	s_andn2_b64 s[0:1], s[26:27], exec
	s_and_b64 s[16:17], s[36:37], exec
	s_or_b64 s[26:27], s[0:1], s[16:17]
	s_andn2_b64 s[0:1], s[24:25], exec
	s_and_b64 s[16:17], s[34:35], exec
	s_or_b64 s[24:25], s[0:1], s[16:17]
	s_and_b64 s[36:37], s[38:39], exec
	v_mov_b32_e32 v4, v29
.LBB10_226:                             ;   in Loop: Header=BB10_7 Depth=1
	s_or_b64 exec, exec, s[28:29]
	s_orn2_b64 s[28:29], s[36:37], exec
.LBB10_227:                             ;   in Loop: Header=BB10_7 Depth=1
	s_or_b64 exec, exec, s[22:23]
	s_mov_b64 s[30:31], 0
                                        ; implicit-def: $sgpr0
	s_and_saveexec_b64 s[16:17], s[28:29]
	s_xor_b64 s[22:23], exec, s[16:17]
	s_cbranch_execz .LBB10_5
; %bb.228:                              ;   in Loop: Header=BB10_7 Depth=1
	v_and_b32_e32 v1, 7, v2
	v_cmp_eq_u32_e32 vcc, 0, v1
	s_mov_b64 s[20:21], -1
	s_mov_b64 s[28:29], -1
                                        ; implicit-def: $sgpr0
	s_and_saveexec_b64 s[30:31], vcc
	s_cbranch_execz .LBB10_4
; %bb.229:                              ;   in Loop: Header=BB10_7 Depth=1
	v_add_u32_e32 v1, -2, v26
	v_cmp_eq_u32_e32 vcc, 0, v26
	s_xor_b32 s0, s90, 1
	s_xor_b64 s[28:29], exec, -1
	s_orn2_b64 s[20:21], vcc, exec
	v_mov_b32_e32 v26, v1
	s_branch .LBB10_4
.LBB10_230:
	s_or_b64 exec, exec, s[94:95]
	s_xor_b64 s[8:9], s[60:61], -1
	s_xor_b64 s[0:1], s[74:75], -1
	;; [unrolled: 1-line block ×3, first 2 shown]
	s_mov_b64 s[4:5], 0
	s_and_saveexec_b64 s[2:3], s[0:1]
	s_xor_b64 s[2:3], exec, s[2:3]
	s_cbranch_execnz .LBB10_235
; %bb.231:
	s_andn2_saveexec_b64 s[0:1], s[2:3]
	s_cbranch_execnz .LBB10_255
.LBB10_232:
	s_or_b64 exec, exec, s[0:1]
	s_and_saveexec_b64 s[0:1], s[4:5]
.LBB10_233:
	; divergent unreachable
.LBB10_234:
	s_endpgm
.LBB10_235:
	s_and_saveexec_b64 s[0:1], s[8:9]
	s_xor_b64 s[4:5], exec, s[0:1]
	s_cbranch_execz .LBB10_253
; %bb.236:
	s_and_saveexec_b64 s[0:1], s[6:7]
	s_xor_b64 s[6:7], exec, s[0:1]
; %bb.237:
	v_xor_b32_e32 v28, 0xffffff80, v20
; %bb.238:
	s_or_b64 exec, exec, s[6:7]
	s_mov_b64 s[6:7], exec
	v_readlane_b32 s0, v43, 18
	v_readlane_b32 s1, v43, 19
	v_readlane_b32 s20, v43, 22
	v_readlane_b32 s22, v43, 27
	s_and_b64 s[0:1], s[6:7], s[0:1]
	v_readlane_b32 s19, v43, 30
	v_readlane_b32 s21, v43, 23
	;; [unrolled: 1-line block ×5, first 2 shown]
	s_mov_b64 exec, s[0:1]
; %bb.239:
	v_mov_b32_e32 v1, 0
	v_mov_b32_e32 v2, s68
	ds_write_b32 v1, v2 offset:4108
; %bb.240:
	s_or_b64 exec, exec, s[6:7]
	v_mov_b32_e32 v1, 0
	s_waitcnt lgkmcnt(0)
	s_barrier
	ds_read_b32 v1, v1 offset:4108
	s_waitcnt lgkmcnt(0)
	v_min_i32_e32 v2, s68, v1
	v_cmp_lt_i32_e32 vcc, v0, v2
	s_and_saveexec_b64 s[6:7], vcc
	s_cbranch_execz .LBB10_250
; %bb.241:
	s_mov_b64 s[8:9], 0
	v_mov_b32_e32 v3, s81
                                        ; implicit-def: $sgpr10_sgpr11
                                        ; implicit-def: $sgpr14_sgpr15
                                        ; implicit-def: $sgpr12_sgpr13
	s_branch .LBB10_243
.LBB10_242:                             ;   in Loop: Header=BB10_243 Depth=1
	s_or_b64 exec, exec, s[16:17]
	s_and_b64 s[0:1], exec, s[14:15]
	s_or_b64 s[8:9], s[0:1], s[8:9]
	s_andn2_b64 s[0:1], s[10:11], exec
	s_and_b64 s[10:11], s[12:13], exec
	s_or_b64 s[10:11], s[0:1], s[10:11]
	s_andn2_b64 exec, exec, s[8:9]
	s_cbranch_execz .LBB10_245
.LBB10_243:                             ; =>This Inner Loop Header: Depth=1
	v_ashrrev_i32_e32 v1, 31, v9
	v_add_co_u32_e32 v4, vcc, s80, v9
	v_addc_co_u32_e32 v5, vcc, v3, v1, vcc
	global_load_ubyte v4, v[4:5], off
	v_mov_b32_e32 v1, v0
	s_or_b64 s[12:13], s[12:13], exec
	s_or_b64 s[14:15], s[14:15], exec
                                        ; implicit-def: $vgpr0
	s_waitcnt vmcnt(0)
	v_cmp_ne_u16_sdwa s[0:1], v4, v28 src0_sel:DWORD src1_sel:BYTE_0
	s_and_saveexec_b64 s[16:17], s[0:1]
	s_cbranch_execz .LBB10_242
; %bb.244:                              ;   in Loop: Header=BB10_243 Depth=1
	v_add_u32_e32 v0, s70, v1
	v_cmp_ge_i32_e32 vcc, v0, v2
	s_andn2_b64 s[0:1], s[14:15], exec
	s_and_b64 s[14:15], vcc, exec
	v_add_u32_e32 v9, s18, v9
	s_andn2_b64 s[12:13], s[12:13], exec
	s_or_b64 s[14:15], s[0:1], s[14:15]
	s_branch .LBB10_242
.LBB10_245:
	s_or_b64 exec, exec, s[8:9]
	s_and_saveexec_b64 s[0:1], s[10:11]
	s_xor_b64 s[0:1], exec, s[0:1]
	s_cbranch_execz .LBB10_250
; %bb.246:
	s_mov_b64 s[8:9], exec
	s_brev_b32 s0, -2
.LBB10_247:                             ; =>This Inner Loop Header: Depth=1
	s_ff1_i32_b64 s1, s[8:9]
	v_readlane_b32 s12, v1, s1
	s_lshl_b64 s[10:11], 1, s1
	s_min_i32 s0, s0, s12
	s_andn2_b64 s[8:9], s[8:9], s[10:11]
	s_cmp_lg_u64 s[8:9], 0
	s_cbranch_scc1 .LBB10_247
; %bb.248:
	v_mbcnt_lo_u32_b32 v0, exec_lo, 0
	v_mbcnt_hi_u32_b32 v0, exec_hi, v0
	v_cmp_eq_u32_e32 vcc, 0, v0
	s_and_saveexec_b64 s[8:9], vcc
	s_xor_b64 s[8:9], exec, s[8:9]
; %bb.249:
	v_mov_b32_e32 v0, 0
	v_mov_b32_e32 v1, s0
	ds_min_i32 v0, v1 offset:4108
.LBB10_250:
	s_or_b64 exec, exec, s[6:7]
	s_waitcnt lgkmcnt(0)
	s_barrier
	s_mov_b64 s[6:7], exec
	v_readlane_b32 s0, v43, 18
	v_readlane_b32 s1, v43, 19
	s_and_b64 s[0:1], s[6:7], s[0:1]
	s_mov_b64 exec, s[0:1]
	s_cbranch_execz .LBB10_252
; %bb.251:
	v_readlane_b32 s8, v43, 0
	s_mul_i32 s0, s24, s21
	v_readlane_b32 s10, v43, 2
	s_sub_i32 s0, s19, s0
	v_readlane_b32 s9, v43, 1
	v_readlane_b32 s11, v43, 3
	s_mov_b32 s14, s10
	s_mov_b64 s[12:13], s[8:9]
	s_mul_i32 s0, s0, s14
	v_readlane_b32 s1, v43, 21
	v_readlane_b32 s8, v43, 24
	;; [unrolled: 1-line block ×4, first 2 shown]
	s_xor_b32 s1, s1, s8
	s_mul_i32 s8, s14, s11
	v_readlane_b32 s9, v43, 13
	s_sub_i32 s8, s9, s8
	s_add_i32 s9, s14, 1
	s_sub_i32 s10, s8, s11
	s_cmp_ge_u32 s8, s11
	s_cselect_b32 s9, s9, s14
	s_cselect_b32 s8, s10, s8
	s_add_i32 s10, s9, 1
	s_cmp_ge_u32 s8, s11
	s_cselect_b32 s8, s10, s9
	s_xor_b32 s8, s8, s1
	s_sub_i32 s1, s8, s1
	s_mul_i32 s8, s1, s20
	s_sub_i32 s8, s24, s8
	s_mul_i32 s8, s8, s13
	s_add_i32 s0, s8, s0
	s_mul_i32 s1, s1, s12
	v_readlane_b32 s8, v43, 4
	s_add_i32 s1, s0, s1
	s_mul_i32 s0, s25, s23
	v_readlane_b32 s10, v43, 6
	s_sub_i32 s0, s19, s0
	v_readlane_b32 s9, v43, 5
	s_mov_b32 s14, s10
	s_mov_b64 s[12:13], s[8:9]
	s_mul_i32 s0, s0, s14
	v_readlane_b32 s8, v43, 26
	v_readlane_b32 s9, v43, 29
	v_readlane_b32 s14, v43, 15
	v_readlane_b32 s15, v43, 17
	s_xor_b32 s8, s8, s9
	s_mul_i32 s9, s15, s14
	v_readlane_b32 s10, v43, 16
	v_readlane_b32 s11, v43, 7
	s_sub_i32 s9, s10, s9
	s_add_i32 s10, s15, 1
	s_sub_i32 s11, s9, s14
	s_cmp_ge_u32 s9, s14
	s_cselect_b32 s10, s10, s15
	s_cselect_b32 s9, s11, s9
	s_add_i32 s11, s10, 1
	s_cmp_ge_u32 s9, s14
	s_cselect_b32 s9, s11, s10
	s_xor_b32 s9, s9, s8
	s_sub_i32 s8, s9, s8
	s_mul_i32 s9, s8, s22
	s_sub_i32 s9, s25, s9
	s_mul_i32 s9, s9, s13
	s_add_i32 s0, s9, s0
	s_mul_i32 s8, s8, s12
	v_mov_b32_e32 v2, 0
	s_add_i32 s0, s0, s8
	s_ashr_i32 s9, s1, 31
	v_readlane_b32 s10, v43, 11
	ds_read_b32 v0, v2 offset:4108
	v_readlane_b32 s11, v43, 12
	s_add_u32 s8, s10, s1
	s_addc_u32 s9, s11, s9
	s_ashr_i32 s1, s0, 31
	s_lshl_b64 s[0:1], s[0:1], 3
	v_readlane_b32 s10, v43, 8
	v_readlane_b32 s11, v43, 9
	s_add_u32 s0, s10, s0
	s_addc_u32 s1, s11, s1
	s_waitcnt lgkmcnt(0)
	v_ashrrev_i32_e32 v1, 31, v0
	global_store_dwordx2 v2, v[0:1], s[0:1]
	global_store_byte v2, v28, s[8:9]
.LBB10_252:
	s_or_b64 exec, exec, s[6:7]
.LBB10_253:
	s_or_saveexec_b64 s[0:1], s[4:5]
	s_mov_b64 s[4:5], 0
	s_xor_b64 exec, exec, s[0:1]
	s_cbranch_execnz .LBB10_256
.LBB10_254:
	s_or_b64 exec, exec, s[0:1]
	s_and_b64 s[4:5], s[4:5], exec
	s_andn2_saveexec_b64 s[0:1], s[2:3]
	s_cbranch_execz .LBB10_232
.LBB10_255:
	s_or_b64 s[4:5], s[4:5], exec
	s_trap 2
	s_or_b64 exec, exec, s[0:1]
	s_and_saveexec_b64 s[0:1], s[4:5]
	s_cbranch_execnz .LBB10_233
	s_branch .LBB10_234
.LBB10_256:
	s_mov_b64 s[4:5], exec
	s_trap 2
	s_branch .LBB10_254
	.section	.rodata,"a",@progbits
	.p2align	6, 0x0
	.amdhsa_kernel _ZN2at6native12_GLOBAL__N_114gatherKthValueIaiLi3EEEvNS_4cuda6detail10TensorInfoIKT_T0_EES8_S8_S8_S8_NS5_IS6_S8_EENS5_IlS8_EE
		.amdhsa_group_segment_fixed_size 4112
		.amdhsa_private_segment_fixed_size 0
		.amdhsa_kernarg_size 920
		.amdhsa_user_sgpr_count 6
		.amdhsa_user_sgpr_private_segment_buffer 1
		.amdhsa_user_sgpr_dispatch_ptr 0
		.amdhsa_user_sgpr_queue_ptr 0
		.amdhsa_user_sgpr_kernarg_segment_ptr 1
		.amdhsa_user_sgpr_dispatch_id 0
		.amdhsa_user_sgpr_flat_scratch_init 0
		.amdhsa_user_sgpr_private_segment_size 0
		.amdhsa_uses_dynamic_stack 0
		.amdhsa_system_sgpr_private_segment_wavefront_offset 0
		.amdhsa_system_sgpr_workgroup_id_x 1
		.amdhsa_system_sgpr_workgroup_id_y 1
		.amdhsa_system_sgpr_workgroup_id_z 1
		.amdhsa_system_sgpr_workgroup_info 0
		.amdhsa_system_vgpr_workitem_id 0
		.amdhsa_next_free_vgpr 44
		.amdhsa_next_free_sgpr 96
		.amdhsa_reserve_vcc 1
		.amdhsa_reserve_flat_scratch 0
		.amdhsa_float_round_mode_32 0
		.amdhsa_float_round_mode_16_64 0
		.amdhsa_float_denorm_mode_32 3
		.amdhsa_float_denorm_mode_16_64 3
		.amdhsa_dx10_clamp 1
		.amdhsa_ieee_mode 1
		.amdhsa_fp16_overflow 0
		.amdhsa_exception_fp_ieee_invalid_op 0
		.amdhsa_exception_fp_denorm_src 0
		.amdhsa_exception_fp_ieee_div_zero 0
		.amdhsa_exception_fp_ieee_overflow 0
		.amdhsa_exception_fp_ieee_underflow 0
		.amdhsa_exception_fp_ieee_inexact 0
		.amdhsa_exception_int_div_zero 0
	.end_amdhsa_kernel
	.section	.text._ZN2at6native12_GLOBAL__N_114gatherKthValueIaiLi3EEEvNS_4cuda6detail10TensorInfoIKT_T0_EES8_S8_S8_S8_NS5_IS6_S8_EENS5_IlS8_EE,"axG",@progbits,_ZN2at6native12_GLOBAL__N_114gatherKthValueIaiLi3EEEvNS_4cuda6detail10TensorInfoIKT_T0_EES8_S8_S8_S8_NS5_IS6_S8_EENS5_IlS8_EE,comdat
.Lfunc_end10:
	.size	_ZN2at6native12_GLOBAL__N_114gatherKthValueIaiLi3EEEvNS_4cuda6detail10TensorInfoIKT_T0_EES8_S8_S8_S8_NS5_IS6_S8_EENS5_IlS8_EE, .Lfunc_end10-_ZN2at6native12_GLOBAL__N_114gatherKthValueIaiLi3EEEvNS_4cuda6detail10TensorInfoIKT_T0_EES8_S8_S8_S8_NS5_IS6_S8_EENS5_IlS8_EE
                                        ; -- End function
	.set _ZN2at6native12_GLOBAL__N_114gatherKthValueIaiLi3EEEvNS_4cuda6detail10TensorInfoIKT_T0_EES8_S8_S8_S8_NS5_IS6_S8_EENS5_IlS8_EE.num_vgpr, 44
	.set _ZN2at6native12_GLOBAL__N_114gatherKthValueIaiLi3EEEvNS_4cuda6detail10TensorInfoIKT_T0_EES8_S8_S8_S8_NS5_IS6_S8_EENS5_IlS8_EE.num_agpr, 0
	.set _ZN2at6native12_GLOBAL__N_114gatherKthValueIaiLi3EEEvNS_4cuda6detail10TensorInfoIKT_T0_EES8_S8_S8_S8_NS5_IS6_S8_EENS5_IlS8_EE.numbered_sgpr, 96
	.set _ZN2at6native12_GLOBAL__N_114gatherKthValueIaiLi3EEEvNS_4cuda6detail10TensorInfoIKT_T0_EES8_S8_S8_S8_NS5_IS6_S8_EENS5_IlS8_EE.num_named_barrier, 0
	.set _ZN2at6native12_GLOBAL__N_114gatherKthValueIaiLi3EEEvNS_4cuda6detail10TensorInfoIKT_T0_EES8_S8_S8_S8_NS5_IS6_S8_EENS5_IlS8_EE.private_seg_size, 0
	.set _ZN2at6native12_GLOBAL__N_114gatherKthValueIaiLi3EEEvNS_4cuda6detail10TensorInfoIKT_T0_EES8_S8_S8_S8_NS5_IS6_S8_EENS5_IlS8_EE.uses_vcc, 1
	.set _ZN2at6native12_GLOBAL__N_114gatherKthValueIaiLi3EEEvNS_4cuda6detail10TensorInfoIKT_T0_EES8_S8_S8_S8_NS5_IS6_S8_EENS5_IlS8_EE.uses_flat_scratch, 0
	.set _ZN2at6native12_GLOBAL__N_114gatherKthValueIaiLi3EEEvNS_4cuda6detail10TensorInfoIKT_T0_EES8_S8_S8_S8_NS5_IS6_S8_EENS5_IlS8_EE.has_dyn_sized_stack, 0
	.set _ZN2at6native12_GLOBAL__N_114gatherKthValueIaiLi3EEEvNS_4cuda6detail10TensorInfoIKT_T0_EES8_S8_S8_S8_NS5_IS6_S8_EENS5_IlS8_EE.has_recursion, 0
	.set _ZN2at6native12_GLOBAL__N_114gatherKthValueIaiLi3EEEvNS_4cuda6detail10TensorInfoIKT_T0_EES8_S8_S8_S8_NS5_IS6_S8_EENS5_IlS8_EE.has_indirect_call, 0
	.section	.AMDGPU.csdata,"",@progbits
; Kernel info:
; codeLenInByte = 10140
; TotalNumSgprs: 100
; NumVgprs: 44
; ScratchSize: 0
; MemoryBound: 0
; FloatMode: 240
; IeeeMode: 1
; LDSByteSize: 4112 bytes/workgroup (compile time only)
; SGPRBlocks: 12
; VGPRBlocks: 10
; NumSGPRsForWavesPerEU: 100
; NumVGPRsForWavesPerEU: 44
; Occupancy: 5
; WaveLimiterHint : 1
; COMPUTE_PGM_RSRC2:SCRATCH_EN: 0
; COMPUTE_PGM_RSRC2:USER_SGPR: 6
; COMPUTE_PGM_RSRC2:TRAP_HANDLER: 0
; COMPUTE_PGM_RSRC2:TGID_X_EN: 1
; COMPUTE_PGM_RSRC2:TGID_Y_EN: 1
; COMPUTE_PGM_RSRC2:TGID_Z_EN: 1
; COMPUTE_PGM_RSRC2:TIDIG_COMP_CNT: 0
	.section	.text._ZN2at6native12_GLOBAL__N_114gatherKthValueIaiLin1EEEvNS_4cuda6detail10TensorInfoIKT_T0_EES8_S8_S8_S8_NS5_IS6_S8_EENS5_IlS8_EE,"axG",@progbits,_ZN2at6native12_GLOBAL__N_114gatherKthValueIaiLin1EEEvNS_4cuda6detail10TensorInfoIKT_T0_EES8_S8_S8_S8_NS5_IS6_S8_EENS5_IlS8_EE,comdat
	.globl	_ZN2at6native12_GLOBAL__N_114gatherKthValueIaiLin1EEEvNS_4cuda6detail10TensorInfoIKT_T0_EES8_S8_S8_S8_NS5_IS6_S8_EENS5_IlS8_EE ; -- Begin function _ZN2at6native12_GLOBAL__N_114gatherKthValueIaiLin1EEEvNS_4cuda6detail10TensorInfoIKT_T0_EES8_S8_S8_S8_NS5_IS6_S8_EENS5_IlS8_EE
	.p2align	8
	.type	_ZN2at6native12_GLOBAL__N_114gatherKthValueIaiLin1EEEvNS_4cuda6detail10TensorInfoIKT_T0_EES8_S8_S8_S8_NS5_IS6_S8_EENS5_IlS8_EE,@function
_ZN2at6native12_GLOBAL__N_114gatherKthValueIaiLin1EEEvNS_4cuda6detail10TensorInfoIKT_T0_EES8_S8_S8_S8_NS5_IS6_S8_EENS5_IlS8_EE: ; @_ZN2at6native12_GLOBAL__N_114gatherKthValueIaiLin1EEEvNS_4cuda6detail10TensorInfoIKT_T0_EES8_S8_S8_S8_NS5_IS6_S8_EENS5_IlS8_EE
; %bb.0:
	s_load_dwordx2 s[12:13], s[4:5], 0x298
	s_load_dwordx4 s[60:63], s[4:5], 0xd8
	s_add_u32 s10, s4, 0x298
	s_addc_u32 s11, s5, 0
	s_waitcnt lgkmcnt(0)
	s_mul_i32 s0, s13, s8
	s_add_i32 s0, s0, s7
	s_mul_i32 s0, s0, s12
	s_add_i32 s33, s0, s6
	s_cmp_ge_i32 s33, s62
	s_cbranch_scc1 .LBB11_243
; %bb.1:
	s_load_dword s0, s[4:5], 0xd0
	s_mov_b32 s3, 0
	s_mov_b32 s2, s33
	s_waitcnt lgkmcnt(0)
	s_cmp_lt_i32 s0, 2
	s_cbranch_scc1 .LBB11_4
; %bb.2:
	s_add_i32 s2, s0, -1
	s_add_i32 s7, s0, 1
	s_lshl_b64 s[0:1], s[2:3], 2
	s_add_u32 s0, s4, s0
	s_addc_u32 s1, s5, s1
	s_add_u32 s0, s0, 8
	s_addc_u32 s1, s1, 0
	s_mov_b32 s2, s33
.LBB11_3:                               ; =>This Inner Loop Header: Depth=1
	s_load_dword s8, s[0:1], 0x0
	s_load_dword s13, s[0:1], 0x64
	s_mov_b32 s9, s2
	s_abs_i32 s2, s2
	s_waitcnt lgkmcnt(0)
	s_abs_i32 s15, s8
	v_cvt_f32_u32_e32 v1, s15
	s_sub_i32 s16, 0, s15
	s_xor_b32 s14, s9, s8
	s_ashr_i32 s14, s14, 31
	v_rcp_iflag_f32_e32 v1, v1
	v_mul_f32_e32 v1, 0x4f7ffffe, v1
	v_cvt_u32_f32_e32 v1, v1
	v_readfirstlane_b32 s17, v1
	s_mul_i32 s16, s16, s17
	s_mul_hi_u32 s16, s17, s16
	s_add_i32 s17, s17, s16
	s_mul_hi_u32 s16, s2, s17
	s_mul_i32 s17, s16, s15
	s_sub_i32 s2, s2, s17
	s_add_i32 s18, s16, 1
	s_sub_i32 s17, s2, s15
	s_cmp_ge_u32 s2, s15
	s_cselect_b32 s16, s18, s16
	s_cselect_b32 s2, s17, s2
	s_add_i32 s17, s16, 1
	s_cmp_ge_u32 s2, s15
	s_cselect_b32 s2, s17, s16
	s_xor_b32 s2, s2, s14
	s_sub_i32 s2, s2, s14
	s_mul_i32 s8, s2, s8
	s_sub_i32 s8, s9, s8
	s_mul_i32 s8, s13, s8
	s_add_i32 s7, s7, -1
	s_add_i32 s3, s8, s3
	s_add_u32 s0, s0, -4
	s_addc_u32 s1, s1, -1
	s_cmp_gt_u32 s7, 2
	s_cbranch_scc1 .LBB11_3
.LBB11_4:
	s_load_dword s8, s[4:5], 0x1b8
	s_add_u32 s0, s4, 0xe8
	s_addc_u32 s1, s5, 0
	s_mov_b32 s65, 0
	s_mov_b32 s62, s33
	s_waitcnt lgkmcnt(0)
	s_cmp_lt_i32 s8, 2
	s_cbranch_scc1 .LBB11_7
; %bb.5:
	s_add_i32 s64, s8, -1
	s_add_i32 s7, s8, 1
	s_lshl_b64 s[8:9], s[64:65], 2
	s_add_u32 s8, s0, s8
	s_addc_u32 s9, s1, s9
	s_add_u32 s8, s8, 8
	s_addc_u32 s9, s9, 0
	s_mov_b32 s62, s33
.LBB11_6:                               ; =>This Inner Loop Header: Depth=1
	s_load_dword s13, s[8:9], 0x0
	s_load_dword s15, s[8:9], 0x64
	s_abs_i32 s16, s62
	s_mov_b32 s14, s62
	s_waitcnt lgkmcnt(0)
	s_abs_i32 s18, s13
	v_cvt_f32_u32_e32 v1, s18
	s_sub_i32 s19, 0, s18
	s_xor_b32 s17, s62, s13
	s_ashr_i32 s17, s17, 31
	v_rcp_iflag_f32_e32 v1, v1
	v_mul_f32_e32 v1, 0x4f7ffffe, v1
	v_cvt_u32_f32_e32 v1, v1
	v_readfirstlane_b32 s20, v1
	s_mul_i32 s19, s19, s20
	s_mul_hi_u32 s19, s20, s19
	s_add_i32 s20, s20, s19
	s_mul_hi_u32 s19, s16, s20
	s_mul_i32 s20, s19, s18
	s_sub_i32 s16, s16, s20
	s_add_i32 s21, s19, 1
	s_sub_i32 s20, s16, s18
	s_cmp_ge_u32 s16, s18
	s_cselect_b32 s19, s21, s19
	s_cselect_b32 s16, s20, s16
	s_add_i32 s20, s19, 1
	s_cmp_ge_u32 s16, s18
	s_cselect_b32 s16, s20, s19
	s_xor_b32 s16, s16, s17
	s_sub_i32 s62, s16, s17
	s_mul_i32 s13, s62, s13
	s_sub_i32 s13, s14, s13
	s_mul_i32 s13, s15, s13
	s_add_i32 s7, s7, -1
	s_add_i32 s65, s13, s65
	s_add_u32 s8, s8, -4
	s_addc_u32 s9, s9, -1
	s_cmp_gt_u32 s7, 2
	s_cbranch_scc1 .LBB11_6
.LBB11_7:
	s_load_dword s7, s[4:5], 0x6c
	s_load_dword s14, s[4:5], 0x290
	s_add_u32 s8, s4, 0x1c0
	s_addc_u32 s9, s5, 0
	s_mov_b32 s67, 0
	s_waitcnt lgkmcnt(0)
	s_cmp_lt_i32 s14, 2
	s_cbranch_scc1 .LBB11_10
; %bb.8:
	s_add_i32 s66, s14, -1
	s_add_i32 s13, s14, 1
	s_lshl_b64 s[14:15], s[66:67], 2
	s_add_u32 s8, s8, s14
	s_addc_u32 s9, s9, s15
	s_add_u32 s8, s8, 8
	s_addc_u32 s9, s9, 0
.LBB11_9:                               ; =>This Inner Loop Header: Depth=1
	s_load_dword s14, s[8:9], 0x0
	s_load_dword s16, s[8:9], 0x64
	s_abs_i32 s17, s33
	s_mov_b32 s15, s33
	s_waitcnt lgkmcnt(0)
	s_abs_i32 s19, s14
	v_cvt_f32_u32_e32 v1, s19
	s_sub_i32 s20, 0, s19
	s_xor_b32 s18, s33, s14
	s_ashr_i32 s18, s18, 31
	v_rcp_iflag_f32_e32 v1, v1
	v_mul_f32_e32 v1, 0x4f7ffffe, v1
	v_cvt_u32_f32_e32 v1, v1
	v_readfirstlane_b32 s21, v1
	s_mul_i32 s20, s20, s21
	s_mul_hi_u32 s20, s21, s20
	s_add_i32 s21, s21, s20
	s_mul_hi_u32 s20, s17, s21
	s_mul_i32 s21, s20, s19
	s_sub_i32 s17, s17, s21
	s_add_i32 s22, s20, 1
	s_sub_i32 s21, s17, s19
	s_cmp_ge_u32 s17, s19
	s_cselect_b32 s20, s22, s20
	s_cselect_b32 s17, s21, s17
	s_add_i32 s21, s20, 1
	s_cmp_ge_u32 s17, s19
	s_cselect_b32 s17, s21, s20
	s_xor_b32 s17, s17, s18
	s_sub_i32 s33, s17, s18
	s_mul_i32 s14, s33, s14
	s_sub_i32 s14, s15, s14
	s_mul_i32 s14, s16, s14
	s_add_i32 s13, s13, -1
	s_add_i32 s67, s14, s67
	s_add_u32 s8, s8, -4
	s_addc_u32 s9, s9, -1
	s_cmp_gt_u32 s13, 2
	s_cbranch_scc1 .LBB11_9
.LBB11_10:
	s_load_dword s0, s[0:1], 0x6c
                                        ; implicit-def: $vgpr43 : SGPR spill to VGPR lane
	s_mov_b32 s85, 0
	s_waitcnt lgkmcnt(0)
	v_writelane_b32 v43, s0, 0
	s_load_dwordx2 s[8:9], s[4:5], 0x0
	s_load_dwordx2 s[0:1], s[4:5], 0xe8
	s_waitcnt lgkmcnt(0)
	v_writelane_b32 v43, s0, 1
	v_writelane_b32 v43, s1, 2
	s_load_dwordx2 s[0:1], s[4:5], 0x1c0
	s_waitcnt lgkmcnt(0)
	v_writelane_b32 v43, s0, 3
	v_writelane_b32 v43, s1, 4
	v_cmp_eq_u32_e64 s[0:1], 0, v0
	s_mov_b64 s[14:15], exec
	v_writelane_b32 v43, s0, 5
	v_writelane_b32 v43, s1, 6
	s_and_b64 s[0:1], s[14:15], s[0:1]
	s_mov_b64 exec, s[0:1]
; %bb.11:
	v_mov_b32_e32 v1, 0
	v_mov_b32_e32 v2, s60
	;; [unrolled: 1-line block ×3, first 2 shown]
	ds_write_b96 v1, v[1:3] offset:4096
; %bb.12:
	s_or_b64 exec, exec, s[14:15]
	s_load_dword s0, s[4:5], 0x22c
	s_waitcnt lgkmcnt(0)
	s_barrier
	s_load_dword s1, s[10:11], 0xc
	v_writelane_b32 v43, s0, 7
	s_mul_i32 s0, s7, s2
	s_add_i32 s0, s0, s3
	s_ashr_i32 s2, s0, 31
	s_add_u32 s72, s8, s0
	v_mbcnt_lo_u32_b32 v1, -1, 0
	s_addc_u32 s73, s9, s2
	s_waitcnt lgkmcnt(0)
	s_and_b32 s64, s1, 0xffff
	v_mbcnt_hi_u32_b32 v11, -1, v1
	v_mul_lo_u32 v9, s63, v0
	s_bfe_u32 s0, s1, 0xa0006
	v_cmp_gt_u32_e32 vcc, 64, v0
	v_cmp_gt_i32_e64 s[4:5], 4, v11
	s_add_i32 s1, s64, -1
	s_lshl_b32 s66, s64, 2
	s_and_b64 s[74:75], vcc, s[4:5]
	s_add_i32 s17, s1, s60
	s_cmpk_gt_i32 s60, 0xc00
	v_writelane_b32 v43, s1, 8
	s_cselect_b64 s[8:9], -1, 0
	v_mov_b32_e32 v1, s73
	v_add_co_u32_e32 v5, vcc, s72, v9
	v_writelane_b32 v43, s8, 9
	v_addc_co_u32_e32 v6, vcc, 0, v1, vcc
	v_lshlrev_b64 v[1:2], v11, -1
	v_writelane_b32 v43, s9, 10
	v_cmp_gt_u32_e64 s[8:9], s60, v0
	v_writelane_b32 v43, s8, 11
	v_not_b32_e32 v15, v1
	v_lshrrev_b32_e32 v1, 2, v0
	v_writelane_b32 v43, s9, 12
	v_cmp_gt_i32_e64 s[8:9], s60, v0
	v_and_b32_e32 v1, 0xf0, v1
	v_writelane_b32 v43, s8, 13
	s_cmp_gt_u32 s64, 63
	v_or_b32_e32 v16, 0xc00, v1
	v_cvt_f32_u32_e32 v1, s66
	v_writelane_b32 v43, s9, 14
	s_cselect_b64 s[8:9], -1, 0
	s_cmp_lt_u32 s6, s12
	s_cselect_b32 s1, 12, 18
	v_writelane_b32 v43, s8, 15
	s_add_u32 s6, s10, s1
	v_writelane_b32 v43, s9, 16
	s_addc_u32 s7, s11, 0
	v_rcp_iflag_f32_e32 v1, v1
	v_writelane_b32 v43, s6, 17
	s_add_i32 s1, s0, -1
	v_writelane_b32 v43, s7, 18
	s_bfe_u32 s6, s64, 0x30006
	s_and_b32 s1, s1, 0xffff
	s_cmp_gt_u32 s1, 6
	s_cselect_b64 s[8:9], -1, 0
	v_mul_f32_e32 v1, 0x4f7ffffe, v1
	v_writelane_b32 v43, s8, 19
	s_and_b32 s84, s0, 0x3f8
	v_cvt_u32_f32_e32 v1, v1
	v_writelane_b32 v43, s9, 20
	s_cmp_lg_u32 s6, 0
	v_writelane_b32 v43, s6, 21
	s_cselect_b64 s[0:1], -1, 0
	v_writelane_b32 v43, s0, 22
	v_writelane_b32 v43, s1, 23
	s_sub_i32 s0, 0, s66
	v_readfirstlane_b32 s1, v1
	s_mul_i32 s0, s0, s1
	s_mul_hi_u32 s0, s1, s0
	s_add_i32 s80, s1, s0
	s_mul_hi_u32 s0, s60, s80
	s_mul_i32 s0, s0, s66
	s_sub_i32 s0, s60, s0
	s_sub_i32 s1, s0, s66
	s_cmp_ge_u32 s0, s66
	s_cselect_b32 s0, s1, s0
	s_sub_i32 s1, s0, s66
	v_not_b32_e32 v14, v2
	s_cmp_ge_u32 s0, s66
	v_cvt_f32_u32_e32 v2, s64
	s_cselect_b32 s0, s1, s0
	s_sub_i32 s81, s60, s0
	v_add_u32_e32 v17, s81, v0
	v_mul_lo_u32 v1, v17, s63
	v_rcp_iflag_f32_e32 v2, v2
	s_sub_i32 s7, 0, s64
	s_abs_i32 s6, s17
	v_ashrrev_i32_e32 v4, 31, v1
	v_add_co_u32_e32 v7, vcc, s72, v1
	v_mul_f32_e32 v1, 0x4f7ffffe, v2
	v_cvt_u32_f32_e32 v1, v1
	s_ashr_i32 s1, s17, 31
	v_lshlrev_b32_e32 v10, 2, v0
	v_lshlrev_b32_e32 v3, 2, v11
	v_readfirstlane_b32 s8, v1
	s_mul_i32 s7, s7, s8
	s_mul_hi_u32 s7, s8, s7
	s_add_i32 s7, s8, s7
	s_mov_b32 s79, s7
	s_mul_hi_u32 s7, s6, s7
	s_mul_i32 s7, s7, s64
	s_sub_i32 s6, s6, s7
	s_sub_i32 s7, s6, s64
	s_cmp_ge_u32 s6, s64
	s_cselect_b32 s6, s7, s6
	s_sub_i32 s7, s6, s64
	v_mul_lo_u32 v1, s63, v10
	s_cmp_ge_u32 s6, s64
	s_cselect_b32 s6, s7, s6
	s_xor_b32 s6, s6, s1
	s_sub_i32 s1, s1, s6
	v_add_u32_e32 v18, s63, v1
	v_or_b32_e32 v1, 2, v10
	s_add_i32 s17, s17, s1
	v_mul_lo_u32 v19, s63, v1
	v_or_b32_e32 v1, 3, v10
	s_add_i32 s1, s64, s60
	v_mul_lo_u32 v21, s63, v1
	v_add_u32_e32 v1, s1, v0
	v_subrev_u32_e32 v1, s0, v1
	v_mul_lo_u32 v23, s63, v1
	v_mov_b32_e32 v8, s73
	v_cmp_gt_i32_e64 s[6:7], s17, v0
	s_mul_i32 s82, s63, s64
	v_cmp_eq_u32_e64 s[2:3], 0, v11
	v_cmp_gt_u32_e64 s[4:5], 2, v0
	v_mov_b32_e32 v12, 0
	v_and_b32_e32 v13, 0x100, v3
	v_cmp_gt_i32_e64 s[10:11], s81, v10
	v_cmp_gt_u32_e64 s[12:13], s60, v17
	v_addc_co_u32_e32 v8, vcc, v8, v4, vcc
	v_cmp_gt_i32_e64 s[14:15], s60, v17
	v_writelane_b32 v43, s6, 24
	s_lshl_b32 s83, s82, 2
	v_lshlrev_b32_e32 v22, 2, v9
	v_or_b32_e32 v24, 0xc00, v3
	s_mov_b64 s[86:87], 0
	v_mov_b32_e32 v26, 6
	v_mov_b32_e32 v29, s61
	s_movk_i32 s61, 0x80
	v_mov_b32_e32 v25, 8
	v_mov_b32_e32 v28, 0
	;; [unrolled: 1-line block ×4, first 2 shown]
	v_writelane_b32 v43, s7, 25
                                        ; implicit-def: $sgpr88_sgpr89
                                        ; implicit-def: $sgpr92_sgpr93
                                        ; implicit-def: $sgpr90_sgpr91
                                        ; implicit-def: $sgpr68_sgpr69
                                        ; implicit-def: $sgpr70_sgpr71
                                        ; implicit-def: $sgpr94_sgpr95
	s_branch .LBB11_16
.LBB11_13:                              ;   in Loop: Header=BB11_16 Depth=1
	s_or_b64 exec, exec, s[22:23]
	s_and_b64 s[18:19], s[18:19], exec
	s_andn2_b64 s[26:27], s[26:27], exec
	s_andn2_b64 s[24:25], s[24:25], exec
	s_orn2_b64 s[20:21], s[20:21], exec
.LBB11_14:                              ;   in Loop: Header=BB11_16 Depth=1
	s_or_b64 exec, exec, s[8:9]
	s_andn2_b64 s[8:9], s[94:95], exec
	s_and_b64 s[18:19], s[18:19], exec
	s_or_b64 s[94:95], s[8:9], s[18:19]
	s_andn2_b64 s[8:9], s[70:71], exec
	s_and_b64 s[18:19], s[26:27], exec
	s_or_b64 s[70:71], s[8:9], s[18:19]
	;; [unrolled: 3-line block ×3, first 2 shown]
	s_orn2_b64 s[20:21], s[20:21], exec
.LBB11_15:                              ;   in Loop: Header=BB11_16 Depth=1
	s_or_b64 exec, exec, s[6:7]
	s_and_b64 s[6:7], exec, s[20:21]
	s_or_b64 s[86:87], s[6:7], s[86:87]
	s_andn2_b64 s[6:7], s[90:91], exec
	s_and_b64 s[8:9], s[94:95], exec
	s_or_b64 s[90:91], s[6:7], s[8:9]
	s_andn2_b64 s[6:7], s[92:93], exec
	s_and_b64 s[8:9], s[70:71], exec
	s_or_b64 s[92:93], s[6:7], s[8:9]
	s_andn2_b64 s[6:7], s[88:89], exec
	s_and_b64 s[8:9], s[68:69], exec
	s_or_b64 s[88:89], s[6:7], s[8:9]
	s_mov_b32 s85, s0
	v_mov_b32_e32 v29, v4
	s_andn2_b64 exec, exec, s[86:87]
	s_cbranch_execz .LBB11_239
.LBB11_16:                              ; =>This Loop Header: Depth=1
                                        ;     Child Loop BB11_21 Depth 2
                                        ;     Child Loop BB11_36 Depth 2
	;; [unrolled: 1-line block ×16, first 2 shown]
	ds_read_b64 v[1:2], v12 offset:4096
	s_waitcnt lgkmcnt(0)
	v_readfirstlane_b32 s16, v1
	s_cmp_gt_i32 s16, 0
	s_cbranch_scc1 .LBB11_43
; %bb.17:                               ;   in Loop: Header=BB11_16 Depth=1
	v_readlane_b32 s0, v43, 9
	v_readlane_b32 s1, v43, 10
	s_and_b64 vcc, exec, s[0:1]
	s_cbranch_vccz .LBB11_29
; %bb.18:                               ;   in Loop: Header=BB11_16 Depth=1
	s_movk_i32 s0, 0xc01
	v_cmp_gt_i32_e32 vcc, s0, v2
	s_mov_b64 s[8:9], 0
	s_mov_b64 s[6:7], 0
	s_cbranch_vccz .LBB11_30
; %bb.19:                               ;   in Loop: Header=BB11_16 Depth=1
	v_readlane_b32 s0, v43, 17
	v_readlane_b32 s1, v43, 18
	s_nop 4
	global_load_ushort v1, v12, s[0:1]
	global_load_ubyte v4, v[5:6], off
	s_mov_b64 s[18:19], 0
	v_mov_b32_e32 v30, v0
	s_waitcnt vmcnt(1)
	v_add_u32_e32 v2, v0, v1
	v_mul_lo_u32 v2, s63, v2
	v_mul_lo_u32 v3, s63, v1
	s_branch .LBB11_21
.LBB11_20:                              ;   in Loop: Header=BB11_21 Depth=2
	s_or_b64 exec, exec, s[6:7]
	v_cmp_le_i32_e32 vcc, s60, v30
	v_add_u32_e32 v2, v2, v3
	s_or_b64 s[18:19], vcc, s[18:19]
	v_mov_b32_e32 v4, v31
	s_andn2_b64 exec, exec, s[18:19]
	s_cbranch_execz .LBB11_75
.LBB11_21:                              ;   Parent Loop BB11_16 Depth=1
                                        ; =>  This Inner Loop Header: Depth=2
	v_add_u32_e32 v30, v30, v1
	v_cmp_gt_u32_e32 vcc, s60, v30
	s_waitcnt lgkmcnt(0)
	v_mov_b32_e32 v32, 0
	v_mov_b32_e32 v31, 0
	s_and_saveexec_b64 s[6:7], vcc
	s_cbranch_execz .LBB11_23
; %bb.22:                               ;   in Loop: Header=BB11_21 Depth=2
	global_load_ubyte v31, v2, s[72:73]
.LBB11_23:                              ;   in Loop: Header=BB11_21 Depth=2
	s_or_b64 exec, exec, s[6:7]
	s_waitcnt vmcnt(0)
	v_add_u32_sdwa v33, sext(v4), s61 dst_sel:DWORD dst_unused:UNUSED_PAD src0_sel:BYTE_0 src1_sel:DWORD
	v_and_b32_e32 v33, v33, v27
	v_cmp_eq_u32_e32 vcc, v33, v20
	s_cmp_lg_u64 vcc, 0
	s_cselect_b64 s[0:1], -1, 0
	s_and_b64 s[0:1], s[2:3], s[0:1]
	s_and_saveexec_b64 s[20:21], s[0:1]
	s_cbranch_execz .LBB11_27
; %bb.24:                               ;   in Loop: Header=BB11_21 Depth=2
	s_mov_b64 s[24:25], exec
	v_mbcnt_lo_u32_b32 v32, s24, 0
	v_mbcnt_hi_u32_b32 v32, s25, v32
	s_bcnt1_i32_b64 s0, vcc
	v_cmp_eq_u32_e64 s[6:7], 0, v32
                                        ; implicit-def: $vgpr33
	s_and_saveexec_b64 s[22:23], s[6:7]
; %bb.25:                               ;   in Loop: Header=BB11_21 Depth=2
	s_bcnt1_i32_b64 s1, s[24:25]
	s_mul_i32 s1, s0, s1
	v_mov_b32_e32 v33, s1
	ds_add_rtn_u32 v33, v12, v33 offset:4104
; %bb.26:                               ;   in Loop: Header=BB11_21 Depth=2
	s_or_b64 exec, exec, s[22:23]
	s_waitcnt lgkmcnt(0)
	v_readfirstlane_b32 s1, v33
	v_mov_b32_e32 v33, s1
	v_mad_u32_u24 v32, s0, v32, v33
.LBB11_27:                              ;   in Loop: Header=BB11_21 Depth=2
	s_or_b64 exec, exec, s[20:21]
	ds_bpermute_b32 v32, v13, v32
	s_and_saveexec_b64 s[6:7], vcc
	s_cbranch_execz .LBB11_20
; %bb.28:                               ;   in Loop: Header=BB11_21 Depth=2
	v_and_b32_e32 v34, vcc_lo, v15
	v_and_b32_e32 v33, vcc_hi, v14
	v_bcnt_u32_b32 v34, v34, 0
	v_bcnt_u32_b32 v33, v33, v34
	s_waitcnt lgkmcnt(0)
	v_add_u32_e32 v32, v32, v33
	ds_write_b8 v32, v4
	s_branch .LBB11_20
.LBB11_29:                              ;   in Loop: Header=BB11_16 Depth=1
	s_mov_b64 s[8:9], -1
	s_mov_b64 s[6:7], 0
.LBB11_30:                              ;   in Loop: Header=BB11_16 Depth=1
	s_and_b64 vcc, exec, s[8:9]
	s_cbranch_vccz .LBB11_41
.LBB11_31:                              ;   in Loop: Header=BB11_16 Depth=1
	v_mov_b32_e32 v1, 0
	s_mov_b64 s[6:7], exec
	v_readlane_b32 s0, v43, 11
	v_readlane_b32 s1, v43, 12
	s_and_b64 s[0:1], s[6:7], s[0:1]
	s_mov_b64 exec, s[0:1]
	s_cbranch_execz .LBB11_33
; %bb.32:                               ;   in Loop: Header=BB11_16 Depth=1
	global_load_ubyte v1, v[5:6], off
.LBB11_33:                              ;   in Loop: Header=BB11_16 Depth=1
	s_or_b64 exec, exec, s[6:7]
	s_mov_b64 s[6:7], exec
	v_readlane_b32 s0, v43, 13
	v_readlane_b32 s1, v43, 14
	s_and_b64 s[0:1], s[6:7], s[0:1]
	s_mov_b64 exec, s[0:1]
	s_cbranch_execz .LBB11_38
; %bb.34:                               ;   in Loop: Header=BB11_16 Depth=1
	v_readlane_b32 s0, v43, 17
	v_readlane_b32 s1, v43, 18
	s_mov_b64 s[8:9], 0
	v_mov_b32_e32 v30, v0
	s_nop 2
	global_load_ushort v2, v12, s[0:1]
	s_waitcnt vmcnt(0)
	v_add_u32_e32 v3, v0, v2
	v_mul_lo_u32 v3, s63, v3
	v_mul_lo_u32 v4, s63, v2
	s_branch .LBB11_36
.LBB11_35:                              ;   in Loop: Header=BB11_36 Depth=2
	s_or_b64 exec, exec, s[18:19]
	v_cmp_le_i32_e32 vcc, s60, v31
	ds_write_b8 v30, v1
	v_add_u32_e32 v3, v3, v4
	s_or_b64 s[8:9], vcc, s[8:9]
	s_waitcnt vmcnt(0)
	v_mov_b32_e32 v1, v32
	v_mov_b32_e32 v30, v31
	s_andn2_b64 exec, exec, s[8:9]
	s_cbranch_execz .LBB11_38
.LBB11_36:                              ;   Parent Loop BB11_16 Depth=1
                                        ; =>  This Inner Loop Header: Depth=2
	v_add_u32_e32 v31, v30, v2
	v_cmp_gt_u32_e32 vcc, s60, v31
	v_mov_b32_e32 v32, 0
	s_and_saveexec_b64 s[18:19], vcc
	s_cbranch_execz .LBB11_35
; %bb.37:                               ;   in Loop: Header=BB11_36 Depth=2
	global_load_ubyte v32, v3, s[72:73]
	s_branch .LBB11_35
.LBB11_38:                              ;   in Loop: Header=BB11_16 Depth=1
	s_or_b64 exec, exec, s[6:7]
	s_waitcnt vmcnt(0) lgkmcnt(0)
	s_barrier
	s_mov_b64 s[6:7], exec
	v_readlane_b32 s0, v43, 5
	v_readlane_b32 s1, v43, 6
	s_and_b64 s[0:1], s[6:7], s[0:1]
	s_mov_b64 exec, s[0:1]
; %bb.39:                               ;   in Loop: Header=BB11_16 Depth=1
	v_mov_b32_e32 v1, s60
	ds_write_b32 v12, v1 offset:4096
; %bb.40:                               ;   in Loop: Header=BB11_16 Depth=1
	s_or_b64 exec, exec, s[6:7]
	s_mov_b64 s[6:7], -1
	s_waitcnt lgkmcnt(0)
	s_barrier
.LBB11_41:                              ;   in Loop: Header=BB11_16 Depth=1
	s_and_b64 vcc, exec, s[6:7]
	s_cbranch_vccz .LBB11_43
; %bb.42:                               ;   in Loop: Header=BB11_16 Depth=1
	ds_read_b32 v1, v12 offset:4096
	s_waitcnt lgkmcnt(0)
	v_readfirstlane_b32 s16, v1
.LBB11_43:                              ;   in Loop: Header=BB11_16 Depth=1
	s_cmp_lt_i32 s16, 1
	s_mov_b64 s[6:7], -1
                                        ; implicit-def: $vgpr4
	s_cbranch_scc1 .LBB11_53
; %bb.44:                               ;   in Loop: Header=BB11_16 Depth=1
	s_and_b64 vcc, exec, s[6:7]
	s_cbranch_vccnz .LBB11_66
.LBB11_45:                              ;   in Loop: Header=BB11_16 Depth=1
	s_lshl_b32 s0, s85, 6
	s_and_saveexec_b64 s[6:7], s[2:3]
.LBB11_46:                              ;   in Loop: Header=BB11_16 Depth=1
	v_lshl_add_u32 v30, s0, 2, v16
	ds_write_b128 v30, v[1:4]
.LBB11_47:                              ;   in Loop: Header=BB11_16 Depth=1
	s_or_b64 exec, exec, s[6:7]
	s_waitcnt vmcnt(0) lgkmcnt(0)
	s_barrier
	s_and_saveexec_b64 s[6:7], s[74:75]
	s_cbranch_execz .LBB11_83
; %bb.48:                               ;   in Loop: Header=BB11_16 Depth=1
	v_readlane_b32 s8, v43, 15
	v_readlane_b32 s9, v43, 16
	s_andn2_b64 vcc, exec, s[8:9]
	v_mov_b32_e32 v1, 0
	s_cbranch_vccnz .LBB11_82
; %bb.49:                               ;   in Loop: Header=BB11_16 Depth=1
	v_readlane_b32 s8, v43, 19
	v_readlane_b32 s9, v43, 20
	s_andn2_b64 vcc, exec, s[8:9]
	s_cbranch_vccnz .LBB11_78
; %bb.50:                               ;   in Loop: Header=BB11_16 Depth=1
	v_lshl_add_u32 v2, s85, 8, v24
	s_mov_b32 s1, 0
	v_mov_b32_e32 v1, 0
.LBB11_51:                              ;   Parent Loop BB11_16 Depth=1
                                        ; =>  This Inner Loop Header: Depth=2
	ds_read2_b32 v[3:4], v2 offset1:4
	ds_read2_b32 v[30:31], v2 offset0:8 offset1:12
	ds_read2_b32 v[32:33], v2 offset0:16 offset1:20
	;; [unrolled: 1-line block ×3, first 2 shown]
	s_add_i32 s1, s1, 8
	s_waitcnt lgkmcnt(3)
	v_add3_u32 v1, v3, v1, v4
	s_waitcnt lgkmcnt(2)
	v_add3_u32 v1, v30, v1, v31
	;; [unrolled: 2-line block ×3, first 2 shown]
	v_add_u32_e32 v2, 0x80, v2
	s_cmp_eq_u32 s84, s1
	s_waitcnt lgkmcnt(0)
	v_add3_u32 v1, v34, v1, v35
	s_cbranch_scc0 .LBB11_51
; %bb.52:                               ;   in Loop: Header=BB11_16 Depth=1
	s_mov_b32 s1, s84
	s_branch .LBB11_79
.LBB11_53:                              ;   in Loop: Header=BB11_16 Depth=1
	v_mov_b32_e32 v1, 0
	v_mov_b32_e32 v2, 0
	;; [unrolled: 1-line block ×4, first 2 shown]
	s_and_saveexec_b64 s[18:19], s[10:11]
	s_cbranch_execnz .LBB11_56
; %bb.54:                               ;   in Loop: Header=BB11_16 Depth=1
	s_or_b64 exec, exec, s[18:19]
	v_mov_b32_e32 v32, 0
	s_and_saveexec_b64 s[6:7], s[12:13]
	s_cbranch_execnz .LBB11_59
.LBB11_55:                              ;   in Loop: Header=BB11_16 Depth=1
	s_or_b64 exec, exec, s[6:7]
	s_and_saveexec_b64 s[8:9], s[14:15]
	s_cbranch_execnz .LBB11_60
	s_branch .LBB11_65
.LBB11_56:                              ;   in Loop: Header=BB11_16 Depth=1
	s_mov_b32 s0, 0
	s_mov_b64 s[8:9], 0
	s_mov_b32 s1, 0
	s_mov_b32 s76, 0
	s_mov_b32 s77, 0
	s_mov_b32 s78, 0
	v_mov_b32_e32 v30, v10
.LBB11_57:                              ;   Parent Loop BB11_16 Depth=1
                                        ; =>  This Inner Loop Header: Depth=2
	v_add_u32_e32 v2, s0, v22
	v_add_u32_e32 v3, s0, v18
	v_mov_b32_e32 v1, s73
	v_add_u32_e32 v4, s0, v19
	v_add_u32_e32 v31, s0, v21
	v_ashrrev_i32_e32 v33, 31, v2
	v_ashrrev_i32_e32 v35, 31, v3
	v_add_co_u32_e64 v3, s[6:7], s72, v3
	v_add_co_u32_e64 v36, s[24:25], s72, v2
	v_ashrrev_i32_e32 v38, 31, v4
	v_add_co_u32_e64 v32, s[20:21], s72, v4
	v_ashrrev_i32_e32 v39, 31, v31
	v_add_co_u32_e64 v34, s[22:23], s72, v31
	v_addc_co_u32_e64 v37, s[24:25], v1, v33, s[24:25]
	v_addc_co_u32_e64 v4, s[6:7], v1, v35, s[6:7]
	;; [unrolled: 1-line block ×4, first 2 shown]
	global_load_sbyte v1, v[36:37], off
	global_load_sbyte v2, v[3:4], off
	s_nop 0
	global_load_sbyte v3, v[32:33], off
	global_load_sbyte v4, v[34:35], off
	v_add_u32_e32 v30, s66, v30
	s_add_i32 s0, s0, s83
	v_cmp_le_i32_e32 vcc, s81, v30
	s_waitcnt vmcnt(3)
	v_add_u32_e32 v1, 0x80, v1
	s_waitcnt vmcnt(2)
	v_add_u32_e32 v2, 0x80, v2
	v_and_b32_e32 v31, v1, v27
	v_bfe_u32 v1, v1, v26, 2
	s_waitcnt vmcnt(1)
	v_add_u32_e32 v3, 0x80, v3
	v_and_b32_e32 v32, v2, v27
	v_bfe_u32 v2, v2, v26, 2
	v_cmp_eq_u32_e64 s[6:7], v31, v20
	v_cmp_eq_u32_e64 s[26:27], 0, v1
	s_waitcnt vmcnt(0)
	v_add_u32_e32 v4, 0x80, v4
	v_and_b32_e32 v33, v3, v27
	v_bfe_u32 v3, v3, v26, 2
	v_cmp_eq_u32_e64 s[20:21], v32, v20
	v_cmp_eq_u32_e64 s[28:29], 0, v2
	s_and_b64 s[26:27], s[6:7], s[26:27]
	v_and_b32_e32 v34, v4, v27
	v_bfe_u32 v4, v4, v26, 2
	v_cmp_eq_u32_e64 s[22:23], v33, v20
	v_cmp_eq_u32_e64 s[30:31], 0, v3
	;; [unrolled: 1-line block ×5, first 2 shown]
	v_cndmask_b32_e64 v1, 0, 1, s[26:27]
	s_and_b64 s[26:27], s[20:21], s[28:29]
	v_cmp_eq_u32_e64 s[24:25], v34, v20
	v_cmp_eq_u32_e64 s[34:35], 0, v4
	;; [unrolled: 1-line block ×5, first 2 shown]
	v_cndmask_b32_e64 v2, 0, 1, s[26:27]
	s_and_b64 s[26:27], s[22:23], s[30:31]
	v_cmp_eq_u32_e64 s[40:41], 1, v3
	v_cmp_eq_u32_e64 s[48:49], 2, v3
	;; [unrolled: 1-line block ×3, first 2 shown]
	v_cndmask_b32_e64 v3, 0, 1, s[26:27]
	s_and_b64 s[26:27], s[24:25], s[34:35]
	v_cmp_eq_u32_e64 s[42:43], 1, v4
	v_cmp_eq_u32_e64 s[50:51], 2, v4
	;; [unrolled: 1-line block ×3, first 2 shown]
	v_cndmask_b32_e64 v4, 0, 1, s[26:27]
	s_and_b64 s[26:27], s[6:7], s[36:37]
	v_cndmask_b32_e64 v31, 0, 1, s[26:27]
	s_and_b64 s[26:27], s[20:21], s[38:39]
	;; [unrolled: 2-line block ×5, first 2 shown]
	s_and_b64 s[6:7], s[6:7], s[52:53]
	v_cndmask_b32_e64 v35, 0, 1, s[26:27]
	s_and_b64 s[26:27], s[20:21], s[46:47]
	v_cndmask_b32_e64 v39, 0, 1, s[6:7]
	;; [unrolled: 2-line block ×7, first 2 shown]
	v_cndmask_b32_e64 v42, 0, 1, s[6:7]
	v_cmp_ne_u32_e64 s[6:7], 0, v1
	v_cmp_ne_u32_e64 s[20:21], 0, v2
	;; [unrolled: 1-line block ×11, first 2 shown]
	s_bcnt1_i32_b64 s6, s[6:7]
	s_bcnt1_i32_b64 s7, s[20:21]
	;; [unrolled: 1-line block ×8, first 2 shown]
	v_cmp_ne_u32_e64 s[34:35], 0, v34
	v_cmp_ne_u32_e64 s[40:41], 0, v37
	;; [unrolled: 1-line block ×3, first 2 shown]
	s_bcnt1_i32_b64 s23, s[28:29]
	s_bcnt1_i32_b64 s27, s[38:39]
	;; [unrolled: 1-line block ×3, first 2 shown]
	s_add_i32 s6, s78, s6
	s_add_i32 s22, s77, s22
	;; [unrolled: 1-line block ×4, first 2 shown]
	v_cmp_ne_u32_e64 s[42:43], 0, v38
	v_cmp_ne_u32_e64 s[50:51], 0, v42
	s_bcnt1_i32_b64 s25, s[34:35]
	s_bcnt1_i32_b64 s28, s[40:41]
	;; [unrolled: 1-line block ×3, first 2 shown]
	s_add_i32 s6, s6, s7
	s_add_i32 s7, s22, s23
	s_add_i32 s22, s26, s27
	s_add_i32 s1, s1, s31
	s_bcnt1_i32_b64 s29, s[42:43]
	s_bcnt1_i32_b64 s35, s[50:51]
	s_add_i32 s6, s6, s20
	s_add_i32 s7, s7, s24
	;; [unrolled: 1-line block ×8, first 2 shown]
	s_or_b64 s[8:9], vcc, s[8:9]
	v_mov_b32_e32 v1, s78
	v_mov_b32_e32 v2, s77
	;; [unrolled: 1-line block ×4, first 2 shown]
	s_andn2_b64 exec, exec, s[8:9]
	s_cbranch_execnz .LBB11_57
; %bb.58:                               ;   in Loop: Header=BB11_16 Depth=1
	s_or_b64 exec, exec, s[8:9]
	s_or_b64 exec, exec, s[18:19]
	v_mov_b32_e32 v32, 0
	s_and_saveexec_b64 s[6:7], s[12:13]
	s_cbranch_execz .LBB11_55
.LBB11_59:                              ;   in Loop: Header=BB11_16 Depth=1
	global_load_ubyte v32, v[7:8], off
	s_or_b64 exec, exec, s[6:7]
	s_and_saveexec_b64 s[8:9], s[14:15]
	s_cbranch_execz .LBB11_65
.LBB11_60:                              ;   in Loop: Header=BB11_16 Depth=1
	s_mov_b64 s[18:19], 0
	v_mov_b32_e32 v30, v23
	v_mov_b32_e32 v31, v17
	s_branch .LBB11_62
.LBB11_61:                              ;   in Loop: Header=BB11_62 Depth=2
	s_or_b64 exec, exec, s[6:7]
	s_waitcnt vmcnt(0)
	v_add_u32_sdwa v32, sext(v32), s61 dst_sel:DWORD dst_unused:UNUSED_PAD src0_sel:BYTE_0 src1_sel:DWORD
	v_and_b32_e32 v34, v32, v27
	v_bfe_u32 v32, v32, v26, 2
	v_cmp_eq_u32_e32 vcc, v34, v20
	v_cmp_eq_u32_e64 s[6:7], 0, v32
	s_and_b64 s[0:1], vcc, s[6:7]
	v_cndmask_b32_e64 v34, 0, 1, s[0:1]
	v_cmp_ne_u32_e64 s[6:7], 0, v34
	s_bcnt1_i32_b64 s0, s[6:7]
	v_cmp_eq_u32_e64 s[6:7], 1, v32
	v_add_u32_e32 v1, s0, v1
	s_and_b64 s[0:1], vcc, s[6:7]
	v_cndmask_b32_e64 v34, 0, 1, s[0:1]
	v_cmp_ne_u32_e64 s[6:7], 0, v34
	s_bcnt1_i32_b64 s0, s[6:7]
	v_cmp_eq_u32_e64 s[6:7], 2, v32
	v_add_u32_e32 v2, s0, v2
	;; [unrolled: 6-line block ×3, first 2 shown]
	s_and_b64 s[0:1], vcc, s[6:7]
	v_cndmask_b32_e64 v32, 0, 1, s[0:1]
	v_cmp_ne_u32_e32 vcc, 0, v32
	s_bcnt1_i32_b64 s0, vcc
	v_cmp_le_i32_e32 vcc, s60, v31
	v_add_u32_e32 v4, s0, v4
	v_add_u32_e32 v30, s82, v30
	s_or_b64 s[18:19], vcc, s[18:19]
	v_mov_b32_e32 v32, v33
	s_andn2_b64 exec, exec, s[18:19]
	s_cbranch_execz .LBB11_64
.LBB11_62:                              ;   Parent Loop BB11_16 Depth=1
                                        ; =>  This Inner Loop Header: Depth=2
	v_add_u32_e32 v31, s64, v31
	v_cmp_gt_u32_e32 vcc, s60, v31
	v_mov_b32_e32 v33, 0
	s_and_saveexec_b64 s[6:7], vcc
	s_cbranch_execz .LBB11_61
; %bb.63:                               ;   in Loop: Header=BB11_62 Depth=2
	v_ashrrev_i32_e32 v34, 31, v30
	v_mov_b32_e32 v35, s73
	v_add_co_u32_e32 v33, vcc, s72, v30
	v_addc_co_u32_e32 v34, vcc, v35, v34, vcc
	global_load_ubyte v33, v[33:34], off
	s_branch .LBB11_61
.LBB11_64:                              ;   in Loop: Header=BB11_16 Depth=1
	s_or_b64 exec, exec, s[18:19]
.LBB11_65:                              ;   in Loop: Header=BB11_16 Depth=1
	s_or_b64 exec, exec, s[8:9]
	s_branch .LBB11_45
.LBB11_66:                              ;   in Loop: Header=BB11_16 Depth=1
	s_mul_hi_u32 s0, s16, s80
	s_mul_i32 s0, s0, s66
	s_sub_i32 s0, s16, s0
	s_sub_i32 s1, s0, s66
	s_cmp_ge_u32 s0, s66
	s_cselect_b32 s0, s1, s0
	s_sub_i32 s1, s0, s66
	s_cmp_ge_u32 s0, s66
	s_cselect_b32 s0, s1, s0
	s_sub_i32 s0, s16, s0
	v_cmp_gt_u32_e32 vcc, s0, v10
	v_mov_b32_e32 v1, 0
	v_mov_b32_e32 v2, 0
	;; [unrolled: 1-line block ×4, first 2 shown]
	s_and_saveexec_b64 s[8:9], vcc
	s_cbranch_execz .LBB11_70
; %bb.67:                               ;   in Loop: Header=BB11_16 Depth=1
	s_mov_b32 s1, 0
	s_mov_b64 s[18:19], 0
	s_mov_b32 s76, 0
	s_mov_b32 s77, 0
	;; [unrolled: 1-line block ×3, first 2 shown]
	v_mov_b32_e32 v30, v10
.LBB11_68:                              ;   Parent Loop BB11_16 Depth=1
                                        ; =>  This Inner Loop Header: Depth=2
	ds_read_b32 v1, v30
	v_add_u32_e32 v30, s66, v30
	v_cmp_le_i32_e32 vcc, s0, v30
	s_waitcnt lgkmcnt(0)
	v_add_u32_sdwa v2, sext(v1), s61 dst_sel:DWORD dst_unused:UNUSED_PAD src0_sel:BYTE_0 src1_sel:DWORD
	v_add_u32_sdwa v3, sext(v1), s61 dst_sel:DWORD dst_unused:UNUSED_PAD src0_sel:BYTE_1 src1_sel:DWORD
	v_and_b32_e32 v31, v2, v27
	v_bfe_u32 v2, v2, v26, 2
	v_add_u32_sdwa v4, sext(v1), s61 dst_sel:DWORD dst_unused:UNUSED_PAD src0_sel:BYTE_2 src1_sel:DWORD
	v_add_u32_sdwa v1, sext(v1), s61 dst_sel:DWORD dst_unused:UNUSED_PAD src0_sel:BYTE_3 src1_sel:DWORD
	s_waitcnt vmcnt(0)
	v_and_b32_e32 v32, v3, v27
	v_bfe_u32 v3, v3, v26, 2
	v_cmp_eq_u32_e64 s[6:7], v31, v20
	v_cmp_eq_u32_e64 s[26:27], 0, v2
	v_and_b32_e32 v33, v4, v27
	v_and_b32_e32 v34, v1, v27
	v_bfe_u32 v4, v4, v26, 2
	v_bfe_u32 v1, v1, v26, 2
	v_cmp_eq_u32_e64 s[20:21], v32, v20
	v_cmp_eq_u32_e64 s[28:29], 0, v3
	s_and_b64 s[26:27], s[6:7], s[26:27]
	v_cmp_eq_u32_e64 s[22:23], v33, v20
	v_cmp_eq_u32_e64 s[30:31], 0, v4
	v_cmp_eq_u32_e64 s[34:35], 0, v1
	v_cmp_eq_u32_e64 s[42:43], 1, v1
	v_cmp_eq_u32_e64 s[50:51], 2, v1
	v_cmp_eq_u32_e64 s[58:59], 3, v1
	v_cndmask_b32_e64 v1, 0, 1, s[26:27]
	s_and_b64 s[26:27], s[20:21], s[28:29]
	v_cmp_eq_u32_e64 s[24:25], v34, v20
	v_cmp_eq_u32_e64 s[36:37], 1, v2
	;; [unrolled: 1-line block ×4, first 2 shown]
	v_cndmask_b32_e64 v2, 0, 1, s[26:27]
	s_and_b64 s[26:27], s[22:23], s[30:31]
	v_cmp_eq_u32_e64 s[38:39], 1, v3
	v_cmp_eq_u32_e64 s[46:47], 2, v3
	;; [unrolled: 1-line block ×3, first 2 shown]
	v_cndmask_b32_e64 v3, 0, 1, s[26:27]
	s_and_b64 s[26:27], s[24:25], s[34:35]
	v_cmp_eq_u32_e64 s[40:41], 1, v4
	v_cmp_eq_u32_e64 s[48:49], 2, v4
	;; [unrolled: 1-line block ×3, first 2 shown]
	v_cndmask_b32_e64 v4, 0, 1, s[26:27]
	s_and_b64 s[26:27], s[6:7], s[36:37]
	v_cndmask_b32_e64 v31, 0, 1, s[26:27]
	s_and_b64 s[26:27], s[20:21], s[38:39]
	v_cndmask_b32_e64 v32, 0, 1, s[26:27]
	s_and_b64 s[26:27], s[22:23], s[40:41]
	v_cndmask_b32_e64 v33, 0, 1, s[26:27]
	s_and_b64 s[26:27], s[24:25], s[42:43]
	v_cndmask_b32_e64 v34, 0, 1, s[26:27]
	s_and_b64 s[26:27], s[6:7], s[44:45]
	s_and_b64 s[6:7], s[6:7], s[52:53]
	v_cndmask_b32_e64 v35, 0, 1, s[26:27]
	s_and_b64 s[26:27], s[20:21], s[46:47]
	v_cndmask_b32_e64 v39, 0, 1, s[6:7]
	;; [unrolled: 2-line block ×7, first 2 shown]
	v_cndmask_b32_e64 v42, 0, 1, s[6:7]
	v_cmp_ne_u32_e64 s[6:7], 0, v1
	v_cmp_ne_u32_e64 s[20:21], 0, v2
	;; [unrolled: 1-line block ×11, first 2 shown]
	s_bcnt1_i32_b64 s6, s[6:7]
	s_bcnt1_i32_b64 s7, s[20:21]
	;; [unrolled: 1-line block ×8, first 2 shown]
	v_cmp_ne_u32_e64 s[34:35], 0, v34
	v_cmp_ne_u32_e64 s[40:41], 0, v37
	;; [unrolled: 1-line block ×3, first 2 shown]
	s_bcnt1_i32_b64 s23, s[28:29]
	s_bcnt1_i32_b64 s27, s[38:39]
	;; [unrolled: 1-line block ×3, first 2 shown]
	s_add_i32 s6, s78, s6
	s_add_i32 s22, s77, s22
	;; [unrolled: 1-line block ×4, first 2 shown]
	v_cmp_ne_u32_e64 s[42:43], 0, v38
	v_cmp_ne_u32_e64 s[50:51], 0, v42
	s_bcnt1_i32_b64 s25, s[34:35]
	s_bcnt1_i32_b64 s28, s[40:41]
	;; [unrolled: 1-line block ×3, first 2 shown]
	s_add_i32 s6, s6, s7
	s_add_i32 s7, s22, s23
	;; [unrolled: 1-line block ×4, first 2 shown]
	s_bcnt1_i32_b64 s29, s[42:43]
	s_bcnt1_i32_b64 s35, s[50:51]
	s_add_i32 s6, s6, s20
	s_add_i32 s7, s7, s24
	;; [unrolled: 1-line block ×8, first 2 shown]
	s_or_b64 s[18:19], vcc, s[18:19]
	v_mov_b32_e32 v1, s78
	v_mov_b32_e32 v2, s77
	;; [unrolled: 1-line block ×4, first 2 shown]
	s_andn2_b64 exec, exec, s[18:19]
	s_cbranch_execnz .LBB11_68
; %bb.69:                               ;   in Loop: Header=BB11_16 Depth=1
	s_or_b64 exec, exec, s[18:19]
.LBB11_70:                              ;   in Loop: Header=BB11_16 Depth=1
	s_or_b64 exec, exec, s[8:9]
	v_add_u32_e32 v30, s0, v0
	v_cmp_gt_i32_e32 vcc, s16, v30
	s_and_saveexec_b64 s[8:9], vcc
	s_cbranch_execz .LBB11_74
; %bb.71:                               ;   in Loop: Header=BB11_16 Depth=1
	s_mov_b64 s[18:19], 0
.LBB11_72:                              ;   Parent Loop BB11_16 Depth=1
                                        ; =>  This Inner Loop Header: Depth=2
	ds_read_i8 v31, v30
	v_add_u32_e32 v30, s64, v30
	v_cmp_le_i32_e32 vcc, s16, v30
	s_waitcnt lgkmcnt(0)
	v_add_u32_e32 v31, 0x80, v31
	s_waitcnt vmcnt(0)
	v_and_b32_e32 v32, v31, v27
	v_bfe_u32 v31, v31, v26, 2
	v_cmp_eq_u32_e64 s[6:7], v32, v20
	v_cmp_eq_u32_e64 s[20:21], 0, v31
	;; [unrolled: 1-line block ×3, first 2 shown]
	s_and_b64 s[0:1], s[6:7], s[20:21]
	v_cmp_eq_u32_e64 s[24:25], 2, v31
	v_cmp_eq_u32_e64 s[26:27], 3, v31
	v_cndmask_b32_e64 v31, 0, 1, s[0:1]
	s_and_b64 s[0:1], s[6:7], s[22:23]
	v_cndmask_b32_e64 v32, 0, 1, s[0:1]
	s_and_b64 s[0:1], s[6:7], s[24:25]
	;; [unrolled: 2-line block ×3, first 2 shown]
	v_cndmask_b32_e64 v34, 0, 1, s[0:1]
	v_cmp_ne_u32_e64 s[6:7], 0, v31
	v_cmp_ne_u32_e64 s[20:21], 0, v32
	;; [unrolled: 1-line block ×4, first 2 shown]
	s_bcnt1_i32_b64 s0, s[6:7]
	s_bcnt1_i32_b64 s1, s[20:21]
	s_bcnt1_i32_b64 s6, s[22:23]
	s_bcnt1_i32_b64 s7, s[24:25]
	v_add_u32_e32 v1, s0, v1
	v_add_u32_e32 v2, s1, v2
	;; [unrolled: 1-line block ×3, first 2 shown]
	s_or_b64 s[18:19], vcc, s[18:19]
	v_add_u32_e32 v4, s7, v4
	s_andn2_b64 exec, exec, s[18:19]
	s_cbranch_execnz .LBB11_72
; %bb.73:                               ;   in Loop: Header=BB11_16 Depth=1
	s_or_b64 exec, exec, s[18:19]
.LBB11_74:                              ;   in Loop: Header=BB11_16 Depth=1
	s_or_b64 exec, exec, s[8:9]
	s_lshl_b32 s0, s85, 6
	s_and_saveexec_b64 s[6:7], s[2:3]
	s_cbranch_execnz .LBB11_46
	s_branch .LBB11_47
.LBB11_75:                              ;   in Loop: Header=BB11_16 Depth=1
	s_or_b64 exec, exec, s[18:19]
	s_waitcnt lgkmcnt(0)
	s_barrier
	s_mov_b64 s[6:7], exec
	v_readlane_b32 s0, v43, 5
	v_readlane_b32 s1, v43, 6
	s_and_b64 s[0:1], s[6:7], s[0:1]
	s_mov_b64 exec, s[0:1]
	s_cbranch_execz .LBB11_77
; %bb.76:                               ;   in Loop: Header=BB11_16 Depth=1
	ds_read_b32 v1, v12 offset:4104
	s_waitcnt lgkmcnt(0)
	ds_write_b32 v12, v1 offset:4096
.LBB11_77:                              ;   in Loop: Header=BB11_16 Depth=1
	s_or_b64 exec, exec, s[6:7]
	s_waitcnt lgkmcnt(0)
	s_barrier
	s_mov_b64 s[6:7], -1
	s_and_b64 vcc, exec, s[8:9]
	s_cbranch_vccnz .LBB11_31
	s_branch .LBB11_41
.LBB11_78:                              ;   in Loop: Header=BB11_16 Depth=1
	v_mov_b32_e32 v1, 0
	s_mov_b32 s1, 0
.LBB11_79:                              ;   in Loop: Header=BB11_16 Depth=1
	v_readlane_b32 s8, v43, 22
	v_readlane_b32 s9, v43, 23
	s_andn2_b64 vcc, exec, s[8:9]
	s_cbranch_vccnz .LBB11_82
; %bb.80:                               ;   in Loop: Header=BB11_16 Depth=1
	s_lshl_b32 s8, s85, 8
	s_lshl_b32 s1, s1, 4
	s_add_i32 s8, s8, s1
	v_add_u32_e32 v2, s8, v24
	v_readlane_b32 s1, v43, 21
.LBB11_81:                              ;   Parent Loop BB11_16 Depth=1
                                        ; =>  This Inner Loop Header: Depth=2
	ds_read_b32 v3, v2
	s_add_i32 s1, s1, -1
	v_add_u32_e32 v2, 16, v2
	s_cmp_lg_u32 s1, 0
	s_waitcnt lgkmcnt(0)
	v_add_u32_e32 v1, v3, v1
	s_cbranch_scc1 .LBB11_81
.LBB11_82:                              ;   in Loop: Header=BB11_16 Depth=1
	v_add_lshl_u32 v2, s0, v11, 2
	ds_write_b32 v2, v1 offset:3072
.LBB11_83:                              ;   in Loop: Header=BB11_16 Depth=1
	s_or_b64 exec, exec, s[6:7]
	s_lshl_b32 s0, s0, 2
	v_mov_b32_e32 v1, s0
	s_waitcnt lgkmcnt(0)
	s_barrier
	ds_read_b128 v[1:4], v1 offset:3072
	v_cmp_eq_u32_e32 vcc, 1, v29
	s_mov_b64 s[20:21], -1
	s_mov_b64 s[24:25], -1
                                        ; implicit-def: $sgpr22_sgpr23
                                        ; implicit-def: $sgpr18_sgpr19
	s_waitcnt lgkmcnt(0)
	v_readfirstlane_b32 s38, v1
	s_cmp_eq_u32 s38, 1
	v_lshlrev_b32_e64 v1, v26, 3
	s_cselect_b64 s[0:1], -1, 0
	v_readfirstlane_b32 s16, v2
	v_readfirstlane_b32 s50, v3
	;; [unrolled: 1-line block ×3, first 2 shown]
	v_not_b32_e32 v3, v1
	s_and_b64 s[8:9], s[0:1], vcc
	s_and_saveexec_b64 s[6:7], s[8:9]
	s_cbranch_execz .LBB11_109
; %bb.84:                               ;   in Loop: Header=BB11_16 Depth=1
	ds_read_b32 v2, v12 offset:4096
	s_waitcnt lgkmcnt(0)
	s_barrier
	v_readfirstlane_b32 s0, v2
	s_and_saveexec_b64 s[18:19], s[4:5]
; %bb.85:                               ;   in Loop: Header=BB11_16 Depth=1
	ds_write_b8 v0, v12 offset:3072
; %bb.86:                               ;   in Loop: Header=BB11_16 Depth=1
	s_or_b64 exec, exec, s[18:19]
	v_and_b32_e32 v20, v20, v3
	v_or_b32_e32 v27, v27, v1
	s_mov_b64 s[18:19], -1
	s_mov_b64 s[22:23], 0
	s_cmp_lt_i32 s0, 1
	s_mov_b64 s[24:25], 0
	s_mov_b64 s[26:27], -1
	s_waitcnt lgkmcnt(0)
	s_barrier
                                        ; implicit-def: $vgpr28
	s_cbranch_scc0 .LBB11_97
; %bb.87:                               ;   in Loop: Header=BB11_16 Depth=1
	s_mov_b64 s[26:27], 0
                                        ; implicit-def: $vgpr28
	s_mov_b64 s[28:29], exec
	v_readlane_b32 s30, v43, 24
	v_readlane_b32 s31, v43, 25
	s_and_b64 s[30:31], s[28:29], s[30:31]
	s_mov_b64 exec, s[30:31]
	s_cbranch_execz .LBB11_96
; %bb.88:                               ;   in Loop: Header=BB11_16 Depth=1
	v_mov_b32_e32 v2, v9
	v_mov_b32_e32 v4, v0
                                        ; implicit-def: $sgpr30_sgpr31
	s_branch .LBB11_91
.LBB11_89:                              ;   in Loop: Header=BB11_91 Depth=2
	s_or_b64 exec, exec, s[34:35]
	s_waitcnt lgkmcnt(0)
	s_barrier
	ds_read_u16 v28, v12 offset:3072
	s_mov_b64 s[34:35], -1
	s_waitcnt lgkmcnt(0)
	s_barrier
	v_cmp_ne_u32_sdwa s[36:37], v28, v12 src0_sel:BYTE_0 src1_sel:DWORD
	s_and_b64 vcc, exec, s[36:37]
	s_mov_b64 s[36:37], -1
	s_cbranch_vccz .LBB11_94
.LBB11_90:                              ;   in Loop: Header=BB11_91 Depth=2
	s_and_b64 s[34:35], exec, s[34:35]
	s_or_b64 s[24:25], s[34:35], s[24:25]
	s_andn2_b64 s[30:31], s[30:31], exec
	s_and_b64 s[34:35], s[36:37], exec
	s_or_b64 s[30:31], s[30:31], s[34:35]
	s_andn2_b64 exec, exec, s[24:25]
	s_cbranch_execz .LBB11_95
.LBB11_91:                              ;   Parent Loop BB11_16 Depth=1
                                        ; =>  This Inner Loop Header: Depth=2
	v_cmp_gt_i32_e32 vcc, s60, v4
	s_and_saveexec_b64 s[34:35], vcc
	s_cbranch_execz .LBB11_89
; %bb.92:                               ;   in Loop: Header=BB11_91 Depth=2
	v_ashrrev_i32_e32 v28, 31, v2
	v_mov_b32_e32 v31, s73
	v_add_co_u32_e32 v30, vcc, s72, v2
	v_addc_co_u32_e32 v31, vcc, v31, v28, vcc
	global_load_ubyte v28, v[30:31], off
	s_waitcnt vmcnt(0)
	v_add_u32_sdwa v30, sext(v28), s61 dst_sel:DWORD dst_unused:UNUSED_PAD src0_sel:BYTE_0 src1_sel:DWORD
	v_and_b32_e32 v30, v30, v27
	v_cmp_eq_u32_e32 vcc, v30, v20
	s_and_b64 exec, exec, vcc
	s_cbranch_execz .LBB11_89
; %bb.93:                               ;   in Loop: Header=BB11_91 Depth=2
	v_lshlrev_b16_e32 v28, 8, v28
	v_or_b32_e32 v28, 1, v28
	ds_write_b16 v12, v28 offset:3072
	s_branch .LBB11_89
.LBB11_94:                              ;   in Loop: Header=BB11_91 Depth=2
	v_add_u32_e32 v4, s64, v4
	v_cmp_le_i32_e32 vcc, s17, v4
	v_add_u32_e32 v2, s82, v2
	s_mov_b64 s[36:37], 0
	s_orn2_b64 s[34:35], vcc, exec
	s_branch .LBB11_90
.LBB11_95:                              ;   in Loop: Header=BB11_16 Depth=1
	s_or_b64 exec, exec, s[24:25]
	v_lshrrev_b32_sdwa v28, v25, v28 dst_sel:DWORD dst_unused:UNUSED_PAD src0_sel:DWORD src1_sel:WORD_0
	s_and_b64 s[24:25], s[30:31], exec
.LBB11_96:                              ;   in Loop: Header=BB11_16 Depth=1
	s_or_b64 exec, exec, s[28:29]
.LBB11_97:                              ;   in Loop: Header=BB11_16 Depth=1
	s_and_b64 vcc, exec, s[26:27]
	s_cbranch_vccz .LBB11_108
; %bb.98:                               ;   in Loop: Header=BB11_16 Depth=1
	v_readlane_b32 s1, v43, 8
	s_add_i32 s1, s0, s1
	s_abs_i32 s19, s1
	s_mul_hi_u32 s22, s19, s79
	s_mul_i32 s22, s22, s64
	s_sub_i32 s19, s19, s22
	s_ashr_i32 s18, s1, 31
	s_sub_i32 s22, s19, s64
	s_cmp_ge_u32 s19, s64
	s_cselect_b32 s19, s22, s19
	s_sub_i32 s22, s19, s64
	s_cmp_ge_u32 s19, s64
	s_cselect_b32 s19, s22, s19
	s_xor_b32 s19, s19, s18
	s_sub_i32 s18, s18, s19
	s_add_i32 s1, s1, s18
	v_cmp_gt_i32_e32 vcc, s1, v0
                                        ; implicit-def: $vgpr28
	s_and_saveexec_b64 s[18:19], vcc
	s_cbranch_execz .LBB11_107
; %bb.99:                               ;   in Loop: Header=BB11_16 Depth=1
	s_mov_b64 s[22:23], 0
	v_mov_b32_e32 v2, v0
                                        ; implicit-def: $sgpr26_sgpr27
	s_branch .LBB11_102
.LBB11_100:                             ;   in Loop: Header=BB11_102 Depth=2
	s_or_b64 exec, exec, s[28:29]
	s_waitcnt lgkmcnt(0)
	s_barrier
	ds_read_u16 v4, v12 offset:3072
	s_mov_b64 s[28:29], -1
	s_waitcnt lgkmcnt(0)
	s_barrier
	v_cmp_ne_u32_sdwa s[30:31], v4, v12 src0_sel:BYTE_0 src1_sel:DWORD
	s_and_b64 vcc, exec, s[30:31]
	s_mov_b64 s[30:31], -1
	s_cbranch_vccz .LBB11_105
.LBB11_101:                             ;   in Loop: Header=BB11_102 Depth=2
	s_and_b64 s[28:29], exec, s[28:29]
	s_or_b64 s[22:23], s[28:29], s[22:23]
	s_andn2_b64 s[26:27], s[26:27], exec
	s_and_b64 s[28:29], s[30:31], exec
	s_or_b64 s[26:27], s[26:27], s[28:29]
	s_andn2_b64 exec, exec, s[22:23]
	s_cbranch_execz .LBB11_106
.LBB11_102:                             ;   Parent Loop BB11_16 Depth=1
                                        ; =>  This Inner Loop Header: Depth=2
	v_cmp_gt_i32_e32 vcc, s0, v2
	s_and_saveexec_b64 s[28:29], vcc
	s_cbranch_execz .LBB11_100
; %bb.103:                              ;   in Loop: Header=BB11_102 Depth=2
	ds_read_u8 v4, v2
	s_waitcnt lgkmcnt(0)
	v_add_u32_sdwa v28, sext(v4), s61 dst_sel:DWORD dst_unused:UNUSED_PAD src0_sel:BYTE_0 src1_sel:DWORD
	v_and_b32_e32 v28, v28, v27
	v_cmp_eq_u32_e32 vcc, v28, v20
	s_and_b64 exec, exec, vcc
	s_cbranch_execz .LBB11_100
; %bb.104:                              ;   in Loop: Header=BB11_102 Depth=2
	v_lshlrev_b16_e32 v4, 8, v4
	v_or_b32_e32 v4, 1, v4
	ds_write_b16 v12, v4 offset:3072
	s_branch .LBB11_100
.LBB11_105:                             ;   in Loop: Header=BB11_102 Depth=2
	v_add_u32_e32 v2, s64, v2
	v_cmp_le_i32_e32 vcc, s1, v2
	s_mov_b64 s[30:31], 0
	s_orn2_b64 s[28:29], vcc, exec
	s_branch .LBB11_101
.LBB11_106:                             ;   in Loop: Header=BB11_16 Depth=1
	s_or_b64 exec, exec, s[22:23]
	s_andn2_b64 s[0:1], s[24:25], exec
	s_and_b64 s[22:23], s[26:27], exec
	v_lshrrev_b32_sdwa v28, v25, v4 dst_sel:DWORD dst_unused:UNUSED_PAD src0_sel:DWORD src1_sel:WORD_0
	s_or_b64 s[24:25], s[0:1], s[22:23]
.LBB11_107:                             ;   in Loop: Header=BB11_16 Depth=1
	s_or_b64 exec, exec, s[18:19]
	s_mov_b64 s[18:19], 0
	s_mov_b64 s[22:23], -1
.LBB11_108:                             ;   in Loop: Header=BB11_16 Depth=1
	s_orn2_b64 s[24:25], s[24:25], exec
.LBB11_109:                             ;   in Loop: Header=BB11_16 Depth=1
	s_or_b64 exec, exec, s[6:7]
	s_andn2_b64 s[6:7], s[70:71], exec
	s_and_b64 s[22:23], s[22:23], exec
	s_or_b64 s[70:71], s[6:7], s[22:23]
	s_andn2_b64 s[6:7], s[68:69], exec
	s_and_b64 s[18:19], s[18:19], exec
	v_readfirstlane_b32 s0, v0
	s_andn2_b64 s[94:95], s[94:95], exec
	s_or_b64 s[68:69], s[6:7], s[18:19]
                                        ; implicit-def: $vgpr4
	s_and_saveexec_b64 s[6:7], s[24:25]
	s_cbranch_execz .LBB11_15
; %bb.110:                              ;   in Loop: Header=BB11_16 Depth=1
	s_xor_b64 s[0:1], s[8:9], -1
	s_mov_b64 s[18:19], 0
	v_mov_b32_e32 v4, 1
	v_mov_b32_e32 v2, 1
	s_and_saveexec_b64 s[8:9], s[0:1]
	s_cbranch_execz .LBB11_119
; %bb.111:                              ;   in Loop: Header=BB11_16 Depth=1
	v_cmp_ge_i32_e32 vcc, s38, v29
	s_and_saveexec_b64 s[0:1], vcc
	s_xor_b64 s[18:19], exec, s[0:1]
	s_cbranch_execz .LBB11_116
; %bb.112:                              ;   in Loop: Header=BB11_16 Depth=1
	ds_read_b32 v2, v12 offset:4096
	v_and_b32_e32 v20, v20, v3
	v_or_b32_e32 v27, v27, v1
	s_waitcnt lgkmcnt(0)
	v_cmp_ne_u32_e32 vcc, 0, v2
	s_cbranch_vccnz .LBB11_116
; %bb.113:                              ;   in Loop: Header=BB11_16 Depth=1
	s_mov_b64 s[20:21], exec
	v_readlane_b32 s0, v43, 5
	v_readlane_b32 s1, v43, 6
	s_and_b64 s[0:1], s[20:21], s[0:1]
	s_mov_b64 exec, s[0:1]
; %bb.114:                              ;   in Loop: Header=BB11_16 Depth=1
	v_mov_b32_e32 v2, s38
	ds_write_b32 v12, v2 offset:4100
; %bb.115:                              ;   in Loop: Header=BB11_16 Depth=1
	s_or_b64 exec, exec, s[20:21]
	s_waitcnt lgkmcnt(0)
	s_barrier
.LBB11_116:                             ;   in Loop: Header=BB11_16 Depth=1
	s_or_saveexec_b64 s[18:19], s[18:19]
	s_mov_b64 s[20:21], 0
	v_mov_b32_e32 v2, 8
	s_xor_b64 exec, exec, s[18:19]
; %bb.117:                              ;   in Loop: Header=BB11_16 Depth=1
	s_mov_b64 s[20:21], exec
	v_subrev_u32_e32 v29, s38, v29
	v_mov_b32_e32 v2, 0
; %bb.118:                              ;   in Loop: Header=BB11_16 Depth=1
	s_or_b64 exec, exec, s[18:19]
	s_and_b64 s[18:19], s[20:21], exec
	v_mov_b32_e32 v4, v29
.LBB11_119:                             ;   in Loop: Header=BB11_16 Depth=1
	s_or_b64 exec, exec, s[8:9]
	s_mov_b64 s[20:21], -1
	s_mov_b64 s[8:9], -1
                                        ; implicit-def: $sgpr24_sgpr25
                                        ; implicit-def: $sgpr26_sgpr27
	s_and_saveexec_b64 s[0:1], s[18:19]
	s_xor_b64 s[22:23], exec, s[0:1]
	s_cbranch_execz .LBB11_236
; %bb.120:                              ;   in Loop: Header=BB11_16 Depth=1
	s_cmp_eq_u32 s16, 1
	s_cselect_b64 s[0:1], -1, 0
	v_cmp_eq_u32_e32 vcc, 1, v4
	s_and_b64 s[8:9], s[0:1], vcc
	s_mov_b64 s[30:31], -1
                                        ; implicit-def: $sgpr26_sgpr27
                                        ; implicit-def: $sgpr24_sgpr25
	s_and_saveexec_b64 s[18:19], s[8:9]
	s_cbranch_execz .LBB11_146
; %bb.121:                              ;   in Loop: Header=BB11_16 Depth=1
	ds_read_b32 v28, v12 offset:4096
	s_waitcnt lgkmcnt(0)
	s_barrier
	v_readfirstlane_b32 s0, v28
	s_and_saveexec_b64 s[24:25], s[4:5]
; %bb.122:                              ;   in Loop: Header=BB11_16 Depth=1
	ds_write_b8 v0, v12 offset:3072
; %bb.123:                              ;   in Loop: Header=BB11_16 Depth=1
	s_or_b64 exec, exec, s[24:25]
	v_and_b32_e32 v20, v20, v3
	v_lshl_or_b32 v20, 1, v26, v20
	v_or_b32_e32 v27, v27, v1
	s_mov_b64 s[24:25], -1
	s_mov_b64 s[26:27], 0
	s_cmp_gt_i32 s0, 0
	s_mov_b64 s[28:29], 0
	s_waitcnt lgkmcnt(0)
	s_barrier
                                        ; implicit-def: $vgpr28
	s_cbranch_scc1 .LBB11_134
; %bb.124:                              ;   in Loop: Header=BB11_16 Depth=1
	s_mov_b64 s[30:31], 0
                                        ; implicit-def: $vgpr28
	s_mov_b64 s[34:35], exec
	v_readlane_b32 s36, v43, 24
	v_readlane_b32 s37, v43, 25
	s_and_b64 s[36:37], s[34:35], s[36:37]
	s_mov_b64 exec, s[36:37]
	s_cbranch_execz .LBB11_133
; %bb.125:                              ;   in Loop: Header=BB11_16 Depth=1
	v_mov_b32_e32 v28, v9
	v_mov_b32_e32 v29, v0
                                        ; implicit-def: $sgpr36_sgpr37
	s_branch .LBB11_128
.LBB11_126:                             ;   in Loop: Header=BB11_128 Depth=2
	s_or_b64 exec, exec, s[38:39]
	s_waitcnt lgkmcnt(0)
	s_barrier
	ds_read_u16 v30, v12 offset:3072
	s_mov_b64 s[38:39], -1
	s_waitcnt lgkmcnt(0)
	s_barrier
	v_cmp_ne_u32_sdwa s[40:41], v30, v12 src0_sel:BYTE_0 src1_sel:DWORD
	s_and_b64 vcc, exec, s[40:41]
	s_mov_b64 s[40:41], -1
	s_cbranch_vccz .LBB11_131
.LBB11_127:                             ;   in Loop: Header=BB11_128 Depth=2
	s_and_b64 s[38:39], exec, s[38:39]
	s_or_b64 s[28:29], s[38:39], s[28:29]
	s_andn2_b64 s[36:37], s[36:37], exec
	s_and_b64 s[38:39], s[40:41], exec
	s_or_b64 s[36:37], s[36:37], s[38:39]
	s_andn2_b64 exec, exec, s[28:29]
	s_cbranch_execz .LBB11_132
.LBB11_128:                             ;   Parent Loop BB11_16 Depth=1
                                        ; =>  This Inner Loop Header: Depth=2
	v_cmp_gt_i32_e32 vcc, s60, v29
	s_and_saveexec_b64 s[38:39], vcc
	s_cbranch_execz .LBB11_126
; %bb.129:                              ;   in Loop: Header=BB11_128 Depth=2
	v_ashrrev_i32_e32 v31, 31, v28
	v_mov_b32_e32 v32, s73
	v_add_co_u32_e32 v30, vcc, s72, v28
	v_addc_co_u32_e32 v31, vcc, v32, v31, vcc
	global_load_ubyte v30, v[30:31], off
	s_waitcnt vmcnt(0)
	v_add_u32_sdwa v31, sext(v30), s61 dst_sel:DWORD dst_unused:UNUSED_PAD src0_sel:BYTE_0 src1_sel:DWORD
	v_and_b32_e32 v31, v31, v27
	v_cmp_eq_u32_e32 vcc, v31, v20
	s_and_b64 exec, exec, vcc
	s_cbranch_execz .LBB11_126
; %bb.130:                              ;   in Loop: Header=BB11_128 Depth=2
	v_lshlrev_b16_e32 v30, 8, v30
	v_or_b32_e32 v30, 1, v30
	ds_write_b16 v12, v30 offset:3072
	s_branch .LBB11_126
.LBB11_131:                             ;   in Loop: Header=BB11_128 Depth=2
	v_add_u32_e32 v29, s64, v29
	v_cmp_le_i32_e32 vcc, s17, v29
	v_add_u32_e32 v28, s82, v28
	s_mov_b64 s[40:41], 0
	s_orn2_b64 s[38:39], vcc, exec
	s_branch .LBB11_127
.LBB11_132:                             ;   in Loop: Header=BB11_16 Depth=1
	s_or_b64 exec, exec, s[28:29]
	v_lshrrev_b32_sdwa v28, v25, v30 dst_sel:DWORD dst_unused:UNUSED_PAD src0_sel:DWORD src1_sel:WORD_0
	s_and_b64 s[28:29], s[36:37], exec
.LBB11_133:                             ;   in Loop: Header=BB11_16 Depth=1
	s_or_b64 exec, exec, s[34:35]
.LBB11_134:                             ;   in Loop: Header=BB11_16 Depth=1
	s_and_b64 vcc, exec, s[30:31]
	s_cbranch_vccz .LBB11_145
; %bb.135:                              ;   in Loop: Header=BB11_16 Depth=1
	v_readlane_b32 s1, v43, 8
	s_add_i32 s1, s0, s1
	s_abs_i32 s25, s1
	s_mul_hi_u32 s26, s25, s79
	s_mul_i32 s26, s26, s64
	s_sub_i32 s25, s25, s26
	s_ashr_i32 s24, s1, 31
	s_sub_i32 s26, s25, s64
	s_cmp_ge_u32 s25, s64
	s_cselect_b32 s25, s26, s25
	s_sub_i32 s26, s25, s64
	s_cmp_ge_u32 s25, s64
	s_cselect_b32 s25, s26, s25
	s_xor_b32 s25, s25, s24
	s_sub_i32 s24, s24, s25
	s_add_i32 s1, s1, s24
	v_cmp_gt_i32_e32 vcc, s1, v0
                                        ; implicit-def: $vgpr28
	s_and_saveexec_b64 s[24:25], vcc
	s_cbranch_execz .LBB11_144
; %bb.136:                              ;   in Loop: Header=BB11_16 Depth=1
	s_mov_b64 s[26:27], 0
	v_mov_b32_e32 v28, v0
                                        ; implicit-def: $sgpr30_sgpr31
	s_branch .LBB11_139
.LBB11_137:                             ;   in Loop: Header=BB11_139 Depth=2
	s_or_b64 exec, exec, s[34:35]
	s_waitcnt lgkmcnt(0)
	s_barrier
	ds_read_u16 v29, v12 offset:3072
	s_mov_b64 s[34:35], -1
	s_waitcnt lgkmcnt(0)
	s_barrier
	v_cmp_eq_u32_sdwa s[36:37], v29, v12 src0_sel:BYTE_0 src1_sel:DWORD
	s_and_b64 vcc, exec, s[36:37]
	s_mov_b64 s[36:37], -1
	s_cbranch_vccnz .LBB11_142
.LBB11_138:                             ;   in Loop: Header=BB11_139 Depth=2
	s_and_b64 s[34:35], exec, s[34:35]
	s_or_b64 s[26:27], s[34:35], s[26:27]
	s_andn2_b64 s[30:31], s[30:31], exec
	s_and_b64 s[34:35], s[36:37], exec
	s_or_b64 s[30:31], s[30:31], s[34:35]
	s_andn2_b64 exec, exec, s[26:27]
	s_cbranch_execz .LBB11_143
.LBB11_139:                             ;   Parent Loop BB11_16 Depth=1
                                        ; =>  This Inner Loop Header: Depth=2
	v_cmp_gt_i32_e32 vcc, s0, v28
	s_and_saveexec_b64 s[34:35], vcc
	s_cbranch_execz .LBB11_137
; %bb.140:                              ;   in Loop: Header=BB11_139 Depth=2
	ds_read_u8 v29, v28
	s_waitcnt lgkmcnt(0)
	v_add_u32_sdwa v30, sext(v29), s61 dst_sel:DWORD dst_unused:UNUSED_PAD src0_sel:BYTE_0 src1_sel:DWORD
	v_and_b32_e32 v30, v30, v27
	v_cmp_eq_u32_e32 vcc, v30, v20
	s_and_b64 exec, exec, vcc
	s_cbranch_execz .LBB11_137
; %bb.141:                              ;   in Loop: Header=BB11_139 Depth=2
	v_lshlrev_b16_e32 v29, 8, v29
	v_or_b32_e32 v29, 1, v29
	ds_write_b16 v12, v29 offset:3072
	s_branch .LBB11_137
.LBB11_142:                             ;   in Loop: Header=BB11_139 Depth=2
	v_add_u32_e32 v28, s64, v28
	v_cmp_le_i32_e32 vcc, s1, v28
	s_mov_b64 s[36:37], 0
	s_orn2_b64 s[34:35], vcc, exec
	s_branch .LBB11_138
.LBB11_143:                             ;   in Loop: Header=BB11_16 Depth=1
	s_or_b64 exec, exec, s[26:27]
	s_andn2_b64 s[0:1], s[28:29], exec
	s_and_b64 s[26:27], s[30:31], exec
	v_lshrrev_b32_sdwa v28, v25, v29 dst_sel:DWORD dst_unused:UNUSED_PAD src0_sel:DWORD src1_sel:WORD_0
	s_or_b64 s[28:29], s[0:1], s[26:27]
.LBB11_144:                             ;   in Loop: Header=BB11_16 Depth=1
	s_or_b64 exec, exec, s[24:25]
	s_mov_b64 s[24:25], 0
	s_mov_b64 s[26:27], -1
.LBB11_145:                             ;   in Loop: Header=BB11_16 Depth=1
	s_orn2_b64 s[30:31], s[28:29], exec
.LBB11_146:                             ;   in Loop: Header=BB11_16 Depth=1
	s_or_b64 exec, exec, s[18:19]
	s_mov_b64 s[18:19], 0
	s_and_saveexec_b64 s[28:29], s[30:31]
	s_cbranch_execz .LBB11_235
; %bb.147:                              ;   in Loop: Header=BB11_16 Depth=1
	s_xor_b64 s[0:1], s[8:9], -1
	v_mov_b32_e32 v29, 1
	v_mov_b32_e32 v2, 1
	s_and_saveexec_b64 s[8:9], s[0:1]
	s_cbranch_execz .LBB11_156
; %bb.148:                              ;   in Loop: Header=BB11_16 Depth=1
	v_cmp_ge_i32_e32 vcc, s16, v4
	s_and_saveexec_b64 s[0:1], vcc
	s_xor_b64 s[18:19], exec, s[0:1]
	s_cbranch_execz .LBB11_153
; %bb.149:                              ;   in Loop: Header=BB11_16 Depth=1
	ds_read_b32 v2, v12 offset:4096
	v_and_b32_e32 v20, v20, v3
	v_lshl_or_b32 v20, 1, v26, v20
	v_or_b32_e32 v27, v27, v1
	s_waitcnt lgkmcnt(0)
	v_cmp_ne_u32_e32 vcc, 0, v2
	s_cbranch_vccnz .LBB11_153
; %bb.150:                              ;   in Loop: Header=BB11_16 Depth=1
	s_mov_b64 s[30:31], exec
	v_readlane_b32 s0, v43, 5
	v_readlane_b32 s1, v43, 6
	s_and_b64 s[0:1], s[30:31], s[0:1]
	s_mov_b64 exec, s[0:1]
; %bb.151:                              ;   in Loop: Header=BB11_16 Depth=1
	v_mov_b32_e32 v2, s16
	ds_write_b32 v12, v2 offset:4100
; %bb.152:                              ;   in Loop: Header=BB11_16 Depth=1
	s_or_b64 exec, exec, s[30:31]
	s_waitcnt lgkmcnt(0)
	s_barrier
.LBB11_153:                             ;   in Loop: Header=BB11_16 Depth=1
	s_or_saveexec_b64 s[18:19], s[18:19]
	s_mov_b64 s[30:31], 0
	v_mov_b32_e32 v2, 8
	s_xor_b64 exec, exec, s[18:19]
; %bb.154:                              ;   in Loop: Header=BB11_16 Depth=1
	s_mov_b64 s[30:31], exec
	v_subrev_u32_e32 v4, s16, v4
	v_mov_b32_e32 v2, 0
; %bb.155:                              ;   in Loop: Header=BB11_16 Depth=1
	s_or_b64 exec, exec, s[18:19]
	s_and_b64 s[18:19], s[30:31], exec
	v_mov_b32_e32 v29, v4
.LBB11_156:                             ;   in Loop: Header=BB11_16 Depth=1
	s_or_b64 exec, exec, s[8:9]
	s_mov_b64 s[8:9], -1
                                        ; implicit-def: $sgpr34_sgpr35
                                        ; implicit-def: $sgpr36_sgpr37
	s_and_saveexec_b64 s[30:31], s[18:19]
	s_cbranch_execz .LBB11_234
; %bb.157:                              ;   in Loop: Header=BB11_16 Depth=1
	s_cmp_eq_u32 s50, 1
	s_cselect_b64 s[0:1], -1, 0
	v_cmp_eq_u32_e32 vcc, 1, v29
	s_and_b64 s[8:9], s[0:1], vcc
	s_mov_b64 s[40:41], -1
                                        ; implicit-def: $sgpr36_sgpr37
                                        ; implicit-def: $sgpr34_sgpr35
	s_and_saveexec_b64 s[18:19], s[8:9]
	s_cbranch_execz .LBB11_183
; %bb.158:                              ;   in Loop: Header=BB11_16 Depth=1
	ds_read_b32 v4, v12 offset:4096
	s_waitcnt lgkmcnt(0)
	s_barrier
	v_readfirstlane_b32 s0, v4
	s_and_saveexec_b64 s[34:35], s[4:5]
; %bb.159:                              ;   in Loop: Header=BB11_16 Depth=1
	ds_write_b8 v0, v12 offset:3072
; %bb.160:                              ;   in Loop: Header=BB11_16 Depth=1
	s_or_b64 exec, exec, s[34:35]
	v_and_b32_e32 v4, v20, v3
	v_lshl_or_b32 v20, 2, v26, v4
	v_or_b32_e32 v27, v27, v1
	s_mov_b64 s[34:35], -1
	s_mov_b64 s[36:37], 0
	s_cmp_gt_i32 s0, 0
	s_mov_b64 s[38:39], 0
	s_waitcnt lgkmcnt(0)
	s_barrier
                                        ; implicit-def: $vgpr28
	s_cbranch_scc1 .LBB11_171
; %bb.161:                              ;   in Loop: Header=BB11_16 Depth=1
	s_mov_b64 s[40:41], 0
                                        ; implicit-def: $vgpr28
	s_mov_b64 s[42:43], exec
	v_readlane_b32 s44, v43, 24
	v_readlane_b32 s45, v43, 25
	s_and_b64 s[44:45], s[42:43], s[44:45]
	s_mov_b64 exec, s[44:45]
	s_cbranch_execz .LBB11_170
; %bb.162:                              ;   in Loop: Header=BB11_16 Depth=1
	v_mov_b32_e32 v4, v9
	v_mov_b32_e32 v28, v0
                                        ; implicit-def: $sgpr44_sgpr45
	s_branch .LBB11_165
.LBB11_163:                             ;   in Loop: Header=BB11_165 Depth=2
	s_or_b64 exec, exec, s[46:47]
	s_waitcnt lgkmcnt(0)
	s_barrier
	ds_read_u16 v30, v12 offset:3072
	s_mov_b64 s[46:47], -1
	s_waitcnt lgkmcnt(0)
	s_barrier
	v_cmp_ne_u32_sdwa s[48:49], v30, v12 src0_sel:BYTE_0 src1_sel:DWORD
	s_and_b64 vcc, exec, s[48:49]
	s_mov_b64 s[48:49], -1
	s_cbranch_vccz .LBB11_168
.LBB11_164:                             ;   in Loop: Header=BB11_165 Depth=2
	s_and_b64 s[46:47], exec, s[46:47]
	s_or_b64 s[38:39], s[46:47], s[38:39]
	s_andn2_b64 s[44:45], s[44:45], exec
	s_and_b64 s[46:47], s[48:49], exec
	s_or_b64 s[44:45], s[44:45], s[46:47]
	s_andn2_b64 exec, exec, s[38:39]
	s_cbranch_execz .LBB11_169
.LBB11_165:                             ;   Parent Loop BB11_16 Depth=1
                                        ; =>  This Inner Loop Header: Depth=2
	v_cmp_gt_i32_e32 vcc, s60, v28
	s_and_saveexec_b64 s[46:47], vcc
	s_cbranch_execz .LBB11_163
; %bb.166:                              ;   in Loop: Header=BB11_165 Depth=2
	v_ashrrev_i32_e32 v31, 31, v4
	v_mov_b32_e32 v32, s73
	v_add_co_u32_e32 v30, vcc, s72, v4
	v_addc_co_u32_e32 v31, vcc, v32, v31, vcc
	global_load_ubyte v30, v[30:31], off
	s_waitcnt vmcnt(0)
	v_add_u32_sdwa v31, sext(v30), s61 dst_sel:DWORD dst_unused:UNUSED_PAD src0_sel:BYTE_0 src1_sel:DWORD
	v_and_b32_e32 v31, v31, v27
	v_cmp_eq_u32_e32 vcc, v31, v20
	s_and_b64 exec, exec, vcc
	s_cbranch_execz .LBB11_163
; %bb.167:                              ;   in Loop: Header=BB11_165 Depth=2
	v_lshlrev_b16_e32 v30, 8, v30
	v_or_b32_e32 v30, 1, v30
	ds_write_b16 v12, v30 offset:3072
	s_branch .LBB11_163
.LBB11_168:                             ;   in Loop: Header=BB11_165 Depth=2
	v_add_u32_e32 v28, s64, v28
	v_cmp_le_i32_e32 vcc, s17, v28
	v_add_u32_e32 v4, s82, v4
	s_mov_b64 s[48:49], 0
	s_orn2_b64 s[46:47], vcc, exec
	s_branch .LBB11_164
.LBB11_169:                             ;   in Loop: Header=BB11_16 Depth=1
	s_or_b64 exec, exec, s[38:39]
	v_lshrrev_b32_sdwa v28, v25, v30 dst_sel:DWORD dst_unused:UNUSED_PAD src0_sel:DWORD src1_sel:WORD_0
	s_and_b64 s[38:39], s[44:45], exec
.LBB11_170:                             ;   in Loop: Header=BB11_16 Depth=1
	s_or_b64 exec, exec, s[42:43]
.LBB11_171:                             ;   in Loop: Header=BB11_16 Depth=1
	s_and_b64 vcc, exec, s[40:41]
	s_cbranch_vccz .LBB11_182
; %bb.172:                              ;   in Loop: Header=BB11_16 Depth=1
	v_readlane_b32 s1, v43, 8
	s_add_i32 s1, s0, s1
	s_abs_i32 s34, s1
	s_mul_hi_u32 s35, s34, s79
	s_mul_i32 s35, s35, s64
	s_sub_i32 s34, s34, s35
	s_ashr_i32 s16, s1, 31
	s_sub_i32 s35, s34, s64
	s_cmp_ge_u32 s34, s64
	s_cselect_b32 s34, s35, s34
	s_sub_i32 s35, s34, s64
	s_cmp_ge_u32 s34, s64
	s_cselect_b32 s34, s35, s34
	s_xor_b32 s34, s34, s16
	s_sub_i32 s16, s16, s34
	s_add_i32 s1, s1, s16
	v_cmp_gt_i32_e32 vcc, s1, v0
                                        ; implicit-def: $vgpr28
	s_and_saveexec_b64 s[34:35], vcc
	s_cbranch_execz .LBB11_181
; %bb.173:                              ;   in Loop: Header=BB11_16 Depth=1
	s_mov_b64 s[36:37], 0
	v_mov_b32_e32 v4, v0
                                        ; implicit-def: $sgpr40_sgpr41
	s_branch .LBB11_176
.LBB11_174:                             ;   in Loop: Header=BB11_176 Depth=2
	s_or_b64 exec, exec, s[42:43]
	s_waitcnt lgkmcnt(0)
	s_barrier
	ds_read_u16 v28, v12 offset:3072
	s_mov_b64 s[42:43], -1
	s_waitcnt lgkmcnt(0)
	s_barrier
	v_cmp_eq_u32_sdwa s[44:45], v28, v12 src0_sel:BYTE_0 src1_sel:DWORD
	s_and_b64 vcc, exec, s[44:45]
	s_mov_b64 s[44:45], -1
	s_cbranch_vccnz .LBB11_179
.LBB11_175:                             ;   in Loop: Header=BB11_176 Depth=2
	s_and_b64 s[42:43], exec, s[42:43]
	s_or_b64 s[36:37], s[42:43], s[36:37]
	s_andn2_b64 s[40:41], s[40:41], exec
	s_and_b64 s[42:43], s[44:45], exec
	s_or_b64 s[40:41], s[40:41], s[42:43]
	s_andn2_b64 exec, exec, s[36:37]
	s_cbranch_execz .LBB11_180
.LBB11_176:                             ;   Parent Loop BB11_16 Depth=1
                                        ; =>  This Inner Loop Header: Depth=2
	v_cmp_gt_i32_e32 vcc, s0, v4
	s_and_saveexec_b64 s[42:43], vcc
	s_cbranch_execz .LBB11_174
; %bb.177:                              ;   in Loop: Header=BB11_176 Depth=2
	ds_read_u8 v28, v4
	s_waitcnt lgkmcnt(0)
	v_add_u32_sdwa v30, sext(v28), s61 dst_sel:DWORD dst_unused:UNUSED_PAD src0_sel:BYTE_0 src1_sel:DWORD
	v_and_b32_e32 v30, v30, v27
	v_cmp_eq_u32_e32 vcc, v30, v20
	s_and_b64 exec, exec, vcc
	s_cbranch_execz .LBB11_174
; %bb.178:                              ;   in Loop: Header=BB11_176 Depth=2
	v_lshlrev_b16_e32 v28, 8, v28
	v_or_b32_e32 v28, 1, v28
	ds_write_b16 v12, v28 offset:3072
	s_branch .LBB11_174
.LBB11_179:                             ;   in Loop: Header=BB11_176 Depth=2
	v_add_u32_e32 v4, s64, v4
	v_cmp_le_i32_e32 vcc, s1, v4
	s_mov_b64 s[44:45], 0
	s_orn2_b64 s[42:43], vcc, exec
	s_branch .LBB11_175
.LBB11_180:                             ;   in Loop: Header=BB11_16 Depth=1
	s_or_b64 exec, exec, s[36:37]
	s_andn2_b64 s[0:1], s[38:39], exec
	s_and_b64 s[36:37], s[40:41], exec
	v_lshrrev_b32_sdwa v28, v25, v28 dst_sel:DWORD dst_unused:UNUSED_PAD src0_sel:DWORD src1_sel:WORD_0
	s_or_b64 s[38:39], s[0:1], s[36:37]
.LBB11_181:                             ;   in Loop: Header=BB11_16 Depth=1
	s_or_b64 exec, exec, s[34:35]
	s_mov_b64 s[34:35], 0
	s_mov_b64 s[36:37], -1
.LBB11_182:                             ;   in Loop: Header=BB11_16 Depth=1
	s_orn2_b64 s[40:41], s[38:39], exec
.LBB11_183:                             ;   in Loop: Header=BB11_16 Depth=1
	s_or_b64 exec, exec, s[18:19]
	s_mov_b64 s[18:19], 0
	s_and_saveexec_b64 s[38:39], s[40:41]
	s_cbranch_execz .LBB11_233
; %bb.184:                              ;   in Loop: Header=BB11_16 Depth=1
	s_xor_b64 s[0:1], s[8:9], -1
	s_mov_b64 s[44:45], 0
	v_mov_b32_e32 v4, 1
	v_mov_b32_e32 v2, 1
	s_and_saveexec_b64 s[8:9], s[0:1]
	s_cbranch_execz .LBB11_193
; %bb.185:                              ;   in Loop: Header=BB11_16 Depth=1
	v_cmp_ge_i32_e32 vcc, s50, v29
	s_and_saveexec_b64 s[0:1], vcc
	s_xor_b64 s[18:19], exec, s[0:1]
	s_cbranch_execz .LBB11_190
; %bb.186:                              ;   in Loop: Header=BB11_16 Depth=1
	ds_read_b32 v2, v12 offset:4096
	v_and_b32_e32 v3, v20, v3
	v_lshl_or_b32 v20, 2, v26, v3
	v_or_b32_e32 v27, v27, v1
	s_waitcnt lgkmcnt(0)
	v_cmp_ne_u32_e32 vcc, 0, v2
	s_cbranch_vccnz .LBB11_190
; %bb.187:                              ;   in Loop: Header=BB11_16 Depth=1
	s_mov_b64 s[40:41], exec
	v_readlane_b32 s0, v43, 5
	v_readlane_b32 s1, v43, 6
	s_and_b64 s[0:1], s[40:41], s[0:1]
	s_mov_b64 exec, s[0:1]
; %bb.188:                              ;   in Loop: Header=BB11_16 Depth=1
	v_mov_b32_e32 v2, s50
	ds_write_b32 v12, v2 offset:4100
; %bb.189:                              ;   in Loop: Header=BB11_16 Depth=1
	s_or_b64 exec, exec, s[40:41]
	s_waitcnt lgkmcnt(0)
	s_barrier
.LBB11_190:                             ;   in Loop: Header=BB11_16 Depth=1
	s_or_saveexec_b64 s[18:19], s[18:19]
	s_mov_b64 s[40:41], 0
	v_mov_b32_e32 v2, 8
	s_xor_b64 exec, exec, s[18:19]
; %bb.191:                              ;   in Loop: Header=BB11_16 Depth=1
	s_mov_b64 s[40:41], exec
	v_subrev_u32_e32 v29, s50, v29
	v_mov_b32_e32 v2, 0
; %bb.192:                              ;   in Loop: Header=BB11_16 Depth=1
	s_or_b64 exec, exec, s[18:19]
	s_and_b64 s[44:45], s[40:41], exec
	v_mov_b32_e32 v4, v29
.LBB11_193:                             ;   in Loop: Header=BB11_16 Depth=1
	s_or_b64 exec, exec, s[8:9]
	s_mov_b64 s[42:43], -1
                                        ; implicit-def: $sgpr18_sgpr19
                                        ; implicit-def: $sgpr8_sgpr9
	s_and_saveexec_b64 s[40:41], s[44:45]
	s_cbranch_execz .LBB11_232
; %bb.194:                              ;   in Loop: Header=BB11_16 Depth=1
	s_cmp_eq_u32 s58, 1
	s_cselect_b64 s[0:1], -1, 0
	v_cmp_eq_u32_e32 vcc, 1, v4
	s_and_b64 s[42:43], s[0:1], vcc
	s_mov_b64 s[46:47], -1
                                        ; implicit-def: $sgpr18_sgpr19
                                        ; implicit-def: $sgpr8_sgpr9
	s_and_saveexec_b64 s[44:45], s[42:43]
	s_cbranch_execz .LBB11_220
; %bb.195:                              ;   in Loop: Header=BB11_16 Depth=1
	ds_read_b32 v3, v12 offset:4096
	s_waitcnt lgkmcnt(0)
	s_barrier
	v_readfirstlane_b32 s0, v3
	s_and_saveexec_b64 s[8:9], s[4:5]
; %bb.196:                              ;   in Loop: Header=BB11_16 Depth=1
	ds_write_b8 v0, v12 offset:3072
; %bb.197:                              ;   in Loop: Header=BB11_16 Depth=1
	s_or_b64 exec, exec, s[8:9]
	v_or_b32_e32 v20, v20, v1
	v_or_b32_e32 v27, v27, v1
	s_mov_b64 s[8:9], -1
	s_mov_b64 s[18:19], 0
	s_cmp_gt_i32 s0, 0
	s_mov_b64 s[46:47], 0
	s_mov_b64 s[48:49], -1
	s_waitcnt lgkmcnt(0)
	s_barrier
                                        ; implicit-def: $vgpr28
	s_cbranch_scc1 .LBB11_208
; %bb.198:                              ;   in Loop: Header=BB11_16 Depth=1
	s_mov_b64 s[48:49], 0
                                        ; implicit-def: $vgpr28
	s_mov_b64 s[50:51], exec
	v_readlane_b32 s52, v43, 24
	v_readlane_b32 s53, v43, 25
	s_and_b64 s[52:53], s[50:51], s[52:53]
	s_mov_b64 exec, s[52:53]
	s_cbranch_execz .LBB11_207
; %bb.199:                              ;   in Loop: Header=BB11_16 Depth=1
	v_mov_b32_e32 v3, v9
	v_mov_b32_e32 v28, v0
                                        ; implicit-def: $sgpr52_sgpr53
	s_branch .LBB11_202
.LBB11_200:                             ;   in Loop: Header=BB11_202 Depth=2
	s_or_b64 exec, exec, s[54:55]
	s_waitcnt lgkmcnt(0)
	s_barrier
	ds_read_u16 v29, v12 offset:3072
	s_mov_b64 s[54:55], -1
	s_waitcnt lgkmcnt(0)
	s_barrier
	v_cmp_ne_u32_sdwa s[56:57], v29, v12 src0_sel:BYTE_0 src1_sel:DWORD
	s_and_b64 vcc, exec, s[56:57]
	s_mov_b64 s[56:57], -1
	s_cbranch_vccz .LBB11_205
.LBB11_201:                             ;   in Loop: Header=BB11_202 Depth=2
	s_and_b64 s[54:55], exec, s[54:55]
	s_or_b64 s[46:47], s[54:55], s[46:47]
	s_andn2_b64 s[52:53], s[52:53], exec
	s_and_b64 s[54:55], s[56:57], exec
	s_or_b64 s[52:53], s[52:53], s[54:55]
	s_andn2_b64 exec, exec, s[46:47]
	s_cbranch_execz .LBB11_206
.LBB11_202:                             ;   Parent Loop BB11_16 Depth=1
                                        ; =>  This Inner Loop Header: Depth=2
	v_cmp_gt_i32_e32 vcc, s60, v28
	s_and_saveexec_b64 s[54:55], vcc
	s_cbranch_execz .LBB11_200
; %bb.203:                              ;   in Loop: Header=BB11_202 Depth=2
	v_ashrrev_i32_e32 v30, 31, v3
	v_mov_b32_e32 v31, s73
	v_add_co_u32_e32 v29, vcc, s72, v3
	v_addc_co_u32_e32 v30, vcc, v31, v30, vcc
	global_load_ubyte v29, v[29:30], off
	s_waitcnt vmcnt(0)
	v_add_u32_sdwa v30, sext(v29), s61 dst_sel:DWORD dst_unused:UNUSED_PAD src0_sel:BYTE_0 src1_sel:DWORD
	v_and_b32_e32 v30, v30, v27
	v_cmp_eq_u32_e32 vcc, v30, v20
	s_and_b64 exec, exec, vcc
	s_cbranch_execz .LBB11_200
; %bb.204:                              ;   in Loop: Header=BB11_202 Depth=2
	v_lshlrev_b16_e32 v29, 8, v29
	v_or_b32_e32 v29, 1, v29
	ds_write_b16 v12, v29 offset:3072
	s_branch .LBB11_200
.LBB11_205:                             ;   in Loop: Header=BB11_202 Depth=2
	v_add_u32_e32 v28, s64, v28
	v_cmp_le_i32_e32 vcc, s17, v28
	v_add_u32_e32 v3, s82, v3
	s_mov_b64 s[56:57], 0
	s_orn2_b64 s[54:55], vcc, exec
	s_branch .LBB11_201
.LBB11_206:                             ;   in Loop: Header=BB11_16 Depth=1
	s_or_b64 exec, exec, s[46:47]
	v_lshrrev_b32_sdwa v28, v25, v29 dst_sel:DWORD dst_unused:UNUSED_PAD src0_sel:DWORD src1_sel:WORD_0
	s_and_b64 s[46:47], s[52:53], exec
.LBB11_207:                             ;   in Loop: Header=BB11_16 Depth=1
	s_or_b64 exec, exec, s[50:51]
.LBB11_208:                             ;   in Loop: Header=BB11_16 Depth=1
	s_and_b64 vcc, exec, s[48:49]
	s_cbranch_vccz .LBB11_219
; %bb.209:                              ;   in Loop: Header=BB11_16 Depth=1
	v_readlane_b32 s1, v43, 8
	s_add_i32 s1, s0, s1
	s_abs_i32 s9, s1
	s_mul_hi_u32 s16, s9, s79
	s_mul_i32 s16, s16, s64
	s_sub_i32 s9, s9, s16
	s_ashr_i32 s8, s1, 31
	s_sub_i32 s16, s9, s64
	s_cmp_ge_u32 s9, s64
	s_cselect_b32 s9, s16, s9
	s_sub_i32 s16, s9, s64
	s_cmp_ge_u32 s9, s64
	s_cselect_b32 s9, s16, s9
	s_xor_b32 s9, s9, s8
	s_sub_i32 s8, s8, s9
	s_add_i32 s1, s1, s8
	v_cmp_gt_i32_e32 vcc, s1, v0
                                        ; implicit-def: $vgpr28
	s_and_saveexec_b64 s[8:9], vcc
	s_cbranch_execz .LBB11_218
; %bb.210:                              ;   in Loop: Header=BB11_16 Depth=1
	s_mov_b64 s[18:19], 0
	v_mov_b32_e32 v3, v0
                                        ; implicit-def: $sgpr48_sgpr49
	s_branch .LBB11_213
.LBB11_211:                             ;   in Loop: Header=BB11_213 Depth=2
	s_or_b64 exec, exec, s[50:51]
	s_waitcnt lgkmcnt(0)
	s_barrier
	ds_read_u16 v28, v12 offset:3072
	s_mov_b64 s[50:51], -1
	s_waitcnt lgkmcnt(0)
	s_barrier
	v_cmp_eq_u32_sdwa s[52:53], v28, v12 src0_sel:BYTE_0 src1_sel:DWORD
	s_and_b64 vcc, exec, s[52:53]
	s_mov_b64 s[52:53], -1
	s_cbranch_vccnz .LBB11_216
.LBB11_212:                             ;   in Loop: Header=BB11_213 Depth=2
	s_and_b64 s[50:51], exec, s[50:51]
	s_or_b64 s[18:19], s[50:51], s[18:19]
	s_andn2_b64 s[48:49], s[48:49], exec
	s_and_b64 s[50:51], s[52:53], exec
	s_or_b64 s[48:49], s[48:49], s[50:51]
	s_andn2_b64 exec, exec, s[18:19]
	s_cbranch_execz .LBB11_217
.LBB11_213:                             ;   Parent Loop BB11_16 Depth=1
                                        ; =>  This Inner Loop Header: Depth=2
	v_cmp_gt_i32_e32 vcc, s0, v3
	s_and_saveexec_b64 s[50:51], vcc
	s_cbranch_execz .LBB11_211
; %bb.214:                              ;   in Loop: Header=BB11_213 Depth=2
	ds_read_u8 v28, v3
	s_waitcnt lgkmcnt(0)
	v_add_u32_sdwa v29, sext(v28), s61 dst_sel:DWORD dst_unused:UNUSED_PAD src0_sel:BYTE_0 src1_sel:DWORD
	v_and_b32_e32 v29, v29, v27
	v_cmp_eq_u32_e32 vcc, v29, v20
	s_and_b64 exec, exec, vcc
	s_cbranch_execz .LBB11_211
; %bb.215:                              ;   in Loop: Header=BB11_213 Depth=2
	v_lshlrev_b16_e32 v28, 8, v28
	v_or_b32_e32 v28, 1, v28
	ds_write_b16 v12, v28 offset:3072
	s_branch .LBB11_211
.LBB11_216:                             ;   in Loop: Header=BB11_213 Depth=2
	v_add_u32_e32 v3, s64, v3
	v_cmp_le_i32_e32 vcc, s1, v3
	s_mov_b64 s[52:53], 0
	s_orn2_b64 s[50:51], vcc, exec
	s_branch .LBB11_212
.LBB11_217:                             ;   in Loop: Header=BB11_16 Depth=1
	s_or_b64 exec, exec, s[18:19]
	s_andn2_b64 s[0:1], s[46:47], exec
	s_and_b64 s[18:19], s[48:49], exec
	v_lshrrev_b32_sdwa v28, v25, v28 dst_sel:DWORD dst_unused:UNUSED_PAD src0_sel:DWORD src1_sel:WORD_0
	s_or_b64 s[46:47], s[0:1], s[18:19]
.LBB11_218:                             ;   in Loop: Header=BB11_16 Depth=1
	s_or_b64 exec, exec, s[8:9]
	s_mov_b64 s[8:9], 0
	s_mov_b64 s[18:19], -1
.LBB11_219:                             ;   in Loop: Header=BB11_16 Depth=1
	s_orn2_b64 s[46:47], s[46:47], exec
.LBB11_220:                             ;   in Loop: Header=BB11_16 Depth=1
	s_or_b64 exec, exec, s[44:45]
	s_mov_b64 s[48:49], 0
	s_and_saveexec_b64 s[44:45], s[46:47]
	s_cbranch_execz .LBB11_231
; %bb.221:                              ;   in Loop: Header=BB11_16 Depth=1
	s_xor_b64 s[0:1], s[42:43], -1
	v_mov_b32_e32 v2, 1
	v_mov_b32_e32 v3, 1
	s_and_saveexec_b64 s[42:43], s[0:1]
	s_cbranch_execz .LBB11_230
; %bb.222:                              ;   in Loop: Header=BB11_16 Depth=1
	v_cmp_ge_i32_e32 vcc, s58, v4
	s_and_saveexec_b64 s[0:1], vcc
	s_xor_b64 s[46:47], exec, s[0:1]
	s_cbranch_execz .LBB11_227
; %bb.223:                              ;   in Loop: Header=BB11_16 Depth=1
	ds_read_b32 v2, v12 offset:4096
	v_or_b32_e32 v20, v20, v1
	v_or_b32_e32 v27, v27, v1
	s_waitcnt lgkmcnt(0)
	v_cmp_ne_u32_e32 vcc, 0, v2
	s_cbranch_vccnz .LBB11_227
; %bb.224:                              ;   in Loop: Header=BB11_16 Depth=1
	s_mov_b64 s[48:49], exec
	v_readlane_b32 s0, v43, 5
	v_readlane_b32 s1, v43, 6
	s_and_b64 s[0:1], s[48:49], s[0:1]
	s_mov_b64 exec, s[0:1]
; %bb.225:                              ;   in Loop: Header=BB11_16 Depth=1
	v_mov_b32_e32 v1, s58
	ds_write_b32 v12, v1 offset:4100
; %bb.226:                              ;   in Loop: Header=BB11_16 Depth=1
	s_or_b64 exec, exec, s[48:49]
	s_waitcnt lgkmcnt(0)
	s_barrier
.LBB11_227:                             ;   in Loop: Header=BB11_16 Depth=1
	s_andn2_saveexec_b64 s[46:47], s[46:47]
; %bb.228:                              ;   in Loop: Header=BB11_16 Depth=1
	v_subrev_u32_e32 v4, s58, v4
; %bb.229:                              ;   in Loop: Header=BB11_16 Depth=1
	s_or_b64 exec, exec, s[46:47]
	v_mov_b32_e32 v2, 8
	v_mov_b32_e32 v3, v4
.LBB11_230:                             ;   in Loop: Header=BB11_16 Depth=1
	s_or_b64 exec, exec, s[42:43]
	s_mov_b64 s[48:49], exec
	v_mov_b32_e32 v4, v3
.LBB11_231:                             ;   in Loop: Header=BB11_16 Depth=1
	s_or_b64 exec, exec, s[44:45]
	s_orn2_b64 s[42:43], s[48:49], exec
.LBB11_232:                             ;   in Loop: Header=BB11_16 Depth=1
	s_or_b64 exec, exec, s[40:41]
	s_andn2_b64 s[0:1], s[36:37], exec
	s_and_b64 s[18:19], s[18:19], exec
	s_or_b64 s[36:37], s[0:1], s[18:19]
	s_andn2_b64 s[0:1], s[34:35], exec
	s_and_b64 s[8:9], s[8:9], exec
	s_or_b64 s[34:35], s[0:1], s[8:9]
	s_and_b64 s[18:19], s[42:43], exec
	v_mov_b32_e32 v29, v4
.LBB11_233:                             ;   in Loop: Header=BB11_16 Depth=1
	s_or_b64 exec, exec, s[38:39]
	s_orn2_b64 s[8:9], s[18:19], exec
.LBB11_234:                             ;   in Loop: Header=BB11_16 Depth=1
	s_or_b64 exec, exec, s[30:31]
	s_andn2_b64 s[0:1], s[26:27], exec
	s_and_b64 s[18:19], s[36:37], exec
	s_or_b64 s[26:27], s[0:1], s[18:19]
	s_andn2_b64 s[0:1], s[24:25], exec
	s_and_b64 s[18:19], s[34:35], exec
	s_or_b64 s[24:25], s[0:1], s[18:19]
	s_and_b64 s[18:19], s[8:9], exec
	v_mov_b32_e32 v4, v29
.LBB11_235:                             ;   in Loop: Header=BB11_16 Depth=1
	s_or_b64 exec, exec, s[28:29]
	s_orn2_b64 s[8:9], s[18:19], exec
.LBB11_236:                             ;   in Loop: Header=BB11_16 Depth=1
	s_or_b64 exec, exec, s[22:23]
	s_mov_b64 s[18:19], 0
                                        ; implicit-def: $sgpr0
	s_and_saveexec_b64 s[22:23], s[8:9]
	s_xor_b64 s[8:9], exec, s[22:23]
	s_cbranch_execz .LBB11_14
; %bb.237:                              ;   in Loop: Header=BB11_16 Depth=1
	v_and_b32_e32 v1, 7, v2
	v_cmp_eq_u32_e32 vcc, 0, v1
	s_mov_b64 s[20:21], -1
	s_mov_b64 s[18:19], -1
                                        ; implicit-def: $sgpr0
	s_and_saveexec_b64 s[22:23], vcc
	s_cbranch_execz .LBB11_13
; %bb.238:                              ;   in Loop: Header=BB11_16 Depth=1
	v_add_u32_e32 v1, -2, v26
	v_cmp_eq_u32_e32 vcc, 0, v26
	s_xor_b32 s0, s85, 1
	s_xor_b64 s[18:19], exec, -1
	s_orn2_b64 s[20:21], vcc, exec
	v_mov_b32_e32 v26, v1
	s_branch .LBB11_13
.LBB11_239:
	s_or_b64 exec, exec, s[86:87]
	s_xor_b64 s[8:9], s[92:93], -1
	s_xor_b64 s[0:1], s[88:89], -1
	;; [unrolled: 1-line block ×3, first 2 shown]
	s_mov_b64 s[4:5], 0
	s_and_saveexec_b64 s[2:3], s[0:1]
	s_xor_b64 s[2:3], exec, s[2:3]
	s_cbranch_execnz .LBB11_244
; %bb.240:
	s_andn2_saveexec_b64 s[0:1], s[2:3]
	s_cbranch_execnz .LBB11_264
.LBB11_241:
	s_or_b64 exec, exec, s[0:1]
	s_and_saveexec_b64 s[0:1], s[4:5]
.LBB11_242:
	; divergent unreachable
.LBB11_243:
	s_endpgm
.LBB11_244:
	s_and_saveexec_b64 s[0:1], s[8:9]
	s_xor_b64 s[4:5], exec, s[0:1]
	s_cbranch_execz .LBB11_262
; %bb.245:
	s_and_saveexec_b64 s[0:1], s[6:7]
	s_xor_b64 s[6:7], exec, s[0:1]
; %bb.246:
	v_xor_b32_e32 v28, 0xffffff80, v20
; %bb.247:
	s_or_b64 exec, exec, s[6:7]
	s_mov_b64 s[6:7], exec
	v_readlane_b32 s0, v43, 5
	v_readlane_b32 s1, v43, 6
	s_and_b64 s[0:1], s[6:7], s[0:1]
	s_mov_b64 exec, s[0:1]
; %bb.248:
	v_mov_b32_e32 v1, 0
	v_mov_b32_e32 v2, s60
	ds_write_b32 v1, v2 offset:4108
; %bb.249:
	s_or_b64 exec, exec, s[6:7]
	v_mov_b32_e32 v1, 0
	s_waitcnt lgkmcnt(0)
	s_barrier
	ds_read_b32 v1, v1 offset:4108
	s_waitcnt lgkmcnt(0)
	v_min_i32_e32 v2, s60, v1
	v_cmp_lt_i32_e32 vcc, v0, v2
	s_and_saveexec_b64 s[6:7], vcc
	s_cbranch_execz .LBB11_259
; %bb.250:
	s_mov_b64 s[8:9], 0
	v_mov_b32_e32 v3, s73
                                        ; implicit-def: $sgpr10_sgpr11
                                        ; implicit-def: $sgpr14_sgpr15
                                        ; implicit-def: $sgpr12_sgpr13
	s_branch .LBB11_252
.LBB11_251:                             ;   in Loop: Header=BB11_252 Depth=1
	s_or_b64 exec, exec, s[16:17]
	s_and_b64 s[0:1], exec, s[14:15]
	s_or_b64 s[8:9], s[0:1], s[8:9]
	s_andn2_b64 s[0:1], s[10:11], exec
	s_and_b64 s[10:11], s[12:13], exec
	s_or_b64 s[10:11], s[0:1], s[10:11]
	s_andn2_b64 exec, exec, s[8:9]
	s_cbranch_execz .LBB11_254
.LBB11_252:                             ; =>This Inner Loop Header: Depth=1
	v_ashrrev_i32_e32 v1, 31, v9
	v_add_co_u32_e32 v4, vcc, s72, v9
	v_addc_co_u32_e32 v5, vcc, v3, v1, vcc
	global_load_ubyte v4, v[4:5], off
	v_mov_b32_e32 v1, v0
	s_or_b64 s[12:13], s[12:13], exec
	s_or_b64 s[14:15], s[14:15], exec
                                        ; implicit-def: $vgpr0
	s_waitcnt vmcnt(0)
	v_cmp_ne_u16_sdwa s[0:1], v4, v28 src0_sel:DWORD src1_sel:BYTE_0
	s_and_saveexec_b64 s[16:17], s[0:1]
	s_cbranch_execz .LBB11_251
; %bb.253:                              ;   in Loop: Header=BB11_252 Depth=1
	v_add_u32_e32 v0, s64, v1
	v_cmp_ge_i32_e32 vcc, v0, v2
	s_andn2_b64 s[0:1], s[14:15], exec
	s_and_b64 s[14:15], vcc, exec
	v_add_u32_e32 v9, s82, v9
	s_andn2_b64 s[12:13], s[12:13], exec
	s_or_b64 s[14:15], s[0:1], s[14:15]
	s_branch .LBB11_251
.LBB11_254:
	s_or_b64 exec, exec, s[8:9]
	s_and_saveexec_b64 s[0:1], s[10:11]
	s_xor_b64 s[0:1], exec, s[0:1]
	s_cbranch_execz .LBB11_259
; %bb.255:
	s_mov_b64 s[8:9], exec
	s_brev_b32 s0, -2
.LBB11_256:                             ; =>This Inner Loop Header: Depth=1
	s_ff1_i32_b64 s1, s[8:9]
	v_readlane_b32 s12, v1, s1
	s_lshl_b64 s[10:11], 1, s1
	s_min_i32 s0, s0, s12
	s_andn2_b64 s[8:9], s[8:9], s[10:11]
	s_cmp_lg_u64 s[8:9], 0
	s_cbranch_scc1 .LBB11_256
; %bb.257:
	v_mbcnt_lo_u32_b32 v0, exec_lo, 0
	v_mbcnt_hi_u32_b32 v0, exec_hi, v0
	v_cmp_eq_u32_e32 vcc, 0, v0
	s_and_saveexec_b64 s[8:9], vcc
	s_xor_b64 s[8:9], exec, s[8:9]
; %bb.258:
	v_mov_b32_e32 v0, 0
	v_mov_b32_e32 v1, s0
	ds_min_i32 v0, v1 offset:4108
.LBB11_259:
	s_or_b64 exec, exec, s[6:7]
	s_waitcnt lgkmcnt(0)
	s_barrier
	s_mov_b64 s[6:7], exec
	v_readlane_b32 s0, v43, 5
	v_readlane_b32 s1, v43, 6
	s_and_b64 s[0:1], s[6:7], s[0:1]
	s_mov_b64 exec, s[0:1]
	s_cbranch_execz .LBB11_261
; %bb.260:
	v_readlane_b32 s0, v43, 0
	s_mul_i32 s0, s0, s62
	s_add_i32 s1, s0, s65
	v_readlane_b32 s0, v43, 7
	s_mul_i32 s0, s0, s33
	v_mov_b32_e32 v2, 0
	s_add_i32 s0, s0, s67
	s_ashr_i32 s9, s1, 31
	v_readlane_b32 s10, v43, 1
	ds_read_b32 v0, v2 offset:4108
	v_readlane_b32 s11, v43, 2
	s_add_u32 s8, s10, s1
	s_addc_u32 s9, s11, s9
	s_ashr_i32 s1, s0, 31
	s_lshl_b64 s[0:1], s[0:1], 3
	v_readlane_b32 s10, v43, 3
	v_readlane_b32 s11, v43, 4
	s_add_u32 s0, s10, s0
	s_addc_u32 s1, s11, s1
	s_waitcnt lgkmcnt(0)
	v_ashrrev_i32_e32 v1, 31, v0
	global_store_dwordx2 v2, v[0:1], s[0:1]
	global_store_byte v2, v28, s[8:9]
.LBB11_261:
	s_or_b64 exec, exec, s[6:7]
.LBB11_262:
	s_or_saveexec_b64 s[0:1], s[4:5]
	s_mov_b64 s[4:5], 0
	s_xor_b64 exec, exec, s[0:1]
	s_cbranch_execnz .LBB11_265
.LBB11_263:
	s_or_b64 exec, exec, s[0:1]
	s_and_b64 s[4:5], s[4:5], exec
	s_andn2_saveexec_b64 s[0:1], s[2:3]
	s_cbranch_execz .LBB11_241
.LBB11_264:
	s_or_b64 s[4:5], s[4:5], exec
	s_trap 2
	s_or_b64 exec, exec, s[0:1]
	s_and_saveexec_b64 s[0:1], s[4:5]
	s_cbranch_execnz .LBB11_242
	s_branch .LBB11_243
.LBB11_265:
	s_mov_b64 s[4:5], exec
	s_trap 2
	s_branch .LBB11_263
	.section	.rodata,"a",@progbits
	.p2align	6, 0x0
	.amdhsa_kernel _ZN2at6native12_GLOBAL__N_114gatherKthValueIaiLin1EEEvNS_4cuda6detail10TensorInfoIKT_T0_EES8_S8_S8_S8_NS5_IS6_S8_EENS5_IlS8_EE
		.amdhsa_group_segment_fixed_size 4112
		.amdhsa_private_segment_fixed_size 0
		.amdhsa_kernarg_size 920
		.amdhsa_user_sgpr_count 6
		.amdhsa_user_sgpr_private_segment_buffer 1
		.amdhsa_user_sgpr_dispatch_ptr 0
		.amdhsa_user_sgpr_queue_ptr 0
		.amdhsa_user_sgpr_kernarg_segment_ptr 1
		.amdhsa_user_sgpr_dispatch_id 0
		.amdhsa_user_sgpr_flat_scratch_init 0
		.amdhsa_user_sgpr_private_segment_size 0
		.amdhsa_uses_dynamic_stack 0
		.amdhsa_system_sgpr_private_segment_wavefront_offset 0
		.amdhsa_system_sgpr_workgroup_id_x 1
		.amdhsa_system_sgpr_workgroup_id_y 1
		.amdhsa_system_sgpr_workgroup_id_z 1
		.amdhsa_system_sgpr_workgroup_info 0
		.amdhsa_system_vgpr_workitem_id 0
		.amdhsa_next_free_vgpr 44
		.amdhsa_next_free_sgpr 96
		.amdhsa_reserve_vcc 1
		.amdhsa_reserve_flat_scratch 0
		.amdhsa_float_round_mode_32 0
		.amdhsa_float_round_mode_16_64 0
		.amdhsa_float_denorm_mode_32 3
		.amdhsa_float_denorm_mode_16_64 3
		.amdhsa_dx10_clamp 1
		.amdhsa_ieee_mode 1
		.amdhsa_fp16_overflow 0
		.amdhsa_exception_fp_ieee_invalid_op 0
		.amdhsa_exception_fp_denorm_src 0
		.amdhsa_exception_fp_ieee_div_zero 0
		.amdhsa_exception_fp_ieee_overflow 0
		.amdhsa_exception_fp_ieee_underflow 0
		.amdhsa_exception_fp_ieee_inexact 0
		.amdhsa_exception_int_div_zero 0
	.end_amdhsa_kernel
	.section	.text._ZN2at6native12_GLOBAL__N_114gatherKthValueIaiLin1EEEvNS_4cuda6detail10TensorInfoIKT_T0_EES8_S8_S8_S8_NS5_IS6_S8_EENS5_IlS8_EE,"axG",@progbits,_ZN2at6native12_GLOBAL__N_114gatherKthValueIaiLin1EEEvNS_4cuda6detail10TensorInfoIKT_T0_EES8_S8_S8_S8_NS5_IS6_S8_EENS5_IlS8_EE,comdat
.Lfunc_end11:
	.size	_ZN2at6native12_GLOBAL__N_114gatherKthValueIaiLin1EEEvNS_4cuda6detail10TensorInfoIKT_T0_EES8_S8_S8_S8_NS5_IS6_S8_EENS5_IlS8_EE, .Lfunc_end11-_ZN2at6native12_GLOBAL__N_114gatherKthValueIaiLin1EEEvNS_4cuda6detail10TensorInfoIKT_T0_EES8_S8_S8_S8_NS5_IS6_S8_EENS5_IlS8_EE
                                        ; -- End function
	.set _ZN2at6native12_GLOBAL__N_114gatherKthValueIaiLin1EEEvNS_4cuda6detail10TensorInfoIKT_T0_EES8_S8_S8_S8_NS5_IS6_S8_EENS5_IlS8_EE.num_vgpr, 44
	.set _ZN2at6native12_GLOBAL__N_114gatherKthValueIaiLin1EEEvNS_4cuda6detail10TensorInfoIKT_T0_EES8_S8_S8_S8_NS5_IS6_S8_EENS5_IlS8_EE.num_agpr, 0
	.set _ZN2at6native12_GLOBAL__N_114gatherKthValueIaiLin1EEEvNS_4cuda6detail10TensorInfoIKT_T0_EES8_S8_S8_S8_NS5_IS6_S8_EENS5_IlS8_EE.numbered_sgpr, 96
	.set _ZN2at6native12_GLOBAL__N_114gatherKthValueIaiLin1EEEvNS_4cuda6detail10TensorInfoIKT_T0_EES8_S8_S8_S8_NS5_IS6_S8_EENS5_IlS8_EE.num_named_barrier, 0
	.set _ZN2at6native12_GLOBAL__N_114gatherKthValueIaiLin1EEEvNS_4cuda6detail10TensorInfoIKT_T0_EES8_S8_S8_S8_NS5_IS6_S8_EENS5_IlS8_EE.private_seg_size, 0
	.set _ZN2at6native12_GLOBAL__N_114gatherKthValueIaiLin1EEEvNS_4cuda6detail10TensorInfoIKT_T0_EES8_S8_S8_S8_NS5_IS6_S8_EENS5_IlS8_EE.uses_vcc, 1
	.set _ZN2at6native12_GLOBAL__N_114gatherKthValueIaiLin1EEEvNS_4cuda6detail10TensorInfoIKT_T0_EES8_S8_S8_S8_NS5_IS6_S8_EENS5_IlS8_EE.uses_flat_scratch, 0
	.set _ZN2at6native12_GLOBAL__N_114gatherKthValueIaiLin1EEEvNS_4cuda6detail10TensorInfoIKT_T0_EES8_S8_S8_S8_NS5_IS6_S8_EENS5_IlS8_EE.has_dyn_sized_stack, 0
	.set _ZN2at6native12_GLOBAL__N_114gatherKthValueIaiLin1EEEvNS_4cuda6detail10TensorInfoIKT_T0_EES8_S8_S8_S8_NS5_IS6_S8_EENS5_IlS8_EE.has_recursion, 0
	.set _ZN2at6native12_GLOBAL__N_114gatherKthValueIaiLin1EEEvNS_4cuda6detail10TensorInfoIKT_T0_EES8_S8_S8_S8_NS5_IS6_S8_EENS5_IlS8_EE.has_indirect_call, 0
	.section	.AMDGPU.csdata,"",@progbits
; Kernel info:
; codeLenInByte = 9704
; TotalNumSgprs: 100
; NumVgprs: 44
; ScratchSize: 0
; MemoryBound: 0
; FloatMode: 240
; IeeeMode: 1
; LDSByteSize: 4112 bytes/workgroup (compile time only)
; SGPRBlocks: 12
; VGPRBlocks: 10
; NumSGPRsForWavesPerEU: 100
; NumVGPRsForWavesPerEU: 44
; Occupancy: 5
; WaveLimiterHint : 1
; COMPUTE_PGM_RSRC2:SCRATCH_EN: 0
; COMPUTE_PGM_RSRC2:USER_SGPR: 6
; COMPUTE_PGM_RSRC2:TRAP_HANDLER: 0
; COMPUTE_PGM_RSRC2:TGID_X_EN: 1
; COMPUTE_PGM_RSRC2:TGID_Y_EN: 1
; COMPUTE_PGM_RSRC2:TGID_Z_EN: 1
; COMPUTE_PGM_RSRC2:TIDIG_COMP_CNT: 0
	.section	.text._ZN2at6native12_GLOBAL__N_114gatherKthValueIalLi1EEEvNS_4cuda6detail10TensorInfoIKT_T0_EES8_S8_S8_S8_NS5_IS6_S8_EENS5_IlS8_EE,"axG",@progbits,_ZN2at6native12_GLOBAL__N_114gatherKthValueIalLi1EEEvNS_4cuda6detail10TensorInfoIKT_T0_EES8_S8_S8_S8_NS5_IS6_S8_EENS5_IlS8_EE,comdat
	.globl	_ZN2at6native12_GLOBAL__N_114gatherKthValueIalLi1EEEvNS_4cuda6detail10TensorInfoIKT_T0_EES8_S8_S8_S8_NS5_IS6_S8_EENS5_IlS8_EE ; -- Begin function _ZN2at6native12_GLOBAL__N_114gatherKthValueIalLi1EEEvNS_4cuda6detail10TensorInfoIKT_T0_EES8_S8_S8_S8_NS5_IS6_S8_EENS5_IlS8_EE
	.p2align	8
	.type	_ZN2at6native12_GLOBAL__N_114gatherKthValueIalLi1EEEvNS_4cuda6detail10TensorInfoIKT_T0_EES8_S8_S8_S8_NS5_IS6_S8_EENS5_IlS8_EE,@function
_ZN2at6native12_GLOBAL__N_114gatherKthValueIalLi1EEEvNS_4cuda6detail10TensorInfoIKT_T0_EES8_S8_S8_S8_NS5_IS6_S8_EENS5_IlS8_EE: ; @_ZN2at6native12_GLOBAL__N_114gatherKthValueIalLi1EEEvNS_4cuda6detail10TensorInfoIKT_T0_EES8_S8_S8_S8_NS5_IS6_S8_EENS5_IlS8_EE
; %bb.0:
	s_load_dwordx2 s[18:19], s[4:5], 0x500
	s_load_dwordx8 s[24:31], s[4:5], 0x1a0
	s_add_u32 s14, s4, 0x500
	s_addc_u32 s15, s5, 0
	s_mov_b32 s11, 0
	s_waitcnt lgkmcnt(0)
	s_mul_i32 s0, s19, s8
	s_add_i32 s0, s0, s7
	s_mul_i32 s0, s0, s18
	s_add_i32 s10, s0, s6
	v_mov_b32_e32 v1, s10
	v_mov_b32_e32 v2, s11
	v_cmp_le_i64_e32 vcc, s[28:29], v[1:2]
	s_cbranch_vccnz .LBB12_274
; %bb.1:
	s_load_dwordx2 s[0:1], s[4:5], 0x430
                                        ; implicit-def: $vgpr62 : SGPR spill to VGPR lane
	s_load_dwordx2 s[8:9], s[4:5], 0xd0
	s_load_dwordx2 s[2:3], s[4:5], 0x0
	s_waitcnt lgkmcnt(0)
	v_writelane_b32 v62, s0, 0
	v_writelane_b32 v62, s1, 1
	s_load_dwordx2 s[0:1], s[4:5], 0x360
	s_waitcnt lgkmcnt(0)
	v_writelane_b32 v62, s0, 2
	v_writelane_b32 v62, s1, 3
	;; [unrolled: 4-line block ×4, first 2 shown]
	v_cmp_eq_u32_e64 s[0:1], 0, v0
	s_mov_b64 s[4:5], exec
	v_writelane_b32 v62, s0, 8
	v_writelane_b32 v62, s1, 9
	s_and_b64 s[0:1], s[4:5], s[0:1]
	s_mov_b64 exec, s[0:1]
	s_cbranch_execz .LBB12_3
; %bb.2:
	v_mov_b32_e32 v1, 0
	v_mov_b32_e32 v3, s24
	;; [unrolled: 1-line block ×4, first 2 shown]
	ds_write_b32 v1, v1 offset:5136
	ds_write_b128 v1, v[1:4] offset:5120
.LBB12_3:
	s_or_b64 exec, exec, s[4:5]
	s_mul_i32 s0, s9, s10
	s_mul_hi_u32 s1, s8, s10
	s_add_i32 s4, s1, s0
	s_mov_b32 s0, s10
	v_writelane_b32 v62, s0, 10
	v_writelane_b32 v62, s1, 11
	s_mul_i32 s0, s8, s10
	s_add_u32 s42, s2, s0
	v_mad_u64_u32 v[4:5], s[0:1], s30, v0, 0
	v_mbcnt_lo_u32_b32 v1, -1, 0
	v_mbcnt_hi_u32_b32 v30, -1, v1
	v_mov_b32_e32 v1, v5
	v_mad_u64_u32 v[1:2], s[0:1], s31, v0, v[1:2]
	s_addc_u32 s43, s3, s4
	v_mov_b32_e32 v2, s43
	v_add_co_u32_e32 v12, vcc, s42, v4
	v_mov_b32_e32 v5, 0xc00
	v_mov_b32_e32 v3, 0
	v_addc_co_u32_e32 v13, vcc, v2, v1, vcc
	v_add_u32_e32 v2, 2, v0
	v_mov_b32_e32 v6, 0
	v_cmp_gt_i64_e32 vcc, s[24:25], v[2:3]
	v_cmp_gt_i64_e64 s[0:1], s[24:25], v[5:6]
	v_mov_b32_e32 v5, v1
	v_mov_b32_e32 v1, s25
	v_cndmask_b32_e32 v6, 0, v1, vcc
	v_mov_b32_e32 v1, s24
	v_cndmask_b32_e32 v1, v2, v1, vcc
	v_not_b32_e32 v2, v0
	v_add_co_u32_e32 v1, vcc, v1, v2
	v_writelane_b32 v62, s0, 12
	v_addc_co_u32_e32 v2, vcc, -1, v6, vcc
	v_writelane_b32 v62, s1, 13
	v_cmp_lt_u64_e64 s[0:1], 3, v[1:2]
	v_and_b32_e32 v16, -4, v1
	v_writelane_b32 v62, s0, 14
	v_mov_b32_e32 v17, v2
	v_writelane_b32 v62, s1, 15
	v_cmp_ne_u64_e64 s[0:1], v[1:2], v[16:17]
	v_lshlrev_b32_e32 v14, 2, v0
	v_writelane_b32 v62, s0, 16
	v_or_b32_e32 v2, 3, v14
	v_writelane_b32 v62, s1, 17
	v_mad_u64_u32 v[18:19], s[0:1], s30, v2, 0
	v_or_b32_e32 v10, 2, v14
	v_mad_u64_u32 v[20:21], s[0:1], s30, v10, 0
	v_mov_b32_e32 v1, v19
	v_mov_b32_e32 v8, s30
	v_mad_u64_u32 v[1:2], s[0:1], s31, v2, v[1:2]
	v_mov_b32_e32 v9, s31
	v_mov_b32_e32 v2, v21
	v_mad_u64_u32 v[21:22], s[0:1], s30, v14, v[8:9]
	v_mad_u64_u32 v[8:9], s[0:1], s31, v10, v[2:3]
	v_mov_b32_e32 v2, v22
	v_mad_u64_u32 v[9:10], s[0:1], s31, v14, v[2:3]
	v_cmp_gt_u32_e64 s[0:1], 2, v0
	v_writelane_b32 v62, s0, 18
	s_waitcnt lgkmcnt(0)
	s_barrier
	v_writelane_b32 v62, s1, 19
	s_load_dword s0, s[14:15], 0xc
	v_mov_b32_e32 v33, v1
	v_mov_b32_e32 v1, v3
	v_cmp_gt_u32_e32 vcc, 64, v0
	v_cmp_gt_i32_e64 s[8:9], 4, v30
	v_cmp_gt_i64_e64 s[2:3], s[24:25], v[0:1]
	s_and_b64 s[46:47], vcc, s[8:9]
	s_waitcnt lgkmcnt(0)
	s_and_b32 s33, s0, 0xffff
	s_bfe_u32 s4, s0, 0xa0006
	v_writelane_b32 v62, s2, 20
	s_cmp_gt_u32 s33, 63
	v_writelane_b32 v62, s3, 21
	s_cselect_b64 s[0:1], -1, 0
	v_writelane_b32 v62, s0, 22
	v_writelane_b32 v62, s1, 23
	s_add_u32 s0, s33, -1
	s_addc_u32 s1, 0, -1
	v_writelane_b32 v62, s0, 24
	s_add_u32 s0, s0, s24
	s_addc_u32 s51, s1, s25
	s_cmp_lt_u32 s6, s18
	v_writelane_b32 v62, s0, 25
	s_cselect_b32 s0, 12, 18
	s_add_u32 s52, s14, s0
	s_addc_u32 s53, s15, 0
	s_add_i32 s5, s4, -1
	s_bfe_u32 s6, s33, 0x30006
	s_and_b32 s5, s5, 0xffff
	s_cmp_gt_u32 s5, 6
	v_writelane_b32 v62, s1, 26
	s_cselect_b64 s[14:15], -1, 0
	v_lshlrev_b32_e32 v2, 2, v30
	v_writelane_b32 v62, s14, 27
	s_and_b32 s49, s4, 0x3f8
	v_and_b32_e32 v36, 0x100, v2
	v_lshrrev_b32_e32 v2, 1, v0
	v_writelane_b32 v62, s15, 28
	s_cmp_lg_u32 s6, 0
	v_and_b32_e32 v2, 0x1e0, v2
	v_writelane_b32 v62, s6, 29
	s_cselect_b64 s[4:5], -1, 0
	v_lshlrev_b64 v[6:7], v30, -1
	v_or_b32_e32 v37, 0xc00, v2
	v_writelane_b32 v62, s4, 30
	v_mov_b32_e32 v2, s25
	v_add_co_u32_e32 v38, vcc, s24, v0
	v_writelane_b32 v62, s5, 31
	v_lshlrev_b64 v[22:23], 2, v[4:5]
	v_addc_co_u32_e32 v39, vcc, 0, v2, vcc
	v_mov_b32_e32 v2, 0xc00
	s_mul_i32 s4, s31, s33
	s_mul_hi_u32 s5, s30, s33
	v_mov_b32_e32 v24, s26
	v_not_b32_e32 v31, v7
	v_not_b32_e32 v32, v6
	v_mov_b32_e32 v34, v8
	v_mov_b32_e32 v35, v9
	s_mov_b32 s45, 0
	v_cmp_eq_u32_e64 s[10:11], 0, v30
	v_mov_b32_e32 v15, v3
	s_mov_b32 s34, s30
	s_mov_b32 s57, s31
	;; [unrolled: 1-line block ×9, first 2 shown]
	s_lshl_b64 s[58:59], s[30:31], 2
	v_lshl_or_b32 v40, v30, 3, v2
	s_add_i32 s35, s5, s4
	s_mul_i32 s56, s30, s33
	s_mov_b64 s[60:61], 0
	s_movk_i32 s13, 0x80
	s_mov_b32 s92, 0xc0c0004
	s_mov_b32 s93, 0
	v_mov_b32_e32 v42, 8
	v_mov_b32_e32 v44, 0
	;; [unrolled: 1-line block ×4, first 2 shown]
	v_add_co_u32_e32 v19, vcc, v16, v0
	v_mov_b32_e32 v25, s27
                                        ; implicit-def: $sgpr62_sgpr63
                                        ; implicit-def: $sgpr66_sgpr67
                                        ; implicit-def: $sgpr64_sgpr65
                                        ; implicit-def: $sgpr70_sgpr71
                                        ; implicit-def: $sgpr72_sgpr73
                                        ; implicit-def: $sgpr68_sgpr69
	s_branch .LBB12_7
.LBB12_4:                               ;   in Loop: Header=BB12_7 Depth=1
	s_or_b64 exec, exec, s[4:5]
	s_and_b64 s[22:23], s[20:21], exec
	s_andn2_b64 s[74:75], s[74:75], exec
	s_andn2_b64 s[6:7], s[6:7], exec
	s_orn2_b64 s[20:21], s[16:17], exec
.LBB12_5:                               ;   in Loop: Header=BB12_7 Depth=1
	s_or_b64 exec, exec, s[14:15]
	s_andn2_b64 s[4:5], s[68:69], exec
	s_and_b64 s[14:15], s[22:23], exec
	s_or_b64 s[68:69], s[4:5], s[14:15]
	s_andn2_b64 s[4:5], s[72:73], exec
	s_and_b64 s[14:15], s[74:75], exec
	s_or_b64 s[72:73], s[4:5], s[14:15]
	;; [unrolled: 3-line block ×3, first 2 shown]
	s_orn2_b64 s[6:7], s[20:21], exec
.LBB12_6:                               ;   in Loop: Header=BB12_7 Depth=1
	s_or_b64 exec, exec, s[18:19]
	s_and_b64 s[4:5], exec, s[6:7]
	s_or_b64 s[60:61], s[4:5], s[60:61]
	s_andn2_b64 s[4:5], s[64:65], exec
	s_and_b64 s[6:7], s[68:69], exec
	s_or_b64 s[64:65], s[4:5], s[6:7]
	s_andn2_b64 s[4:5], s[66:67], exec
	s_and_b64 s[6:7], s[72:73], exec
	;; [unrolled: 3-line block ×3, first 2 shown]
	v_mov_b32_e32 v25, v9
	s_or_b64 s[62:63], s[4:5], s[6:7]
	v_mov_b32_e32 v24, v8
	s_andn2_b64 exec, exec, s[60:61]
	s_cbranch_execz .LBB12_270
.LBB12_7:                               ; =>This Loop Header: Depth=1
                                        ;     Child Loop BB12_12 Depth 2
                                        ;     Child Loop BB12_26 Depth 2
	;; [unrolled: 1-line block ×17, first 2 shown]
	ds_read_b128 v[4:7], v3 offset:5120
	s_waitcnt lgkmcnt(0)
	v_readfirstlane_b32 s23, v5
	v_readfirstlane_b32 s22, v4
	v_cmp_gt_i64_e64 s[4:5], s[22:23], 0
	s_and_b64 vcc, exec, s[4:5]
	s_cbranch_vccnz .LBB12_39
; %bb.8:                                ;   in Loop: Header=BB12_7 Depth=1
	v_readlane_b32 s4, v62, 12
	v_readlane_b32 s5, v62, 13
	s_and_b64 vcc, exec, s[4:5]
	s_cbranch_vccz .LBB12_20
; %bb.9:                                ;   in Loop: Header=BB12_7 Depth=1
	s_mov_b64 s[4:5], 0xc01
	v_cmp_gt_i64_e32 vcc, s[4:5], v[6:7]
	s_mov_b64 s[18:19], 0
	s_mov_b64 s[6:7], 0
	s_cbranch_vccz .LBB12_21
; %bb.10:                               ;   in Loop: Header=BB12_7 Depth=1
	global_load_ushort v6, v3, s[52:53]
	global_load_ubyte v2, v[12:13], off
	v_mov_b32_e32 v4, s42
	v_mov_b32_e32 v5, s43
	s_mov_b64 s[20:21], 0
	s_waitcnt vmcnt(1)
	v_and_b32_e32 v8, 0xffff, v6
	v_readfirstlane_b32 s6, v6
	v_add_co_u32_e32 v6, vcc, v0, v8
	v_addc_co_u32_e64 v7, s[4:5], 0, 0, vcc
	v_mul_lo_u32 v7, s30, v7
	v_mul_lo_u32 v9, s31, v6
	v_mad_u64_u32 v[4:5], s[4:5], s30, v6, v[4:5]
	s_and_b32 s6, 0xffff, s6
	s_mul_i32 s4, s31, s6
	s_mul_hi_u32 s5, s30, s6
	v_add3_u32 v5, v9, v5, v7
	v_mov_b32_e32 v7, v1
	s_mul_i32 s9, s30, s6
	s_add_i32 s23, s5, s4
	v_mov_b32_e32 v6, v0
	s_branch .LBB12_12
.LBB12_11:                              ;   in Loop: Header=BB12_12 Depth=2
	s_or_b64 exec, exec, s[4:5]
	v_mov_b32_e32 v2, s23
	v_add_co_u32_e32 v4, vcc, s9, v4
	v_addc_co_u32_e32 v5, vcc, v5, v2, vcc
	v_mov_b32_e32 v2, v9
	s_andn2_b64 exec, exec, s[20:21]
	s_cbranch_execz .LBB12_73
.LBB12_12:                              ;   Parent Loop BB12_7 Depth=1
                                        ; =>  This Inner Loop Header: Depth=2
	v_add_co_u32_e32 v6, vcc, v6, v8
	v_addc_co_u32_e32 v7, vcc, 0, v7, vcc
	v_cmp_gt_i64_e64 s[6:7], s[24:25], v[6:7]
	v_cmp_le_i64_e32 vcc, s[24:25], v[6:7]
	s_waitcnt lgkmcnt(0)
	v_mov_b32_e32 v10, 0
	v_mov_b32_e32 v9, 0
	s_and_saveexec_b64 s[4:5], s[6:7]
	s_cbranch_execz .LBB12_14
; %bb.13:                               ;   in Loop: Header=BB12_12 Depth=2
	global_load_ubyte v9, v[4:5], off
.LBB12_14:                              ;   in Loop: Header=BB12_12 Depth=2
	s_or_b64 exec, exec, s[4:5]
	s_waitcnt vmcnt(0)
	v_add_u32_sdwa v11, sext(v2), s13 dst_sel:DWORD dst_unused:UNUSED_PAD src0_sel:BYTE_0 src1_sel:DWORD
	v_and_b32_e32 v11, v11, v43
	v_cmp_eq_u32_e64 s[14:15], v11, v41
	s_cmp_lg_u64 s[14:15], 0
	s_cselect_b64 s[4:5], -1, 0
	s_and_b64 s[4:5], s[10:11], s[4:5]
	s_and_saveexec_b64 s[16:17], s[4:5]
	s_cbranch_execz .LBB12_18
; %bb.15:                               ;   in Loop: Header=BB12_12 Depth=2
	s_mov_b64 s[26:27], exec
	v_mbcnt_lo_u32_b32 v10, s26, 0
	v_mbcnt_hi_u32_b32 v10, s27, v10
	s_bcnt1_i32_b64 s28, s[14:15]
	v_cmp_eq_u32_e64 s[6:7], 0, v10
                                        ; implicit-def: $vgpr11
	s_and_saveexec_b64 s[4:5], s[6:7]
; %bb.16:                               ;   in Loop: Header=BB12_12 Depth=2
	s_bcnt1_i32_b64 s6, s[26:27]
	s_mul_i32 s6, s28, s6
	v_mov_b32_e32 v11, s6
	ds_add_rtn_u32 v11, v3, v11 offset:5136
; %bb.17:                               ;   in Loop: Header=BB12_12 Depth=2
	s_or_b64 exec, exec, s[4:5]
	s_waitcnt lgkmcnt(0)
	v_readfirstlane_b32 s4, v11
	v_mov_b32_e32 v11, s4
	v_mad_u32_u24 v10, s28, v10, v11
.LBB12_18:                              ;   in Loop: Header=BB12_12 Depth=2
	s_or_b64 exec, exec, s[16:17]
	ds_bpermute_b32 v10, v36, v10
	s_and_b64 s[4:5], exec, vcc
	s_or_b64 s[20:21], s[4:5], s[20:21]
	s_and_saveexec_b64 s[4:5], s[14:15]
	s_cbranch_execz .LBB12_11
; %bb.19:                               ;   in Loop: Header=BB12_12 Depth=2
	v_and_b32_e32 v26, s14, v32
	v_and_b32_e32 v11, s15, v31
	v_bcnt_u32_b32 v26, v26, 0
	v_bcnt_u32_b32 v11, v11, v26
	s_waitcnt lgkmcnt(0)
	v_add_u32_e32 v10, v10, v11
	ds_write_b8 v10, v2
	s_branch .LBB12_11
.LBB12_20:                              ;   in Loop: Header=BB12_7 Depth=1
	s_mov_b64 s[18:19], -1
	s_mov_b64 s[6:7], 0
.LBB12_21:                              ;   in Loop: Header=BB12_7 Depth=1
	s_and_b64 vcc, exec, s[18:19]
	s_cbranch_vccz .LBB12_37
.LBB12_22:                              ;   in Loop: Header=BB12_7 Depth=1
	s_mov_b64 s[18:19], exec
	v_readlane_b32 s4, v62, 20
	v_readlane_b32 s5, v62, 21
	s_and_b64 s[4:5], s[18:19], s[4:5]
	s_mov_b64 exec, s[4:5]
	s_cbranch_execz .LBB12_34
; %bb.23:                               ;   in Loop: Header=BB12_7 Depth=1
	global_load_ushort v2, v3, s[52:53]
	global_load_ubyte v28, v[12:13], off
	v_mov_b32_e32 v6, v0
	s_waitcnt vmcnt(1)
	v_readfirstlane_b32 s4, v2
	v_add_u32_sdwa v2, v2, v0 dst_sel:DWORD dst_unused:UNUSED_PAD src0_sel:WORD_0 src1_sel:DWORD
	v_cmp_gt_i64_e32 vcc, s[24:25], v[2:3]
	s_and_saveexec_b64 s[20:21], vcc
	s_cbranch_execz .LBB12_33
; %bb.24:                               ;   in Loop: Header=BB12_7 Depth=1
	s_and_b32 s4, s4, 0xffff
	s_cmp_eq_u32 s4, 1
	v_readlane_b32 s14, v62, 14
                                        ; implicit-def: $vgpr6_vgpr7
	s_cselect_b64 s[6:7], -1, 0
	v_readlane_b32 s15, v62, 15
	v_mov_b32_e32 v8, v1
	v_mov_b32_e32 v5, v3
	s_and_b64 s[14:15], s[14:15], s[6:7]
	s_mov_b64 s[6:7], -1
	v_mov_b32_e32 v7, v0
	v_mov_b32_e32 v4, v2
	s_and_saveexec_b64 s[26:27], s[14:15]
	s_cbranch_execz .LBB12_28
; %bb.25:                               ;   in Loop: Header=BB12_7 Depth=1
	v_add_co_u32_e32 v8, vcc, 3, v2
	v_addc_co_u32_e64 v9, s[6:7], 0, 0, vcc
	v_add_co_u32_e32 v6, vcc, 2, v2
	v_addc_co_u32_e64 v7, s[6:7], 0, 0, vcc
	;; [unrolled: 2-line block ×3, first 2 shown]
	v_mov_b32_e32 v27, v17
	v_mov_b32_e32 v11, v9
	s_waitcnt vmcnt(0)
	v_lshlrev_b32_e32 v45, 24, v28
	s_mov_b64 s[28:29], 0
	v_mov_b32_e32 v26, v16
	v_mov_b32_e32 v29, v0
	;; [unrolled: 1-line block ×9, first 2 shown]
.LBB12_26:                              ;   Parent Loop BB12_7 Depth=1
                                        ; =>  This Inner Loop Header: Depth=2
	v_mul_lo_u32 v28, v9, s1
	v_mul_lo_u32 v54, v8, s2
	v_mad_u64_u32 v[46:47], s[6:7], v8, s1, 0
	v_mul_lo_u32 v55, v7, s8
	v_mul_lo_u32 v56, v6, s0
	v_mad_u64_u32 v[48:49], s[6:7], v6, s8, 0
	v_mov_b32_e32 v53, s43
	v_mul_lo_u32 v57, v5, s34
	v_mul_lo_u32 v58, v4, s57
	v_mad_u64_u32 v[50:51], s[6:7], v4, s34, 0
	v_mov_b32_e32 v52, s42
	v_mul_lo_u32 v60, v10, s48
	v_mul_lo_u32 v61, v11, s3
	v_mad_u64_u32 v[52:53], s[6:7], v10, s3, v[52:53]
	v_mov_b32_e32 v59, s43
	v_add3_u32 v28, v47, v54, v28
	v_add3_u32 v56, v49, v56, v55
	v_add_co_u32_e32 v47, vcc, s42, v48
	v_add3_u32 v51, v51, v58, v57
	v_add_co_u32_e64 v49, s[6:7], s42, v46
	v_add_co_u32_e64 v54, s[14:15], s42, v50
	v_addc_co_u32_e32 v48, vcc, v59, v56, vcc
	v_addc_co_u32_e64 v55, s[14:15], v59, v51, s[14:15]
	v_addc_co_u32_e64 v50, vcc, v59, v28, s[6:7]
	v_add3_u32 v53, v61, v53, v60
	global_load_ubyte v46, v[47:48], off
	s_nop 0
	global_load_ubyte v47, v[49:50], off
	global_load_ubyte v28, v[52:53], off
	;; [unrolled: 1-line block ×3, first 2 shown]
	v_add_co_u32_e32 v8, vcc, 4, v8
	v_addc_co_u32_e32 v9, vcc, 0, v9, vcc
	v_add_co_u32_e32 v6, vcc, 4, v6
	v_addc_co_u32_e32 v7, vcc, 0, v7, vcc
	;; [unrolled: 2-line block ×3, first 2 shown]
	v_add_co_u32_e32 v26, vcc, -4, v26
	v_addc_co_u32_e32 v27, vcc, -1, v27, vcc
	s_mov_b32 s5, 0xc0c0007
	v_cmp_eq_u64_e32 vcc, 0, v[26:27]
	v_add_co_u32_e64 v10, s[6:7], 4, v10
	v_addc_co_u32_e64 v11, s[6:7], 0, v11, s[6:7]
	s_or_b64 s[28:29], vcc, s[28:29]
	s_waitcnt vmcnt(1)
	v_perm_b32 v50, v47, v28, s92
	s_waitcnt vmcnt(0)
	v_perm_b32 v49, v48, v46, s92
	v_perm_b32 v46, v46, v47, s92
	;; [unrolled: 1-line block ×3, first 2 shown]
	v_lshl_or_b32 v47, v50, 16, v49
	v_lshl_or_b32 v45, v46, 16, v45
	ds_write_b32 v29, v45
	v_add_u32_e32 v29, 4, v29
	v_mov_b32_e32 v45, v47
	s_andn2_b64 exec, exec, s[28:29]
	s_cbranch_execnz .LBB12_26
; %bb.27:                               ;   in Loop: Header=BB12_7 Depth=1
	s_or_b64 exec, exec, s[28:29]
	v_readlane_b32 s6, v62, 16
	v_add_co_u32_e32 v4, vcc, v2, v16
	v_readlane_b32 s7, v62, 17
	v_addc_co_u32_e32 v5, vcc, 0, v17, vcc
	v_add_co_u32_e32 v6, vcc, -1, v4
	s_orn2_b64 s[6:7], s[6:7], exec
	v_mov_b32_e32 v7, v19
	v_mov_b32_e32 v8, v20
.LBB12_28:                              ;   in Loop: Header=BB12_7 Depth=1
	s_or_b64 exec, exec, s[26:27]
	s_and_saveexec_b64 s[14:15], s[6:7]
	s_cbranch_execz .LBB12_32
; %bb.29:                               ;   in Loop: Header=BB12_7 Depth=1
	v_mov_b32_e32 v8, s42
	v_mov_b32_e32 v9, s43
	v_mad_u64_u32 v[9:10], s[6:7], s30, v4, v[8:9]
	v_mul_lo_u32 v2, s30, v5
	v_mul_lo_u32 v6, s31, v4
	s_mul_i32 s6, s31, s4
	s_mul_hi_u32 s7, s30, s4
	s_mov_b64 s[16:17], 0
	s_sub_u32 s5, 0, s4
	v_add3_u32 v10, v6, v10, v2
	s_add_i32 s9, s7, s6
	s_mul_i32 s23, s30, s4
.LBB12_30:                              ;   Parent Loop BB12_7 Depth=1
                                        ; =>  This Inner Loop Header: Depth=2
	global_load_ubyte v2, v[9:10], off
	v_mov_b32_e32 v27, v5
	v_mov_b32_e32 v26, v4
	;; [unrolled: 1-line block ×3, first 2 shown]
	v_add_co_u32_e32 v9, vcc, s23, v9
	v_add_co_u32_e64 v4, s[6:7], s4, v26
	v_addc_co_u32_e64 v5, s[6:7], 0, v27, s[6:7]
	v_addc_co_u32_e32 v10, vcc, v10, v6, vcc
	v_cmp_le_i64_e32 vcc, s[24:25], v[4:5]
	s_waitcnt vmcnt(1)
	ds_write_b8 v7, v28
	v_mov_b32_e32 v7, v26
	v_add_co_u32_e64 v6, s[6:7], s5, v4
	s_or_b64 s[16:17], vcc, s[16:17]
	v_mov_b32_e32 v8, v27
	s_waitcnt vmcnt(0)
	v_mov_b32_e32 v28, v2
	s_andn2_b64 exec, exec, s[16:17]
	s_cbranch_execnz .LBB12_30
; %bb.31:                               ;   in Loop: Header=BB12_7 Depth=1
	s_or_b64 exec, exec, s[16:17]
	v_mov_b32_e32 v28, v2
.LBB12_32:                              ;   in Loop: Header=BB12_7 Depth=1
	s_or_b64 exec, exec, s[14:15]
.LBB12_33:                              ;   in Loop: Header=BB12_7 Depth=1
	s_or_b64 exec, exec, s[20:21]
	s_waitcnt vmcnt(0)
	ds_write_b8 v6, v28
.LBB12_34:                              ;   in Loop: Header=BB12_7 Depth=1
	s_or_b64 exec, exec, s[18:19]
	s_waitcnt lgkmcnt(0)
	s_barrier
	s_mov_b64 s[4:5], exec
	v_readlane_b32 s6, v62, 8
	v_readlane_b32 s7, v62, 9
	s_and_b64 s[6:7], s[4:5], s[6:7]
	s_mov_b64 exec, s[6:7]
; %bb.35:                               ;   in Loop: Header=BB12_7 Depth=1
	v_mov_b32_e32 v4, s24
	v_mov_b32_e32 v5, s25
	ds_write_b64 v3, v[4:5] offset:5120
; %bb.36:                               ;   in Loop: Header=BB12_7 Depth=1
	s_or_b64 exec, exec, s[4:5]
	s_mov_b64 s[6:7], -1
	s_waitcnt lgkmcnt(0)
	s_barrier
.LBB12_37:                              ;   in Loop: Header=BB12_7 Depth=1
	s_and_b64 vcc, exec, s[6:7]
	s_cbranch_vccz .LBB12_39
; %bb.38:                               ;   in Loop: Header=BB12_7 Depth=1
	ds_read_b64 v[4:5], v3 offset:5120
	s_waitcnt lgkmcnt(0)
	v_readfirstlane_b32 s22, v4
.LBB12_39:                              ;   in Loop: Header=BB12_7 Depth=1
	s_cmp_lt_i32 s22, 1
	s_mov_b64 s[6:7], -1
                                        ; implicit-def: $vgpr10_vgpr11
                                        ; implicit-def: $vgpr6_vgpr7
	s_cbranch_scc1 .LBB12_49
; %bb.40:                               ;   in Loop: Header=BB12_7 Depth=1
	s_and_b64 vcc, exec, s[6:7]
	s_cbranch_vccnz .LBB12_63
.LBB12_41:                              ;   in Loop: Header=BB12_7 Depth=1
	s_lshl_b32 s9, s93, 6
	s_and_saveexec_b64 s[4:5], s[10:11]
	s_cbranch_execz .LBB12_43
.LBB12_42:                              ;   in Loop: Header=BB12_7 Depth=1
	v_lshl_add_u32 v2, s9, 3, v37
	ds_write_b128 v2, v[4:7]
	ds_write_b128 v2, v[8:11] offset:16
.LBB12_43:                              ;   in Loop: Header=BB12_7 Depth=1
	s_or_b64 exec, exec, s[4:5]
	s_waitcnt lgkmcnt(0)
	s_barrier
	s_and_saveexec_b64 s[6:7], s[46:47]
	s_cbranch_execz .LBB12_81
; %bb.44:                               ;   in Loop: Header=BB12_7 Depth=1
	v_readlane_b32 s4, v62, 22
	v_mov_b32_e32 v4, 0
	v_readlane_b32 s5, v62, 23
	v_mov_b32_e32 v5, 0
	s_andn2_b64 vcc, exec, s[4:5]
	s_cbranch_vccnz .LBB12_80
; %bb.45:                               ;   in Loop: Header=BB12_7 Depth=1
	v_readlane_b32 s4, v62, 27
	v_readlane_b32 s5, v62, 28
	s_andn2_b64 vcc, exec, s[4:5]
	s_cbranch_vccnz .LBB12_76
; %bb.46:                               ;   in Loop: Header=BB12_7 Depth=1
	v_mov_b32_e32 v4, 0
	v_lshl_add_u32 v2, s93, 9, v40
	v_mov_b32_e32 v5, 0
	s_mov_b32 s4, 0
.LBB12_47:                              ;   Parent Loop BB12_7 Depth=1
                                        ; =>  This Inner Loop Header: Depth=2
	ds_read2_b64 v[6:9], v2 offset1:4
	ds_read2_b64 v[26:29], v2 offset0:8 offset1:12
	ds_read2_b64 v[45:48], v2 offset0:16 offset1:20
	;; [unrolled: 1-line block ×3, first 2 shown]
	s_add_i32 s4, s4, 8
	s_waitcnt lgkmcnt(3)
	v_add_co_u32_e32 v4, vcc, v6, v4
	v_addc_co_u32_e32 v5, vcc, v7, v5, vcc
	v_add_co_u32_e32 v4, vcc, v8, v4
	v_addc_co_u32_e32 v5, vcc, v9, v5, vcc
	s_waitcnt lgkmcnt(2)
	v_add_co_u32_e32 v4, vcc, v26, v4
	v_addc_co_u32_e32 v5, vcc, v27, v5, vcc
	v_add_co_u32_e32 v4, vcc, v28, v4
	v_addc_co_u32_e32 v5, vcc, v29, v5, vcc
	;; [unrolled: 5-line block ×3, first 2 shown]
	s_waitcnt lgkmcnt(0)
	v_add_co_u32_e32 v4, vcc, v49, v4
	v_addc_co_u32_e32 v5, vcc, v50, v5, vcc
	v_add_co_u32_e32 v4, vcc, v51, v4
	v_add_u32_e32 v2, 0x100, v2
	s_cmp_eq_u32 s49, s4
	v_addc_co_u32_e32 v5, vcc, v52, v5, vcc
	s_cbranch_scc0 .LBB12_47
; %bb.48:                               ;   in Loop: Header=BB12_7 Depth=1
	s_mov_b32 s4, s49
	s_branch .LBB12_77
.LBB12_49:                              ;   in Loop: Header=BB12_7 Depth=1
	global_load_ushort v2, v3, s[52:53]
	s_mov_b32 s4, s45
	s_waitcnt vmcnt(0)
	v_readfirstlane_b32 s5, v2
	s_and_b32 s9, s5, 0xffff
	s_lshl_b32 s16, s9, 2
	s_mov_b32 s5, s25
	s_cmp_lg_u64 s[4:5], 0
	s_cbranch_scc0 .LBB12_72
; %bb.50:                               ;   in Loop: Header=BB12_7 Depth=1
	s_add_u32 s4, s16, 0
	s_addc_u32 s5, 0, 0
	s_xor_b64 s[6:7], s[4:5], 0
	v_cvt_f32_u32_e32 v2, s6
	v_cvt_f32_u32_e32 v4, s7
	s_sub_u32 s14, 0, s6
	s_subb_u32 s15, 0, s7
	v_mac_f32_e32 v2, 0x4f800000, v4
	v_rcp_f32_e32 v2, v2
	v_mul_f32_e32 v2, 0x5f7ffffc, v2
	v_mul_f32_e32 v4, 0x2f800000, v2
	v_trunc_f32_e32 v4, v4
	v_mac_f32_e32 v2, 0xcf800000, v4
	v_cvt_u32_f32_e32 v4, v4
	v_cvt_u32_f32_e32 v2, v2
	v_readfirstlane_b32 s17, v4
	v_readfirstlane_b32 s4, v2
	s_mul_i32 s5, s14, s17
	s_mul_hi_u32 s19, s14, s4
	s_mul_i32 s18, s15, s4
	s_add_i32 s5, s19, s5
	s_mul_i32 s20, s14, s4
	s_add_i32 s5, s5, s18
	s_mul_i32 s19, s4, s5
	s_mul_hi_u32 s21, s4, s20
	s_mul_hi_u32 s18, s4, s5
	s_add_u32 s19, s21, s19
	s_addc_u32 s18, 0, s18
	s_mul_hi_u32 s23, s17, s20
	s_mul_i32 s20, s17, s20
	s_add_u32 s19, s19, s20
	s_mul_hi_u32 s21, s17, s5
	s_addc_u32 s18, s18, s23
	s_addc_u32 s19, s21, 0
	s_mul_i32 s5, s17, s5
	s_add_u32 s5, s18, s5
	s_addc_u32 s18, 0, s19
	s_add_u32 s19, s4, s5
	s_cselect_b64 s[4:5], -1, 0
	s_cmp_lg_u64 s[4:5], 0
	s_addc_u32 s17, s17, s18
	s_mul_i32 s4, s14, s17
	s_mul_hi_u32 s5, s14, s19
	s_add_i32 s4, s5, s4
	s_mul_i32 s15, s15, s19
	s_add_i32 s4, s4, s15
	s_mul_i32 s14, s14, s19
	s_mul_hi_u32 s15, s17, s14
	s_mul_i32 s18, s17, s14
	s_mul_i32 s21, s19, s4
	s_mul_hi_u32 s14, s19, s14
	s_mul_hi_u32 s20, s19, s4
	s_add_u32 s14, s14, s21
	s_addc_u32 s20, 0, s20
	s_add_u32 s14, s14, s18
	s_mul_hi_u32 s5, s17, s4
	s_addc_u32 s14, s20, s15
	s_addc_u32 s5, s5, 0
	s_mul_i32 s4, s17, s4
	s_add_u32 s4, s14, s4
	s_addc_u32 s14, 0, s5
	s_add_u32 s18, s19, s4
	s_cselect_b64 s[4:5], -1, 0
	s_cmp_lg_u64 s[4:5], 0
	s_addc_u32 s17, s17, s14
	s_ashr_i32 s4, s25, 31
	s_add_u32 s14, s24, s4
	s_mov_b32 s5, s4
	s_addc_u32 s15, s25, s4
	s_xor_b64 s[14:15], s[14:15], s[4:5]
	s_mul_i32 s20, s14, s17
	s_mul_hi_u32 s21, s14, s18
	s_mul_hi_u32 s19, s14, s17
	s_add_u32 s20, s21, s20
	s_addc_u32 s19, 0, s19
	s_mul_hi_u32 s23, s15, s18
	s_mul_i32 s18, s15, s18
	s_add_u32 s18, s20, s18
	s_mul_hi_u32 s21, s15, s17
	s_addc_u32 s18, s19, s23
	s_addc_u32 s19, s21, 0
	s_mul_i32 s17, s15, s17
	s_add_u32 s17, s18, s17
	s_addc_u32 s18, 0, s19
	s_mul_i32 s18, s6, s18
	s_mul_hi_u32 s19, s6, s17
	s_add_i32 s18, s19, s18
	s_mul_i32 s19, s7, s17
	s_add_i32 s23, s18, s19
	s_sub_i32 s20, s15, s23
	s_mul_i32 s17, s6, s17
	s_sub_u32 s14, s14, s17
	s_cselect_b64 s[18:19], -1, 0
	s_cmp_lg_u64 s[18:19], 0
	s_subb_u32 s17, s20, s7
	s_sub_u32 s26, s14, s6
	s_cselect_b64 s[20:21], -1, 0
	s_cmp_lg_u64 s[20:21], 0
	s_subb_u32 s27, s17, 0
	s_cmp_ge_u32 s27, s7
	s_cselect_b32 s28, -1, 0
	s_cmp_ge_u32 s26, s6
	s_cselect_b32 s29, -1, 0
	s_cmp_eq_u32 s27, s7
	s_cselect_b32 s28, s29, s28
	s_cmp_lg_u64 s[20:21], 0
	s_subb_u32 s17, s17, s7
	s_sub_u32 s29, s26, s6
	s_cselect_b64 s[20:21], -1, 0
	s_cmp_lg_u64 s[20:21], 0
	s_subb_u32 s17, s17, 0
	s_cmp_lg_u32 s28, 0
	s_cselect_b32 s20, s29, s26
	s_cselect_b32 s17, s17, s27
	s_cmp_lg_u64 s[18:19], 0
	s_subb_u32 s15, s15, s23
	s_cmp_ge_u32 s15, s7
	s_cselect_b32 s18, -1, 0
	s_cmp_ge_u32 s14, s6
	s_cselect_b32 s6, -1, 0
	s_cmp_eq_u32 s15, s7
	s_cselect_b32 s6, s6, s18
	s_cmp_lg_u32 s6, 0
	s_cselect_b32 s7, s17, s15
	s_cselect_b32 s6, s20, s14
	s_xor_b64 s[6:7], s[6:7], s[4:5]
	s_sub_u32 s26, s6, s4
	s_subb_u32 s27, s7, s4
	s_cbranch_execnz .LBB12_52
.LBB12_51:                              ;   in Loop: Header=BB12_7 Depth=1
	v_cvt_f32_u32_e32 v2, s16
	s_sub_i32 s4, 0, s16
	v_rcp_iflag_f32_e32 v2, v2
	v_mul_f32_e32 v2, 0x4f7ffffe, v2
	v_cvt_u32_f32_e32 v2, v2
	v_readfirstlane_b32 s5, v2
	s_mul_i32 s4, s4, s5
	s_mul_hi_u32 s4, s5, s4
	s_add_i32 s5, s5, s4
	s_mul_hi_u32 s4, s24, s5
	s_mul_i32 s4, s4, s16
	s_sub_i32 s4, s24, s4
	s_sub_i32 s5, s4, s16
	s_cmp_ge_u32 s4, s16
	s_cselect_b32 s4, s5, s4
	s_sub_i32 s5, s4, s16
	s_cmp_ge_u32 s4, s16
	s_cselect_b32 s44, s5, s4
	s_mov_b64 s[26:27], s[44:45]
.LBB12_52:                              ;   in Loop: Header=BB12_7 Depth=1
	s_sub_u32 s74, s24, s26
	s_subb_u32 s75, s25, s27
	v_cmp_gt_i64_e32 vcc, s[74:75], v[14:15]
	v_mov_b32_e32 v4, 0
	v_mov_b32_e32 v6, 0
	;; [unrolled: 1-line block ×8, first 2 shown]
	s_and_saveexec_b64 s[76:77], vcc
	s_cbranch_execz .LBB12_56
; %bb.53:                               ;   in Loop: Header=BB12_7 Depth=1
	s_mul_i32 s4, s59, s9
	s_mul_hi_u32 s5, s58, s9
	v_mov_b32_e32 v27, v15
	s_add_i32 s4, s5, s4
	s_mov_b64 s[78:79], 0
	s_mov_b64 s[80:81], s[42:43]
	;; [unrolled: 1-line block ×6, first 2 shown]
	v_mov_b32_e32 v26, v14
.LBB12_54:                              ;   Parent Loop BB12_7 Depth=1
                                        ; =>  This Inner Loop Header: Depth=2
	v_add_co_u32_e32 v4, vcc, s80, v22
	v_mov_b32_e32 v2, s81
	v_addc_co_u32_e32 v5, vcc, v2, v23, vcc
	global_load_sbyte v6, v[4:5], off
	v_add_co_u32_e32 v4, vcc, s80, v21
	v_addc_co_u32_e32 v5, vcc, v2, v35, vcc
	global_load_sbyte v7, v[4:5], off
	v_add_co_u32_e32 v4, vcc, s80, v20
	v_addc_co_u32_e32 v5, vcc, v2, v34, vcc
	global_load_sbyte v8, v[4:5], off
	v_add_co_u32_e32 v4, vcc, s80, v18
	v_addc_co_u32_e32 v5, vcc, v2, v33, vcc
	global_load_sbyte v2, v[4:5], off
	s_waitcnt vmcnt(3)
	v_add_u32_e32 v4, 0x80, v6
	s_waitcnt vmcnt(2)
	v_add_u32_e32 v5, 0x80, v7
	v_and_b32_e32 v7, v4, v43
	v_bfe_u32 v4, v4, s12, 2
	v_cmp_eq_u32_e32 vcc, v7, v41
	v_and_b32_e32 v7, v5, v43
	s_waitcnt vmcnt(1)
	v_add_u32_e32 v6, 0x80, v8
	v_bfe_u32 v5, v5, s12, 2
	v_cmp_eq_u32_e64 s[20:21], 0, v4
	v_cmp_eq_u32_e64 s[6:7], v7, v41
	v_and_b32_e32 v7, v6, v43
	s_waitcnt vmcnt(0)
	v_add_u32_e32 v2, 0x80, v2
	v_bfe_u32 v6, v6, s12, 2
	s_and_b64 s[28:29], vcc, s[20:21]
	v_cmp_eq_u32_e64 s[20:21], 0, v5
	v_cmp_eq_u32_e64 s[14:15], v7, v41
	v_and_b32_e32 v7, v2, v43
	v_bfe_u32 v2, v2, s12, 2
	s_and_b64 s[36:37], s[6:7], s[20:21]
	v_cmp_eq_u32_e64 s[20:21], 0, v6
	v_cmp_eq_u32_e64 s[18:19], v7, v41
	s_and_b64 s[38:39], s[14:15], s[20:21]
	v_cmp_eq_u32_e64 s[20:21], 0, v2
	v_cndmask_b32_e64 v7, 0, 1, s[28:29]
	s_and_b64 s[40:41], s[18:19], s[20:21]
	v_cmp_ne_u32_e64 s[20:21], 0, v7
	v_cndmask_b32_e64 v7, 0, 1, s[36:37]
	s_bcnt1_i32_b64 s5, s[20:21]
	v_cmp_ne_u32_e64 s[20:21], 0, v7
	v_cndmask_b32_e64 v7, 0, 1, s[38:39]
	s_bcnt1_i32_b64 s17, s[20:21]
	;; [unrolled: 3-line block ×3, first 2 shown]
	v_cmp_ne_u32_e64 s[20:21], 0, v7
	s_bcnt1_i32_b64 s20, s[20:21]
	s_add_u32 s5, s5, s88
	s_addc_u32 s21, 0, s89
	s_add_u32 s5, s5, s17
	s_addc_u32 s17, s21, 0
	;; [unrolled: 2-line block ×3, first 2 shown]
	s_add_u32 s88, s5, s20
	v_cmp_eq_u32_e64 s[20:21], 1, v4
	s_addc_u32 s89, s17, 0
	s_and_b64 s[28:29], vcc, s[20:21]
	v_cmp_eq_u32_e64 s[20:21], 1, v5
	s_and_b64 s[36:37], s[6:7], s[20:21]
	v_cmp_eq_u32_e64 s[20:21], 1, v6
	s_and_b64 s[38:39], s[14:15], s[20:21]
	v_cmp_eq_u32_e64 s[20:21], 1, v2
	v_cndmask_b32_e64 v7, 0, 1, s[28:29]
	s_and_b64 s[40:41], s[18:19], s[20:21]
	v_cmp_ne_u32_e64 s[20:21], 0, v7
	v_cndmask_b32_e64 v7, 0, 1, s[36:37]
	s_bcnt1_i32_b64 s5, s[20:21]
	v_cmp_ne_u32_e64 s[20:21], 0, v7
	v_cndmask_b32_e64 v7, 0, 1, s[38:39]
	s_bcnt1_i32_b64 s17, s[20:21]
	;; [unrolled: 3-line block ×3, first 2 shown]
	v_cmp_ne_u32_e64 s[20:21], 0, v7
	s_bcnt1_i32_b64 s20, s[20:21]
	s_add_u32 s5, s5, s86
	s_addc_u32 s21, 0, s87
	s_add_u32 s5, s5, s17
	s_addc_u32 s17, s21, 0
	;; [unrolled: 2-line block ×3, first 2 shown]
	s_add_u32 s86, s5, s20
	v_cmp_eq_u32_e64 s[20:21], 2, v4
	s_addc_u32 s87, s17, 0
	s_and_b64 s[28:29], vcc, s[20:21]
	v_cmp_eq_u32_e64 s[20:21], 2, v5
	s_and_b64 s[36:37], s[6:7], s[20:21]
	v_cmp_eq_u32_e64 s[20:21], 2, v6
	s_and_b64 s[38:39], s[14:15], s[20:21]
	v_cmp_eq_u32_e64 s[20:21], 2, v2
	v_cndmask_b32_e64 v7, 0, 1, s[28:29]
	s_and_b64 s[40:41], s[18:19], s[20:21]
	v_cmp_ne_u32_e64 s[20:21], 0, v7
	v_cndmask_b32_e64 v7, 0, 1, s[36:37]
	s_bcnt1_i32_b64 s5, s[20:21]
	v_cmp_ne_u32_e64 s[20:21], 0, v7
	v_cndmask_b32_e64 v7, 0, 1, s[38:39]
	s_bcnt1_i32_b64 s17, s[20:21]
	;; [unrolled: 3-line block ×3, first 2 shown]
	v_cmp_ne_u32_e64 s[20:21], 0, v7
	s_bcnt1_i32_b64 s20, s[20:21]
	s_add_u32 s5, s5, s84
	s_addc_u32 s21, 0, s85
	s_add_u32 s5, s5, s17
	s_addc_u32 s17, s21, 0
	;; [unrolled: 2-line block ×3, first 2 shown]
	s_add_u32 s84, s5, s20
	v_cmp_eq_u32_e64 s[20:21], 3, v4
	s_addc_u32 s85, s17, 0
	s_and_b64 s[20:21], vcc, s[20:21]
	v_cmp_eq_u32_e32 vcc, 3, v5
	s_and_b64 s[6:7], s[6:7], vcc
	v_cmp_eq_u32_e32 vcc, 3, v6
	s_and_b64 s[14:15], s[14:15], vcc
	v_cmp_eq_u32_e32 vcc, 3, v2
	v_cndmask_b32_e64 v2, 0, 1, s[20:21]
	s_and_b64 s[18:19], s[18:19], vcc
	v_cmp_ne_u32_e32 vcc, 0, v2
	v_cndmask_b32_e64 v2, 0, 1, s[6:7]
	s_bcnt1_i32_b64 s5, vcc
	v_cmp_ne_u32_e32 vcc, 0, v2
	v_cndmask_b32_e64 v2, 0, 1, s[14:15]
	s_bcnt1_i32_b64 s6, vcc
	;; [unrolled: 3-line block ×3, first 2 shown]
	v_cmp_ne_u32_e32 vcc, 0, v2
	s_bcnt1_i32_b64 s14, vcc
	s_add_u32 s5, s5, s82
	s_addc_u32 s15, 0, s83
	s_add_u32 s5, s5, s6
	s_addc_u32 s6, s15, 0
	;; [unrolled: 2-line block ×3, first 2 shown]
	s_add_u32 s82, s5, s14
	v_add_co_u32_e32 v26, vcc, s16, v26
	s_addc_u32 s83, s6, 0
	v_addc_co_u32_e32 v27, vcc, 0, v27, vcc
	s_mul_i32 s5, s58, s9
	s_add_u32 s80, s80, s5
	v_cmp_le_i64_e32 vcc, s[74:75], v[26:27]
	s_addc_u32 s81, s81, s4
	v_mov_b32_e32 v4, s88
	v_mov_b32_e32 v6, s86
	;; [unrolled: 1-line block ×4, first 2 shown]
	s_or_b64 s[78:79], vcc, s[78:79]
	v_mov_b32_e32 v5, s89
	v_mov_b32_e32 v7, s87
	;; [unrolled: 1-line block ×4, first 2 shown]
	s_andn2_b64 exec, exec, s[78:79]
	s_cbranch_execnz .LBB12_54
; %bb.55:                               ;   in Loop: Header=BB12_7 Depth=1
	s_or_b64 exec, exec, s[78:79]
.LBB12_56:                              ;   in Loop: Header=BB12_7 Depth=1
	s_or_b64 exec, exec, s[76:77]
	v_mov_b32_e32 v2, s75
	v_add_co_u32_e32 v26, vcc, s74, v0
	v_addc_co_u32_e32 v27, vcc, 0, v2, vcc
	v_cmp_gt_i64_e32 vcc, s[24:25], v[26:27]
	s_and_saveexec_b64 s[14:15], vcc
	s_cbranch_execz .LBB12_62
; %bb.57:                               ;   in Loop: Header=BB12_7 Depth=1
	v_mov_b32_e32 v28, s42
	v_mov_b32_e32 v29, s43
	v_mad_u64_u32 v[45:46], s[4:5], v26, s30, v[28:29]
	v_mul_lo_u32 v2, v26, s31
	v_mul_lo_u32 v47, v27, s30
	s_mul_i32 s17, s30, s9
	s_mov_b64 s[18:19], 0
	v_add3_u32 v46, v47, v46, v2
	global_load_ubyte v45, v[45:46], off
	v_add_co_u32_e32 v2, vcc, s9, v38
	v_addc_co_u32_e32 v46, vcc, 0, v39, vcc
	v_mov_b32_e32 v47, s27
	v_subrev_co_u32_e32 v2, vcc, s26, v2
	v_subb_co_u32_e32 v46, vcc, v46, v47, vcc
	v_mul_lo_u32 v46, s30, v46
	v_mul_lo_u32 v47, s31, v2
	v_mad_u64_u32 v[28:29], s[4:5], s30, v2, v[28:29]
	s_mul_i32 s4, s31, s9
	s_mul_hi_u32 s5, s30, s9
	v_add3_u32 v29, v47, v29, v46
	s_add_i32 s16, s5, s4
	s_branch .LBB12_59
.LBB12_58:                              ;   in Loop: Header=BB12_59 Depth=2
	s_or_b64 exec, exec, s[4:5]
	s_waitcnt vmcnt(0)
	v_add_u32_sdwa v45, sext(v45), s13 dst_sel:DWORD dst_unused:UNUSED_PAD src0_sel:BYTE_0 src1_sel:DWORD
	s_and_b64 s[4:5], exec, vcc
	v_and_b32_e32 v46, v45, v43
	v_bfe_u32 v45, v45, s12, 2
	s_or_b64 s[18:19], s[4:5], s[18:19]
	v_cmp_eq_u32_e32 vcc, v46, v41
	v_cmp_eq_u32_e64 s[6:7], 0, v45
	s_and_b64 s[4:5], vcc, s[6:7]
	v_cndmask_b32_e64 v46, 0, 1, s[4:5]
	v_cmp_ne_u32_e64 s[6:7], 0, v46
	s_bcnt1_i32_b64 s4, s[6:7]
	v_add_co_u32_e64 v4, s[6:7], s4, v4
	v_addc_co_u32_e64 v5, s[6:7], 0, v5, s[6:7]
	v_cmp_eq_u32_e64 s[6:7], 1, v45
	s_and_b64 s[4:5], vcc, s[6:7]
	v_cndmask_b32_e64 v46, 0, 1, s[4:5]
	v_cmp_ne_u32_e64 s[6:7], 0, v46
	s_bcnt1_i32_b64 s4, s[6:7]
	v_add_co_u32_e64 v6, s[6:7], s4, v6
	v_addc_co_u32_e64 v7, s[6:7], 0, v7, s[6:7]
	;; [unrolled: 7-line block ×3, first 2 shown]
	v_cmp_eq_u32_e64 s[6:7], 3, v45
	s_and_b64 s[4:5], vcc, s[6:7]
	v_cndmask_b32_e64 v45, 0, 1, s[4:5]
	v_cmp_ne_u32_e32 vcc, 0, v45
	s_bcnt1_i32_b64 s4, vcc
	v_add_co_u32_e32 v10, vcc, s4, v10
	v_addc_co_u32_e32 v11, vcc, 0, v11, vcc
	v_mov_b32_e32 v45, s16
	v_add_co_u32_e32 v28, vcc, s17, v28
	v_addc_co_u32_e32 v29, vcc, v29, v45, vcc
	v_mov_b32_e32 v45, v2
	s_andn2_b64 exec, exec, s[18:19]
	s_cbranch_execz .LBB12_61
.LBB12_59:                              ;   Parent Loop BB12_7 Depth=1
                                        ; =>  This Inner Loop Header: Depth=2
	v_add_co_u32_e32 v26, vcc, s9, v26
	v_addc_co_u32_e32 v27, vcc, 0, v27, vcc
	v_cmp_gt_i64_e64 s[6:7], s[24:25], v[26:27]
	v_cmp_le_i64_e32 vcc, s[24:25], v[26:27]
	v_mov_b32_e32 v2, 0
	s_and_saveexec_b64 s[4:5], s[6:7]
	s_cbranch_execz .LBB12_58
; %bb.60:                               ;   in Loop: Header=BB12_59 Depth=2
	global_load_ubyte v2, v[28:29], off
	s_branch .LBB12_58
.LBB12_61:                              ;   in Loop: Header=BB12_7 Depth=1
	s_or_b64 exec, exec, s[18:19]
.LBB12_62:                              ;   in Loop: Header=BB12_7 Depth=1
	s_or_b64 exec, exec, s[14:15]
	s_branch .LBB12_41
.LBB12_63:                              ;   in Loop: Header=BB12_7 Depth=1
	global_load_ushort v2, v3, s[52:53]
	v_mov_b32_e32 v8, 0
	v_mov_b32_e32 v9, 0
	s_waitcnt vmcnt(0)
	v_readfirstlane_b32 s4, v2
	s_and_b32 s4, 0xffff, s4
	s_lshl_b32 s5, s4, 2
	v_cvt_f32_u32_e32 v4, s5
	s_sub_i32 s6, 0, s5
	v_rcp_iflag_f32_e32 v6, v4
	v_mov_b32_e32 v4, 0
	v_mov_b32_e32 v5, 0
	v_mul_f32_e32 v6, 0x4f7ffffe, v6
	v_cvt_u32_f32_e32 v10, v6
	v_mov_b32_e32 v6, 0
	v_mov_b32_e32 v7, 0
	v_readfirstlane_b32 s7, v10
	s_mul_i32 s6, s6, s7
	s_mul_hi_u32 s6, s7, s6
	s_add_i32 s7, s7, s6
	s_mul_hi_u32 s6, s22, s7
	s_mul_i32 s7, s6, s5
	s_sub_i32 s7, s22, s7
	s_add_i32 s9, s6, 1
	s_sub_i32 s14, s7, s5
	s_cmp_ge_u32 s7, s5
	s_cselect_b32 s6, s9, s6
	s_cselect_b32 s7, s14, s7
	s_add_i32 s9, s6, 1
	s_cmp_ge_u32 s7, s5
	s_cselect_b32 s6, s9, s6
	s_mul_hi_u32 s27, s4, s6
	s_mul_i32 s26, s4, s6
	s_lshl_b64 s[74:75], s[26:27], 2
	v_cmp_gt_u64_e32 vcc, s[74:75], v[14:15]
	v_mov_b32_e32 v10, 0
	v_mov_b32_e32 v11, 0
	s_and_saveexec_b64 s[76:77], vcc
	s_cbranch_execz .LBB12_67
; %bb.64:                               ;   in Loop: Header=BB12_7 Depth=1
	v_mov_b32_e32 v27, v15
	s_mov_b64 s[78:79], 0
	v_mov_b32_e32 v28, v14
	s_mov_b64 s[80:81], 0
	s_mov_b64 s[82:83], 0
	;; [unrolled: 1-line block ×4, first 2 shown]
	v_mov_b32_e32 v26, v14
.LBB12_65:                              ;   Parent Loop BB12_7 Depth=1
                                        ; =>  This Inner Loop Header: Depth=2
	ds_read_b32 v4, v28
	v_add_u32_e32 v28, s5, v28
	s_waitcnt lgkmcnt(0)
	v_add_u32_sdwa v5, sext(v4), s13 dst_sel:DWORD dst_unused:UNUSED_PAD src0_sel:BYTE_0 src1_sel:DWORD
	v_add_u32_sdwa v6, sext(v4), s13 dst_sel:DWORD dst_unused:UNUSED_PAD src0_sel:BYTE_1 src1_sel:DWORD
	v_and_b32_e32 v8, v5, v43
	v_bfe_u32 v5, v5, s12, 2
	v_add_u32_sdwa v7, sext(v4), s13 dst_sel:DWORD dst_unused:UNUSED_PAD src0_sel:BYTE_2 src1_sel:DWORD
	v_cmp_eq_u32_e32 vcc, v8, v41
	v_and_b32_e32 v8, v6, v43
	v_bfe_u32 v6, v6, s12, 2
	v_cmp_eq_u32_e64 s[20:21], 0, v5
	v_add_u32_sdwa v4, sext(v4), s13 dst_sel:DWORD dst_unused:UNUSED_PAD src0_sel:BYTE_3 src1_sel:DWORD
	v_cmp_eq_u32_e64 s[6:7], v8, v41
	v_and_b32_e32 v8, v7, v43
	v_bfe_u32 v7, v7, s12, 2
	s_and_b64 s[16:17], vcc, s[20:21]
	v_cmp_eq_u32_e64 s[20:21], 0, v6
	v_cmp_eq_u32_e64 s[14:15], v8, v41
	v_and_b32_e32 v8, v4, v43
	v_bfe_u32 v4, v4, s12, 2
	s_and_b64 s[28:29], s[6:7], s[20:21]
	v_cmp_eq_u32_e64 s[20:21], 0, v7
	v_cmp_eq_u32_e64 s[18:19], v8, v41
	s_and_b64 s[36:37], s[14:15], s[20:21]
	v_cmp_eq_u32_e64 s[20:21], 0, v4
	v_cndmask_b32_e64 v8, 0, 1, s[16:17]
	s_and_b64 s[38:39], s[18:19], s[20:21]
	v_cmp_ne_u32_e64 s[20:21], 0, v8
	v_cndmask_b32_e64 v8, 0, 1, s[28:29]
	s_bcnt1_i32_b64 s9, s[20:21]
	v_cmp_ne_u32_e64 s[20:21], 0, v8
	v_cndmask_b32_e64 v8, 0, 1, s[36:37]
	s_bcnt1_i32_b64 s16, s[20:21]
	;; [unrolled: 3-line block ×3, first 2 shown]
	v_cmp_ne_u32_e64 s[20:21], 0, v8
	s_bcnt1_i32_b64 s20, s[20:21]
	s_add_u32 s9, s9, s86
	s_addc_u32 s21, 0, s87
	s_add_u32 s9, s9, s16
	s_addc_u32 s16, s21, 0
	;; [unrolled: 2-line block ×3, first 2 shown]
	s_add_u32 s86, s9, s20
	v_cmp_eq_u32_e64 s[20:21], 1, v5
	s_addc_u32 s87, s16, 0
	s_and_b64 s[16:17], vcc, s[20:21]
	v_cmp_eq_u32_e64 s[20:21], 1, v6
	s_and_b64 s[28:29], s[6:7], s[20:21]
	v_cmp_eq_u32_e64 s[20:21], 1, v7
	s_and_b64 s[36:37], s[14:15], s[20:21]
	v_cmp_eq_u32_e64 s[20:21], 1, v4
	v_cndmask_b32_e64 v8, 0, 1, s[16:17]
	s_and_b64 s[38:39], s[18:19], s[20:21]
	v_cmp_ne_u32_e64 s[20:21], 0, v8
	v_cndmask_b32_e64 v8, 0, 1, s[28:29]
	s_bcnt1_i32_b64 s9, s[20:21]
	v_cmp_ne_u32_e64 s[20:21], 0, v8
	v_cndmask_b32_e64 v8, 0, 1, s[36:37]
	s_bcnt1_i32_b64 s16, s[20:21]
	;; [unrolled: 3-line block ×3, first 2 shown]
	v_cmp_ne_u32_e64 s[20:21], 0, v8
	s_bcnt1_i32_b64 s20, s[20:21]
	s_add_u32 s9, s9, s84
	s_addc_u32 s21, 0, s85
	s_add_u32 s9, s9, s16
	s_addc_u32 s16, s21, 0
	s_add_u32 s9, s9, s17
	s_addc_u32 s16, s16, 0
	s_add_u32 s84, s9, s20
	v_cmp_eq_u32_e64 s[20:21], 2, v5
	s_addc_u32 s85, s16, 0
	s_and_b64 s[16:17], vcc, s[20:21]
	v_cmp_eq_u32_e64 s[20:21], 2, v6
	s_and_b64 s[28:29], s[6:7], s[20:21]
	v_cmp_eq_u32_e64 s[20:21], 2, v7
	s_and_b64 s[36:37], s[14:15], s[20:21]
	v_cmp_eq_u32_e64 s[20:21], 2, v4
	v_cndmask_b32_e64 v8, 0, 1, s[16:17]
	s_and_b64 s[38:39], s[18:19], s[20:21]
	v_cmp_ne_u32_e64 s[20:21], 0, v8
	v_cndmask_b32_e64 v8, 0, 1, s[28:29]
	s_bcnt1_i32_b64 s9, s[20:21]
	v_cmp_ne_u32_e64 s[20:21], 0, v8
	v_cndmask_b32_e64 v8, 0, 1, s[36:37]
	s_bcnt1_i32_b64 s16, s[20:21]
	;; [unrolled: 3-line block ×3, first 2 shown]
	v_cmp_ne_u32_e64 s[20:21], 0, v8
	s_bcnt1_i32_b64 s20, s[20:21]
	s_add_u32 s9, s9, s82
	s_addc_u32 s21, 0, s83
	s_add_u32 s9, s9, s16
	s_addc_u32 s16, s21, 0
	;; [unrolled: 2-line block ×3, first 2 shown]
	s_add_u32 s82, s9, s20
	v_cmp_eq_u32_e64 s[20:21], 3, v5
	s_addc_u32 s83, s16, 0
	s_and_b64 s[16:17], vcc, s[20:21]
	v_cmp_eq_u32_e32 vcc, 3, v6
	s_and_b64 s[6:7], s[6:7], vcc
	v_cmp_eq_u32_e32 vcc, 3, v7
	s_and_b64 s[14:15], s[14:15], vcc
	v_cmp_eq_u32_e32 vcc, 3, v4
	v_cndmask_b32_e64 v4, 0, 1, s[16:17]
	s_and_b64 s[18:19], s[18:19], vcc
	v_cmp_ne_u32_e32 vcc, 0, v4
	v_cndmask_b32_e64 v4, 0, 1, s[6:7]
	s_bcnt1_i32_b64 s9, vcc
	v_cmp_ne_u32_e32 vcc, 0, v4
	v_cndmask_b32_e64 v4, 0, 1, s[14:15]
	s_bcnt1_i32_b64 s6, vcc
	;; [unrolled: 3-line block ×3, first 2 shown]
	v_cmp_ne_u32_e32 vcc, 0, v4
	s_bcnt1_i32_b64 s14, vcc
	s_add_u32 s9, s9, s80
	s_addc_u32 s15, 0, s81
	s_add_u32 s6, s9, s6
	s_addc_u32 s9, s15, 0
	s_add_u32 s6, s6, s7
	v_add_co_u32_e32 v26, vcc, s5, v26
	s_addc_u32 s7, s9, 0
	v_addc_co_u32_e32 v27, vcc, 0, v27, vcc
	s_add_u32 s80, s6, s14
	v_cmp_le_u64_e32 vcc, s[74:75], v[26:27]
	s_addc_u32 s81, s7, 0
	v_mov_b32_e32 v4, s86
	v_mov_b32_e32 v6, s84
	;; [unrolled: 1-line block ×4, first 2 shown]
	s_or_b64 s[78:79], vcc, s[78:79]
	v_mov_b32_e32 v5, s87
	v_mov_b32_e32 v7, s85
	;; [unrolled: 1-line block ×4, first 2 shown]
	s_andn2_b64 exec, exec, s[78:79]
	s_cbranch_execnz .LBB12_65
; %bb.66:                               ;   in Loop: Header=BB12_7 Depth=1
	s_or_b64 exec, exec, s[78:79]
.LBB12_67:                              ;   in Loop: Header=BB12_7 Depth=1
	s_or_b64 exec, exec, s[76:77]
	v_mov_b32_e32 v27, s75
	v_add_co_u32_e32 v26, vcc, s74, v0
	s_and_b32 s44, s22, 0x7fffffff
	v_addc_co_u32_e32 v27, vcc, 0, v27, vcc
	v_cmp_gt_u64_e32 vcc, s[44:45], v[26:27]
	s_and_saveexec_b64 s[28:29], vcc
	s_cbranch_execz .LBB12_71
; %bb.68:                               ;   in Loop: Header=BB12_7 Depth=1
	v_lshl_add_u32 v28, s26, 2, v0
	s_mov_b64 s[26:27], 0
.LBB12_69:                              ;   Parent Loop BB12_7 Depth=1
                                        ; =>  This Inner Loop Header: Depth=2
	ds_read_i8 v29, v28
	v_add_co_u32_sdwa v26, vcc, v26, v2 dst_sel:DWORD dst_unused:UNUSED_PAD src0_sel:DWORD src1_sel:WORD_0
	v_addc_co_u32_e32 v27, vcc, 0, v27, vcc
	s_waitcnt lgkmcnt(0)
	v_add_u32_e32 v29, 0x80, v29
	v_and_b32_e32 v45, v29, v43
	v_bfe_u32 v29, v29, s12, 2
	v_cmp_eq_u32_e64 s[6:7], v45, v41
	v_cmp_eq_u32_e64 s[14:15], 0, v29
	;; [unrolled: 1-line block ×3, first 2 shown]
	s_and_b64 s[14:15], s[6:7], s[14:15]
	v_cmp_eq_u32_e64 s[20:21], 2, v29
	v_cmp_eq_u32_e64 s[22:23], 3, v29
	v_cndmask_b32_e64 v29, 0, 1, s[14:15]
	s_and_b64 s[14:15], s[6:7], s[18:19]
	v_cndmask_b32_e64 v45, 0, 1, s[14:15]
	s_and_b64 s[14:15], s[6:7], s[20:21]
	s_and_b64 s[6:7], s[6:7], s[22:23]
	v_cndmask_b32_e64 v47, 0, 1, s[6:7]
	v_cmp_ne_u32_e64 s[6:7], 0, v29
	s_bcnt1_i32_b64 s5, s[6:7]
	v_cndmask_b32_e64 v46, 0, 1, s[14:15]
	v_cmp_ne_u32_e64 s[14:15], 0, v45
	v_add_co_u32_e64 v4, s[6:7], s5, v4
	s_bcnt1_i32_b64 s9, s[14:15]
	v_addc_co_u32_e64 v5, s[6:7], 0, v5, s[6:7]
	v_cmp_le_u64_e32 vcc, s[44:45], v[26:27]
	v_cmp_ne_u32_e64 s[18:19], 0, v46
	v_cmp_ne_u32_e64 s[20:21], 0, v47
	v_add_co_u32_e64 v6, s[6:7], s9, v6
	s_bcnt1_i32_b64 s14, s[18:19]
	s_bcnt1_i32_b64 s15, s[20:21]
	v_addc_co_u32_e64 v7, s[6:7], 0, v7, s[6:7]
	v_add_co_u32_e64 v8, s[6:7], s14, v8
	s_or_b64 s[26:27], vcc, s[26:27]
	v_add_co_u32_e32 v10, vcc, s15, v10
	v_add_u32_e32 v28, s4, v28
	v_addc_co_u32_e64 v9, s[6:7], 0, v9, s[6:7]
	v_addc_co_u32_e32 v11, vcc, 0, v11, vcc
	s_andn2_b64 exec, exec, s[26:27]
	s_cbranch_execnz .LBB12_69
; %bb.70:                               ;   in Loop: Header=BB12_7 Depth=1
	s_or_b64 exec, exec, s[26:27]
.LBB12_71:                              ;   in Loop: Header=BB12_7 Depth=1
	s_or_b64 exec, exec, s[28:29]
	s_lshl_b32 s9, s93, 6
	s_and_saveexec_b64 s[4:5], s[10:11]
	s_cbranch_execnz .LBB12_42
	s_branch .LBB12_43
.LBB12_72:                              ;   in Loop: Header=BB12_7 Depth=1
                                        ; implicit-def: $sgpr26_sgpr27
	s_branch .LBB12_51
.LBB12_73:                              ;   in Loop: Header=BB12_7 Depth=1
	s_or_b64 exec, exec, s[20:21]
	s_waitcnt lgkmcnt(0)
	s_barrier
	s_mov_b64 s[4:5], exec
	v_readlane_b32 s6, v62, 8
	v_readlane_b32 s7, v62, 9
	s_and_b64 s[6:7], s[4:5], s[6:7]
	s_mov_b64 exec, s[6:7]
	s_cbranch_execz .LBB12_75
; %bb.74:                               ;   in Loop: Header=BB12_7 Depth=1
	ds_read_b32 v4, v3 offset:5136
	s_waitcnt lgkmcnt(0)
	v_ashrrev_i32_e32 v5, 31, v4
	ds_write_b64 v3, v[4:5] offset:5120
.LBB12_75:                              ;   in Loop: Header=BB12_7 Depth=1
	s_or_b64 exec, exec, s[4:5]
	s_waitcnt lgkmcnt(0)
	s_barrier
	s_mov_b64 s[6:7], -1
	s_and_b64 vcc, exec, s[18:19]
	s_cbranch_vccnz .LBB12_22
	s_branch .LBB12_37
.LBB12_76:                              ;   in Loop: Header=BB12_7 Depth=1
	v_mov_b32_e32 v4, 0
	v_mov_b32_e32 v5, 0
	s_mov_b32 s4, 0
.LBB12_77:                              ;   in Loop: Header=BB12_7 Depth=1
	v_readlane_b32 s14, v62, 30
	v_readlane_b32 s15, v62, 31
	s_andn2_b64 vcc, exec, s[14:15]
	s_cbranch_vccnz .LBB12_80
; %bb.78:                               ;   in Loop: Header=BB12_7 Depth=1
	s_lshl_b32 s5, s93, 9
	s_lshl_b32 s4, s4, 5
	s_add_i32 s5, s5, s4
	v_add_u32_e32 v2, s5, v40
	v_readlane_b32 s4, v62, 29
.LBB12_79:                              ;   Parent Loop BB12_7 Depth=1
                                        ; =>  This Inner Loop Header: Depth=2
	ds_read_b64 v[6:7], v2
	s_add_i32 s4, s4, -1
	v_add_u32_e32 v2, 32, v2
	s_cmp_lg_u32 s4, 0
	s_waitcnt lgkmcnt(0)
	v_add_co_u32_e32 v4, vcc, v6, v4
	v_addc_co_u32_e32 v5, vcc, v7, v5, vcc
	s_cbranch_scc1 .LBB12_79
.LBB12_80:                              ;   in Loop: Header=BB12_7 Depth=1
	v_add_lshl_u32 v2, s9, v30, 3
	ds_write_b64 v2, v[4:5] offset:3072
.LBB12_81:                              ;   in Loop: Header=BB12_7 Depth=1
	s_or_b64 exec, exec, s[6:7]
	s_lshl_b32 s4, s9, 3
	v_mov_b32_e32 v2, s4
	s_waitcnt lgkmcnt(0)
	s_barrier
	ds_read_b128 v[8:11], v2 offset:3088
	ds_read_b128 v[4:7], v2 offset:3072
	v_cmp_eq_u64_e64 s[6:7], 1, v[24:25]
	s_lshl_b32 s9, 3, s12
	s_not_b32 s54, s9
	s_waitcnt lgkmcnt(1)
	v_readfirstlane_b32 s26, v8
	s_waitcnt lgkmcnt(0)
	v_cmp_eq_u64_e32 vcc, 1, v[4:5]
	v_readfirstlane_b32 s27, v9
	v_readfirstlane_b32 s14, v10
	;; [unrolled: 1-line block ×3, first 2 shown]
	s_and_b64 s[20:21], vcc, s[6:7]
	s_mov_b64 s[6:7], -1
	s_mov_b64 s[16:17], -1
                                        ; implicit-def: $sgpr76_sgpr77
                                        ; implicit-def: $sgpr74_sgpr75
	s_and_saveexec_b64 s[18:19], s[20:21]
	s_cbranch_execz .LBB12_113
; %bb.82:                               ;   in Loop: Header=BB12_7 Depth=1
	ds_read_b64 v[8:9], v3 offset:5120
	s_waitcnt lgkmcnt(0)
	s_barrier
	v_readfirstlane_b32 s22, v8
	v_readfirstlane_b32 s23, v9
	s_mov_b64 s[4:5], exec
	v_readlane_b32 s16, v62, 18
	v_readlane_b32 s17, v62, 19
	s_and_b64 s[16:17], s[4:5], s[16:17]
	s_mov_b64 exec, s[16:17]
; %bb.83:                               ;   in Loop: Header=BB12_7 Depth=1
	ds_write_b8 v0, v3 offset:3072
; %bb.84:                               ;   in Loop: Header=BB12_7 Depth=1
	s_or_b64 exec, exec, s[4:5]
	v_cmp_lt_i64_e64 s[4:5], s[22:23], 1
	v_and_b32_e32 v41, s54, v41
	v_or_b32_e32 v43, s9, v43
	s_mov_b64 s[74:75], -1
	s_mov_b64 s[76:77], 0
	s_and_b64 vcc, exec, s[4:5]
	s_mov_b64 s[28:29], 0
	s_mov_b64 s[36:37], -1
	s_waitcnt lgkmcnt(0)
	s_barrier
                                        ; implicit-def: $vgpr44
	s_cbranch_vccz .LBB12_98
; %bb.85:                               ;   in Loop: Header=BB12_7 Depth=1
	s_mov_b32 s50, s45
	s_cmp_lg_u64 s[50:51], 0
	s_cbranch_scc0 .LBB12_139
; %bb.86:                               ;   in Loop: Header=BB12_7 Depth=1
	s_add_u32 s4, s33, 0
	s_addc_u32 s5, 0, 0
	s_xor_b64 s[28:29], s[4:5], 0
	v_cvt_f32_u32_e32 v2, s28
	v_cvt_f32_u32_e32 v8, s29
	s_sub_u32 s16, 0, s28
	s_subb_u32 s17, 0, s29
	v_mac_f32_e32 v2, 0x4f800000, v8
	v_rcp_f32_e32 v2, v2
	v_mul_f32_e32 v2, 0x5f7ffffc, v2
	v_mul_f32_e32 v8, 0x2f800000, v2
	v_trunc_f32_e32 v8, v8
	v_mac_f32_e32 v2, 0xcf800000, v8
	v_cvt_u32_f32_e32 v8, v8
	v_cvt_u32_f32_e32 v2, v2
	v_readfirstlane_b32 s36, v8
	v_readfirstlane_b32 s4, v2
	s_mul_i32 s5, s16, s36
	s_mul_hi_u32 s38, s16, s4
	s_mul_i32 s37, s17, s4
	s_add_i32 s5, s38, s5
	s_mul_i32 s39, s16, s4
	s_add_i32 s5, s5, s37
	s_mul_i32 s38, s4, s5
	s_mul_hi_u32 s40, s4, s39
	s_mul_hi_u32 s37, s4, s5
	s_add_u32 s38, s40, s38
	s_addc_u32 s37, 0, s37
	s_mul_hi_u32 s41, s36, s39
	s_mul_i32 s39, s36, s39
	s_add_u32 s38, s38, s39
	s_mul_hi_u32 s40, s36, s5
	s_addc_u32 s37, s37, s41
	s_addc_u32 s38, s40, 0
	s_mul_i32 s5, s36, s5
	s_add_u32 s5, s37, s5
	s_addc_u32 s37, 0, s38
	s_add_u32 s38, s4, s5
	s_cselect_b64 s[4:5], -1, 0
	s_cmp_lg_u64 s[4:5], 0
	s_addc_u32 s36, s36, s37
	s_mul_i32 s4, s16, s36
	s_mul_hi_u32 s5, s16, s38
	s_add_i32 s4, s5, s4
	s_mul_i32 s17, s17, s38
	s_add_i32 s4, s4, s17
	s_mul_i32 s16, s16, s38
	s_mul_hi_u32 s17, s36, s16
	s_mul_i32 s37, s36, s16
	s_mul_i32 s40, s38, s4
	s_mul_hi_u32 s16, s38, s16
	s_mul_hi_u32 s39, s38, s4
	s_add_u32 s16, s16, s40
	s_addc_u32 s39, 0, s39
	s_add_u32 s16, s16, s37
	s_mul_hi_u32 s5, s36, s4
	s_addc_u32 s16, s39, s17
	s_addc_u32 s5, s5, 0
	s_mul_i32 s4, s36, s4
	s_add_u32 s4, s16, s4
	s_addc_u32 s16, 0, s5
	s_add_u32 s37, s38, s4
	s_cselect_b64 s[4:5], -1, 0
	s_cmp_lg_u64 s[4:5], 0
	s_addc_u32 s36, s36, s16
	s_ashr_i32 s4, s51, 31
	v_readlane_b32 s16, v62, 25
	s_add_u32 s16, s16, s4
	s_mov_b32 s5, s4
	s_addc_u32 s17, s51, s4
	s_xor_b64 s[16:17], s[16:17], s[4:5]
	s_mul_i32 s39, s16, s36
	s_mul_hi_u32 s40, s16, s37
	s_mul_hi_u32 s38, s16, s36
	s_add_u32 s39, s40, s39
	s_addc_u32 s38, 0, s38
	s_mul_hi_u32 s41, s17, s37
	s_mul_i32 s37, s17, s37
	s_add_u32 s37, s39, s37
	s_mul_hi_u32 s40, s17, s36
	s_addc_u32 s37, s38, s41
	s_addc_u32 s38, s40, 0
	s_mul_i32 s36, s17, s36
	s_add_u32 s36, s37, s36
	s_addc_u32 s37, 0, s38
	s_mul_i32 s37, s28, s37
	s_mul_hi_u32 s38, s28, s36
	s_add_i32 s37, s38, s37
	s_mul_i32 s38, s29, s36
	s_add_i32 s40, s37, s38
	s_sub_i32 s38, s17, s40
	s_mul_i32 s36, s28, s36
	s_sub_u32 s16, s16, s36
	s_cselect_b64 s[36:37], -1, 0
	s_cmp_lg_u64 s[36:37], 0
	s_subb_u32 s41, s38, s29
	s_sub_u32 s44, s16, s28
	s_cselect_b64 s[38:39], -1, 0
	s_cmp_lg_u64 s[38:39], 0
	s_subb_u32 s50, s41, 0
	s_cmp_ge_u32 s50, s29
	s_cselect_b32 s55, -1, 0
	s_cmp_ge_u32 s44, s28
	s_cselect_b32 s78, -1, 0
	s_cmp_eq_u32 s50, s29
	s_cselect_b32 s55, s78, s55
	s_cmp_lg_u64 s[38:39], 0
	s_subb_u32 s41, s41, s29
	s_sub_u32 s78, s44, s28
	s_cselect_b64 s[38:39], -1, 0
	s_cmp_lg_u64 s[38:39], 0
	s_subb_u32 s38, s41, 0
	s_cmp_lg_u32 s55, 0
	s_cselect_b32 s39, s78, s44
	s_cselect_b32 s38, s38, s50
	s_cmp_lg_u64 s[36:37], 0
	s_subb_u32 s17, s17, s40
	s_cmp_ge_u32 s17, s29
	s_cselect_b32 s36, -1, 0
	s_cmp_ge_u32 s16, s28
	s_cselect_b32 s28, -1, 0
	s_cmp_eq_u32 s17, s29
	s_cselect_b32 s28, s28, s36
	s_cmp_lg_u32 s28, 0
	s_cselect_b32 s17, s38, s17
	s_cselect_b32 s16, s39, s16
	s_xor_b64 s[16:17], s[16:17], s[4:5]
	s_sub_u32 s16, s16, s4
	s_subb_u32 s17, s17, s4
	s_cbranch_execnz .LBB12_88
.LBB12_87:                              ;   in Loop: Header=BB12_7 Depth=1
	v_cvt_f32_u32_e32 v2, s33
	s_sub_i32 s4, 0, s33
	v_readlane_b32 s16, v62, 25
	v_rcp_iflag_f32_e32 v2, v2
	v_mul_f32_e32 v2, 0x4f7ffffe, v2
	v_cvt_u32_f32_e32 v2, v2
	v_readfirstlane_b32 s5, v2
	s_mul_i32 s4, s4, s5
	s_mul_hi_u32 s4, s5, s4
	s_add_i32 s5, s5, s4
	s_mul_hi_u32 s4, s16, s5
	s_mul_i32 s4, s4, s33
	s_sub_i32 s4, s16, s4
	s_sub_i32 s5, s4, s33
	s_cmp_ge_u32 s4, s33
	s_cselect_b32 s4, s5, s4
	s_sub_i32 s5, s4, s33
	s_cmp_ge_u32 s4, s33
	s_cselect_b32 s44, s5, s4
	s_mov_b64 s[16:17], s[44:45]
.LBB12_88:                              ;   in Loop: Header=BB12_7 Depth=1
	v_readlane_b32 s4, v62, 25
	s_sub_u32 s40, s4, s16
	s_subb_u32 s41, s51, s17
	v_cmp_gt_i64_e32 vcc, s[40:41], v[0:1]
	s_mov_b64 s[36:37], 0
	s_mov_b64 s[28:29], 0
                                        ; implicit-def: $vgpr44
	s_and_saveexec_b64 s[38:39], vcc
	s_cbranch_execz .LBB12_97
; %bb.89:                               ;   in Loop: Header=BB12_7 Depth=1
	v_mov_b32_e32 v8, v12
	v_mov_b32_e32 v11, v1
	;; [unrolled: 1-line block ×4, first 2 shown]
                                        ; implicit-def: $sgpr16_sgpr17
	s_branch .LBB12_92
.LBB12_90:                              ;   in Loop: Header=BB12_92 Depth=2
	s_or_b64 exec, exec, s[4:5]
	s_waitcnt lgkmcnt(0)
	s_barrier
	ds_read_u16 v2, v3 offset:3072
	s_mov_b64 s[4:5], -1
	s_waitcnt lgkmcnt(0)
	s_barrier
	v_cmp_ne_u32_sdwa s[78:79], v2, v3 src0_sel:BYTE_0 src1_sel:DWORD
	s_and_b64 vcc, exec, s[78:79]
	s_mov_b64 s[78:79], -1
	s_cbranch_vccz .LBB12_95
.LBB12_91:                              ;   in Loop: Header=BB12_92 Depth=2
	s_and_b64 s[4:5], exec, s[4:5]
	s_or_b64 s[28:29], s[4:5], s[28:29]
	s_andn2_b64 s[4:5], s[16:17], exec
	s_and_b64 s[16:17], s[78:79], exec
	s_or_b64 s[16:17], s[4:5], s[16:17]
	s_andn2_b64 exec, exec, s[28:29]
	s_cbranch_execz .LBB12_96
.LBB12_92:                              ;   Parent Loop BB12_7 Depth=1
                                        ; =>  This Inner Loop Header: Depth=2
	v_cmp_gt_i64_e32 vcc, s[24:25], v[10:11]
	s_and_saveexec_b64 s[4:5], vcc
	s_cbranch_execz .LBB12_90
; %bb.93:                               ;   in Loop: Header=BB12_92 Depth=2
	global_load_ubyte v2, v[8:9], off
	s_waitcnt vmcnt(0)
	v_add_u32_sdwa v26, sext(v2), s13 dst_sel:DWORD dst_unused:UNUSED_PAD src0_sel:BYTE_0 src1_sel:DWORD
	v_and_b32_e32 v26, v26, v43
	v_cmp_eq_u32_e32 vcc, v26, v41
	s_and_b64 exec, exec, vcc
	s_cbranch_execz .LBB12_90
; %bb.94:                               ;   in Loop: Header=BB12_92 Depth=2
	v_lshlrev_b16_e32 v2, 8, v2
	v_or_b32_e32 v2, 1, v2
	ds_write_b16 v3, v2 offset:3072
	s_branch .LBB12_90
.LBB12_95:                              ;   in Loop: Header=BB12_92 Depth=2
	v_add_co_u32_e32 v10, vcc, s33, v10
	v_addc_co_u32_e32 v11, vcc, 0, v11, vcc
	v_mov_b32_e32 v26, s35
	v_add_co_u32_e32 v8, vcc, s56, v8
	v_addc_co_u32_e32 v9, vcc, v9, v26, vcc
	v_cmp_le_i64_e32 vcc, s[40:41], v[10:11]
	s_mov_b64 s[78:79], 0
	s_orn2_b64 s[4:5], vcc, exec
	s_branch .LBB12_91
.LBB12_96:                              ;   in Loop: Header=BB12_7 Depth=1
	s_or_b64 exec, exec, s[28:29]
	v_lshrrev_b32_sdwa v44, v42, v2 dst_sel:DWORD dst_unused:UNUSED_PAD src0_sel:DWORD src1_sel:WORD_0
	s_and_b64 s[28:29], s[16:17], exec
.LBB12_97:                              ;   in Loop: Header=BB12_7 Depth=1
	s_or_b64 exec, exec, s[38:39]
.LBB12_98:                              ;   in Loop: Header=BB12_7 Depth=1
	s_and_b64 vcc, exec, s[36:37]
	s_cbranch_vccz .LBB12_112
; %bb.99:                               ;   in Loop: Header=BB12_7 Depth=1
	v_readlane_b32 s4, v62, 24
	s_add_u32 s36, s22, s4
	v_readlane_b32 s4, v62, 26
	s_addc_u32 s75, s23, s4
	s_mov_b32 s74, s45
	s_cmp_lg_u64 s[74:75], 0
	s_cbranch_scc0 .LBB12_140
; %bb.100:                              ;   in Loop: Header=BB12_7 Depth=1
	s_add_u32 s4, s33, 0
	s_addc_u32 s5, 0, 0
	s_xor_b64 s[76:77], s[4:5], 0
	v_cvt_f32_u32_e32 v2, s76
	v_cvt_f32_u32_e32 v8, s77
	s_sub_u32 s16, 0, s76
	s_subb_u32 s17, 0, s77
	v_mac_f32_e32 v2, 0x4f800000, v8
	v_rcp_f32_e32 v2, v2
	v_mul_f32_e32 v2, 0x5f7ffffc, v2
	v_mul_f32_e32 v8, 0x2f800000, v2
	v_trunc_f32_e32 v8, v8
	v_mac_f32_e32 v2, 0xcf800000, v8
	v_cvt_u32_f32_e32 v8, v8
	v_cvt_u32_f32_e32 v2, v2
	v_readfirstlane_b32 s37, v8
	v_readfirstlane_b32 s4, v2
	s_mul_i32 s5, s16, s37
	s_mul_hi_u32 s39, s16, s4
	s_mul_i32 s38, s17, s4
	s_add_i32 s5, s39, s5
	s_mul_i32 s40, s16, s4
	s_add_i32 s5, s5, s38
	s_mul_i32 s39, s4, s5
	s_mul_hi_u32 s41, s4, s40
	s_mul_hi_u32 s38, s4, s5
	s_add_u32 s39, s41, s39
	s_addc_u32 s38, 0, s38
	s_mul_hi_u32 s44, s37, s40
	s_mul_i32 s40, s37, s40
	s_add_u32 s39, s39, s40
	s_mul_hi_u32 s41, s37, s5
	s_addc_u32 s38, s38, s44
	s_addc_u32 s39, s41, 0
	s_mul_i32 s5, s37, s5
	s_add_u32 s5, s38, s5
	s_addc_u32 s38, 0, s39
	s_add_u32 s39, s4, s5
	s_cselect_b64 s[4:5], -1, 0
	s_cmp_lg_u64 s[4:5], 0
	s_addc_u32 s37, s37, s38
	s_mul_i32 s4, s16, s37
	s_mul_hi_u32 s5, s16, s39
	s_add_i32 s4, s5, s4
	s_mul_i32 s17, s17, s39
	s_add_i32 s4, s4, s17
	s_mul_i32 s16, s16, s39
	s_mul_hi_u32 s17, s37, s16
	s_mul_i32 s38, s37, s16
	s_mul_i32 s41, s39, s4
	s_mul_hi_u32 s16, s39, s16
	s_mul_hi_u32 s40, s39, s4
	s_add_u32 s16, s16, s41
	s_addc_u32 s40, 0, s40
	s_add_u32 s16, s16, s38
	s_mul_hi_u32 s5, s37, s4
	s_addc_u32 s16, s40, s17
	s_addc_u32 s5, s5, 0
	s_mul_i32 s4, s37, s4
	s_add_u32 s4, s16, s4
	s_addc_u32 s16, 0, s5
	s_add_u32 s38, s39, s4
	s_cselect_b64 s[4:5], -1, 0
	s_cmp_lg_u64 s[4:5], 0
	s_addc_u32 s37, s37, s16
	s_ashr_i32 s4, s75, 31
	s_add_u32 s16, s36, s4
	s_mov_b32 s5, s4
	s_addc_u32 s17, s75, s4
	s_xor_b64 s[16:17], s[16:17], s[4:5]
	s_mul_i32 s40, s16, s37
	s_mul_hi_u32 s41, s16, s38
	s_mul_hi_u32 s39, s16, s37
	s_add_u32 s40, s41, s40
	s_addc_u32 s39, 0, s39
	s_mul_hi_u32 s44, s17, s38
	s_mul_i32 s38, s17, s38
	s_add_u32 s38, s40, s38
	s_mul_hi_u32 s41, s17, s37
	s_addc_u32 s38, s39, s44
	s_addc_u32 s39, s41, 0
	s_mul_i32 s37, s17, s37
	s_add_u32 s37, s38, s37
	s_addc_u32 s38, 0, s39
	s_mul_i32 s38, s76, s38
	s_mul_hi_u32 s39, s76, s37
	s_add_i32 s38, s39, s38
	s_mul_i32 s39, s77, s37
	s_add_i32 s44, s38, s39
	s_sub_i32 s40, s17, s44
	s_mul_i32 s37, s76, s37
	s_sub_u32 s16, s16, s37
	s_cselect_b64 s[38:39], -1, 0
	s_cmp_lg_u64 s[38:39], 0
	s_subb_u32 s37, s40, s77
	s_sub_u32 s50, s16, s76
	s_cselect_b64 s[40:41], -1, 0
	s_cmp_lg_u64 s[40:41], 0
	s_subb_u32 s55, s37, 0
	s_cmp_ge_u32 s55, s77
	s_cselect_b32 s74, -1, 0
	s_cmp_ge_u32 s50, s76
	s_cselect_b32 s78, -1, 0
	s_cmp_eq_u32 s55, s77
	s_cselect_b32 s74, s78, s74
	s_cmp_lg_u64 s[40:41], 0
	s_subb_u32 s37, s37, s77
	s_sub_u32 s78, s50, s76
	s_cselect_b64 s[40:41], -1, 0
	s_cmp_lg_u64 s[40:41], 0
	s_subb_u32 s37, s37, 0
	s_cmp_lg_u32 s74, 0
	s_cselect_b32 s40, s78, s50
	s_cselect_b32 s37, s37, s55
	s_cmp_lg_u64 s[38:39], 0
	s_subb_u32 s17, s17, s44
	s_cmp_ge_u32 s17, s77
	s_cselect_b32 s38, -1, 0
	s_cmp_ge_u32 s16, s76
	s_cselect_b32 s39, -1, 0
	s_cmp_eq_u32 s17, s77
	s_cselect_b32 s38, s39, s38
	s_cmp_lg_u32 s38, 0
	s_cselect_b32 s17, s37, s17
	s_cselect_b32 s16, s40, s16
	s_xor_b64 s[16:17], s[16:17], s[4:5]
	s_sub_u32 s16, s16, s4
	s_subb_u32 s17, s17, s4
	s_cbranch_execnz .LBB12_102
.LBB12_101:                             ;   in Loop: Header=BB12_7 Depth=1
	v_cvt_f32_u32_e32 v2, s33
	s_sub_i32 s4, 0, s33
	v_rcp_iflag_f32_e32 v2, v2
	v_mul_f32_e32 v2, 0x4f7ffffe, v2
	v_cvt_u32_f32_e32 v2, v2
	v_readfirstlane_b32 s5, v2
	s_mul_i32 s4, s4, s5
	s_mul_hi_u32 s4, s5, s4
	s_add_i32 s5, s5, s4
	s_mul_hi_u32 s4, s36, s5
	s_mul_i32 s4, s4, s33
	s_sub_i32 s4, s36, s4
	s_sub_i32 s5, s4, s33
	s_cmp_ge_u32 s4, s33
	s_cselect_b32 s4, s5, s4
	s_sub_i32 s5, s4, s33
	s_cmp_ge_u32 s4, s33
	s_cselect_b32 s44, s5, s4
	s_mov_b64 s[16:17], s[44:45]
.LBB12_102:                             ;   in Loop: Header=BB12_7 Depth=1
	s_sub_u32 s38, s36, s16
	s_subb_u32 s39, s75, s17
	v_cmp_gt_i64_e32 vcc, s[38:39], v[0:1]
                                        ; implicit-def: $vgpr44
	s_and_saveexec_b64 s[36:37], vcc
	s_cbranch_execz .LBB12_111
; %bb.103:                              ;   in Loop: Header=BB12_7 Depth=1
	v_mov_b32_e32 v9, v1
	s_mov_b64 s[16:17], 0
	v_mov_b32_e32 v2, v0
	v_mov_b32_e32 v8, v0
                                        ; implicit-def: $sgpr40_sgpr41
	s_branch .LBB12_106
.LBB12_104:                             ;   in Loop: Header=BB12_106 Depth=2
	s_or_b64 exec, exec, s[4:5]
	s_waitcnt lgkmcnt(0)
	s_barrier
	ds_read_u16 v10, v3 offset:3072
	s_mov_b64 s[4:5], -1
	s_waitcnt lgkmcnt(0)
	s_barrier
	v_cmp_ne_u32_sdwa s[74:75], v10, v3 src0_sel:BYTE_0 src1_sel:DWORD
	s_and_b64 vcc, exec, s[74:75]
	s_mov_b64 s[74:75], -1
	s_cbranch_vccz .LBB12_109
.LBB12_105:                             ;   in Loop: Header=BB12_106 Depth=2
	s_and_b64 s[4:5], exec, s[4:5]
	s_or_b64 s[16:17], s[4:5], s[16:17]
	s_andn2_b64 s[4:5], s[40:41], exec
	s_and_b64 s[40:41], s[74:75], exec
	s_or_b64 s[40:41], s[4:5], s[40:41]
	s_andn2_b64 exec, exec, s[16:17]
	s_cbranch_execz .LBB12_110
.LBB12_106:                             ;   Parent Loop BB12_7 Depth=1
                                        ; =>  This Inner Loop Header: Depth=2
	v_cmp_gt_u64_e32 vcc, s[22:23], v[8:9]
	s_and_saveexec_b64 s[4:5], vcc
	s_cbranch_execz .LBB12_104
; %bb.107:                              ;   in Loop: Header=BB12_106 Depth=2
	ds_read_u8 v10, v2
	s_waitcnt lgkmcnt(0)
	v_add_u32_sdwa v11, sext(v10), s13 dst_sel:DWORD dst_unused:UNUSED_PAD src0_sel:BYTE_0 src1_sel:DWORD
	v_and_b32_e32 v11, v11, v43
	v_cmp_eq_u32_e32 vcc, v11, v41
	s_and_b64 exec, exec, vcc
	s_cbranch_execz .LBB12_104
; %bb.108:                              ;   in Loop: Header=BB12_106 Depth=2
	v_lshlrev_b16_e32 v10, 8, v10
	v_or_b32_e32 v10, 1, v10
	ds_write_b16 v3, v10 offset:3072
	s_branch .LBB12_104
.LBB12_109:                             ;   in Loop: Header=BB12_106 Depth=2
	v_add_co_u32_e32 v8, vcc, s33, v8
	v_addc_co_u32_e32 v9, vcc, 0, v9, vcc
	v_cmp_le_i64_e32 vcc, s[38:39], v[8:9]
	v_add_u32_e32 v2, s33, v2
	s_mov_b64 s[74:75], 0
	s_orn2_b64 s[4:5], vcc, exec
	s_branch .LBB12_105
.LBB12_110:                             ;   in Loop: Header=BB12_7 Depth=1
	s_or_b64 exec, exec, s[16:17]
	s_andn2_b64 s[4:5], s[28:29], exec
	s_and_b64 s[16:17], s[40:41], exec
	v_lshrrev_b32_sdwa v44, v42, v10 dst_sel:DWORD dst_unused:UNUSED_PAD src0_sel:DWORD src1_sel:WORD_0
	s_or_b64 s[28:29], s[4:5], s[16:17]
.LBB12_111:                             ;   in Loop: Header=BB12_7 Depth=1
	s_or_b64 exec, exec, s[36:37]
	s_mov_b64 s[74:75], 0
	s_mov_b64 s[76:77], -1
.LBB12_112:                             ;   in Loop: Header=BB12_7 Depth=1
	s_orn2_b64 s[16:17], s[28:29], exec
.LBB12_113:                             ;   in Loop: Header=BB12_7 Depth=1
	s_or_b64 exec, exec, s[18:19]
	s_andn2_b64 s[4:5], s[72:73], exec
	s_and_b64 s[18:19], s[76:77], exec
	s_or_b64 s[72:73], s[4:5], s[18:19]
	s_andn2_b64 s[4:5], s[70:71], exec
	s_and_b64 s[18:19], s[74:75], exec
	s_andn2_b64 s[68:69], s[68:69], exec
	s_or_b64 s[70:71], s[4:5], s[18:19]
                                        ; implicit-def: $vgpr8_vgpr9
	s_and_saveexec_b64 s[18:19], s[16:17]
	s_cbranch_execz .LBB12_6
; %bb.114:                              ;   in Loop: Header=BB12_7 Depth=1
	v_mov_b32_e32 v8, 1
	s_xor_b64 s[4:5], s[20:21], -1
	v_mov_b32_e32 v2, 1
	v_mov_b32_e32 v9, 0
	s_mov_b64 s[22:23], 0
	s_and_saveexec_b64 s[6:7], s[4:5]
	s_cbranch_execz .LBB12_123
; %bb.115:                              ;   in Loop: Header=BB12_7 Depth=1
	v_cmp_le_i64_e32 vcc, v[24:25], v[4:5]
	s_and_saveexec_b64 s[4:5], vcc
	s_xor_b64 s[16:17], exec, s[4:5]
	s_cbranch_execz .LBB12_120
; %bb.116:                              ;   in Loop: Header=BB12_7 Depth=1
	ds_read_b64 v[8:9], v3 offset:5120
	v_and_b32_e32 v41, s54, v41
	v_or_b32_e32 v43, s9, v43
	s_waitcnt lgkmcnt(0)
	v_cmp_ne_u64_e32 vcc, 0, v[8:9]
	s_cbranch_vccnz .LBB12_120
; %bb.117:                              ;   in Loop: Header=BB12_7 Depth=1
	s_mov_b64 s[4:5], exec
	v_readlane_b32 s20, v62, 8
	v_readlane_b32 s21, v62, 9
	s_and_b64 s[20:21], s[4:5], s[20:21]
	s_mov_b64 exec, s[20:21]
; %bb.118:                              ;   in Loop: Header=BB12_7 Depth=1
	ds_write_b64 v3, v[4:5] offset:5128
; %bb.119:                              ;   in Loop: Header=BB12_7 Depth=1
	s_or_b64 exec, exec, s[4:5]
	s_waitcnt lgkmcnt(0)
	s_barrier
.LBB12_120:                             ;   in Loop: Header=BB12_7 Depth=1
	s_or_saveexec_b64 s[16:17], s[16:17]
	s_mov_b64 s[20:21], 0
	v_mov_b32_e32 v2, 8
	s_xor_b64 exec, exec, s[16:17]
; %bb.121:                              ;   in Loop: Header=BB12_7 Depth=1
	v_sub_co_u32_e32 v24, vcc, v24, v4
	s_mov_b64 s[20:21], exec
	v_subb_co_u32_e32 v25, vcc, v25, v5, vcc
	v_mov_b32_e32 v2, 0
; %bb.122:                              ;   in Loop: Header=BB12_7 Depth=1
	s_or_b64 exec, exec, s[16:17]
	v_mov_b32_e32 v8, v24
	s_and_b64 s[22:23], s[20:21], exec
	v_mov_b32_e32 v9, v25
.LBB12_123:                             ;   in Loop: Header=BB12_7 Depth=1
	s_or_b64 exec, exec, s[6:7]
	s_mov_b64 s[20:21], -1
	s_mov_b64 s[16:17], -1
                                        ; implicit-def: $sgpr6_sgpr7
                                        ; implicit-def: $sgpr74_sgpr75
	s_and_saveexec_b64 s[4:5], s[22:23]
	s_xor_b64 s[22:23], exec, s[4:5]
	s_cbranch_execz .LBB12_265
; %bb.124:                              ;   in Loop: Header=BB12_7 Depth=1
	v_cmp_eq_u64_e32 vcc, 1, v[6:7]
	v_cmp_eq_u64_e64 s[6:7], 1, v[8:9]
                                        ; implicit-def: $sgpr74_sgpr75
	s_and_b64 s[78:79], vcc, s[6:7]
                                        ; implicit-def: $sgpr6_sgpr7
	s_and_saveexec_b64 s[76:77], s[78:79]
	s_cbranch_execz .LBB12_158
; %bb.125:                              ;   in Loop: Header=BB12_7 Depth=1
	ds_read_b64 v[4:5], v3 offset:5120
	s_waitcnt lgkmcnt(0)
	s_barrier
	v_readfirstlane_b32 s80, v4
	v_readfirstlane_b32 s81, v5
	s_mov_b64 s[4:5], exec
	v_readlane_b32 s6, v62, 18
	v_readlane_b32 s7, v62, 19
	s_and_b64 s[6:7], s[4:5], s[6:7]
	s_mov_b64 exec, s[6:7]
; %bb.126:                              ;   in Loop: Header=BB12_7 Depth=1
	ds_write_b8 v0, v3 offset:3072
; %bb.127:                              ;   in Loop: Header=BB12_7 Depth=1
	s_or_b64 exec, exec, s[4:5]
	v_cmp_gt_i64_e64 s[4:5], s[80:81], 0
	v_and_b32_e32 v4, s54, v41
	v_lshl_or_b32 v41, 1, s12, v4
	v_or_b32_e32 v43, s9, v43
	s_mov_b64 s[6:7], -1
	s_mov_b64 s[74:75], 0
	s_and_b64 vcc, exec, s[4:5]
	s_mov_b64 s[82:83], 0
	s_mov_b64 s[28:29], -1
	s_waitcnt lgkmcnt(0)
	s_barrier
                                        ; implicit-def: $vgpr44
	s_cbranch_vccnz .LBB12_143
; %bb.128:                              ;   in Loop: Header=BB12_7 Depth=1
	s_mov_b32 s50, s45
	s_cmp_lg_u64 s[50:51], 0
	s_cbranch_scc0 .LBB12_185
; %bb.129:                              ;   in Loop: Header=BB12_7 Depth=1
	s_add_u32 s4, s33, 0
	s_addc_u32 s5, 0, 0
	s_xor_b64 s[28:29], s[4:5], 0
	v_cvt_f32_u32_e32 v4, s28
	v_cvt_f32_u32_e32 v5, s29
	s_sub_u32 s16, 0, s28
	s_subb_u32 s17, 0, s29
	v_mac_f32_e32 v4, 0x4f800000, v5
	v_rcp_f32_e32 v4, v4
	v_mul_f32_e32 v4, 0x5f7ffffc, v4
	v_mul_f32_e32 v5, 0x2f800000, v4
	v_trunc_f32_e32 v5, v5
	v_mac_f32_e32 v4, 0xcf800000, v5
	v_cvt_u32_f32_e32 v5, v5
	v_cvt_u32_f32_e32 v4, v4
	v_readfirstlane_b32 s36, v5
	v_readfirstlane_b32 s4, v4
	s_mul_i32 s5, s16, s36
	s_mul_hi_u32 s38, s16, s4
	s_mul_i32 s37, s17, s4
	s_add_i32 s5, s38, s5
	s_mul_i32 s39, s16, s4
	s_add_i32 s5, s5, s37
	s_mul_i32 s38, s4, s5
	s_mul_hi_u32 s40, s4, s39
	s_mul_hi_u32 s37, s4, s5
	s_add_u32 s38, s40, s38
	s_addc_u32 s37, 0, s37
	s_mul_hi_u32 s41, s36, s39
	s_mul_i32 s39, s36, s39
	s_add_u32 s38, s38, s39
	s_mul_hi_u32 s40, s36, s5
	s_addc_u32 s37, s37, s41
	s_addc_u32 s38, s40, 0
	s_mul_i32 s5, s36, s5
	s_add_u32 s5, s37, s5
	s_addc_u32 s37, 0, s38
	s_add_u32 s38, s4, s5
	s_cselect_b64 s[4:5], -1, 0
	s_cmp_lg_u64 s[4:5], 0
	s_addc_u32 s36, s36, s37
	s_mul_i32 s4, s16, s36
	s_mul_hi_u32 s5, s16, s38
	s_add_i32 s4, s5, s4
	s_mul_i32 s17, s17, s38
	s_add_i32 s4, s4, s17
	s_mul_i32 s16, s16, s38
	s_mul_hi_u32 s17, s36, s16
	s_mul_i32 s37, s36, s16
	s_mul_i32 s40, s38, s4
	s_mul_hi_u32 s16, s38, s16
	s_mul_hi_u32 s39, s38, s4
	s_add_u32 s16, s16, s40
	s_addc_u32 s39, 0, s39
	s_add_u32 s16, s16, s37
	s_mul_hi_u32 s5, s36, s4
	s_addc_u32 s16, s39, s17
	s_addc_u32 s5, s5, 0
	s_mul_i32 s4, s36, s4
	s_add_u32 s4, s16, s4
	s_addc_u32 s16, 0, s5
	s_add_u32 s37, s38, s4
	s_cselect_b64 s[4:5], -1, 0
	s_cmp_lg_u64 s[4:5], 0
	s_addc_u32 s36, s36, s16
	s_ashr_i32 s4, s51, 31
	v_readlane_b32 s16, v62, 25
	s_add_u32 s16, s16, s4
	s_mov_b32 s5, s4
	s_addc_u32 s17, s51, s4
	s_xor_b64 s[16:17], s[16:17], s[4:5]
	s_mul_i32 s39, s16, s36
	s_mul_hi_u32 s40, s16, s37
	s_mul_hi_u32 s38, s16, s36
	s_add_u32 s39, s40, s39
	s_addc_u32 s38, 0, s38
	s_mul_hi_u32 s41, s17, s37
	s_mul_i32 s37, s17, s37
	s_add_u32 s37, s39, s37
	s_mul_hi_u32 s40, s17, s36
	s_addc_u32 s37, s38, s41
	s_addc_u32 s38, s40, 0
	s_mul_i32 s36, s17, s36
	s_add_u32 s36, s37, s36
	s_addc_u32 s37, 0, s38
	s_mul_i32 s37, s28, s37
	s_mul_hi_u32 s38, s28, s36
	s_add_i32 s37, s38, s37
	s_mul_i32 s38, s29, s36
	s_add_i32 s40, s37, s38
	s_sub_i32 s38, s17, s40
	s_mul_i32 s36, s28, s36
	s_sub_u32 s16, s16, s36
	s_cselect_b64 s[36:37], -1, 0
	s_cmp_lg_u64 s[36:37], 0
	s_subb_u32 s41, s38, s29
	s_sub_u32 s44, s16, s28
	s_cselect_b64 s[38:39], -1, 0
	s_cmp_lg_u64 s[38:39], 0
	s_subb_u32 s50, s41, 0
	s_cmp_ge_u32 s50, s29
	s_cselect_b32 s55, -1, 0
	s_cmp_ge_u32 s44, s28
	s_cselect_b32 s82, -1, 0
	s_cmp_eq_u32 s50, s29
	s_cselect_b32 s55, s82, s55
	s_cmp_lg_u64 s[38:39], 0
	s_subb_u32 s41, s41, s29
	s_sub_u32 s82, s44, s28
	s_cselect_b64 s[38:39], -1, 0
	s_cmp_lg_u64 s[38:39], 0
	s_subb_u32 s38, s41, 0
	s_cmp_lg_u32 s55, 0
	s_cselect_b32 s39, s82, s44
	s_cselect_b32 s38, s38, s50
	s_cmp_lg_u64 s[36:37], 0
	s_subb_u32 s17, s17, s40
	s_cmp_ge_u32 s17, s29
	s_cselect_b32 s36, -1, 0
	s_cmp_ge_u32 s16, s28
	s_cselect_b32 s28, -1, 0
	s_cmp_eq_u32 s17, s29
	s_cselect_b32 s28, s28, s36
	s_cmp_lg_u32 s28, 0
	s_cselect_b32 s17, s38, s17
	s_cselect_b32 s16, s39, s16
	s_xor_b64 s[16:17], s[16:17], s[4:5]
	s_sub_u32 s16, s16, s4
	s_subb_u32 s17, s17, s4
	s_cbranch_execnz .LBB12_131
.LBB12_130:                             ;   in Loop: Header=BB12_7 Depth=1
	v_cvt_f32_u32_e32 v4, s33
	s_sub_i32 s4, 0, s33
	v_readlane_b32 s16, v62, 25
	v_rcp_iflag_f32_e32 v4, v4
	v_mul_f32_e32 v4, 0x4f7ffffe, v4
	v_cvt_u32_f32_e32 v4, v4
	v_readfirstlane_b32 s5, v4
	s_mul_i32 s4, s4, s5
	s_mul_hi_u32 s4, s5, s4
	s_add_i32 s5, s5, s4
	s_mul_hi_u32 s4, s16, s5
	s_mul_i32 s4, s4, s33
	s_sub_i32 s4, s16, s4
	s_sub_i32 s5, s4, s33
	s_cmp_ge_u32 s4, s33
	s_cselect_b32 s4, s5, s4
	s_sub_i32 s5, s4, s33
	s_cmp_ge_u32 s4, s33
	s_cselect_b32 s44, s5, s4
	s_mov_b64 s[16:17], s[44:45]
.LBB12_131:                             ;   in Loop: Header=BB12_7 Depth=1
	v_readlane_b32 s4, v62, 25
	s_sub_u32 s38, s4, s16
	s_subb_u32 s39, s51, s17
	v_cmp_gt_i64_e32 vcc, s[38:39], v[0:1]
	s_mov_b64 s[28:29], 0
	s_mov_b64 s[82:83], 0
                                        ; implicit-def: $vgpr44
	s_and_saveexec_b64 s[36:37], vcc
	s_cbranch_execz .LBB12_142
; %bb.132:                              ;   in Loop: Header=BB12_7 Depth=1
	v_mov_b32_e32 v4, v12
	v_mov_b32_e32 v11, v1
	s_mov_b64 s[40:41], 0
	v_mov_b32_e32 v5, v13
	v_mov_b32_e32 v10, v0
                                        ; implicit-def: $sgpr82_sgpr83
	s_branch .LBB12_135
.LBB12_133:                             ;   in Loop: Header=BB12_135 Depth=2
	s_or_b64 exec, exec, s[16:17]
	s_waitcnt lgkmcnt(0)
	s_barrier
	ds_read_u16 v24, v3 offset:3072
	s_mov_b64 s[4:5], -1
	s_waitcnt lgkmcnt(0)
	s_barrier
	v_cmp_ne_u32_sdwa s[16:17], v24, v3 src0_sel:BYTE_0 src1_sel:DWORD
	s_and_b64 vcc, exec, s[16:17]
	s_mov_b64 s[16:17], -1
	s_cbranch_vccz .LBB12_138
.LBB12_134:                             ;   in Loop: Header=BB12_135 Depth=2
	s_and_b64 s[4:5], exec, s[4:5]
	s_or_b64 s[40:41], s[4:5], s[40:41]
	s_andn2_b64 s[4:5], s[82:83], exec
	s_and_b64 s[16:17], s[16:17], exec
	s_or_b64 s[82:83], s[4:5], s[16:17]
	s_andn2_b64 exec, exec, s[40:41]
	s_cbranch_execz .LBB12_141
.LBB12_135:                             ;   Parent Loop BB12_7 Depth=1
                                        ; =>  This Inner Loop Header: Depth=2
	v_cmp_gt_i64_e32 vcc, s[24:25], v[10:11]
	s_and_saveexec_b64 s[16:17], vcc
	s_cbranch_execz .LBB12_133
; %bb.136:                              ;   in Loop: Header=BB12_135 Depth=2
	global_load_ubyte v24, v[4:5], off
	s_waitcnt vmcnt(0)
	v_add_u32_sdwa v25, sext(v24), s13 dst_sel:DWORD dst_unused:UNUSED_PAD src0_sel:BYTE_0 src1_sel:DWORD
	v_and_b32_e32 v25, v25, v43
	v_cmp_eq_u32_e32 vcc, v25, v41
	s_and_b64 exec, exec, vcc
	s_cbranch_execz .LBB12_133
; %bb.137:                              ;   in Loop: Header=BB12_135 Depth=2
	v_lshlrev_b16_e32 v24, 8, v24
	v_or_b32_e32 v24, 1, v24
	ds_write_b16 v3, v24 offset:3072
	s_branch .LBB12_133
.LBB12_138:                             ;   in Loop: Header=BB12_135 Depth=2
	v_add_co_u32_e32 v10, vcc, s33, v10
	v_addc_co_u32_e32 v11, vcc, 0, v11, vcc
	v_mov_b32_e32 v25, s35
	v_add_co_u32_e32 v4, vcc, s56, v4
	v_addc_co_u32_e32 v5, vcc, v5, v25, vcc
	v_cmp_le_i64_e32 vcc, s[38:39], v[10:11]
	s_mov_b64 s[16:17], 0
	s_orn2_b64 s[4:5], vcc, exec
	s_branch .LBB12_134
.LBB12_139:                             ;   in Loop: Header=BB12_7 Depth=1
                                        ; implicit-def: $sgpr16_sgpr17
	s_branch .LBB12_87
.LBB12_140:                             ;   in Loop: Header=BB12_7 Depth=1
                                        ; implicit-def: $sgpr16_sgpr17
	s_branch .LBB12_101
.LBB12_141:                             ;   in Loop: Header=BB12_7 Depth=1
	s_or_b64 exec, exec, s[40:41]
	v_lshrrev_b32_sdwa v44, v42, v24 dst_sel:DWORD dst_unused:UNUSED_PAD src0_sel:DWORD src1_sel:WORD_0
	s_and_b64 s[82:83], s[82:83], exec
.LBB12_142:                             ;   in Loop: Header=BB12_7 Depth=1
	s_or_b64 exec, exec, s[36:37]
.LBB12_143:                             ;   in Loop: Header=BB12_7 Depth=1
	s_and_b64 vcc, exec, s[28:29]
	s_cbranch_vccz .LBB12_157
; %bb.144:                              ;   in Loop: Header=BB12_7 Depth=1
	v_readlane_b32 s4, v62, 24
	s_add_u32 s36, s80, s4
	v_readlane_b32 s4, v62, 26
	s_addc_u32 s7, s81, s4
	s_mov_b32 s6, s45
	s_cmp_lg_u64 s[6:7], 0
	s_cbranch_scc0 .LBB12_186
; %bb.145:                              ;   in Loop: Header=BB12_7 Depth=1
	s_add_u32 s4, s33, 0
	s_addc_u32 s5, 0, 0
	s_xor_b64 s[28:29], s[4:5], 0
	v_cvt_f32_u32_e32 v4, s28
	v_cvt_f32_u32_e32 v5, s29
	s_sub_u32 s6, 0, s28
	s_subb_u32 s16, 0, s29
	v_mac_f32_e32 v4, 0x4f800000, v5
	v_rcp_f32_e32 v4, v4
	v_mul_f32_e32 v4, 0x5f7ffffc, v4
	v_mul_f32_e32 v5, 0x2f800000, v4
	v_trunc_f32_e32 v5, v5
	v_mac_f32_e32 v4, 0xcf800000, v5
	v_cvt_u32_f32_e32 v5, v5
	v_cvt_u32_f32_e32 v4, v4
	v_readfirstlane_b32 s17, v5
	v_readfirstlane_b32 s4, v4
	s_mul_i32 s5, s6, s17
	s_mul_hi_u32 s38, s6, s4
	s_mul_i32 s37, s16, s4
	s_add_i32 s5, s38, s5
	s_mul_i32 s39, s6, s4
	s_add_i32 s5, s5, s37
	s_mul_i32 s38, s4, s5
	s_mul_hi_u32 s40, s4, s39
	s_mul_hi_u32 s37, s4, s5
	s_add_u32 s38, s40, s38
	s_addc_u32 s37, 0, s37
	s_mul_hi_u32 s41, s17, s39
	s_mul_i32 s39, s17, s39
	s_add_u32 s38, s38, s39
	s_mul_hi_u32 s40, s17, s5
	s_addc_u32 s37, s37, s41
	s_addc_u32 s38, s40, 0
	s_mul_i32 s5, s17, s5
	s_add_u32 s5, s37, s5
	s_addc_u32 s37, 0, s38
	s_add_u32 s38, s4, s5
	s_cselect_b64 s[4:5], -1, 0
	s_cmp_lg_u64 s[4:5], 0
	s_addc_u32 s17, s17, s37
	s_mul_i32 s4, s6, s17
	s_mul_hi_u32 s5, s6, s38
	s_add_i32 s4, s5, s4
	s_mul_i32 s16, s16, s38
	s_add_i32 s4, s4, s16
	s_mul_i32 s6, s6, s38
	s_mul_hi_u32 s16, s17, s6
	s_mul_i32 s37, s17, s6
	s_mul_i32 s40, s38, s4
	s_mul_hi_u32 s6, s38, s6
	s_mul_hi_u32 s39, s38, s4
	s_add_u32 s6, s6, s40
	s_addc_u32 s39, 0, s39
	s_add_u32 s6, s6, s37
	s_mul_hi_u32 s5, s17, s4
	s_addc_u32 s6, s39, s16
	s_addc_u32 s5, s5, 0
	s_mul_i32 s4, s17, s4
	s_add_u32 s4, s6, s4
	s_addc_u32 s6, 0, s5
	s_add_u32 s37, s38, s4
	s_cselect_b64 s[4:5], -1, 0
	s_cmp_lg_u64 s[4:5], 0
	s_addc_u32 s6, s17, s6
	s_ashr_i32 s4, s7, 31
	s_add_u32 s16, s36, s4
	s_mov_b32 s5, s4
	s_addc_u32 s17, s7, s4
	s_xor_b64 s[16:17], s[16:17], s[4:5]
	s_mul_i32 s39, s16, s6
	s_mul_hi_u32 s40, s16, s37
	s_mul_hi_u32 s38, s16, s6
	s_add_u32 s39, s40, s39
	s_addc_u32 s38, 0, s38
	s_mul_hi_u32 s41, s17, s37
	s_mul_i32 s37, s17, s37
	s_add_u32 s37, s39, s37
	s_mul_hi_u32 s40, s17, s6
	s_addc_u32 s37, s38, s41
	s_addc_u32 s38, s40, 0
	s_mul_i32 s6, s17, s6
	s_add_u32 s6, s37, s6
	s_addc_u32 s37, 0, s38
	s_mul_i32 s37, s28, s37
	s_mul_hi_u32 s38, s28, s6
	s_add_i32 s37, s38, s37
	s_mul_i32 s38, s29, s6
	s_add_i32 s37, s37, s38
	s_sub_i32 s40, s17, s37
	s_mul_i32 s6, s28, s6
	s_sub_u32 s6, s16, s6
	s_cselect_b64 s[38:39], -1, 0
	s_cmp_lg_u64 s[38:39], 0
	s_subb_u32 s16, s40, s29
	s_sub_u32 s44, s6, s28
	s_cselect_b64 s[40:41], -1, 0
	s_cmp_lg_u64 s[40:41], 0
	s_subb_u32 s50, s16, 0
	s_cmp_ge_u32 s50, s29
	s_cselect_b32 s55, -1, 0
	s_cmp_ge_u32 s44, s28
	s_cselect_b32 s74, -1, 0
	s_cmp_eq_u32 s50, s29
	s_cselect_b32 s55, s74, s55
	s_cmp_lg_u64 s[40:41], 0
	s_subb_u32 s16, s16, s29
	s_sub_u32 s74, s44, s28
	s_cselect_b64 s[40:41], -1, 0
	s_cmp_lg_u64 s[40:41], 0
	s_subb_u32 s16, s16, 0
	s_cmp_lg_u32 s55, 0
	s_cselect_b32 s40, s74, s44
	s_cselect_b32 s16, s16, s50
	s_cmp_lg_u64 s[38:39], 0
	s_subb_u32 s17, s17, s37
	s_cmp_ge_u32 s17, s29
	s_cselect_b32 s37, -1, 0
	s_cmp_ge_u32 s6, s28
	s_cselect_b32 s28, -1, 0
	s_cmp_eq_u32 s17, s29
	s_cselect_b32 s28, s28, s37
	s_cmp_lg_u32 s28, 0
	s_cselect_b32 s17, s16, s17
	s_cselect_b32 s16, s40, s6
	s_xor_b64 s[16:17], s[16:17], s[4:5]
	s_sub_u32 s16, s16, s4
	s_subb_u32 s17, s17, s4
	s_cbranch_execnz .LBB12_147
.LBB12_146:                             ;   in Loop: Header=BB12_7 Depth=1
	v_cvt_f32_u32_e32 v4, s33
	s_sub_i32 s4, 0, s33
	v_rcp_iflag_f32_e32 v4, v4
	v_mul_f32_e32 v4, 0x4f7ffffe, v4
	v_cvt_u32_f32_e32 v4, v4
	v_readfirstlane_b32 s5, v4
	s_mul_i32 s4, s4, s5
	s_mul_hi_u32 s4, s5, s4
	s_add_i32 s5, s5, s4
	s_mul_hi_u32 s4, s36, s5
	s_mul_i32 s4, s4, s33
	s_sub_i32 s4, s36, s4
	s_sub_i32 s5, s4, s33
	s_cmp_ge_u32 s4, s33
	s_cselect_b32 s4, s5, s4
	s_sub_i32 s5, s4, s33
	s_cmp_ge_u32 s4, s33
	s_cselect_b32 s44, s5, s4
	s_mov_b64 s[16:17], s[44:45]
.LBB12_147:                             ;   in Loop: Header=BB12_7 Depth=1
	s_sub_u32 s28, s36, s16
	s_subb_u32 s29, s7, s17
	v_cmp_gt_i64_e32 vcc, s[28:29], v[0:1]
                                        ; implicit-def: $vgpr44
	s_and_saveexec_b64 s[6:7], vcc
	s_cbranch_execz .LBB12_156
; %bb.148:                              ;   in Loop: Header=BB12_7 Depth=1
	v_mov_b32_e32 v5, v1
	s_mov_b64 s[16:17], 0
	v_mov_b32_e32 v10, v0
	v_mov_b32_e32 v4, v0
                                        ; implicit-def: $sgpr36_sgpr37
	s_branch .LBB12_151
.LBB12_149:                             ;   in Loop: Header=BB12_151 Depth=2
	s_or_b64 exec, exec, s[38:39]
	s_waitcnt lgkmcnt(0)
	s_barrier
	ds_read_u16 v11, v3 offset:3072
	s_mov_b64 s[4:5], -1
	s_waitcnt lgkmcnt(0)
	s_barrier
	v_cmp_eq_u32_sdwa s[38:39], v11, v3 src0_sel:BYTE_0 src1_sel:DWORD
	s_and_b64 vcc, exec, s[38:39]
	s_mov_b64 s[38:39], -1
	s_cbranch_vccnz .LBB12_154
.LBB12_150:                             ;   in Loop: Header=BB12_151 Depth=2
	s_and_b64 s[4:5], exec, s[4:5]
	s_or_b64 s[16:17], s[4:5], s[16:17]
	s_andn2_b64 s[4:5], s[36:37], exec
	s_and_b64 s[36:37], s[38:39], exec
	s_or_b64 s[36:37], s[4:5], s[36:37]
	s_andn2_b64 exec, exec, s[16:17]
	s_cbranch_execz .LBB12_155
.LBB12_151:                             ;   Parent Loop BB12_7 Depth=1
                                        ; =>  This Inner Loop Header: Depth=2
	v_cmp_gt_u64_e32 vcc, s[80:81], v[4:5]
	s_and_saveexec_b64 s[38:39], vcc
	s_cbranch_execz .LBB12_149
; %bb.152:                              ;   in Loop: Header=BB12_151 Depth=2
	ds_read_u8 v11, v10
	s_waitcnt lgkmcnt(0)
	v_add_u32_sdwa v24, sext(v11), s13 dst_sel:DWORD dst_unused:UNUSED_PAD src0_sel:BYTE_0 src1_sel:DWORD
	v_and_b32_e32 v24, v24, v43
	v_cmp_eq_u32_e32 vcc, v24, v41
	s_and_b64 exec, exec, vcc
	s_cbranch_execz .LBB12_149
; %bb.153:                              ;   in Loop: Header=BB12_151 Depth=2
	v_lshlrev_b16_e32 v11, 8, v11
	v_or_b32_e32 v11, 1, v11
	ds_write_b16 v3, v11 offset:3072
	s_branch .LBB12_149
.LBB12_154:                             ;   in Loop: Header=BB12_151 Depth=2
	v_add_co_u32_e32 v4, vcc, s33, v4
	v_addc_co_u32_e32 v5, vcc, 0, v5, vcc
	v_cmp_le_i64_e32 vcc, s[28:29], v[4:5]
	v_add_u32_e32 v10, s33, v10
	s_mov_b64 s[38:39], 0
	s_orn2_b64 s[4:5], vcc, exec
	s_branch .LBB12_150
.LBB12_155:                             ;   in Loop: Header=BB12_7 Depth=1
	s_or_b64 exec, exec, s[16:17]
	s_andn2_b64 s[4:5], s[82:83], exec
	s_and_b64 s[16:17], s[36:37], exec
	v_lshrrev_b32_sdwa v44, v42, v11 dst_sel:DWORD dst_unused:UNUSED_PAD src0_sel:DWORD src1_sel:WORD_0
	s_or_b64 s[82:83], s[4:5], s[16:17]
.LBB12_156:                             ;   in Loop: Header=BB12_7 Depth=1
	s_or_b64 exec, exec, s[6:7]
	s_mov_b64 s[6:7], 0
	s_mov_b64 s[74:75], -1
.LBB12_157:                             ;   in Loop: Header=BB12_7 Depth=1
	s_orn2_b64 s[16:17], s[82:83], exec
.LBB12_158:                             ;   in Loop: Header=BB12_7 Depth=1
	s_or_b64 exec, exec, s[76:77]
	s_mov_b64 s[28:29], 0
	s_and_saveexec_b64 s[76:77], s[16:17]
	s_cbranch_execz .LBB12_264
; %bb.159:                              ;   in Loop: Header=BB12_7 Depth=1
	v_mov_b32_e32 v4, 1
	s_xor_b64 s[4:5], s[78:79], -1
	v_mov_b32_e32 v2, 1
	v_mov_b32_e32 v5, 0
	s_mov_b64 s[36:37], 0
	s_and_saveexec_b64 s[28:29], s[4:5]
	s_cbranch_execz .LBB12_169
; %bb.160:                              ;   in Loop: Header=BB12_7 Depth=1
	v_cmp_le_i64_e32 vcc, v[8:9], v[6:7]
	s_and_saveexec_b64 s[4:5], vcc
	s_xor_b64 s[16:17], exec, s[4:5]
	s_cbranch_execz .LBB12_166
; %bb.161:                              ;   in Loop: Header=BB12_7 Depth=1
	ds_read_b64 v[4:5], v3 offset:5120
	v_and_b32_e32 v2, s54, v41
	v_lshl_or_b32 v41, 1, s12, v2
	v_or_b32_e32 v43, s9, v43
	s_waitcnt lgkmcnt(0)
	v_cmp_ne_u64_e32 vcc, 0, v[4:5]
	s_cbranch_vccnz .LBB12_165
; %bb.162:                              ;   in Loop: Header=BB12_7 Depth=1
	s_mov_b64 s[4:5], exec
	v_readlane_b32 s36, v62, 8
	v_readlane_b32 s37, v62, 9
	s_and_b64 s[36:37], s[4:5], s[36:37]
	s_mov_b64 exec, s[36:37]
; %bb.163:                              ;   in Loop: Header=BB12_7 Depth=1
	ds_write_b64 v3, v[6:7] offset:5128
; %bb.164:                              ;   in Loop: Header=BB12_7 Depth=1
	s_or_b64 exec, exec, s[4:5]
	s_waitcnt lgkmcnt(0)
	s_barrier
.LBB12_165:                             ;   in Loop: Header=BB12_7 Depth=1
                                        ; implicit-def: $vgpr4_vgpr5_vgpr6_vgpr7
.LBB12_166:                             ;   in Loop: Header=BB12_7 Depth=1
	s_or_saveexec_b64 s[16:17], s[16:17]
	s_mov_b64 s[36:37], 0
	v_mov_b32_e32 v2, 8
	s_xor_b64 exec, exec, s[16:17]
; %bb.167:                              ;   in Loop: Header=BB12_7 Depth=1
	v_sub_co_u32_e32 v8, vcc, v8, v6
	v_subb_co_u32_e32 v9, vcc, v9, v7, vcc
	v_mov_b32_e32 v2, 0
	s_mov_b64 s[36:37], exec
; %bb.168:                              ;   in Loop: Header=BB12_7 Depth=1
	s_or_b64 exec, exec, s[16:17]
	v_mov_b32_e32 v4, v8
	s_and_b64 s[36:37], s[36:37], exec
	v_mov_b32_e32 v5, v9
.LBB12_169:                             ;   in Loop: Header=BB12_7 Depth=1
	s_or_b64 exec, exec, s[28:29]
	s_mov_b64 s[16:17], -1
                                        ; implicit-def: $sgpr80_sgpr81
                                        ; implicit-def: $sgpr82_sgpr83
	s_and_saveexec_b64 s[78:79], s[36:37]
	s_cbranch_execz .LBB12_263
; %bb.170:                              ;   in Loop: Header=BB12_7 Depth=1
	s_cmp_eq_u64 s[26:27], 1
	v_cmp_eq_u64_e32 vcc, 1, v[4:5]
	s_cselect_b64 s[4:5], -1, 0
	s_and_b64 s[86:87], s[4:5], vcc
                                        ; implicit-def: $sgpr82_sgpr83
                                        ; implicit-def: $sgpr80_sgpr81
	s_and_saveexec_b64 s[84:85], s[86:87]
	s_cbranch_execz .LBB12_204
; %bb.171:                              ;   in Loop: Header=BB12_7 Depth=1
	ds_read_b64 v[6:7], v3 offset:5120
	s_waitcnt lgkmcnt(0)
	s_barrier
	v_readfirstlane_b32 s88, v6
	v_readfirstlane_b32 s89, v7
	s_mov_b64 s[4:5], exec
	v_readlane_b32 s16, v62, 18
	v_readlane_b32 s17, v62, 19
	s_and_b64 s[16:17], s[4:5], s[16:17]
	s_mov_b64 exec, s[16:17]
; %bb.172:                              ;   in Loop: Header=BB12_7 Depth=1
	ds_write_b8 v0, v3 offset:3072
; %bb.173:                              ;   in Loop: Header=BB12_7 Depth=1
	s_or_b64 exec, exec, s[4:5]
	v_cmp_gt_i64_e64 s[4:5], s[88:89], 0
	v_and_b32_e32 v6, s54, v41
	v_lshl_or_b32 v41, 2, s12, v6
	v_or_b32_e32 v43, s9, v43
	s_mov_b64 s[80:81], -1
	s_mov_b64 s[82:83], 0
	s_and_b64 vcc, exec, s[4:5]
	s_mov_b64 s[90:91], 0
	s_mov_b64 s[28:29], -1
	s_waitcnt lgkmcnt(0)
	s_barrier
                                        ; implicit-def: $vgpr44
	s_cbranch_vccnz .LBB12_189
; %bb.174:                              ;   in Loop: Header=BB12_7 Depth=1
	s_mov_b32 s50, s45
	s_cmp_lg_u64 s[50:51], 0
	s_cbranch_scc0 .LBB12_230
; %bb.175:                              ;   in Loop: Header=BB12_7 Depth=1
	s_add_u32 s4, s33, 0
	s_addc_u32 s5, 0, 0
	s_xor_b64 s[28:29], s[4:5], 0
	v_cvt_f32_u32_e32 v6, s28
	v_cvt_f32_u32_e32 v7, s29
	s_sub_u32 s16, 0, s28
	s_subb_u32 s17, 0, s29
	v_mac_f32_e32 v6, 0x4f800000, v7
	v_rcp_f32_e32 v6, v6
	v_mul_f32_e32 v6, 0x5f7ffffc, v6
	v_mul_f32_e32 v7, 0x2f800000, v6
	v_trunc_f32_e32 v7, v7
	v_mac_f32_e32 v6, 0xcf800000, v7
	v_cvt_u32_f32_e32 v7, v7
	v_cvt_u32_f32_e32 v6, v6
	v_readfirstlane_b32 s36, v7
	v_readfirstlane_b32 s4, v6
	s_mul_i32 s5, s16, s36
	s_mul_hi_u32 s38, s16, s4
	s_mul_i32 s37, s17, s4
	s_add_i32 s5, s38, s5
	s_mul_i32 s39, s16, s4
	s_add_i32 s5, s5, s37
	s_mul_i32 s38, s4, s5
	s_mul_hi_u32 s40, s4, s39
	s_mul_hi_u32 s37, s4, s5
	s_add_u32 s38, s40, s38
	s_addc_u32 s37, 0, s37
	s_mul_hi_u32 s41, s36, s39
	s_mul_i32 s39, s36, s39
	s_add_u32 s38, s38, s39
	s_mul_hi_u32 s40, s36, s5
	s_addc_u32 s37, s37, s41
	s_addc_u32 s38, s40, 0
	s_mul_i32 s5, s36, s5
	s_add_u32 s5, s37, s5
	s_addc_u32 s37, 0, s38
	s_add_u32 s38, s4, s5
	s_cselect_b64 s[4:5], -1, 0
	s_cmp_lg_u64 s[4:5], 0
	s_addc_u32 s36, s36, s37
	s_mul_i32 s4, s16, s36
	s_mul_hi_u32 s5, s16, s38
	s_add_i32 s4, s5, s4
	s_mul_i32 s17, s17, s38
	s_add_i32 s4, s4, s17
	s_mul_i32 s16, s16, s38
	s_mul_hi_u32 s17, s36, s16
	s_mul_i32 s37, s36, s16
	s_mul_i32 s40, s38, s4
	s_mul_hi_u32 s16, s38, s16
	s_mul_hi_u32 s39, s38, s4
	s_add_u32 s16, s16, s40
	s_addc_u32 s39, 0, s39
	s_add_u32 s16, s16, s37
	s_mul_hi_u32 s5, s36, s4
	s_addc_u32 s16, s39, s17
	s_addc_u32 s5, s5, 0
	s_mul_i32 s4, s36, s4
	s_add_u32 s4, s16, s4
	s_addc_u32 s16, 0, s5
	s_add_u32 s37, s38, s4
	s_cselect_b64 s[4:5], -1, 0
	s_cmp_lg_u64 s[4:5], 0
	s_addc_u32 s36, s36, s16
	s_ashr_i32 s4, s51, 31
	v_readlane_b32 s16, v62, 25
	s_add_u32 s16, s16, s4
	s_mov_b32 s5, s4
	s_addc_u32 s17, s51, s4
	s_xor_b64 s[16:17], s[16:17], s[4:5]
	s_mul_i32 s39, s16, s36
	s_mul_hi_u32 s40, s16, s37
	s_mul_hi_u32 s38, s16, s36
	s_add_u32 s39, s40, s39
	s_addc_u32 s38, 0, s38
	s_mul_hi_u32 s41, s17, s37
	s_mul_i32 s37, s17, s37
	s_add_u32 s37, s39, s37
	s_mul_hi_u32 s40, s17, s36
	s_addc_u32 s37, s38, s41
	s_addc_u32 s38, s40, 0
	s_mul_i32 s36, s17, s36
	s_add_u32 s36, s37, s36
	s_addc_u32 s37, 0, s38
	s_mul_i32 s37, s28, s37
	s_mul_hi_u32 s38, s28, s36
	s_add_i32 s37, s38, s37
	s_mul_i32 s38, s29, s36
	s_add_i32 s40, s37, s38
	s_sub_i32 s38, s17, s40
	s_mul_i32 s36, s28, s36
	s_sub_u32 s16, s16, s36
	s_cselect_b64 s[36:37], -1, 0
	s_cmp_lg_u64 s[36:37], 0
	s_subb_u32 s41, s38, s29
	s_sub_u32 s44, s16, s28
	s_cselect_b64 s[38:39], -1, 0
	s_cmp_lg_u64 s[38:39], 0
	s_subb_u32 s50, s41, 0
	s_cmp_ge_u32 s50, s29
	s_cselect_b32 s55, -1, 0
	s_cmp_ge_u32 s44, s28
	s_cselect_b32 s90, -1, 0
	s_cmp_eq_u32 s50, s29
	s_cselect_b32 s55, s90, s55
	s_cmp_lg_u64 s[38:39], 0
	s_subb_u32 s41, s41, s29
	s_sub_u32 s90, s44, s28
	s_cselect_b64 s[38:39], -1, 0
	s_cmp_lg_u64 s[38:39], 0
	s_subb_u32 s38, s41, 0
	s_cmp_lg_u32 s55, 0
	s_cselect_b32 s39, s90, s44
	s_cselect_b32 s38, s38, s50
	s_cmp_lg_u64 s[36:37], 0
	s_subb_u32 s17, s17, s40
	s_cmp_ge_u32 s17, s29
	s_cselect_b32 s36, -1, 0
	s_cmp_ge_u32 s16, s28
	s_cselect_b32 s28, -1, 0
	s_cmp_eq_u32 s17, s29
	s_cselect_b32 s28, s28, s36
	s_cmp_lg_u32 s28, 0
	s_cselect_b32 s17, s38, s17
	s_cselect_b32 s16, s39, s16
	s_xor_b64 s[16:17], s[16:17], s[4:5]
	s_sub_u32 s16, s16, s4
	s_subb_u32 s17, s17, s4
	s_cbranch_execnz .LBB12_177
.LBB12_176:                             ;   in Loop: Header=BB12_7 Depth=1
	v_cvt_f32_u32_e32 v6, s33
	s_sub_i32 s4, 0, s33
	v_readlane_b32 s16, v62, 25
	v_rcp_iflag_f32_e32 v6, v6
	v_mul_f32_e32 v6, 0x4f7ffffe, v6
	v_cvt_u32_f32_e32 v6, v6
	v_readfirstlane_b32 s5, v6
	s_mul_i32 s4, s4, s5
	s_mul_hi_u32 s4, s5, s4
	s_add_i32 s5, s5, s4
	s_mul_hi_u32 s4, s16, s5
	s_mul_i32 s4, s4, s33
	s_sub_i32 s4, s16, s4
	s_sub_i32 s5, s4, s33
	s_cmp_ge_u32 s4, s33
	s_cselect_b32 s4, s5, s4
	s_sub_i32 s5, s4, s33
	s_cmp_ge_u32 s4, s33
	s_cselect_b32 s44, s5, s4
	s_mov_b64 s[16:17], s[44:45]
.LBB12_177:                             ;   in Loop: Header=BB12_7 Depth=1
	v_readlane_b32 s4, v62, 25
	s_sub_u32 s38, s4, s16
	s_subb_u32 s39, s51, s17
	v_cmp_gt_i64_e32 vcc, s[38:39], v[0:1]
	s_mov_b64 s[28:29], 0
	s_mov_b64 s[90:91], 0
                                        ; implicit-def: $vgpr44
	s_and_saveexec_b64 s[36:37], vcc
	s_cbranch_execz .LBB12_188
; %bb.178:                              ;   in Loop: Header=BB12_7 Depth=1
	v_mov_b32_e32 v6, v12
	v_mov_b32_e32 v9, v1
	s_mov_b64 s[40:41], 0
	v_mov_b32_e32 v7, v13
	v_mov_b32_e32 v8, v0
                                        ; implicit-def: $sgpr90_sgpr91
	s_branch .LBB12_181
.LBB12_179:                             ;   in Loop: Header=BB12_181 Depth=2
	s_or_b64 exec, exec, s[16:17]
	s_waitcnt lgkmcnt(0)
	s_barrier
	ds_read_u16 v10, v3 offset:3072
	s_mov_b64 s[4:5], -1
	s_waitcnt lgkmcnt(0)
	s_barrier
	v_cmp_ne_u32_sdwa s[16:17], v10, v3 src0_sel:BYTE_0 src1_sel:DWORD
	s_and_b64 vcc, exec, s[16:17]
	s_mov_b64 s[16:17], -1
	s_cbranch_vccz .LBB12_184
.LBB12_180:                             ;   in Loop: Header=BB12_181 Depth=2
	s_and_b64 s[4:5], exec, s[4:5]
	s_or_b64 s[40:41], s[4:5], s[40:41]
	s_andn2_b64 s[4:5], s[90:91], exec
	s_and_b64 s[16:17], s[16:17], exec
	s_or_b64 s[90:91], s[4:5], s[16:17]
	s_andn2_b64 exec, exec, s[40:41]
	s_cbranch_execz .LBB12_187
.LBB12_181:                             ;   Parent Loop BB12_7 Depth=1
                                        ; =>  This Inner Loop Header: Depth=2
	v_cmp_gt_i64_e32 vcc, s[24:25], v[8:9]
	s_and_saveexec_b64 s[16:17], vcc
	s_cbranch_execz .LBB12_179
; %bb.182:                              ;   in Loop: Header=BB12_181 Depth=2
	global_load_ubyte v10, v[6:7], off
	s_waitcnt vmcnt(0)
	v_add_u32_sdwa v11, sext(v10), s13 dst_sel:DWORD dst_unused:UNUSED_PAD src0_sel:BYTE_0 src1_sel:DWORD
	v_and_b32_e32 v11, v11, v43
	v_cmp_eq_u32_e32 vcc, v11, v41
	s_and_b64 exec, exec, vcc
	s_cbranch_execz .LBB12_179
; %bb.183:                              ;   in Loop: Header=BB12_181 Depth=2
	v_lshlrev_b16_e32 v10, 8, v10
	v_or_b32_e32 v10, 1, v10
	ds_write_b16 v3, v10 offset:3072
	s_branch .LBB12_179
.LBB12_184:                             ;   in Loop: Header=BB12_181 Depth=2
	v_add_co_u32_e32 v8, vcc, s33, v8
	v_addc_co_u32_e32 v9, vcc, 0, v9, vcc
	v_mov_b32_e32 v11, s35
	v_add_co_u32_e32 v6, vcc, s56, v6
	v_addc_co_u32_e32 v7, vcc, v7, v11, vcc
	v_cmp_le_i64_e32 vcc, s[38:39], v[8:9]
	s_mov_b64 s[16:17], 0
	s_orn2_b64 s[4:5], vcc, exec
	s_branch .LBB12_180
.LBB12_185:                             ;   in Loop: Header=BB12_7 Depth=1
                                        ; implicit-def: $sgpr16_sgpr17
	s_branch .LBB12_130
.LBB12_186:                             ;   in Loop: Header=BB12_7 Depth=1
                                        ; implicit-def: $sgpr16_sgpr17
	s_branch .LBB12_146
.LBB12_187:                             ;   in Loop: Header=BB12_7 Depth=1
	s_or_b64 exec, exec, s[40:41]
	v_lshrrev_b32_sdwa v44, v42, v10 dst_sel:DWORD dst_unused:UNUSED_PAD src0_sel:DWORD src1_sel:WORD_0
	s_and_b64 s[90:91], s[90:91], exec
.LBB12_188:                             ;   in Loop: Header=BB12_7 Depth=1
	s_or_b64 exec, exec, s[36:37]
.LBB12_189:                             ;   in Loop: Header=BB12_7 Depth=1
	s_and_b64 vcc, exec, s[28:29]
	s_cbranch_vccz .LBB12_203
; %bb.190:                              ;   in Loop: Header=BB12_7 Depth=1
	v_readlane_b32 s4, v62, 24
	s_add_u32 s36, s88, s4
	v_readlane_b32 s4, v62, 26
	s_addc_u32 s29, s89, s4
	s_mov_b32 s28, s45
	s_cmp_lg_u64 s[28:29], 0
	s_cbranch_scc0 .LBB12_231
; %bb.191:                              ;   in Loop: Header=BB12_7 Depth=1
	s_add_u32 s4, s33, 0
	s_addc_u32 s5, 0, 0
	s_xor_b64 s[80:81], s[4:5], 0
	v_cvt_f32_u32_e32 v6, s80
	v_cvt_f32_u32_e32 v7, s81
	s_sub_u32 s16, 0, s80
	s_subb_u32 s17, 0, s81
	v_mac_f32_e32 v6, 0x4f800000, v7
	v_rcp_f32_e32 v6, v6
	v_mul_f32_e32 v6, 0x5f7ffffc, v6
	v_mul_f32_e32 v7, 0x2f800000, v6
	v_trunc_f32_e32 v7, v7
	v_mac_f32_e32 v6, 0xcf800000, v7
	v_cvt_u32_f32_e32 v7, v7
	v_cvt_u32_f32_e32 v6, v6
	v_readfirstlane_b32 s28, v7
	v_readfirstlane_b32 s4, v6
	s_mul_i32 s5, s16, s28
	s_mul_hi_u32 s38, s16, s4
	s_mul_i32 s37, s17, s4
	s_add_i32 s5, s38, s5
	s_mul_i32 s39, s16, s4
	s_add_i32 s5, s5, s37
	s_mul_i32 s38, s4, s5
	s_mul_hi_u32 s40, s4, s39
	s_mul_hi_u32 s37, s4, s5
	s_add_u32 s38, s40, s38
	s_addc_u32 s37, 0, s37
	s_mul_hi_u32 s41, s28, s39
	s_mul_i32 s39, s28, s39
	s_add_u32 s38, s38, s39
	s_mul_hi_u32 s40, s28, s5
	s_addc_u32 s37, s37, s41
	s_addc_u32 s38, s40, 0
	s_mul_i32 s5, s28, s5
	s_add_u32 s5, s37, s5
	s_addc_u32 s37, 0, s38
	s_add_u32 s38, s4, s5
	s_cselect_b64 s[4:5], -1, 0
	s_cmp_lg_u64 s[4:5], 0
	s_addc_u32 s28, s28, s37
	s_mul_i32 s4, s16, s28
	s_mul_hi_u32 s5, s16, s38
	s_add_i32 s4, s5, s4
	s_mul_i32 s17, s17, s38
	s_add_i32 s4, s4, s17
	s_mul_i32 s16, s16, s38
	s_mul_hi_u32 s17, s28, s16
	s_mul_i32 s37, s28, s16
	s_mul_i32 s40, s38, s4
	s_mul_hi_u32 s16, s38, s16
	s_mul_hi_u32 s39, s38, s4
	s_add_u32 s16, s16, s40
	s_addc_u32 s39, 0, s39
	s_add_u32 s16, s16, s37
	s_mul_hi_u32 s5, s28, s4
	s_addc_u32 s16, s39, s17
	s_addc_u32 s5, s5, 0
	s_mul_i32 s4, s28, s4
	s_add_u32 s4, s16, s4
	s_addc_u32 s16, 0, s5
	s_add_u32 s37, s38, s4
	s_cselect_b64 s[4:5], -1, 0
	s_cmp_lg_u64 s[4:5], 0
	s_addc_u32 s28, s28, s16
	s_ashr_i32 s4, s29, 31
	s_add_u32 s16, s36, s4
	s_mov_b32 s5, s4
	s_addc_u32 s17, s29, s4
	s_xor_b64 s[16:17], s[16:17], s[4:5]
	s_mul_i32 s39, s16, s28
	s_mul_hi_u32 s40, s16, s37
	s_mul_hi_u32 s38, s16, s28
	s_add_u32 s39, s40, s39
	s_addc_u32 s38, 0, s38
	s_mul_hi_u32 s41, s17, s37
	s_mul_i32 s37, s17, s37
	s_add_u32 s37, s39, s37
	s_mul_hi_u32 s40, s17, s28
	s_addc_u32 s37, s38, s41
	s_addc_u32 s38, s40, 0
	s_mul_i32 s28, s17, s28
	s_add_u32 s28, s37, s28
	s_addc_u32 s37, 0, s38
	s_mul_i32 s37, s80, s37
	s_mul_hi_u32 s38, s80, s28
	s_add_i32 s37, s38, s37
	s_mul_i32 s38, s81, s28
	s_add_i32 s37, s37, s38
	s_sub_i32 s40, s17, s37
	s_mul_i32 s28, s80, s28
	s_sub_u32 s16, s16, s28
	s_cselect_b64 s[38:39], -1, 0
	s_cmp_lg_u64 s[38:39], 0
	s_subb_u32 s28, s40, s81
	s_sub_u32 s44, s16, s80
	s_cselect_b64 s[40:41], -1, 0
	s_cmp_lg_u64 s[40:41], 0
	s_subb_u32 s50, s28, 0
	s_cmp_ge_u32 s50, s81
	s_cselect_b32 s55, -1, 0
	s_cmp_ge_u32 s44, s80
	s_cselect_b32 s82, -1, 0
	s_cmp_eq_u32 s50, s81
	s_cselect_b32 s55, s82, s55
	s_cmp_lg_u64 s[40:41], 0
	s_subb_u32 s28, s28, s81
	s_sub_u32 s82, s44, s80
	s_cselect_b64 s[40:41], -1, 0
	s_cmp_lg_u64 s[40:41], 0
	s_subb_u32 s28, s28, 0
	s_cmp_lg_u32 s55, 0
	s_cselect_b32 s40, s82, s44
	s_cselect_b32 s28, s28, s50
	s_cmp_lg_u64 s[38:39], 0
	s_subb_u32 s17, s17, s37
	s_cmp_ge_u32 s17, s81
	s_cselect_b32 s37, -1, 0
	s_cmp_ge_u32 s16, s80
	s_cselect_b32 s38, -1, 0
	s_cmp_eq_u32 s17, s81
	s_cselect_b32 s37, s38, s37
	s_cmp_lg_u32 s37, 0
	s_cselect_b32 s17, s28, s17
	s_cselect_b32 s16, s40, s16
	s_xor_b64 s[16:17], s[16:17], s[4:5]
	s_sub_u32 s16, s16, s4
	s_subb_u32 s17, s17, s4
	s_cbranch_execnz .LBB12_193
.LBB12_192:                             ;   in Loop: Header=BB12_7 Depth=1
	v_cvt_f32_u32_e32 v6, s33
	s_sub_i32 s4, 0, s33
	v_rcp_iflag_f32_e32 v6, v6
	v_mul_f32_e32 v6, 0x4f7ffffe, v6
	v_cvt_u32_f32_e32 v6, v6
	v_readfirstlane_b32 s5, v6
	s_mul_i32 s4, s4, s5
	s_mul_hi_u32 s4, s5, s4
	s_add_i32 s5, s5, s4
	s_mul_hi_u32 s4, s36, s5
	s_mul_i32 s4, s4, s33
	s_sub_i32 s4, s36, s4
	s_sub_i32 s5, s4, s33
	s_cmp_ge_u32 s4, s33
	s_cselect_b32 s4, s5, s4
	s_sub_i32 s5, s4, s33
	s_cmp_ge_u32 s4, s33
	s_cselect_b32 s44, s5, s4
	s_mov_b64 s[16:17], s[44:45]
.LBB12_193:                             ;   in Loop: Header=BB12_7 Depth=1
	s_sub_u32 s36, s36, s16
	s_subb_u32 s37, s29, s17
	v_cmp_gt_i64_e32 vcc, s[36:37], v[0:1]
                                        ; implicit-def: $vgpr44
	s_and_saveexec_b64 s[28:29], vcc
	s_cbranch_execz .LBB12_202
; %bb.194:                              ;   in Loop: Header=BB12_7 Depth=1
	v_mov_b32_e32 v7, v1
	s_mov_b64 s[16:17], 0
	v_mov_b32_e32 v8, v0
	v_mov_b32_e32 v6, v0
                                        ; implicit-def: $sgpr38_sgpr39
	s_branch .LBB12_197
.LBB12_195:                             ;   in Loop: Header=BB12_197 Depth=2
	s_or_b64 exec, exec, s[40:41]
	s_waitcnt lgkmcnt(0)
	s_barrier
	ds_read_u16 v9, v3 offset:3072
	s_mov_b64 s[4:5], -1
	s_waitcnt lgkmcnt(0)
	s_barrier
	v_cmp_eq_u32_sdwa s[40:41], v9, v3 src0_sel:BYTE_0 src1_sel:DWORD
	s_and_b64 vcc, exec, s[40:41]
	s_mov_b64 s[40:41], -1
	s_cbranch_vccnz .LBB12_200
.LBB12_196:                             ;   in Loop: Header=BB12_197 Depth=2
	s_and_b64 s[4:5], exec, s[4:5]
	s_or_b64 s[16:17], s[4:5], s[16:17]
	s_andn2_b64 s[4:5], s[38:39], exec
	s_and_b64 s[38:39], s[40:41], exec
	s_or_b64 s[38:39], s[4:5], s[38:39]
	s_andn2_b64 exec, exec, s[16:17]
	s_cbranch_execz .LBB12_201
.LBB12_197:                             ;   Parent Loop BB12_7 Depth=1
                                        ; =>  This Inner Loop Header: Depth=2
	v_cmp_gt_u64_e32 vcc, s[88:89], v[6:7]
	s_and_saveexec_b64 s[40:41], vcc
	s_cbranch_execz .LBB12_195
; %bb.198:                              ;   in Loop: Header=BB12_197 Depth=2
	ds_read_u8 v9, v8
	s_waitcnt lgkmcnt(0)
	v_add_u32_sdwa v10, sext(v9), s13 dst_sel:DWORD dst_unused:UNUSED_PAD src0_sel:BYTE_0 src1_sel:DWORD
	v_and_b32_e32 v10, v10, v43
	v_cmp_eq_u32_e32 vcc, v10, v41
	s_and_b64 exec, exec, vcc
	s_cbranch_execz .LBB12_195
; %bb.199:                              ;   in Loop: Header=BB12_197 Depth=2
	v_lshlrev_b16_e32 v9, 8, v9
	v_or_b32_e32 v9, 1, v9
	ds_write_b16 v3, v9 offset:3072
	s_branch .LBB12_195
.LBB12_200:                             ;   in Loop: Header=BB12_197 Depth=2
	v_add_co_u32_e32 v6, vcc, s33, v6
	v_addc_co_u32_e32 v7, vcc, 0, v7, vcc
	v_cmp_le_i64_e32 vcc, s[36:37], v[6:7]
	v_add_u32_e32 v8, s33, v8
	s_mov_b64 s[40:41], 0
	s_orn2_b64 s[4:5], vcc, exec
	s_branch .LBB12_196
.LBB12_201:                             ;   in Loop: Header=BB12_7 Depth=1
	s_or_b64 exec, exec, s[16:17]
	s_andn2_b64 s[4:5], s[90:91], exec
	s_and_b64 s[16:17], s[38:39], exec
	v_lshrrev_b32_sdwa v44, v42, v9 dst_sel:DWORD dst_unused:UNUSED_PAD src0_sel:DWORD src1_sel:WORD_0
	s_or_b64 s[90:91], s[4:5], s[16:17]
.LBB12_202:                             ;   in Loop: Header=BB12_7 Depth=1
	s_or_b64 exec, exec, s[28:29]
	s_mov_b64 s[80:81], 0
	s_mov_b64 s[82:83], -1
.LBB12_203:                             ;   in Loop: Header=BB12_7 Depth=1
	s_orn2_b64 s[16:17], s[90:91], exec
.LBB12_204:                             ;   in Loop: Header=BB12_7 Depth=1
	s_or_b64 exec, exec, s[84:85]
	s_mov_b64 s[28:29], 0
	s_and_saveexec_b64 s[84:85], s[16:17]
	s_cbranch_execz .LBB12_262
; %bb.205:                              ;   in Loop: Header=BB12_7 Depth=1
	v_mov_b32_e32 v6, 1
	s_xor_b64 s[4:5], s[86:87], -1
	v_mov_b32_e32 v2, 1
	v_mov_b32_e32 v7, 0
	s_mov_b64 s[36:37], 0
	s_and_saveexec_b64 s[28:29], s[4:5]
	s_cbranch_execz .LBB12_214
; %bb.206:                              ;   in Loop: Header=BB12_7 Depth=1
	v_cmp_ge_i64_e32 vcc, s[26:27], v[4:5]
	s_and_saveexec_b64 s[4:5], vcc
	s_xor_b64 s[16:17], exec, s[4:5]
	s_cbranch_execz .LBB12_211
; %bb.207:                              ;   in Loop: Header=BB12_7 Depth=1
	ds_read_b64 v[6:7], v3 offset:5120
	v_and_b32_e32 v2, s54, v41
	v_lshl_or_b32 v41, 2, s12, v2
	v_or_b32_e32 v43, s9, v43
	s_waitcnt lgkmcnt(0)
	v_cmp_ne_u64_e32 vcc, 0, v[6:7]
	s_cbranch_vccnz .LBB12_211
; %bb.208:                              ;   in Loop: Header=BB12_7 Depth=1
	s_mov_b64 s[4:5], exec
	v_readlane_b32 s36, v62, 8
	v_readlane_b32 s37, v62, 9
	s_and_b64 s[36:37], s[4:5], s[36:37]
	s_mov_b64 exec, s[36:37]
; %bb.209:                              ;   in Loop: Header=BB12_7 Depth=1
	v_mov_b32_e32 v6, s26
	v_mov_b32_e32 v7, s27
	ds_write_b64 v3, v[6:7] offset:5128
; %bb.210:                              ;   in Loop: Header=BB12_7 Depth=1
	s_or_b64 exec, exec, s[4:5]
	s_waitcnt lgkmcnt(0)
	s_barrier
.LBB12_211:                             ;   in Loop: Header=BB12_7 Depth=1
	s_or_saveexec_b64 s[16:17], s[16:17]
	s_mov_b64 s[36:37], 0
	v_mov_b32_e32 v2, 8
	s_xor_b64 exec, exec, s[16:17]
; %bb.212:                              ;   in Loop: Header=BB12_7 Depth=1
	v_subrev_co_u32_e32 v4, vcc, s26, v4
	v_mov_b32_e32 v2, s27
	v_subb_co_u32_e32 v5, vcc, v5, v2, vcc
	v_mov_b32_e32 v2, 0
	s_mov_b64 s[36:37], exec
; %bb.213:                              ;   in Loop: Header=BB12_7 Depth=1
	s_or_b64 exec, exec, s[16:17]
	v_mov_b32_e32 v7, v5
	s_and_b64 s[36:37], s[36:37], exec
	v_mov_b32_e32 v6, v4
.LBB12_214:                             ;   in Loop: Header=BB12_7 Depth=1
	s_or_b64 exec, exec, s[28:29]
	s_mov_b64 s[16:17], -1
                                        ; implicit-def: $sgpr94_sgpr95
                                        ; implicit-def: $sgpr86_sgpr87
	s_and_saveexec_b64 s[26:27], s[36:37]
	s_cbranch_execz .LBB12_261
; %bb.215:                              ;   in Loop: Header=BB12_7 Depth=1
	s_cmp_eq_u64 s[14:15], 1
	v_cmp_eq_u64_e32 vcc, 1, v[6:7]
	s_cselect_b64 s[4:5], -1, 0
	s_and_b64 s[54:55], s[4:5], vcc
                                        ; implicit-def: $sgpr94_sgpr95
                                        ; implicit-def: $sgpr86_sgpr87
	s_and_saveexec_b64 s[88:89], s[54:55]
	s_cbranch_execz .LBB12_249
; %bb.216:                              ;   in Loop: Header=BB12_7 Depth=1
	ds_read_b64 v[4:5], v3 offset:5120
	s_waitcnt lgkmcnt(0)
	s_barrier
	v_readfirstlane_b32 s90, v4
	v_readfirstlane_b32 s91, v5
	s_mov_b64 s[4:5], exec
	v_readlane_b32 s16, v62, 18
	v_readlane_b32 s17, v62, 19
	s_and_b64 s[16:17], s[4:5], s[16:17]
	s_mov_b64 exec, s[16:17]
; %bb.217:                              ;   in Loop: Header=BB12_7 Depth=1
	ds_write_b8 v0, v3 offset:3072
; %bb.218:                              ;   in Loop: Header=BB12_7 Depth=1
	s_or_b64 exec, exec, s[4:5]
	v_cmp_gt_i64_e64 s[4:5], s[90:91], 0
	v_or_b32_e32 v41, s9, v41
	v_or_b32_e32 v43, s9, v43
	s_mov_b64 s[86:87], -1
	s_mov_b64 s[94:95], 0
	s_and_b64 vcc, exec, s[4:5]
	s_mov_b64 s[28:29], 0
	s_mov_b64 s[36:37], -1
	s_waitcnt lgkmcnt(0)
	s_barrier
                                        ; implicit-def: $vgpr44
	s_cbranch_vccnz .LBB12_234
; %bb.219:                              ;   in Loop: Header=BB12_7 Depth=1
	s_mov_b32 s50, s45
	v_writelane_b32 v62, s54, 32
	s_cmp_lg_u64 s[50:51], 0
	v_writelane_b32 v62, s55, 33
	s_cbranch_scc0 .LBB12_268
; %bb.220:                              ;   in Loop: Header=BB12_7 Depth=1
	s_add_u32 s4, s33, 0
	s_addc_u32 s5, 0, 0
	s_xor_b64 s[28:29], s[4:5], 0
	v_cvt_f32_u32_e32 v4, s28
	v_cvt_f32_u32_e32 v5, s29
	s_sub_u32 s16, 0, s28
	s_subb_u32 s17, 0, s29
	v_mac_f32_e32 v4, 0x4f800000, v5
	v_rcp_f32_e32 v4, v4
	v_mul_f32_e32 v4, 0x5f7ffffc, v4
	v_mul_f32_e32 v5, 0x2f800000, v4
	v_trunc_f32_e32 v5, v5
	v_mac_f32_e32 v4, 0xcf800000, v5
	v_cvt_u32_f32_e32 v5, v5
	v_cvt_u32_f32_e32 v4, v4
	v_readfirstlane_b32 s36, v5
	v_readfirstlane_b32 s4, v4
	s_mul_i32 s5, s16, s36
	s_mul_hi_u32 s38, s16, s4
	s_mul_i32 s37, s17, s4
	s_add_i32 s5, s38, s5
	s_mul_i32 s39, s16, s4
	s_add_i32 s5, s5, s37
	s_mul_i32 s38, s4, s5
	s_mul_hi_u32 s40, s4, s39
	s_mul_hi_u32 s37, s4, s5
	s_add_u32 s38, s40, s38
	s_addc_u32 s37, 0, s37
	s_mul_hi_u32 s41, s36, s39
	s_mul_i32 s39, s36, s39
	s_add_u32 s38, s38, s39
	s_mul_hi_u32 s40, s36, s5
	s_addc_u32 s37, s37, s41
	s_addc_u32 s38, s40, 0
	s_mul_i32 s5, s36, s5
	s_add_u32 s5, s37, s5
	s_addc_u32 s37, 0, s38
	s_add_u32 s38, s4, s5
	s_cselect_b64 s[4:5], -1, 0
	s_cmp_lg_u64 s[4:5], 0
	s_addc_u32 s36, s36, s37
	s_mul_i32 s4, s16, s36
	s_mul_hi_u32 s5, s16, s38
	s_add_i32 s4, s5, s4
	s_mul_i32 s17, s17, s38
	s_add_i32 s4, s4, s17
	s_mul_i32 s16, s16, s38
	s_mul_hi_u32 s17, s36, s16
	s_mul_i32 s37, s36, s16
	s_mul_i32 s40, s38, s4
	s_mul_hi_u32 s16, s38, s16
	s_mul_hi_u32 s39, s38, s4
	s_add_u32 s16, s16, s40
	s_addc_u32 s39, 0, s39
	s_add_u32 s16, s16, s37
	s_mul_hi_u32 s5, s36, s4
	s_addc_u32 s16, s39, s17
	s_addc_u32 s5, s5, 0
	s_mul_i32 s4, s36, s4
	s_add_u32 s4, s16, s4
	s_addc_u32 s16, 0, s5
	s_add_u32 s37, s38, s4
	s_cselect_b64 s[4:5], -1, 0
	s_cmp_lg_u64 s[4:5], 0
	s_addc_u32 s36, s36, s16
	s_ashr_i32 s4, s51, 31
	v_readlane_b32 s16, v62, 25
	s_add_u32 s16, s16, s4
	s_mov_b32 s5, s4
	s_addc_u32 s17, s51, s4
	s_xor_b64 s[16:17], s[16:17], s[4:5]
	s_mul_i32 s39, s16, s36
	s_mul_hi_u32 s40, s16, s37
	s_mul_hi_u32 s38, s16, s36
	s_add_u32 s39, s40, s39
	s_addc_u32 s38, 0, s38
	s_mul_hi_u32 s41, s17, s37
	s_mul_i32 s37, s17, s37
	s_add_u32 s37, s39, s37
	s_mul_hi_u32 s40, s17, s36
	s_addc_u32 s37, s38, s41
	s_addc_u32 s38, s40, 0
	s_mul_i32 s36, s17, s36
	s_add_u32 s36, s37, s36
	s_addc_u32 s37, 0, s38
	s_mul_i32 s37, s28, s37
	s_mul_hi_u32 s38, s28, s36
	s_add_i32 s37, s38, s37
	s_mul_i32 s38, s29, s36
	s_add_i32 s40, s37, s38
	s_sub_i32 s38, s17, s40
	s_mul_i32 s36, s28, s36
	s_sub_u32 s16, s16, s36
	s_cselect_b64 s[36:37], -1, 0
	s_cmp_lg_u64 s[36:37], 0
	s_subb_u32 s41, s38, s29
	s_sub_u32 s44, s16, s28
	s_cselect_b64 s[38:39], -1, 0
	s_cmp_lg_u64 s[38:39], 0
	s_subb_u32 s50, s41, 0
	s_cmp_ge_u32 s50, s29
	s_cselect_b32 s54, -1, 0
	s_cmp_ge_u32 s44, s28
	s_cselect_b32 s55, -1, 0
	s_cmp_eq_u32 s50, s29
	s_cselect_b32 s54, s55, s54
	s_cmp_lg_u64 s[38:39], 0
	s_subb_u32 s41, s41, s29
	s_sub_u32 s55, s44, s28
	s_cselect_b64 s[38:39], -1, 0
	s_cmp_lg_u64 s[38:39], 0
	s_subb_u32 s38, s41, 0
	s_cmp_lg_u32 s54, 0
	s_cselect_b32 s39, s55, s44
	s_cselect_b32 s38, s38, s50
	s_cmp_lg_u64 s[36:37], 0
	s_subb_u32 s17, s17, s40
	s_cmp_ge_u32 s17, s29
	s_cselect_b32 s36, -1, 0
	s_cmp_ge_u32 s16, s28
	s_cselect_b32 s28, -1, 0
	s_cmp_eq_u32 s17, s29
	s_cselect_b32 s28, s28, s36
	s_cmp_lg_u32 s28, 0
	s_cselect_b32 s17, s38, s17
	s_cselect_b32 s16, s39, s16
	s_xor_b64 s[16:17], s[16:17], s[4:5]
	s_sub_u32 s16, s16, s4
	s_subb_u32 s17, s17, s4
	s_cbranch_execnz .LBB12_222
.LBB12_221:                             ;   in Loop: Header=BB12_7 Depth=1
	v_cvt_f32_u32_e32 v4, s33
	s_sub_i32 s4, 0, s33
	v_readlane_b32 s16, v62, 25
	v_rcp_iflag_f32_e32 v4, v4
	v_mul_f32_e32 v4, 0x4f7ffffe, v4
	v_cvt_u32_f32_e32 v4, v4
	v_readfirstlane_b32 s5, v4
	s_mul_i32 s4, s4, s5
	s_mul_hi_u32 s4, s5, s4
	s_add_i32 s5, s5, s4
	s_mul_hi_u32 s4, s16, s5
	s_mul_i32 s4, s4, s33
	s_sub_i32 s4, s16, s4
	s_sub_i32 s5, s4, s33
	s_cmp_ge_u32 s4, s33
	s_cselect_b32 s4, s5, s4
	s_sub_i32 s5, s4, s33
	s_cmp_ge_u32 s4, s33
	s_cselect_b32 s44, s5, s4
	s_mov_b64 s[16:17], s[44:45]
.LBB12_222:                             ;   in Loop: Header=BB12_7 Depth=1
	v_readlane_b32 s4, v62, 25
	s_sub_u32 s40, s4, s16
	s_subb_u32 s41, s51, s17
	v_cmp_gt_i64_e32 vcc, s[40:41], v[0:1]
	s_mov_b64 s[36:37], 0
	s_mov_b64 s[28:29], 0
                                        ; implicit-def: $vgpr44
	s_and_saveexec_b64 s[38:39], vcc
	s_cbranch_execz .LBB12_233
; %bb.223:                              ;   in Loop: Header=BB12_7 Depth=1
	v_mov_b32_e32 v4, v12
	v_mov_b32_e32 v9, v1
	;; [unrolled: 1-line block ×4, first 2 shown]
                                        ; implicit-def: $sgpr16_sgpr17
	s_branch .LBB12_226
.LBB12_224:                             ;   in Loop: Header=BB12_226 Depth=2
	s_or_b64 exec, exec, s[4:5]
	s_waitcnt lgkmcnt(0)
	s_barrier
	ds_read_u16 v10, v3 offset:3072
	s_mov_b64 s[4:5], -1
	s_waitcnt lgkmcnt(0)
	s_barrier
	v_cmp_ne_u32_sdwa s[54:55], v10, v3 src0_sel:BYTE_0 src1_sel:DWORD
	s_and_b64 vcc, exec, s[54:55]
	s_mov_b64 s[54:55], -1
	s_cbranch_vccz .LBB12_229
.LBB12_225:                             ;   in Loop: Header=BB12_226 Depth=2
	s_and_b64 s[4:5], exec, s[4:5]
	s_or_b64 s[28:29], s[4:5], s[28:29]
	s_andn2_b64 s[4:5], s[16:17], exec
	s_and_b64 s[16:17], s[54:55], exec
	s_or_b64 s[16:17], s[4:5], s[16:17]
	s_andn2_b64 exec, exec, s[28:29]
	s_cbranch_execz .LBB12_232
.LBB12_226:                             ;   Parent Loop BB12_7 Depth=1
                                        ; =>  This Inner Loop Header: Depth=2
	v_cmp_gt_i64_e32 vcc, s[24:25], v[8:9]
	s_and_saveexec_b64 s[4:5], vcc
	s_cbranch_execz .LBB12_224
; %bb.227:                              ;   in Loop: Header=BB12_226 Depth=2
	global_load_ubyte v10, v[4:5], off
	s_waitcnt vmcnt(0)
	v_add_u32_sdwa v11, sext(v10), s13 dst_sel:DWORD dst_unused:UNUSED_PAD src0_sel:BYTE_0 src1_sel:DWORD
	v_and_b32_e32 v11, v11, v43
	v_cmp_eq_u32_e32 vcc, v11, v41
	s_and_b64 exec, exec, vcc
	s_cbranch_execz .LBB12_224
; %bb.228:                              ;   in Loop: Header=BB12_226 Depth=2
	v_lshlrev_b16_e32 v10, 8, v10
	v_or_b32_e32 v10, 1, v10
	ds_write_b16 v3, v10 offset:3072
	s_branch .LBB12_224
.LBB12_229:                             ;   in Loop: Header=BB12_226 Depth=2
	v_add_co_u32_e32 v8, vcc, s33, v8
	v_addc_co_u32_e32 v9, vcc, 0, v9, vcc
	v_mov_b32_e32 v11, s35
	v_add_co_u32_e32 v4, vcc, s56, v4
	v_addc_co_u32_e32 v5, vcc, v5, v11, vcc
	v_cmp_le_i64_e32 vcc, s[40:41], v[8:9]
	s_mov_b64 s[54:55], 0
	s_orn2_b64 s[4:5], vcc, exec
	s_branch .LBB12_225
.LBB12_230:                             ;   in Loop: Header=BB12_7 Depth=1
                                        ; implicit-def: $sgpr16_sgpr17
	s_branch .LBB12_176
.LBB12_231:                             ;   in Loop: Header=BB12_7 Depth=1
                                        ; implicit-def: $sgpr16_sgpr17
	s_branch .LBB12_192
.LBB12_232:                             ;   in Loop: Header=BB12_7 Depth=1
	s_or_b64 exec, exec, s[28:29]
	v_lshrrev_b32_sdwa v44, v42, v10 dst_sel:DWORD dst_unused:UNUSED_PAD src0_sel:DWORD src1_sel:WORD_0
	s_and_b64 s[28:29], s[16:17], exec
.LBB12_233:                             ;   in Loop: Header=BB12_7 Depth=1
	s_or_b64 exec, exec, s[38:39]
	v_readlane_b32 s54, v62, 32
	v_readlane_b32 s55, v62, 33
.LBB12_234:                             ;   in Loop: Header=BB12_7 Depth=1
	s_and_b64 vcc, exec, s[36:37]
	s_cbranch_vccz .LBB12_248
; %bb.235:                              ;   in Loop: Header=BB12_7 Depth=1
	v_readlane_b32 s4, v62, 24
	s_add_u32 s38, s90, s4
	v_readlane_b32 s4, v62, 26
	s_addc_u32 s37, s91, s4
	s_mov_b32 s36, s45
	s_cmp_lg_u64 s[36:37], 0
	s_cbranch_scc0 .LBB12_269
; %bb.236:                              ;   in Loop: Header=BB12_7 Depth=1
	s_add_u32 s4, s33, 0
	s_addc_u32 s5, 0, 0
	s_xor_b64 s[94:95], s[4:5], 0
	v_cvt_f32_u32_e32 v4, s94
	v_cvt_f32_u32_e32 v5, s95
	s_sub_u32 s16, 0, s94
	s_subb_u32 s17, 0, s95
	s_mov_b64 vcc, s[54:55]
	v_mac_f32_e32 v4, 0x4f800000, v5
	v_rcp_f32_e32 v4, v4
	v_mul_f32_e32 v4, 0x5f7ffffc, v4
	v_mul_f32_e32 v5, 0x2f800000, v4
	v_trunc_f32_e32 v5, v5
	v_mac_f32_e32 v4, 0xcf800000, v5
	v_cvt_u32_f32_e32 v5, v5
	v_cvt_u32_f32_e32 v4, v4
	v_readfirstlane_b32 s36, v5
	v_readfirstlane_b32 s4, v4
	s_mul_i32 s5, s16, s36
	s_mul_hi_u32 s40, s16, s4
	s_mul_i32 s39, s17, s4
	s_add_i32 s5, s40, s5
	s_mul_i32 s41, s16, s4
	s_add_i32 s5, s5, s39
	s_mul_i32 s40, s4, s5
	s_mul_hi_u32 s44, s4, s41
	s_mul_hi_u32 s39, s4, s5
	s_add_u32 s40, s44, s40
	s_addc_u32 s39, 0, s39
	s_mul_hi_u32 s50, s36, s41
	s_mul_i32 s41, s36, s41
	s_add_u32 s40, s40, s41
	s_mul_hi_u32 s44, s36, s5
	s_addc_u32 s39, s39, s50
	s_addc_u32 s40, s44, 0
	s_mul_i32 s5, s36, s5
	s_add_u32 s5, s39, s5
	s_addc_u32 s39, 0, s40
	s_add_u32 s40, s4, s5
	s_cselect_b64 s[4:5], -1, 0
	s_cmp_lg_u64 s[4:5], 0
	s_addc_u32 s36, s36, s39
	s_mul_i32 s4, s16, s36
	s_mul_hi_u32 s5, s16, s40
	s_add_i32 s4, s5, s4
	s_mul_i32 s17, s17, s40
	s_add_i32 s4, s4, s17
	s_mul_i32 s16, s16, s40
	s_mul_hi_u32 s17, s36, s16
	s_mul_i32 s39, s36, s16
	s_mul_i32 s44, s40, s4
	s_mul_hi_u32 s16, s40, s16
	s_mul_hi_u32 s41, s40, s4
	s_add_u32 s16, s16, s44
	s_addc_u32 s41, 0, s41
	s_add_u32 s16, s16, s39
	s_mul_hi_u32 s5, s36, s4
	s_addc_u32 s16, s41, s17
	s_addc_u32 s5, s5, 0
	s_mul_i32 s4, s36, s4
	s_add_u32 s4, s16, s4
	s_addc_u32 s16, 0, s5
	s_add_u32 s39, s40, s4
	s_cselect_b64 s[4:5], -1, 0
	s_cmp_lg_u64 s[4:5], 0
	s_addc_u32 s36, s36, s16
	s_ashr_i32 s4, s37, 31
	s_add_u32 s16, s38, s4
	s_mov_b32 s5, s4
	s_addc_u32 s17, s37, s4
	s_xor_b64 s[16:17], s[16:17], s[4:5]
	s_mul_i32 s41, s16, s36
	s_mul_hi_u32 s44, s16, s39
	s_mul_hi_u32 s40, s16, s36
	s_add_u32 s41, s44, s41
	s_addc_u32 s40, 0, s40
	s_mul_hi_u32 s50, s17, s39
	s_mul_i32 s39, s17, s39
	s_add_u32 s39, s41, s39
	s_mul_hi_u32 s44, s17, s36
	s_addc_u32 s39, s40, s50
	s_addc_u32 s40, s44, 0
	s_mul_i32 s36, s17, s36
	s_add_u32 s36, s39, s36
	s_addc_u32 s39, 0, s40
	s_mul_i32 s39, s94, s39
	s_mul_hi_u32 s40, s94, s36
	s_add_i32 s39, s40, s39
	s_mul_i32 s40, s95, s36
	s_add_i32 s39, s39, s40
	s_sub_i32 s44, s17, s39
	s_mul_i32 s36, s94, s36
	s_sub_u32 s16, s16, s36
	s_cselect_b64 s[40:41], -1, 0
	s_cmp_lg_u64 s[40:41], 0
	s_subb_u32 s36, s44, s95
	s_sub_u32 s44, s16, s94
	s_cselect_b64 s[54:55], -1, 0
	s_cmp_lg_u64 s[54:55], 0
	s_subb_u32 s50, s36, 0
	s_cmp_ge_u32 s50, s95
	s_cselect_b32 s86, -1, 0
	s_cmp_ge_u32 s44, s94
	s_cselect_b32 s87, -1, 0
	s_cmp_eq_u32 s50, s95
	s_cselect_b32 s86, s87, s86
	s_cmp_lg_u64 s[54:55], 0
	s_subb_u32 s36, s36, s95
	s_sub_u32 s87, s44, s94
	s_cselect_b64 s[54:55], -1, 0
	s_cmp_lg_u64 s[54:55], 0
	s_subb_u32 s36, s36, 0
	s_cmp_lg_u32 s86, 0
	s_cselect_b32 s44, s87, s44
	s_cselect_b32 s36, s36, s50
	s_cmp_lg_u64 s[40:41], 0
	s_subb_u32 s17, s17, s39
	s_cmp_ge_u32 s17, s95
	s_cselect_b32 s39, -1, 0
	s_cmp_ge_u32 s16, s94
	s_cselect_b32 s40, -1, 0
	s_cmp_eq_u32 s17, s95
	s_cselect_b32 s39, s40, s39
	s_cmp_lg_u32 s39, 0
	s_cselect_b32 s17, s36, s17
	s_cselect_b32 s16, s44, s16
	s_xor_b64 s[16:17], s[16:17], s[4:5]
	s_sub_u32 s16, s16, s4
	s_mov_b64 s[54:55], vcc
	s_subb_u32 s17, s17, s4
	s_cbranch_execnz .LBB12_238
.LBB12_237:                             ;   in Loop: Header=BB12_7 Depth=1
	v_cvt_f32_u32_e32 v4, s33
	s_sub_i32 s4, 0, s33
	v_rcp_iflag_f32_e32 v4, v4
	v_mul_f32_e32 v4, 0x4f7ffffe, v4
	v_cvt_u32_f32_e32 v4, v4
	v_readfirstlane_b32 s5, v4
	s_mul_i32 s4, s4, s5
	s_mul_hi_u32 s4, s5, s4
	s_add_i32 s5, s5, s4
	s_mul_hi_u32 s4, s38, s5
	s_mul_i32 s4, s4, s33
	s_sub_i32 s4, s38, s4
	s_sub_i32 s5, s4, s33
	s_cmp_ge_u32 s4, s33
	s_cselect_b32 s4, s5, s4
	s_sub_i32 s5, s4, s33
	s_cmp_ge_u32 s4, s33
	s_cselect_b32 s44, s5, s4
	s_mov_b64 s[16:17], s[44:45]
.LBB12_238:                             ;   in Loop: Header=BB12_7 Depth=1
	s_sub_u32 s38, s38, s16
	s_subb_u32 s39, s37, s17
	v_cmp_gt_i64_e32 vcc, s[38:39], v[0:1]
                                        ; implicit-def: $vgpr44
	s_and_saveexec_b64 s[36:37], vcc
	s_cbranch_execz .LBB12_247
; %bb.239:                              ;   in Loop: Header=BB12_7 Depth=1
	v_mov_b32_e32 v5, v1
	s_mov_b64 s[86:87], s[54:55]
	s_mov_b64 s[16:17], 0
	v_mov_b32_e32 v8, v0
	v_mov_b32_e32 v4, v0
                                        ; implicit-def: $sgpr40_sgpr41
	s_branch .LBB12_242
.LBB12_240:                             ;   in Loop: Header=BB12_242 Depth=2
	s_or_b64 exec, exec, s[4:5]
	s_waitcnt lgkmcnt(0)
	s_barrier
	ds_read_u16 v9, v3 offset:3072
	s_mov_b64 s[4:5], -1
	s_waitcnt lgkmcnt(0)
	s_barrier
	v_cmp_eq_u32_sdwa s[54:55], v9, v3 src0_sel:BYTE_0 src1_sel:DWORD
	s_and_b64 vcc, exec, s[54:55]
	s_mov_b64 s[54:55], -1
	s_cbranch_vccnz .LBB12_245
.LBB12_241:                             ;   in Loop: Header=BB12_242 Depth=2
	s_and_b64 s[4:5], exec, s[4:5]
	s_or_b64 s[16:17], s[4:5], s[16:17]
	s_andn2_b64 s[4:5], s[40:41], exec
	s_and_b64 s[40:41], s[54:55], exec
	s_or_b64 s[40:41], s[4:5], s[40:41]
	s_andn2_b64 exec, exec, s[16:17]
	s_cbranch_execz .LBB12_246
.LBB12_242:                             ;   Parent Loop BB12_7 Depth=1
                                        ; =>  This Inner Loop Header: Depth=2
	v_cmp_gt_u64_e32 vcc, s[90:91], v[4:5]
	s_and_saveexec_b64 s[4:5], vcc
	s_cbranch_execz .LBB12_240
; %bb.243:                              ;   in Loop: Header=BB12_242 Depth=2
	ds_read_u8 v9, v8
	s_waitcnt lgkmcnt(0)
	v_add_u32_sdwa v10, sext(v9), s13 dst_sel:DWORD dst_unused:UNUSED_PAD src0_sel:BYTE_0 src1_sel:DWORD
	v_and_b32_e32 v10, v10, v43
	v_cmp_eq_u32_e32 vcc, v10, v41
	s_and_b64 exec, exec, vcc
	s_cbranch_execz .LBB12_240
; %bb.244:                              ;   in Loop: Header=BB12_242 Depth=2
	v_lshlrev_b16_e32 v9, 8, v9
	v_or_b32_e32 v9, 1, v9
	ds_write_b16 v3, v9 offset:3072
	s_branch .LBB12_240
.LBB12_245:                             ;   in Loop: Header=BB12_242 Depth=2
	v_add_co_u32_e32 v4, vcc, s33, v4
	v_addc_co_u32_e32 v5, vcc, 0, v5, vcc
	v_cmp_le_i64_e32 vcc, s[38:39], v[4:5]
	v_add_u32_e32 v8, s33, v8
	s_mov_b64 s[54:55], 0
	s_orn2_b64 s[4:5], vcc, exec
	s_branch .LBB12_241
.LBB12_246:                             ;   in Loop: Header=BB12_7 Depth=1
	s_or_b64 exec, exec, s[16:17]
	s_andn2_b64 s[4:5], s[28:29], exec
	s_and_b64 s[16:17], s[40:41], exec
	v_lshrrev_b32_sdwa v44, v42, v9 dst_sel:DWORD dst_unused:UNUSED_PAD src0_sel:DWORD src1_sel:WORD_0
	s_or_b64 s[28:29], s[4:5], s[16:17]
	s_mov_b64 s[54:55], s[86:87]
.LBB12_247:                             ;   in Loop: Header=BB12_7 Depth=1
	s_or_b64 exec, exec, s[36:37]
	s_mov_b64 s[86:87], 0
	s_mov_b64 s[94:95], -1
.LBB12_248:                             ;   in Loop: Header=BB12_7 Depth=1
	s_orn2_b64 s[16:17], s[28:29], exec
.LBB12_249:                             ;   in Loop: Header=BB12_7 Depth=1
	s_or_b64 exec, exec, s[88:89]
	s_mov_b64 s[36:37], 0
	s_and_saveexec_b64 s[28:29], s[16:17]
	s_cbranch_execz .LBB12_260
; %bb.250:                              ;   in Loop: Header=BB12_7 Depth=1
	v_mov_b32_e32 v4, 1
	s_xor_b64 s[4:5], s[54:55], -1
	v_mov_b32_e32 v5, 0
	v_mov_b32_e32 v2, 1
	s_and_saveexec_b64 s[36:37], s[4:5]
	s_cbranch_execz .LBB12_259
; %bb.251:                              ;   in Loop: Header=BB12_7 Depth=1
	v_cmp_ge_i64_e32 vcc, s[14:15], v[6:7]
	s_and_saveexec_b64 s[4:5], vcc
	s_xor_b64 s[16:17], exec, s[4:5]
	s_cbranch_execz .LBB12_256
; %bb.252:                              ;   in Loop: Header=BB12_7 Depth=1
	ds_read_b64 v[4:5], v3 offset:5120
	v_or_b32_e32 v41, s9, v41
	v_or_b32_e32 v43, s9, v43
	s_waitcnt lgkmcnt(0)
	v_cmp_ne_u64_e32 vcc, 0, v[4:5]
	s_cbranch_vccnz .LBB12_256
; %bb.253:                              ;   in Loop: Header=BB12_7 Depth=1
	s_mov_b64 s[4:5], exec
	v_readlane_b32 s38, v62, 8
	v_readlane_b32 s39, v62, 9
	s_and_b64 s[38:39], s[4:5], s[38:39]
	s_mov_b64 exec, s[38:39]
; %bb.254:                              ;   in Loop: Header=BB12_7 Depth=1
	v_mov_b32_e32 v4, s14
	v_mov_b32_e32 v5, s15
	ds_write_b64 v3, v[4:5] offset:5128
; %bb.255:                              ;   in Loop: Header=BB12_7 Depth=1
	s_or_b64 exec, exec, s[4:5]
	s_waitcnt lgkmcnt(0)
	s_barrier
.LBB12_256:                             ;   in Loop: Header=BB12_7 Depth=1
	s_andn2_saveexec_b64 s[16:17], s[16:17]
; %bb.257:                              ;   in Loop: Header=BB12_7 Depth=1
	v_mov_b32_e32 v2, s15
	v_subrev_co_u32_e32 v6, vcc, s14, v6
	v_subb_co_u32_e32 v7, vcc, v7, v2, vcc
; %bb.258:                              ;   in Loop: Header=BB12_7 Depth=1
	s_or_b64 exec, exec, s[16:17]
	v_mov_b32_e32 v4, v6
	v_mov_b32_e32 v2, 8
	;; [unrolled: 1-line block ×3, first 2 shown]
.LBB12_259:                             ;   in Loop: Header=BB12_7 Depth=1
	s_or_b64 exec, exec, s[36:37]
	v_mov_b32_e32 v7, v5
	s_mov_b64 s[36:37], exec
	v_mov_b32_e32 v6, v4
.LBB12_260:                             ;   in Loop: Header=BB12_7 Depth=1
	s_or_b64 exec, exec, s[28:29]
	s_orn2_b64 s[16:17], s[36:37], exec
.LBB12_261:                             ;   in Loop: Header=BB12_7 Depth=1
	s_or_b64 exec, exec, s[26:27]
	s_andn2_b64 s[4:5], s[82:83], exec
	s_and_b64 s[14:15], s[94:95], exec
	s_or_b64 s[82:83], s[4:5], s[14:15]
	s_andn2_b64 s[4:5], s[80:81], exec
	s_and_b64 s[14:15], s[86:87], exec
	v_mov_b32_e32 v4, v6
	s_or_b64 s[80:81], s[4:5], s[14:15]
	s_and_b64 s[28:29], s[16:17], exec
	v_mov_b32_e32 v5, v7
.LBB12_262:                             ;   in Loop: Header=BB12_7 Depth=1
	s_or_b64 exec, exec, s[84:85]
	s_orn2_b64 s[16:17], s[28:29], exec
.LBB12_263:                             ;   in Loop: Header=BB12_7 Depth=1
	s_or_b64 exec, exec, s[78:79]
	s_andn2_b64 s[4:5], s[74:75], exec
	s_and_b64 s[14:15], s[82:83], exec
	s_or_b64 s[74:75], s[4:5], s[14:15]
	s_andn2_b64 s[4:5], s[6:7], exec
	s_and_b64 s[6:7], s[80:81], exec
	v_mov_b32_e32 v9, v5
	s_or_b64 s[6:7], s[4:5], s[6:7]
	s_and_b64 s[28:29], s[16:17], exec
	v_mov_b32_e32 v8, v4
.LBB12_264:                             ;   in Loop: Header=BB12_7 Depth=1
	s_or_b64 exec, exec, s[76:77]
	s_orn2_b64 s[16:17], s[28:29], exec
.LBB12_265:                             ;   in Loop: Header=BB12_7 Depth=1
	s_or_b64 exec, exec, s[22:23]
	s_mov_b64 s[22:23], 0
	s_and_saveexec_b64 s[4:5], s[16:17]
	s_xor_b64 s[14:15], exec, s[4:5]
	s_cbranch_execz .LBB12_5
; %bb.266:                              ;   in Loop: Header=BB12_7 Depth=1
	v_and_b32_e32 v2, 7, v2
	v_cmp_eq_u32_e32 vcc, 0, v2
	s_mov_b64 s[16:17], -1
	s_mov_b64 s[20:21], -1
	s_and_saveexec_b64 s[4:5], vcc
	s_cbranch_execz .LBB12_4
; %bb.267:                              ;   in Loop: Header=BB12_7 Depth=1
	s_xor_b32 s93, s93, 1
	s_add_i32 s9, s12, -2
	s_cmp_eq_u32 s12, 0
	s_cselect_b64 s[16:17], -1, 0
	s_xor_b64 s[20:21], exec, -1
	s_orn2_b64 s[16:17], s[16:17], exec
	s_mov_b32 s12, s9
	s_branch .LBB12_4
.LBB12_268:                             ;   in Loop: Header=BB12_7 Depth=1
                                        ; implicit-def: $sgpr16_sgpr17
	s_branch .LBB12_221
.LBB12_269:                             ;   in Loop: Header=BB12_7 Depth=1
                                        ; implicit-def: $sgpr16_sgpr17
	s_branch .LBB12_237
.LBB12_270:
	s_or_b64 exec, exec, s[60:61]
	s_xor_b64 s[6:7], s[66:67], -1
	s_xor_b64 s[0:1], s[62:63], -1
	;; [unrolled: 1-line block ×3, first 2 shown]
	s_mov_b64 s[2:3], 0
	s_and_saveexec_b64 s[4:5], s[0:1]
	s_xor_b64 s[4:5], exec, s[4:5]
	s_cbranch_execnz .LBB12_275
; %bb.271:
	s_andn2_saveexec_b64 s[0:1], s[4:5]
	s_cbranch_execnz .LBB12_297
.LBB12_272:
	s_or_b64 exec, exec, s[0:1]
	s_and_saveexec_b64 s[0:1], s[2:3]
.LBB12_273:
	; divergent unreachable
.LBB12_274:
	s_endpgm
.LBB12_275:
	s_and_saveexec_b64 s[0:1], s[6:7]
	s_xor_b64 s[6:7], exec, s[0:1]
	s_cbranch_execz .LBB12_295
; %bb.276:
	s_and_saveexec_b64 s[0:1], s[10:11]
	s_xor_b64 s[2:3], exec, s[0:1]
; %bb.277:
	v_xor_b32_e32 v44, 0xffffff80, v41
; %bb.278:
	s_or_b64 exec, exec, s[2:3]
	s_mov_b64 s[2:3], exec
	v_readlane_b32 s0, v62, 8
	v_readlane_b32 s1, v62, 9
	s_and_b64 s[0:1], s[2:3], s[0:1]
	v_readlane_b32 s26, v62, 10
	v_readlane_b32 s27, v62, 11
	s_mov_b64 exec, s[0:1]
; %bb.279:
	v_mov_b32_e32 v2, 0
	v_mov_b32_e32 v3, s24
	ds_write_b32 v2, v3 offset:5140
; %bb.280:
	s_or_b64 exec, exec, s[2:3]
	s_waitcnt lgkmcnt(0)
	s_barrier
	s_mov_b64 s[10:11], exec
	v_readlane_b32 s0, v62, 20
	v_readlane_b32 s1, v62, 21
	s_and_b64 s[0:1], s[10:11], s[0:1]
	s_mov_b64 exec, s[0:1]
	s_cbranch_execz .LBB12_292
; %bb.281:
	v_mov_b32_e32 v2, 0
	ds_read_b32 v4, v2 offset:5140
	s_mov_b64 s[8:9], 0
                                        ; implicit-def: $sgpr12_sgpr13
                                        ; implicit-def: $sgpr14_sgpr15
                                        ; implicit-def: $sgpr16_sgpr17
	s_waitcnt lgkmcnt(0)
	v_ashrrev_i32_e32 v5, 31, v4
	s_branch .LBB12_284
.LBB12_282:                             ;   in Loop: Header=BB12_284 Depth=1
	s_or_b64 exec, exec, s[22:23]
	s_andn2_b64 s[0:1], s[16:17], exec
	s_and_b64 s[16:17], s[20:21], exec
	s_or_b64 s[16:17], s[0:1], s[16:17]
	s_andn2_b64 s[0:1], s[14:15], exec
	s_and_b64 s[2:3], s[2:3], exec
	s_or_b64 s[14:15], s[0:1], s[2:3]
.LBB12_283:                             ;   in Loop: Header=BB12_284 Depth=1
	s_or_b64 exec, exec, s[18:19]
	s_and_b64 s[0:1], exec, s[14:15]
	s_or_b64 s[8:9], s[0:1], s[8:9]
	s_andn2_b64 s[0:1], s[12:13], exec
	s_and_b64 s[2:3], s[16:17], exec
	s_or_b64 s[12:13], s[0:1], s[2:3]
	s_andn2_b64 exec, exec, s[8:9]
	s_cbranch_execz .LBB12_287
.LBB12_284:                             ; =>This Inner Loop Header: Depth=1
	v_mov_b32_e32 v3, v1
	v_mov_b32_e32 v2, v0
	v_cmp_lt_i64_e32 vcc, v[2:3], v[4:5]
	s_or_b64 s[16:17], s[16:17], exec
	s_or_b64 s[14:15], s[14:15], exec
                                        ; implicit-def: $vgpr0_vgpr1
	s_and_saveexec_b64 s[18:19], vcc
	s_cbranch_execz .LBB12_283
; %bb.285:                              ;   in Loop: Header=BB12_284 Depth=1
	global_load_ubyte v0, v[12:13], off
	s_mov_b64 s[2:3], -1
	s_mov_b64 s[20:21], 0
	s_waitcnt vmcnt(0)
	v_cmp_ne_u16_sdwa s[0:1], v0, v44 src0_sel:DWORD src1_sel:BYTE_0
                                        ; implicit-def: $vgpr0_vgpr1
	s_and_saveexec_b64 s[22:23], s[0:1]
	s_cbranch_execz .LBB12_282
; %bb.286:                              ;   in Loop: Header=BB12_284 Depth=1
	v_add_co_u32_e32 v0, vcc, s33, v2
	v_addc_co_u32_e32 v1, vcc, 0, v3, vcc
	v_mov_b32_e32 v3, s35
	v_cmp_le_i64_e32 vcc, s[24:25], v[0:1]
	v_add_co_u32_e64 v12, s[2:3], s56, v12
	v_addc_co_u32_e64 v13, s[2:3], v13, v3, s[2:3]
	s_mov_b64 s[20:21], exec
	s_orn2_b64 s[2:3], vcc, exec
	s_branch .LBB12_282
.LBB12_287:
	s_or_b64 exec, exec, s[8:9]
	s_xor_b64 s[0:1], s[12:13], -1
	s_and_saveexec_b64 s[2:3], s[0:1]
	s_xor_b64 s[2:3], exec, s[2:3]
	s_cbranch_execz .LBB12_292
; %bb.288:
	s_mov_b64 s[2:3], exec
	s_brev_b32 s0, -2
.LBB12_289:                             ; =>This Inner Loop Header: Depth=1
	s_ff1_i32_b64 s1, s[2:3]
	v_readlane_b32 s12, v2, s1
	s_lshl_b64 s[8:9], 1, s1
	s_min_i32 s0, s0, s12
	s_andn2_b64 s[2:3], s[2:3], s[8:9]
	s_cmp_lg_u64 s[2:3], 0
	s_cbranch_scc1 .LBB12_289
; %bb.290:
	v_mbcnt_lo_u32_b32 v0, exec_lo, 0
	v_mbcnt_hi_u32_b32 v0, exec_hi, v0
	v_cmp_eq_u32_e32 vcc, 0, v0
	s_and_saveexec_b64 s[2:3], vcc
	s_xor_b64 s[2:3], exec, s[2:3]
; %bb.291:
	v_mov_b32_e32 v0, 0
	v_mov_b32_e32 v1, s0
	ds_min_i32 v0, v1 offset:5140
.LBB12_292:
	s_or_b64 exec, exec, s[10:11]
	s_waitcnt lgkmcnt(0)
	s_barrier
	s_mov_b64 s[2:3], exec
	v_readlane_b32 s0, v62, 8
	v_readlane_b32 s1, v62, 9
	s_and_b64 s[0:1], s[2:3], s[0:1]
	s_mov_b64 exec, s[0:1]
	s_cbranch_execz .LBB12_294
; %bb.293:
	v_readlane_b32 s8, v62, 4
	v_readlane_b32 s9, v62, 5
	;; [unrolled: 1-line block ×3, first 2 shown]
	s_mul_i32 s0, s9, s26
	s_mul_hi_u32 s1, s8, s26
	v_readlane_b32 s11, v62, 1
	v_mov_b32_e32 v2, 0
	s_add_i32 s9, s1, s0
	s_mul_i32 s0, s11, s26
	s_mul_hi_u32 s1, s10, s26
	ds_read_b32 v0, v2 offset:5140
	s_mul_i32 s8, s8, s26
	s_add_i32 s1, s1, s0
	s_mul_i32 s0, s10, s26
	v_readlane_b32 s10, v62, 6
	v_readlane_b32 s11, v62, 7
	s_add_u32 s8, s10, s8
	s_addc_u32 s9, s11, s9
	s_lshl_b64 s[0:1], s[0:1], 3
	v_readlane_b32 s10, v62, 2
	v_readlane_b32 s11, v62, 3
	s_add_u32 s0, s10, s0
	s_addc_u32 s1, s11, s1
	s_waitcnt lgkmcnt(0)
	v_ashrrev_i32_e32 v1, 31, v0
	global_store_dwordx2 v2, v[0:1], s[0:1]
	global_store_byte v2, v44, s[8:9]
.LBB12_294:
	s_or_b64 exec, exec, s[2:3]
.LBB12_295:
	s_or_saveexec_b64 s[0:1], s[6:7]
	s_mov_b64 s[2:3], 0
	s_xor_b64 exec, exec, s[0:1]
	s_cbranch_execnz .LBB12_298
.LBB12_296:
	s_or_b64 exec, exec, s[0:1]
	s_and_b64 s[2:3], s[2:3], exec
	s_andn2_saveexec_b64 s[0:1], s[4:5]
	s_cbranch_execz .LBB12_272
.LBB12_297:
	s_or_b64 s[2:3], s[2:3], exec
	s_trap 2
	s_or_b64 exec, exec, s[0:1]
	s_and_saveexec_b64 s[0:1], s[2:3]
	s_cbranch_execnz .LBB12_273
	s_branch .LBB12_274
.LBB12_298:
	s_mov_b64 s[2:3], exec
	s_trap 2
	s_branch .LBB12_296
	.section	.rodata,"a",@progbits
	.p2align	6, 0x0
	.amdhsa_kernel _ZN2at6native12_GLOBAL__N_114gatherKthValueIalLi1EEEvNS_4cuda6detail10TensorInfoIKT_T0_EES8_S8_S8_S8_NS5_IS6_S8_EENS5_IlS8_EE
		.amdhsa_group_segment_fixed_size 5144
		.amdhsa_private_segment_fixed_size 0
		.amdhsa_kernarg_size 1536
		.amdhsa_user_sgpr_count 6
		.amdhsa_user_sgpr_private_segment_buffer 1
		.amdhsa_user_sgpr_dispatch_ptr 0
		.amdhsa_user_sgpr_queue_ptr 0
		.amdhsa_user_sgpr_kernarg_segment_ptr 1
		.amdhsa_user_sgpr_dispatch_id 0
		.amdhsa_user_sgpr_flat_scratch_init 0
		.amdhsa_user_sgpr_private_segment_size 0
		.amdhsa_uses_dynamic_stack 0
		.amdhsa_system_sgpr_private_segment_wavefront_offset 0
		.amdhsa_system_sgpr_workgroup_id_x 1
		.amdhsa_system_sgpr_workgroup_id_y 1
		.amdhsa_system_sgpr_workgroup_id_z 1
		.amdhsa_system_sgpr_workgroup_info 0
		.amdhsa_system_vgpr_workitem_id 0
		.amdhsa_next_free_vgpr 63
		.amdhsa_next_free_sgpr 96
		.amdhsa_reserve_vcc 1
		.amdhsa_reserve_flat_scratch 0
		.amdhsa_float_round_mode_32 0
		.amdhsa_float_round_mode_16_64 0
		.amdhsa_float_denorm_mode_32 3
		.amdhsa_float_denorm_mode_16_64 3
		.amdhsa_dx10_clamp 1
		.amdhsa_ieee_mode 1
		.amdhsa_fp16_overflow 0
		.amdhsa_exception_fp_ieee_invalid_op 0
		.amdhsa_exception_fp_denorm_src 0
		.amdhsa_exception_fp_ieee_div_zero 0
		.amdhsa_exception_fp_ieee_overflow 0
		.amdhsa_exception_fp_ieee_underflow 0
		.amdhsa_exception_fp_ieee_inexact 0
		.amdhsa_exception_int_div_zero 0
	.end_amdhsa_kernel
	.section	.text._ZN2at6native12_GLOBAL__N_114gatherKthValueIalLi1EEEvNS_4cuda6detail10TensorInfoIKT_T0_EES8_S8_S8_S8_NS5_IS6_S8_EENS5_IlS8_EE,"axG",@progbits,_ZN2at6native12_GLOBAL__N_114gatherKthValueIalLi1EEEvNS_4cuda6detail10TensorInfoIKT_T0_EES8_S8_S8_S8_NS5_IS6_S8_EENS5_IlS8_EE,comdat
.Lfunc_end12:
	.size	_ZN2at6native12_GLOBAL__N_114gatherKthValueIalLi1EEEvNS_4cuda6detail10TensorInfoIKT_T0_EES8_S8_S8_S8_NS5_IS6_S8_EENS5_IlS8_EE, .Lfunc_end12-_ZN2at6native12_GLOBAL__N_114gatherKthValueIalLi1EEEvNS_4cuda6detail10TensorInfoIKT_T0_EES8_S8_S8_S8_NS5_IS6_S8_EENS5_IlS8_EE
                                        ; -- End function
	.set _ZN2at6native12_GLOBAL__N_114gatherKthValueIalLi1EEEvNS_4cuda6detail10TensorInfoIKT_T0_EES8_S8_S8_S8_NS5_IS6_S8_EENS5_IlS8_EE.num_vgpr, 63
	.set _ZN2at6native12_GLOBAL__N_114gatherKthValueIalLi1EEEvNS_4cuda6detail10TensorInfoIKT_T0_EES8_S8_S8_S8_NS5_IS6_S8_EENS5_IlS8_EE.num_agpr, 0
	.set _ZN2at6native12_GLOBAL__N_114gatherKthValueIalLi1EEEvNS_4cuda6detail10TensorInfoIKT_T0_EES8_S8_S8_S8_NS5_IS6_S8_EENS5_IlS8_EE.numbered_sgpr, 96
	.set _ZN2at6native12_GLOBAL__N_114gatherKthValueIalLi1EEEvNS_4cuda6detail10TensorInfoIKT_T0_EES8_S8_S8_S8_NS5_IS6_S8_EENS5_IlS8_EE.num_named_barrier, 0
	.set _ZN2at6native12_GLOBAL__N_114gatherKthValueIalLi1EEEvNS_4cuda6detail10TensorInfoIKT_T0_EES8_S8_S8_S8_NS5_IS6_S8_EENS5_IlS8_EE.private_seg_size, 0
	.set _ZN2at6native12_GLOBAL__N_114gatherKthValueIalLi1EEEvNS_4cuda6detail10TensorInfoIKT_T0_EES8_S8_S8_S8_NS5_IS6_S8_EENS5_IlS8_EE.uses_vcc, 1
	.set _ZN2at6native12_GLOBAL__N_114gatherKthValueIalLi1EEEvNS_4cuda6detail10TensorInfoIKT_T0_EES8_S8_S8_S8_NS5_IS6_S8_EENS5_IlS8_EE.uses_flat_scratch, 0
	.set _ZN2at6native12_GLOBAL__N_114gatherKthValueIalLi1EEEvNS_4cuda6detail10TensorInfoIKT_T0_EES8_S8_S8_S8_NS5_IS6_S8_EENS5_IlS8_EE.has_dyn_sized_stack, 0
	.set _ZN2at6native12_GLOBAL__N_114gatherKthValueIalLi1EEEvNS_4cuda6detail10TensorInfoIKT_T0_EES8_S8_S8_S8_NS5_IS6_S8_EENS5_IlS8_EE.has_recursion, 0
	.set _ZN2at6native12_GLOBAL__N_114gatherKthValueIalLi1EEEvNS_4cuda6detail10TensorInfoIKT_T0_EES8_S8_S8_S8_NS5_IS6_S8_EENS5_IlS8_EE.has_indirect_call, 0
	.section	.AMDGPU.csdata,"",@progbits
; Kernel info:
; codeLenInByte = 16296
; TotalNumSgprs: 100
; NumVgprs: 63
; ScratchSize: 0
; MemoryBound: 0
; FloatMode: 240
; IeeeMode: 1
; LDSByteSize: 5144 bytes/workgroup (compile time only)
; SGPRBlocks: 12
; VGPRBlocks: 15
; NumSGPRsForWavesPerEU: 100
; NumVGPRsForWavesPerEU: 63
; Occupancy: 4
; WaveLimiterHint : 1
; COMPUTE_PGM_RSRC2:SCRATCH_EN: 0
; COMPUTE_PGM_RSRC2:USER_SGPR: 6
; COMPUTE_PGM_RSRC2:TRAP_HANDLER: 0
; COMPUTE_PGM_RSRC2:TGID_X_EN: 1
; COMPUTE_PGM_RSRC2:TGID_Y_EN: 1
; COMPUTE_PGM_RSRC2:TGID_Z_EN: 1
; COMPUTE_PGM_RSRC2:TIDIG_COMP_CNT: 0
	.section	.text._ZN2at6native12_GLOBAL__N_114gatherKthValueIalLi2EEEvNS_4cuda6detail10TensorInfoIKT_T0_EES8_S8_S8_S8_NS5_IS6_S8_EENS5_IlS8_EE,"axG",@progbits,_ZN2at6native12_GLOBAL__N_114gatherKthValueIalLi2EEEvNS_4cuda6detail10TensorInfoIKT_T0_EES8_S8_S8_S8_NS5_IS6_S8_EENS5_IlS8_EE,comdat
	.globl	_ZN2at6native12_GLOBAL__N_114gatherKthValueIalLi2EEEvNS_4cuda6detail10TensorInfoIKT_T0_EES8_S8_S8_S8_NS5_IS6_S8_EENS5_IlS8_EE ; -- Begin function _ZN2at6native12_GLOBAL__N_114gatherKthValueIalLi2EEEvNS_4cuda6detail10TensorInfoIKT_T0_EES8_S8_S8_S8_NS5_IS6_S8_EENS5_IlS8_EE
	.p2align	8
	.type	_ZN2at6native12_GLOBAL__N_114gatherKthValueIalLi2EEEvNS_4cuda6detail10TensorInfoIKT_T0_EES8_S8_S8_S8_NS5_IS6_S8_EENS5_IlS8_EE,@function
_ZN2at6native12_GLOBAL__N_114gatherKthValueIalLi2EEEvNS_4cuda6detail10TensorInfoIKT_T0_EES8_S8_S8_S8_NS5_IS6_S8_EENS5_IlS8_EE: ; @_ZN2at6native12_GLOBAL__N_114gatherKthValueIalLi2EEEvNS_4cuda6detail10TensorInfoIKT_T0_EES8_S8_S8_S8_NS5_IS6_S8_EENS5_IlS8_EE
; %bb.0:
	s_load_dwordx2 s[14:15], s[4:5], 0x500
	s_load_dwordx8 s[24:31], s[4:5], 0x1a0
	s_add_u32 s12, s4, 0x500
	s_addc_u32 s13, s5, 0
	s_mov_b32 s67, 0
	s_waitcnt lgkmcnt(0)
	s_mul_i32 s0, s15, s8
	s_add_i32 s0, s0, s7
	s_mul_i32 s0, s0, s14
	s_add_i32 s66, s0, s6
	v_mov_b32_e32 v1, s66
	v_mov_b32_e32 v2, s67
	v_cmp_le_i64_e32 vcc, s[28:29], v[1:2]
	s_cbranch_vccnz .LBB13_283
; %bb.1:
	s_load_dwordx2 s[2:3], s[4:5], 0x10
	s_load_dwordx2 s[64:65], s[4:5], 0x1d0
	s_mov_b32 s0, s67
	s_waitcnt lgkmcnt(0)
	s_mov_b32 s1, s3
	s_cmp_lg_u64 s[0:1], 0
	s_cbranch_scc0 .LBB13_296
; %bb.2:
	s_ashr_i32 s0, s3, 31
	s_add_u32 s8, s2, s0
	s_mov_b32 s1, s0
	s_addc_u32 s9, s3, s0
	s_xor_b64 s[10:11], s[8:9], s[0:1]
	v_cvt_f32_u32_e32 v1, s10
	v_cvt_f32_u32_e32 v2, s11
	s_sub_u32 s7, 0, s10
	s_subb_u32 s15, 0, s11
	v_madmk_f32 v1, v2, 0x4f800000, v1
	v_rcp_f32_e32 v1, v1
	v_mul_f32_e32 v1, 0x5f7ffffc, v1
	v_mul_f32_e32 v2, 0x2f800000, v1
	v_trunc_f32_e32 v2, v2
	v_madmk_f32 v1, v2, 0xcf800000, v1
	v_cvt_u32_f32_e32 v2, v2
	v_cvt_u32_f32_e32 v1, v1
	v_readfirstlane_b32 s18, v2
	v_readfirstlane_b32 s16, v1
	s_mul_i32 s17, s7, s18
	s_mul_hi_u32 s20, s7, s16
	s_mul_i32 s19, s15, s16
	s_add_i32 s17, s20, s17
	s_add_i32 s17, s17, s19
	s_mul_i32 s21, s7, s16
	s_mul_i32 s20, s16, s17
	s_mul_hi_u32 s22, s16, s21
	s_mul_hi_u32 s19, s16, s17
	s_add_u32 s20, s22, s20
	s_addc_u32 s19, 0, s19
	s_mul_hi_u32 s23, s18, s21
	s_mul_i32 s21, s18, s21
	s_add_u32 s20, s20, s21
	s_mul_hi_u32 s22, s18, s17
	s_addc_u32 s19, s19, s23
	s_addc_u32 s20, s22, 0
	s_mul_i32 s17, s18, s17
	s_add_u32 s17, s19, s17
	s_addc_u32 s19, 0, s20
	s_add_u32 s20, s16, s17
	s_cselect_b64 s[16:17], -1, 0
	s_cmp_lg_u64 s[16:17], 0
	s_addc_u32 s18, s18, s19
	s_mul_i32 s16, s7, s18
	s_mul_hi_u32 s17, s7, s20
	s_add_i32 s16, s17, s16
	s_mul_i32 s15, s15, s20
	s_add_i32 s16, s16, s15
	s_mul_i32 s7, s7, s20
	s_mul_hi_u32 s17, s18, s7
	s_mul_i32 s19, s18, s7
	s_mul_i32 s22, s20, s16
	s_mul_hi_u32 s7, s20, s7
	s_mul_hi_u32 s21, s20, s16
	s_add_u32 s7, s7, s22
	s_addc_u32 s21, 0, s21
	s_add_u32 s7, s7, s19
	s_mul_hi_u32 s15, s18, s16
	s_addc_u32 s7, s21, s17
	s_addc_u32 s15, s15, 0
	s_mul_i32 s16, s18, s16
	s_add_u32 s7, s7, s16
	s_addc_u32 s15, 0, s15
	s_add_u32 s7, s20, s7
	s_cselect_b64 s[16:17], -1, 0
	s_cmp_lg_u64 s[16:17], 0
	s_addc_u32 s15, s18, s15
	s_add_u32 s16, s66, 0
	s_addc_u32 s17, 0, 0
	s_xor_b64 s[16:17], s[16:17], 0
	s_mul_i32 s19, s16, s15
	s_mul_hi_u32 s20, s16, s7
	s_mul_hi_u32 s18, s16, s15
	s_add_u32 s19, s20, s19
	s_addc_u32 s18, 0, s18
	s_mul_hi_u32 s21, s17, s7
	s_mul_i32 s7, s17, s7
	s_add_u32 s7, s19, s7
	s_mul_hi_u32 s20, s17, s15
	s_addc_u32 s7, s18, s21
	s_addc_u32 s18, s20, 0
	s_mul_i32 s15, s17, s15
	s_add_u32 s7, s7, s15
	s_addc_u32 s15, 0, s18
	s_mul_i32 s18, s10, s15
	s_mul_hi_u32 s19, s10, s7
	s_add_i32 s18, s19, s18
	s_mul_i32 s19, s11, s7
	s_add_i32 s22, s18, s19
	s_sub_i32 s20, s17, s22
	s_mul_i32 s18, s10, s7
	s_sub_u32 s16, s16, s18
	s_cselect_b64 s[18:19], -1, 0
	s_cmp_lg_u64 s[18:19], 0
	s_subb_u32 s23, s20, s11
	s_sub_u32 s28, s16, s10
	s_cselect_b64 s[20:21], -1, 0
	s_cmp_lg_u64 s[20:21], 0
	s_subb_u32 s20, s23, 0
	s_cmp_ge_u32 s20, s11
	s_cselect_b32 s21, -1, 0
	s_cmp_ge_u32 s28, s10
	s_cselect_b32 s23, -1, 0
	s_cmp_eq_u32 s20, s11
	s_cselect_b32 s20, s23, s21
	s_add_u32 s21, s7, 1
	s_addc_u32 s23, s15, 0
	s_add_u32 s28, s7, 2
	s_addc_u32 s29, s15, 0
	s_cmp_lg_u32 s20, 0
	s_cselect_b32 s20, s28, s21
	s_cselect_b32 s21, s29, s23
	s_cmp_lg_u64 s[18:19], 0
	s_subb_u32 s17, s17, s22
	s_cmp_ge_u32 s17, s11
	s_cselect_b32 s18, -1, 0
	s_cmp_ge_u32 s16, s10
	s_cselect_b32 s10, -1, 0
	s_cmp_eq_u32 s17, s11
	s_cselect_b32 s10, s10, s18
	s_cmp_lg_u32 s10, 0
	s_cselect_b32 s11, s21, s15
	s_cselect_b32 s10, s20, s7
	s_xor_b64 s[0:1], 0, s[0:1]
	s_xor_b64 s[10:11], s[10:11], s[0:1]
	s_sub_u32 s16, s10, s0
	s_subb_u32 s17, s11, s1
	s_cbranch_execnz .LBB13_4
.LBB13_3:
	v_cvt_f32_u32_e32 v1, s2
	s_sub_i32 s0, 0, s2
	s_mov_b32 s17, 0
	v_rcp_iflag_f32_e32 v1, v1
	v_mul_f32_e32 v1, 0x4f7ffffe, v1
	v_cvt_u32_f32_e32 v1, v1
	v_readfirstlane_b32 s1, v1
	s_mul_i32 s0, s0, s1
	s_mul_hi_u32 s0, s1, s0
	s_add_i32 s1, s1, s0
	s_mul_hi_u32 s0, s66, s1
	s_mul_i32 s7, s0, s2
	s_sub_i32 s7, s66, s7
	s_add_i32 s1, s0, 1
	s_sub_i32 s8, s7, s2
	s_cmp_ge_u32 s7, s2
	s_cselect_b32 s0, s1, s0
	s_cselect_b32 s7, s8, s7
	s_add_i32 s1, s0, 1
	s_cmp_ge_u32 s7, s2
	s_cselect_b32 s16, s1, s0
.LBB13_4:
	s_load_dwordx2 s[10:11], s[4:5], 0x370
	s_mov_b32 s0, 0
	s_mov_b32 s1, s65
                                        ; implicit-def: $vgpr57 : SGPR spill to VGPR lane
	s_cmp_lg_u64 s[0:1], 0
	s_waitcnt lgkmcnt(0)
	v_writelane_b32 v57, s10, 0
	v_writelane_b32 v57, s11, 1
	s_cbranch_scc0 .LBB13_297
; %bb.5:
	s_ashr_i32 s0, s65, 31
	s_add_u32 s8, s64, s0
	s_mov_b32 s1, s0
	s_addc_u32 s9, s65, s0
	s_xor_b64 s[10:11], s[8:9], s[0:1]
	v_cvt_f32_u32_e32 v1, s10
	v_cvt_f32_u32_e32 v2, s11
	s_sub_u32 s7, 0, s10
	s_subb_u32 s15, 0, s11
	v_madmk_f32 v1, v2, 0x4f800000, v1
	v_rcp_f32_e32 v1, v1
	v_mul_f32_e32 v1, 0x5f7ffffc, v1
	v_mul_f32_e32 v2, 0x2f800000, v1
	v_trunc_f32_e32 v2, v2
	v_madmk_f32 v1, v2, 0xcf800000, v1
	v_cvt_u32_f32_e32 v2, v2
	v_cvt_u32_f32_e32 v1, v1
	v_readfirstlane_b32 s20, v2
	v_readfirstlane_b32 s18, v1
	s_mul_i32 s19, s7, s20
	s_mul_hi_u32 s22, s7, s18
	s_mul_i32 s21, s15, s18
	s_add_i32 s19, s22, s19
	s_add_i32 s19, s19, s21
	s_mul_i32 s23, s7, s18
	s_mul_i32 s22, s18, s19
	s_mul_hi_u32 s28, s18, s23
	s_mul_hi_u32 s21, s18, s19
	s_add_u32 s22, s28, s22
	s_addc_u32 s21, 0, s21
	s_mul_hi_u32 s29, s20, s23
	s_mul_i32 s23, s20, s23
	s_add_u32 s22, s22, s23
	s_mul_hi_u32 s28, s20, s19
	s_addc_u32 s21, s21, s29
	s_addc_u32 s22, s28, 0
	s_mul_i32 s19, s20, s19
	s_add_u32 s19, s21, s19
	s_addc_u32 s21, 0, s22
	s_add_u32 s22, s18, s19
	s_cselect_b64 s[18:19], -1, 0
	s_cmp_lg_u64 s[18:19], 0
	s_addc_u32 s20, s20, s21
	s_mul_i32 s18, s7, s20
	s_mul_hi_u32 s19, s7, s22
	s_add_i32 s18, s19, s18
	s_mul_i32 s15, s15, s22
	s_add_i32 s18, s18, s15
	s_mul_i32 s7, s7, s22
	s_mul_hi_u32 s19, s20, s7
	s_mul_i32 s21, s20, s7
	s_mul_i32 s28, s22, s18
	s_mul_hi_u32 s7, s22, s7
	s_mul_hi_u32 s23, s22, s18
	s_add_u32 s7, s7, s28
	s_addc_u32 s23, 0, s23
	s_add_u32 s7, s7, s21
	s_mul_hi_u32 s15, s20, s18
	s_addc_u32 s7, s23, s19
	s_addc_u32 s15, s15, 0
	s_mul_i32 s18, s20, s18
	s_add_u32 s7, s7, s18
	s_addc_u32 s15, 0, s15
	s_add_u32 s7, s22, s7
	s_cselect_b64 s[18:19], -1, 0
	s_cmp_lg_u64 s[18:19], 0
	s_addc_u32 s15, s20, s15
	s_add_u32 s18, s66, 0
	s_addc_u32 s19, 0, 0
	s_xor_b64 s[18:19], s[18:19], 0
	s_mul_i32 s21, s18, s15
	s_mul_hi_u32 s22, s18, s7
	s_mul_hi_u32 s20, s18, s15
	s_add_u32 s21, s22, s21
	s_addc_u32 s20, 0, s20
	s_mul_hi_u32 s23, s19, s7
	s_mul_i32 s7, s19, s7
	s_add_u32 s7, s21, s7
	s_mul_hi_u32 s22, s19, s15
	s_addc_u32 s7, s20, s23
	s_addc_u32 s20, s22, 0
	s_mul_i32 s15, s19, s15
	s_add_u32 s7, s7, s15
	s_addc_u32 s15, 0, s20
	s_mul_i32 s20, s10, s15
	s_mul_hi_u32 s21, s10, s7
	s_add_i32 s20, s21, s20
	s_mul_i32 s21, s11, s7
	s_add_i32 s28, s20, s21
	s_sub_i32 s22, s19, s28
	s_mul_i32 s20, s10, s7
	s_sub_u32 s18, s18, s20
	s_cselect_b64 s[20:21], -1, 0
	s_cmp_lg_u64 s[20:21], 0
	s_subb_u32 s29, s22, s11
	s_sub_u32 s33, s18, s10
	s_cselect_b64 s[22:23], -1, 0
	s_cmp_lg_u64 s[22:23], 0
	s_subb_u32 s22, s29, 0
	s_cmp_ge_u32 s22, s11
	s_cselect_b32 s23, -1, 0
	s_cmp_ge_u32 s33, s10
	s_cselect_b32 s29, -1, 0
	s_cmp_eq_u32 s22, s11
	s_cselect_b32 s22, s29, s23
	s_add_u32 s23, s7, 1
	s_addc_u32 s29, s15, 0
	s_add_u32 s33, s7, 2
	s_addc_u32 s34, s15, 0
	s_cmp_lg_u32 s22, 0
	s_cselect_b32 s22, s33, s23
	s_cselect_b32 s23, s34, s29
	s_cmp_lg_u64 s[20:21], 0
	s_subb_u32 s19, s19, s28
	s_cmp_ge_u32 s19, s11
	s_cselect_b32 s20, -1, 0
	s_cmp_ge_u32 s18, s10
	s_cselect_b32 s10, -1, 0
	s_cmp_eq_u32 s19, s11
	s_cselect_b32 s10, s10, s20
	s_cmp_lg_u32 s10, 0
	s_cselect_b32 s11, s23, s15
	s_cselect_b32 s10, s22, s7
	s_xor_b64 s[0:1], 0, s[0:1]
	s_xor_b64 s[10:11], s[10:11], s[0:1]
	s_sub_u32 s0, s10, s0
	s_subb_u32 s1, s11, s1
	s_load_dwordx2 s[10:11], s[4:5], 0x370
	v_writelane_b32 v57, s0, 2
	v_writelane_b32 v57, s1, 3
	s_cbranch_execnz .LBB13_7
.LBB13_6:
	v_cvt_f32_u32_e32 v1, s64
	s_sub_i32 s0, 0, s64
	s_mov_b32 s9, 0
	v_rcp_iflag_f32_e32 v1, v1
	v_mul_f32_e32 v1, 0x4f7ffffe, v1
	v_cvt_u32_f32_e32 v1, v1
	v_readfirstlane_b32 s1, v1
	s_mul_i32 s0, s0, s1
	s_mul_hi_u32 s0, s1, s0
	s_add_i32 s1, s1, s0
	s_mul_hi_u32 s0, s66, s1
	s_mul_i32 s7, s0, s64
	s_sub_i32 s7, s66, s7
	s_add_i32 s1, s0, 1
	s_sub_i32 s8, s7, s64
	s_cmp_ge_u32 s7, s64
	s_cselect_b32 s0, s1, s0
	s_cselect_b32 s7, s8, s7
	s_add_i32 s1, s0, 1
	s_cmp_ge_u32 s7, s64
	s_cselect_b32 s8, s1, s0
	v_writelane_b32 v57, s8, 2
	v_writelane_b32 v57, s9, 3
.LBB13_7:
	s_mov_b32 s0, 0
	s_waitcnt lgkmcnt(0)
	s_mov_b32 s1, s11
	s_cmp_lg_u64 s[0:1], 0
	s_cbranch_scc0 .LBB13_298
; %bb.8:
	s_ashr_i32 s8, s11, 31
	s_add_u32 s0, s10, s8
	s_mov_b32 s9, s8
	s_addc_u32 s1, s11, s8
	s_xor_b64 s[10:11], s[0:1], s[8:9]
	v_cvt_f32_u32_e32 v1, s10
	v_cvt_f32_u32_e32 v2, s11
	s_sub_u32 s7, 0, s10
	s_subb_u32 s15, 0, s11
	v_madmk_f32 v1, v2, 0x4f800000, v1
	v_rcp_f32_e32 v1, v1
	v_mul_f32_e32 v1, 0x5f7ffffc, v1
	v_mul_f32_e32 v2, 0x2f800000, v1
	v_trunc_f32_e32 v2, v2
	v_madmk_f32 v1, v2, 0xcf800000, v1
	v_cvt_u32_f32_e32 v2, v2
	v_cvt_u32_f32_e32 v1, v1
	v_readfirstlane_b32 s20, v2
	v_readfirstlane_b32 s18, v1
	s_mul_i32 s19, s7, s20
	s_mul_hi_u32 s22, s7, s18
	s_mul_i32 s21, s15, s18
	s_add_i32 s19, s22, s19
	s_add_i32 s19, s19, s21
	s_mul_i32 s23, s7, s18
	s_mul_i32 s22, s18, s19
	s_mul_hi_u32 s28, s18, s23
	s_mul_hi_u32 s21, s18, s19
	s_add_u32 s22, s28, s22
	s_addc_u32 s21, 0, s21
	s_mul_hi_u32 s29, s20, s23
	s_mul_i32 s23, s20, s23
	s_add_u32 s22, s22, s23
	s_mul_hi_u32 s28, s20, s19
	s_addc_u32 s21, s21, s29
	s_addc_u32 s22, s28, 0
	s_mul_i32 s19, s20, s19
	s_add_u32 s19, s21, s19
	s_addc_u32 s21, 0, s22
	s_add_u32 s22, s18, s19
	s_cselect_b64 s[18:19], -1, 0
	s_cmp_lg_u64 s[18:19], 0
	s_addc_u32 s20, s20, s21
	s_mul_i32 s18, s7, s20
	s_mul_hi_u32 s19, s7, s22
	s_add_i32 s18, s19, s18
	s_mul_i32 s15, s15, s22
	s_add_i32 s18, s18, s15
	s_mul_i32 s7, s7, s22
	s_mul_hi_u32 s19, s20, s7
	s_mul_i32 s21, s20, s7
	s_mul_i32 s28, s22, s18
	s_mul_hi_u32 s7, s22, s7
	s_mul_hi_u32 s23, s22, s18
	s_add_u32 s7, s7, s28
	s_addc_u32 s23, 0, s23
	s_add_u32 s7, s7, s21
	s_mul_hi_u32 s15, s20, s18
	s_addc_u32 s7, s23, s19
	s_addc_u32 s15, s15, 0
	s_mul_i32 s18, s20, s18
	s_add_u32 s7, s7, s18
	s_addc_u32 s15, 0, s15
	s_add_u32 s7, s22, s7
	s_cselect_b64 s[18:19], -1, 0
	s_cmp_lg_u64 s[18:19], 0
	s_addc_u32 s15, s20, s15
	s_add_u32 s18, s66, 0
	s_addc_u32 s19, 0, 0
	s_xor_b64 s[18:19], s[18:19], 0
	s_mul_i32 s21, s18, s15
	s_mul_hi_u32 s22, s18, s7
	s_mul_hi_u32 s20, s18, s15
	s_add_u32 s21, s22, s21
	s_addc_u32 s20, 0, s20
	s_mul_hi_u32 s23, s19, s7
	s_mul_i32 s7, s19, s7
	s_add_u32 s7, s21, s7
	s_mul_hi_u32 s22, s19, s15
	s_addc_u32 s7, s20, s23
	s_addc_u32 s20, s22, 0
	s_mul_i32 s15, s19, s15
	s_add_u32 s7, s7, s15
	s_addc_u32 s15, 0, s20
	s_mul_i32 s20, s10, s15
	s_mul_hi_u32 s21, s10, s7
	s_add_i32 s20, s21, s20
	s_mul_i32 s21, s11, s7
	s_add_i32 s28, s20, s21
	s_sub_i32 s22, s19, s28
	s_mul_i32 s20, s10, s7
	s_sub_u32 s18, s18, s20
	s_cselect_b64 s[20:21], -1, 0
	s_cmp_lg_u64 s[20:21], 0
	s_subb_u32 s29, s22, s11
	s_sub_u32 s33, s18, s10
	s_cselect_b64 s[22:23], -1, 0
	s_cmp_lg_u64 s[22:23], 0
	s_subb_u32 s22, s29, 0
	s_cmp_ge_u32 s22, s11
	s_cselect_b32 s23, -1, 0
	s_cmp_ge_u32 s33, s10
	s_cselect_b32 s29, -1, 0
	s_cmp_eq_u32 s22, s11
	s_cselect_b32 s22, s29, s23
	s_add_u32 s23, s7, 1
	s_addc_u32 s29, s15, 0
	s_add_u32 s33, s7, 2
	s_addc_u32 s34, s15, 0
	s_cmp_lg_u32 s22, 0
	s_cselect_b32 s22, s33, s23
	s_cselect_b32 s23, s34, s29
	s_cmp_lg_u64 s[20:21], 0
	s_subb_u32 s19, s19, s28
	s_cmp_ge_u32 s19, s11
	s_cselect_b32 s20, -1, 0
	s_cmp_ge_u32 s18, s10
	s_cselect_b32 s10, -1, 0
	s_cmp_eq_u32 s19, s11
	s_cselect_b32 s10, s10, s20
	s_cmp_lg_u32 s10, 0
	s_cselect_b32 s11, s23, s15
	s_cselect_b32 s10, s22, s7
	s_xor_b64 s[8:9], 0, s[8:9]
	s_xor_b64 s[10:11], s[10:11], s[8:9]
	s_sub_u32 s8, s10, s8
	s_subb_u32 s9, s11, s9
	s_load_dwordx2 s[10:11], s[4:5], 0x370
	v_writelane_b32 v57, s8, 4
	v_writelane_b32 v57, s9, 5
	s_load_dwordx2 s[18:19], s[4:5], 0x0
	s_cbranch_execnz .LBB13_10
.LBB13_9:
	s_waitcnt lgkmcnt(0)
	v_cvt_f32_u32_e32 v1, s10
	s_sub_i32 s0, 0, s10
	s_mov_b32 s9, 0
	v_rcp_iflag_f32_e32 v1, v1
	v_mul_f32_e32 v1, 0x4f7ffffe, v1
	v_cvt_u32_f32_e32 v1, v1
	v_readfirstlane_b32 s1, v1
	s_mul_i32 s0, s0, s1
	s_mul_hi_u32 s0, s1, s0
	s_add_i32 s1, s1, s0
	s_mul_hi_u32 s0, s66, s1
	s_mul_i32 s7, s0, s10
	s_sub_i32 s7, s66, s7
	s_add_i32 s1, s0, 1
	s_sub_i32 s8, s7, s10
	s_cmp_ge_u32 s7, s10
	s_cselect_b32 s0, s1, s0
	s_cselect_b32 s7, s8, s7
	s_add_i32 s1, s0, 1
	s_cmp_ge_u32 s7, s10
	s_cselect_b32 s8, s1, s0
	v_writelane_b32 v57, s8, 4
	v_writelane_b32 v57, s9, 5
.LBB13_10:
	s_load_dwordx2 s[0:1], s[4:5], 0x360
	s_mov_b32 s53, 0
	s_waitcnt lgkmcnt(0)
	s_load_dwordx4 s[8:11], s[4:5], 0xd0
	v_writelane_b32 v57, s0, 6
	v_writelane_b32 v57, s1, 7
	s_load_dwordx2 s[0:1], s[4:5], 0x1c0
	s_waitcnt lgkmcnt(0)
	v_writelane_b32 v57, s0, 8
	v_writelane_b32 v57, s1, 9
	v_cmp_eq_u32_e64 s[0:1], 0, v0
	s_mov_b64 s[20:21], exec
	v_writelane_b32 v57, s0, 10
	v_writelane_b32 v57, s1, 11
	s_and_b64 s[0:1], s[20:21], s[0:1]
	s_mov_b64 exec, s[0:1]
	s_cbranch_execz .LBB13_12
; %bb.11:
	v_mov_b32_e32 v1, 0
	v_mov_b32_e32 v3, s24
	;; [unrolled: 1-line block ×4, first 2 shown]
	ds_write_b32 v1, v1 offset:5136
	ds_write_b128 v1, v[1:4] offset:5120
.LBB13_12:
	s_or_b64 exec, exec, s[20:21]
	s_mul_i32 s0, s16, s3
	s_mul_hi_u32 s1, s16, s2
	s_add_i32 s0, s1, s0
	s_mul_i32 s1, s17, s2
	s_add_i32 s0, s0, s1
	s_mul_i32 s1, s16, s2
	s_sub_u32 s1, s66, s1
	s_subb_u32 s0, 0, s0
	s_mul_i32 s2, s1, s11
	s_mul_hi_u32 s3, s1, s10
	s_add_i32 s2, s3, s2
	s_mul_i32 s0, s0, s10
	s_add_i32 s7, s2, s0
	s_mul_i32 s10, s1, s10
	s_mul_i32 s0, s16, s9
	s_mul_hi_u32 s1, s16, s8
	s_add_i32 s0, s1, s0
	s_mul_i32 s1, s17, s8
	s_add_i32 s11, s0, s1
	s_mul_i32 s8, s16, s8
	s_add_u32 s0, s18, s8
	s_addc_u32 s1, s19, s11
	s_add_u32 s54, s0, s10
	s_addc_u32 s55, s1, s7
	v_mbcnt_lo_u32_b32 v1, -1, 0
	v_mad_u64_u32 v[4:5], s[0:1], s30, v0, 0
	v_mbcnt_hi_u32_b32 v32, -1, v1
	v_cmp_gt_u32_e32 vcc, 64, v0
	v_cmp_gt_i32_e64 s[2:3], 4, v32
	s_and_b64 s[0:1], vcc, s[2:3]
	v_writelane_b32 v57, s0, 12
	v_mov_b32_e32 v1, v5
	v_mov_b32_e32 v5, 0xc00
	v_writelane_b32 v57, s1, 13
	v_mad_u64_u32 v[1:2], s[0:1], s31, v0, v[1:2]
	v_mov_b32_e32 v6, 0
	v_cmp_gt_i64_e64 s[0:1], s[24:25], v[5:6]
	s_waitcnt lgkmcnt(0)
	v_writelane_b32 v57, s0, 14
	s_barrier
	v_writelane_b32 v57, s1, 15
	s_load_dword s0, s[12:13], 0xc
	v_mov_b32_e32 v2, s55
	v_add_co_u32_e32 v14, vcc, s54, v4
	v_mov_b32_e32 v3, 0
	v_addc_co_u32_e32 v15, vcc, v2, v1, vcc
	s_waitcnt lgkmcnt(0)
	s_and_b32 s23, s0, 0xffff
	s_bfe_u32 s0, s0, 0xa0006
	v_add_u32_e32 v2, 2, v0
	s_cmp_gt_u32 s23, 63
	v_cmp_gt_i64_e32 vcc, s[24:25], v[2:3]
	s_cselect_b64 s[2:3], -1, 0
	v_mov_b32_e32 v6, s25
	v_writelane_b32 v57, s2, 16
	s_add_u32 s1, s23, -1
	v_cndmask_b32_e32 v7, 0, v6, vcc
	v_mov_b32_e32 v6, s24
	v_writelane_b32 v57, s3, 17
	s_addc_u32 s2, 0, -1
	v_cndmask_b32_e32 v2, v2, v6, vcc
	v_not_b32_e32 v6, v0
	v_writelane_b32 v57, s1, 18
	s_add_u32 s1, s1, s24
	v_add_co_u32_e32 v6, vcc, v2, v6
	v_writelane_b32 v57, s1, 19
	v_addc_co_u32_e32 v7, vcc, -1, v7, vcc
	v_writelane_b32 v57, s2, 20
	s_addc_u32 s61, s2, s25
	v_cmp_lt_u64_e64 s[2:3], 3, v[6:7]
	s_cmp_lt_u32 s6, s14
	v_writelane_b32 v57, s2, 21
	v_and_b32_e32 v18, -4, v6
	v_mov_b32_e32 v19, v7
	s_cselect_b32 s1, 12, 18
	v_writelane_b32 v57, s3, 22
	v_cmp_ne_u64_e64 s[2:3], v[6:7], v[18:19]
	s_add_u32 s62, s12, s1
	s_addc_u32 s63, s13, 0
	v_writelane_b32 v57, s2, 23
	s_add_i32 s1, s0, -1
	v_writelane_b32 v57, s3, 24
	s_bfe_u32 s2, s23, 0x30006
	s_and_b32 s1, s1, 0xffff
	s_cmp_gt_u32 s1, 6
	s_cselect_b64 s[12:13], -1, 0
	v_writelane_b32 v57, s12, 25
	s_and_b32 s9, s0, 0x3f8
	v_writelane_b32 v57, s13, 26
	s_cmp_lg_u32 s2, 0
	v_lshlrev_b32_e32 v16, 2, v0
	v_writelane_b32 v57, s2, 27
	s_cselect_b64 s[0:1], -1, 0
	v_writelane_b32 v57, s0, 28
	v_or_b32_e32 v6, 3, v16
	v_writelane_b32 v57, s1, 29
	v_mad_u64_u32 v[20:21], s[0:1], s30, v6, 0
	s_add_u32 s2, s8, s10
	s_addc_u32 s0, s11, s7
	s_add_u32 s2, s18, s2
	v_or_b32_e32 v11, 2, v16
	s_addc_u32 s3, s19, s0
	v_mov_b32_e32 v2, v21
	v_mad_u64_u32 v[21:22], s[0:1], s30, v11, 0
	v_mov_b32_e32 v9, s30
	v_mad_u64_u32 v[6:7], s[0:1], s31, v6, v[2:3]
	v_mov_b32_e32 v2, s3
	v_writelane_b32 v57, s2, 30
	v_add_co_u32_e32 v12, vcc, s2, v4
	v_mov_b32_e32 v10, s31
	v_mov_b32_e32 v5, v1
	v_addc_co_u32_e32 v13, vcc, v2, v1, vcc
	v_mov_b32_e32 v1, v22
	v_mad_u64_u32 v[22:23], s[0:1], s30, v16, v[9:10]
	v_lshlrev_b64 v[7:8], v32, -1
	v_mad_u64_u32 v[1:2], s[0:1], s31, v11, v[1:2]
	v_mov_b32_e32 v2, v23
	v_not_b32_e32 v33, v8
	v_mad_u64_u32 v[8:9], s[0:1], s31, v16, v[2:3]
	v_writelane_b32 v57, s3, 31
	s_load_dwordx4 s[0:3], s[4:5], 0x430
	v_lshlrev_b32_e32 v2, 2, v32
	v_mov_b32_e32 v36, v1
	v_mov_b32_e32 v1, v3
	v_and_b32_e32 v38, 0x100, v2
	s_waitcnt lgkmcnt(0)
	v_writelane_b32 v57, s0, 32
	v_writelane_b32 v57, s1, 33
	;; [unrolled: 1-line block ×4, first 2 shown]
	s_load_dwordx4 s[0:3], s[4:5], 0x290
	v_lshrrev_b32_e32 v2, 1, v0
	v_and_b32_e32 v2, 0x1e0, v2
	v_or_b32_e32 v39, 0xc00, v2
	v_mov_b32_e32 v2, s25
	s_waitcnt lgkmcnt(0)
	v_writelane_b32 v57, s0, 36
	v_writelane_b32 v57, s1, 37
	;; [unrolled: 1-line block ×4, first 2 shown]
	v_cmp_gt_u32_e64 s[0:1], 2, v0
	v_writelane_b32 v57, s0, 40
	v_writelane_b32 v57, s1, 41
	v_cmp_gt_i64_e64 s[0:1], s[24:25], v[0:1]
	v_add_co_u32_e32 v40, vcc, s24, v0
	v_writelane_b32 v57, s0, 42
	v_lshlrev_b64 v[23:24], 2, v[4:5]
	v_addc_co_u32_e32 v41, vcc, 0, v2, vcc
	v_mov_b32_e32 v2, 0xc00
	s_mul_i32 s4, s31, s23
	s_mul_hi_u32 s5, s30, s23
	v_mov_b32_e32 v26, s26
	v_not_b32_e32 v34, v7
	v_mov_b32_e32 v35, v6
	v_mov_b32_e32 v37, v8
	v_cmp_eq_u32_e64 s[10:11], 0, v32
	v_writelane_b32 v57, s1, 43
	v_mov_b32_e32 v17, v3
	s_mov_b32 s0, s30
	s_mov_b32 s1, s31
	;; [unrolled: 1-line block ×9, first 2 shown]
	s_lshl_b64 s[70:71], s[30:31], 2
	v_lshl_or_b32 v42, v32, 3, v2
	s_add_i32 s33, s5, s4
	s_mul_i32 s22, s30, s23
	s_mov_b64 s[72:73], 0
	s_movk_i32 s13, 0x80
	s_mov_b32 s8, 0xc0c0004
	s_mov_b32 s56, 0
	v_mov_b32_e32 v44, 8
	v_mov_b32_e32 v46, 0
	;; [unrolled: 1-line block ×4, first 2 shown]
	v_add_co_u32_e32 v25, vcc, v18, v0
	v_mov_b32_e32 v27, s27
                                        ; implicit-def: $sgpr74_sgpr75
                                        ; implicit-def: $sgpr78_sgpr79
                                        ; implicit-def: $sgpr76_sgpr77
                                        ; implicit-def: $sgpr82_sgpr83
                                        ; implicit-def: $sgpr84_sgpr85
                                        ; implicit-def: $sgpr80_sgpr81
	s_branch .LBB13_16
.LBB13_13:                              ;   in Loop: Header=BB13_16 Depth=1
	s_or_b64 exec, exec, s[20:21]
	s_and_b64 s[14:15], s[14:15], exec
	s_andn2_b64 s[88:89], s[88:89], exec
	s_andn2_b64 s[4:5], s[4:5], exec
	s_orn2_b64 s[20:21], s[16:17], exec
.LBB13_14:                              ;   in Loop: Header=BB13_16 Depth=1
	s_or_b64 exec, exec, s[6:7]
	s_andn2_b64 s[6:7], s[80:81], exec
	s_and_b64 s[14:15], s[14:15], exec
	s_or_b64 s[80:81], s[6:7], s[14:15]
	s_andn2_b64 s[6:7], s[84:85], exec
	s_and_b64 s[14:15], s[88:89], exec
	s_or_b64 s[84:85], s[6:7], s[14:15]
	;; [unrolled: 3-line block ×3, first 2 shown]
	s_orn2_b64 s[4:5], s[20:21], exec
.LBB13_15:                              ;   in Loop: Header=BB13_16 Depth=1
	s_or_b64 exec, exec, s[18:19]
	s_and_b64 s[4:5], exec, s[4:5]
	s_or_b64 s[72:73], s[4:5], s[72:73]
	s_andn2_b64 s[4:5], s[76:77], exec
	s_and_b64 s[6:7], s[80:81], exec
	s_or_b64 s[76:77], s[4:5], s[6:7]
	s_andn2_b64 s[4:5], s[78:79], exec
	s_and_b64 s[6:7], s[84:85], exec
	;; [unrolled: 3-line block ×3, first 2 shown]
	v_mov_b32_e32 v27, v9
	s_or_b64 s[74:75], s[4:5], s[6:7]
	v_mov_b32_e32 v26, v8
	s_andn2_b64 exec, exec, s[72:73]
	s_cbranch_execz .LBB13_279
.LBB13_16:                              ; =>This Loop Header: Depth=1
                                        ;     Child Loop BB13_21 Depth 2
                                        ;     Child Loop BB13_35 Depth 2
	;; [unrolled: 1-line block ×17, first 2 shown]
	ds_read_b128 v[4:7], v3 offset:5120
	s_waitcnt lgkmcnt(0)
	v_readfirstlane_b32 s27, v5
	v_readfirstlane_b32 s26, v4
	v_cmp_gt_i64_e64 s[4:5], s[26:27], 0
	s_and_b64 vcc, exec, s[4:5]
	s_cbranch_vccnz .LBB13_48
; %bb.17:                               ;   in Loop: Header=BB13_16 Depth=1
	v_readlane_b32 s4, v57, 14
	v_readlane_b32 s5, v57, 15
	s_and_b64 vcc, exec, s[4:5]
	s_cbranch_vccz .LBB13_29
; %bb.18:                               ;   in Loop: Header=BB13_16 Depth=1
	s_mov_b64 s[4:5], 0xc01
	v_cmp_gt_i64_e32 vcc, s[4:5], v[6:7]
	s_mov_b64 s[6:7], 0
	s_mov_b64 s[4:5], 0
	s_cbranch_vccz .LBB13_30
; %bb.19:                               ;   in Loop: Header=BB13_16 Depth=1
	global_load_ubyte v8, v[14:15], off
	global_load_ushort v6, v3, s[62:63]
	s_waitcnt vmcnt(0)
	v_and_b32_e32 v2, 0xffff, v6
	v_add_co_u32_e32 v7, vcc, v0, v2
	v_addc_co_u32_e64 v4, s[4:5], 0, 0, vcc
	v_readlane_b32 s4, v57, 30
	v_mul_lo_u32 v9, s30, v4
	v_readlane_b32 s5, v57, 31
	v_mov_b32_e32 v4, s4
	v_mov_b32_e32 v5, s5
	v_mul_lo_u32 v10, s31, v7
	v_mad_u64_u32 v[4:5], s[4:5], s30, v7, v[4:5]
	v_readfirstlane_b32 s4, v6
	s_and_b32 s4, 0xffff, s4
	s_mul_i32 s5, s31, s4
	s_mul_hi_u32 s14, s30, s4
	v_mov_b32_e32 v7, v1
	v_add3_u32 v5, v10, v5, v9
	s_add_i32 s27, s14, s5
	s_mul_i32 s34, s30, s4
	s_mov_b64 s[14:15], 0
	v_mov_b32_e32 v6, v0
	s_branch .LBB13_21
.LBB13_20:                              ;   in Loop: Header=BB13_21 Depth=2
	s_or_b64 exec, exec, s[16:17]
	v_mov_b32_e32 v8, s27
	v_add_co_u32_e32 v4, vcc, s34, v4
	v_addc_co_u32_e32 v5, vcc, v5, v8, vcc
	s_waitcnt vmcnt(0)
	v_mov_b32_e32 v8, v9
	s_andn2_b64 exec, exec, s[14:15]
	s_cbranch_execz .LBB13_82
.LBB13_21:                              ;   Parent Loop BB13_16 Depth=1
                                        ; =>  This Inner Loop Header: Depth=2
	v_add_co_u32_e32 v6, vcc, v6, v2
	v_addc_co_u32_e32 v7, vcc, 0, v7, vcc
	v_cmp_gt_i64_e64 s[4:5], s[24:25], v[6:7]
	v_cmp_le_i64_e32 vcc, s[24:25], v[6:7]
	s_waitcnt lgkmcnt(0)
	v_mov_b32_e32 v10, 0
	v_mov_b32_e32 v9, 0
	s_and_saveexec_b64 s[16:17], s[4:5]
	s_cbranch_execz .LBB13_23
; %bb.22:                               ;   in Loop: Header=BB13_21 Depth=2
	global_load_ubyte v9, v[4:5], off
.LBB13_23:                              ;   in Loop: Header=BB13_21 Depth=2
	s_or_b64 exec, exec, s[16:17]
	v_add_u32_sdwa v11, sext(v8), s13 dst_sel:DWORD dst_unused:UNUSED_PAD src0_sel:BYTE_0 src1_sel:DWORD
	v_and_b32_e32 v11, v11, v45
	v_cmp_eq_u32_e64 s[4:5], v11, v43
	s_cmp_lg_u64 s[4:5], 0
	s_cselect_b64 s[16:17], -1, 0
	s_and_b64 s[16:17], s[10:11], s[16:17]
	s_and_saveexec_b64 s[18:19], s[16:17]
	s_cbranch_execz .LBB13_27
; %bb.24:                               ;   in Loop: Header=BB13_21 Depth=2
	s_mov_b64 s[28:29], exec
	v_mbcnt_lo_u32_b32 v10, s28, 0
	v_mbcnt_hi_u32_b32 v10, s29, v10
	s_bcnt1_i32_b64 s35, s[4:5]
	v_cmp_eq_u32_e64 s[16:17], 0, v10
                                        ; implicit-def: $vgpr11
	s_and_saveexec_b64 s[20:21], s[16:17]
; %bb.25:                               ;   in Loop: Header=BB13_21 Depth=2
	s_bcnt1_i32_b64 s16, s[28:29]
	s_mul_i32 s16, s35, s16
	v_mov_b32_e32 v11, s16
	ds_add_rtn_u32 v11, v3, v11 offset:5136
; %bb.26:                               ;   in Loop: Header=BB13_21 Depth=2
	s_or_b64 exec, exec, s[20:21]
	s_waitcnt lgkmcnt(0)
	v_readfirstlane_b32 s16, v11
	v_mov_b32_e32 v11, s16
	v_mad_u32_u24 v10, s35, v10, v11
.LBB13_27:                              ;   in Loop: Header=BB13_21 Depth=2
	s_or_b64 exec, exec, s[18:19]
	ds_bpermute_b32 v10, v38, v10
	s_and_b64 s[16:17], exec, vcc
	s_or_b64 s[14:15], s[16:17], s[14:15]
	s_and_saveexec_b64 s[16:17], s[4:5]
	s_cbranch_execz .LBB13_20
; %bb.28:                               ;   in Loop: Header=BB13_21 Depth=2
	v_and_b32_e32 v28, s4, v34
	v_and_b32_e32 v11, s5, v33
	v_bcnt_u32_b32 v28, v28, 0
	v_bcnt_u32_b32 v11, v11, v28
	s_waitcnt lgkmcnt(0)
	v_add_u32_e32 v10, v10, v11
	ds_write_b8 v10, v8
	s_branch .LBB13_20
.LBB13_29:                              ;   in Loop: Header=BB13_16 Depth=1
	s_mov_b64 s[6:7], -1
	s_mov_b64 s[4:5], 0
.LBB13_30:                              ;   in Loop: Header=BB13_16 Depth=1
	s_and_b64 vcc, exec, s[6:7]
	s_cbranch_vccz .LBB13_46
.LBB13_31:                              ;   in Loop: Header=BB13_16 Depth=1
	s_mov_b64 s[6:7], exec
	v_readlane_b32 s4, v57, 42
	v_readlane_b32 s5, v57, 43
	s_and_b64 s[4:5], s[6:7], s[4:5]
	s_mov_b64 exec, s[4:5]
	s_cbranch_execz .LBB13_43
; %bb.32:                               ;   in Loop: Header=BB13_16 Depth=1
	global_load_ushort v2, v3, s[62:63]
	global_load_ubyte v30, v[14:15], off
	v_mov_b32_e32 v8, v0
	s_waitcnt vmcnt(1)
	v_readfirstlane_b32 s4, v2
	v_add_u32_sdwa v2, v2, v0 dst_sel:DWORD dst_unused:UNUSED_PAD src0_sel:WORD_0 src1_sel:DWORD
	v_cmp_gt_i64_e32 vcc, s[24:25], v[2:3]
	s_and_saveexec_b64 s[16:17], vcc
	s_cbranch_execz .LBB13_42
; %bb.33:                               ;   in Loop: Header=BB13_16 Depth=1
	s_and_b32 s20, s4, 0xffff
	s_cmp_eq_u32 s20, 1
	v_readlane_b32 s14, v57, 21
                                        ; implicit-def: $vgpr8_vgpr9
	s_cselect_b64 s[4:5], -1, 0
	v_readlane_b32 s15, v57, 22
	v_mov_b32_e32 v10, v1
	v_mov_b32_e32 v5, v3
	s_and_b64 s[14:15], s[14:15], s[4:5]
	s_mov_b64 s[18:19], -1
	v_mov_b32_e32 v9, v0
	v_mov_b32_e32 v4, v2
	s_and_saveexec_b64 s[4:5], s[14:15]
	s_cbranch_execz .LBB13_37
; %bb.34:                               ;   in Loop: Header=BB13_16 Depth=1
	v_add_co_u32_e32 v8, vcc, 3, v2
	v_addc_co_u32_e64 v9, s[14:15], 0, 0, vcc
	v_add_co_u32_e32 v6, vcc, 2, v2
	v_addc_co_u32_e64 v7, s[14:15], 0, 0, vcc
	v_add_co_u32_e32 v4, vcc, 1, v2
	v_addc_co_u32_e64 v5, s[14:15], 0, 0, vcc
	v_mov_b32_e32 v29, v19
	v_mov_b32_e32 v11, v9
	s_waitcnt vmcnt(0)
	v_lshlrev_b32_e32 v47, 24, v30
	s_mov_b64 s[14:15], 0
	v_mov_b32_e32 v28, v18
	v_mov_b32_e32 v31, v0
	;; [unrolled: 1-line block ×9, first 2 shown]
.LBB13_35:                              ;   Parent Loop BB13_16 Depth=1
                                        ; =>  This Inner Loop Header: Depth=2
	v_mul_lo_u32 v30, v9, s58
	v_mul_lo_u32 v50, v8, s59
	v_mad_u64_u32 v[48:49], s[18:19], v8, s58, 0
	v_mul_lo_u32 v51, v7, s2
	v_mul_lo_u32 v52, v6, s3
	v_add3_u32 v30, v49, v50, v30
	v_mad_u64_u32 v[49:50], s[18:19], v6, s2, 0
	v_mul_lo_u32 v54, v4, s1
	v_mul_lo_u32 v56, v11, s68
	v_add3_u32 v53, v50, v52, v51
	v_mul_lo_u32 v52, v5, s0
	v_mad_u64_u32 v[50:51], s[18:19], v4, s0, 0
	v_add3_u32 v51, v51, v54, v52
	v_add_co_u32_e32 v50, vcc, s54, v50
	v_mov_b32_e32 v54, s55
	v_addc_co_u32_e32 v51, vcc, v54, v51, vcc
	v_add_co_u32_e32 v52, vcc, s54, v49
	v_addc_co_u32_e32 v53, vcc, v54, v53, vcc
	v_add_co_u32_e32 v48, vcc, s54, v48
	v_addc_co_u32_e32 v49, vcc, v54, v30, vcc
	v_mov_b32_e32 v54, s54
	v_mov_b32_e32 v55, s55
	v_mad_u64_u32 v[54:55], s[18:19], v10, s68, v[54:55]
	v_mul_lo_u32 v30, v10, s69
	v_add_co_u32_e32 v10, vcc, 4, v10
	v_addc_co_u32_e32 v11, vcc, 0, v11, vcc
	v_add3_u32 v55, v56, v55, v30
	global_load_ubyte v30, v[54:55], off
	s_nop 0
	global_load_ubyte v52, v[52:53], off
	s_nop 0
	global_load_ubyte v50, v[50:51], off
	v_add_co_u32_e32 v8, vcc, 4, v8
	global_load_ubyte v48, v[48:49], off
	v_addc_co_u32_e32 v9, vcc, 0, v9, vcc
	v_add_co_u32_e32 v6, vcc, 4, v6
	v_addc_co_u32_e32 v7, vcc, 0, v7, vcc
	v_add_co_u32_e32 v4, vcc, 4, v4
	v_addc_co_u32_e32 v5, vcc, 0, v5, vcc
	v_add_co_u32_e32 v28, vcc, -4, v28
	s_mov_b32 s18, 0xc0c0007
	v_addc_co_u32_e32 v29, vcc, -1, v29, vcc
	v_cmp_eq_u64_e32 vcc, 0, v[28:29]
	s_or_b64 s[14:15], vcc, s[14:15]
	s_waitcnt vmcnt(1)
	v_perm_b32 v51, v50, v52, s8
	v_perm_b32 v47, v47, v50, s18
	s_waitcnt vmcnt(0)
	v_perm_b32 v49, v48, v30, s8
	v_perm_b32 v48, v52, v48, s8
	v_lshl_or_b32 v49, v49, 16, v51
	v_lshl_or_b32 v47, v48, 16, v47
	ds_write_b32 v31, v47
	v_add_u32_e32 v31, 4, v31
	v_mov_b32_e32 v47, v49
	s_andn2_b64 exec, exec, s[14:15]
	s_cbranch_execnz .LBB13_35
; %bb.36:                               ;   in Loop: Header=BB13_16 Depth=1
	s_or_b64 exec, exec, s[14:15]
	v_readlane_b32 s14, v57, 23
	v_add_co_u32_e32 v4, vcc, v2, v18
	v_readlane_b32 s15, v57, 24
	v_addc_co_u32_e32 v5, vcc, 0, v19, vcc
	v_add_co_u32_e32 v8, vcc, -1, v4
	s_orn2_b64 s[18:19], s[14:15], exec
	v_mov_b32_e32 v9, v25
	v_mov_b32_e32 v10, v26
.LBB13_37:                              ;   in Loop: Header=BB13_16 Depth=1
	s_or_b64 exec, exec, s[4:5]
	s_and_saveexec_b64 s[14:15], s[18:19]
	s_cbranch_execz .LBB13_41
; %bb.38:                               ;   in Loop: Header=BB13_16 Depth=1
	v_readlane_b32 s4, v57, 30
	v_readlane_b32 s5, v57, 31
	v_mov_b32_e32 v7, s5
	v_mov_b32_e32 v6, s4
	v_mad_u64_u32 v[6:7], s[4:5], s30, v4, v[6:7]
	v_mul_lo_u32 v2, s30, v5
	v_mul_lo_u32 v8, s31, v4
	s_mul_i32 s4, s31, s20
	s_mul_hi_u32 s5, s30, s20
	s_mov_b64 s[18:19], 0
	s_sub_u32 s21, 0, s20
	v_add3_u32 v7, v8, v7, v2
	s_add_i32 s27, s5, s4
.LBB13_39:                              ;   Parent Loop BB13_16 Depth=1
                                        ; =>  This Inner Loop Header: Depth=2
	global_load_ubyte v2, v[6:7], off
	v_mov_b32_e32 v11, v5
	v_mov_b32_e32 v10, v4
	v_add_co_u32_e32 v4, vcc, s20, v10
	v_addc_co_u32_e32 v5, vcc, 0, v11, vcc
	s_mul_i32 s4, s30, s20
	v_add_co_u32_e32 v6, vcc, s4, v6
	v_mov_b32_e32 v8, s27
	v_addc_co_u32_e32 v7, vcc, v7, v8, vcc
	v_cmp_le_i64_e32 vcc, s[24:25], v[4:5]
	s_waitcnt vmcnt(1)
	ds_write_b8 v9, v30
	v_add_co_u32_e64 v8, s[4:5], s21, v4
	s_or_b64 s[18:19], vcc, s[18:19]
	v_mov_b32_e32 v9, v10
	v_mov_b32_e32 v10, v11
	s_waitcnt vmcnt(0)
	v_mov_b32_e32 v30, v2
	s_andn2_b64 exec, exec, s[18:19]
	s_cbranch_execnz .LBB13_39
; %bb.40:                               ;   in Loop: Header=BB13_16 Depth=1
	s_or_b64 exec, exec, s[18:19]
	v_mov_b32_e32 v30, v2
.LBB13_41:                              ;   in Loop: Header=BB13_16 Depth=1
	s_or_b64 exec, exec, s[14:15]
.LBB13_42:                              ;   in Loop: Header=BB13_16 Depth=1
	s_or_b64 exec, exec, s[16:17]
	s_waitcnt vmcnt(0)
	ds_write_b8 v8, v30
.LBB13_43:                              ;   in Loop: Header=BB13_16 Depth=1
	s_or_b64 exec, exec, s[6:7]
	s_waitcnt lgkmcnt(0)
	s_barrier
	s_mov_b64 s[4:5], exec
	v_readlane_b32 s6, v57, 10
	v_readlane_b32 s7, v57, 11
	s_and_b64 s[6:7], s[4:5], s[6:7]
	s_mov_b64 exec, s[6:7]
; %bb.44:                               ;   in Loop: Header=BB13_16 Depth=1
	v_mov_b32_e32 v4, s24
	v_mov_b32_e32 v5, s25
	ds_write_b64 v3, v[4:5] offset:5120
; %bb.45:                               ;   in Loop: Header=BB13_16 Depth=1
	s_or_b64 exec, exec, s[4:5]
	s_mov_b64 s[4:5], -1
	s_waitcnt lgkmcnt(0)
	s_barrier
.LBB13_46:                              ;   in Loop: Header=BB13_16 Depth=1
	s_and_b64 vcc, exec, s[4:5]
	s_cbranch_vccz .LBB13_48
; %bb.47:                               ;   in Loop: Header=BB13_16 Depth=1
	ds_read_b64 v[4:5], v3 offset:5120
	s_waitcnt lgkmcnt(0)
	v_readfirstlane_b32 s26, v4
.LBB13_48:                              ;   in Loop: Header=BB13_16 Depth=1
	s_cmp_lt_i32 s26, 1
	s_mov_b64 s[4:5], -1
                                        ; implicit-def: $vgpr10_vgpr11
                                        ; implicit-def: $vgpr6_vgpr7
	s_cbranch_scc1 .LBB13_58
; %bb.49:                               ;   in Loop: Header=BB13_16 Depth=1
	s_and_b64 vcc, exec, s[4:5]
	s_cbranch_vccnz .LBB13_72
.LBB13_50:                              ;   in Loop: Header=BB13_16 Depth=1
	s_lshl_b32 s6, s56, 6
	s_and_saveexec_b64 s[4:5], s[10:11]
	s_cbranch_execz .LBB13_52
.LBB13_51:                              ;   in Loop: Header=BB13_16 Depth=1
	v_lshl_add_u32 v2, s6, 3, v39
	ds_write_b128 v2, v[4:7]
	ds_write_b128 v2, v[8:11] offset:16
.LBB13_52:                              ;   in Loop: Header=BB13_16 Depth=1
	s_or_b64 exec, exec, s[4:5]
	s_waitcnt lgkmcnt(0)
	s_barrier
	s_mov_b64 s[4:5], exec
	v_readlane_b32 s14, v57, 12
	v_readlane_b32 s15, v57, 13
	s_and_b64 s[14:15], s[4:5], s[14:15]
	s_mov_b64 exec, s[14:15]
	s_cbranch_execz .LBB13_90
; %bb.53:                               ;   in Loop: Header=BB13_16 Depth=1
	v_readlane_b32 s14, v57, 16
	v_mov_b32_e32 v4, 0
	v_readlane_b32 s15, v57, 17
	v_mov_b32_e32 v5, 0
	s_andn2_b64 vcc, exec, s[14:15]
	s_cbranch_vccnz .LBB13_89
; %bb.54:                               ;   in Loop: Header=BB13_16 Depth=1
	v_readlane_b32 s14, v57, 25
	v_readlane_b32 s15, v57, 26
	s_andn2_b64 vcc, exec, s[14:15]
	s_cbranch_vccnz .LBB13_85
; %bb.55:                               ;   in Loop: Header=BB13_16 Depth=1
	v_mov_b32_e32 v4, 0
	v_lshl_add_u32 v2, s56, 9, v42
	v_mov_b32_e32 v5, 0
	s_mov_b32 s7, 0
.LBB13_56:                              ;   Parent Loop BB13_16 Depth=1
                                        ; =>  This Inner Loop Header: Depth=2
	ds_read2_b64 v[6:9], v2 offset1:4
	ds_read2_b64 v[28:31], v2 offset0:8 offset1:12
	ds_read2_b64 v[47:50], v2 offset0:16 offset1:20
	;; [unrolled: 1-line block ×3, first 2 shown]
	s_add_i32 s7, s7, 8
	s_waitcnt lgkmcnt(3)
	v_add_co_u32_e32 v4, vcc, v6, v4
	v_addc_co_u32_e32 v5, vcc, v7, v5, vcc
	v_add_co_u32_e32 v4, vcc, v8, v4
	v_addc_co_u32_e32 v5, vcc, v9, v5, vcc
	s_waitcnt lgkmcnt(2)
	v_add_co_u32_e32 v4, vcc, v28, v4
	v_addc_co_u32_e32 v5, vcc, v29, v5, vcc
	v_add_co_u32_e32 v4, vcc, v30, v4
	v_addc_co_u32_e32 v5, vcc, v31, v5, vcc
	;; [unrolled: 5-line block ×3, first 2 shown]
	s_waitcnt lgkmcnt(0)
	v_add_co_u32_e32 v4, vcc, v51, v4
	v_addc_co_u32_e32 v5, vcc, v52, v5, vcc
	v_add_co_u32_e32 v4, vcc, v53, v4
	v_add_u32_e32 v2, 0x100, v2
	s_cmp_eq_u32 s9, s7
	v_addc_co_u32_e32 v5, vcc, v54, v5, vcc
	s_cbranch_scc0 .LBB13_56
; %bb.57:                               ;   in Loop: Header=BB13_16 Depth=1
	s_mov_b32 s7, s9
	s_branch .LBB13_86
.LBB13_58:                              ;   in Loop: Header=BB13_16 Depth=1
	global_load_ushort v2, v3, s[62:63]
	s_mov_b32 s4, s53
	s_waitcnt vmcnt(0)
	v_readfirstlane_b32 s5, v2
	s_and_b32 s27, s5, 0xffff
	s_lshl_b32 s6, s27, 2
	s_mov_b32 s5, s25
	s_cmp_lg_u64 s[4:5], 0
	s_cbranch_scc0 .LBB13_81
; %bb.59:                               ;   in Loop: Header=BB13_16 Depth=1
	s_add_u32 s4, s6, 0
	s_addc_u32 s5, 0, 0
	s_xor_b64 s[4:5], s[4:5], 0
	v_cvt_f32_u32_e32 v2, s4
	v_cvt_f32_u32_e32 v4, s5
	s_sub_u32 s7, 0, s4
	s_subb_u32 s16, 0, s5
	v_mac_f32_e32 v2, 0x4f800000, v4
	v_rcp_f32_e32 v2, v2
	v_mul_f32_e32 v2, 0x5f7ffffc, v2
	v_mul_f32_e32 v4, 0x2f800000, v2
	v_trunc_f32_e32 v4, v4
	v_mac_f32_e32 v2, 0xcf800000, v4
	v_cvt_u32_f32_e32 v4, v4
	v_cvt_u32_f32_e32 v2, v2
	v_readfirstlane_b32 s17, v4
	v_readfirstlane_b32 s14, v2
	s_mul_i32 s15, s7, s17
	s_mul_hi_u32 s19, s7, s14
	s_mul_i32 s18, s16, s14
	s_add_i32 s15, s19, s15
	s_mul_i32 s20, s7, s14
	s_add_i32 s15, s15, s18
	s_mul_i32 s19, s14, s15
	s_mul_hi_u32 s21, s14, s20
	s_mul_hi_u32 s18, s14, s15
	s_add_u32 s19, s21, s19
	s_addc_u32 s18, 0, s18
	s_mul_hi_u32 s28, s17, s20
	s_mul_i32 s20, s17, s20
	s_add_u32 s19, s19, s20
	s_mul_hi_u32 s21, s17, s15
	s_addc_u32 s18, s18, s28
	s_addc_u32 s19, s21, 0
	s_mul_i32 s15, s17, s15
	s_add_u32 s15, s18, s15
	s_addc_u32 s18, 0, s19
	s_add_u32 s19, s14, s15
	s_cselect_b64 s[14:15], -1, 0
	s_cmp_lg_u64 s[14:15], 0
	s_addc_u32 s17, s17, s18
	s_mul_i32 s14, s7, s17
	s_mul_hi_u32 s15, s7, s19
	s_add_i32 s14, s15, s14
	s_mul_i32 s16, s16, s19
	s_add_i32 s14, s14, s16
	s_mul_i32 s7, s7, s19
	s_mul_hi_u32 s16, s17, s7
	s_mul_i32 s18, s17, s7
	s_mul_i32 s21, s19, s14
	s_mul_hi_u32 s7, s19, s7
	s_mul_hi_u32 s20, s19, s14
	s_add_u32 s7, s7, s21
	s_addc_u32 s20, 0, s20
	s_add_u32 s7, s7, s18
	s_mul_hi_u32 s15, s17, s14
	s_addc_u32 s7, s20, s16
	s_addc_u32 s15, s15, 0
	s_mul_i32 s14, s17, s14
	s_add_u32 s7, s7, s14
	s_addc_u32 s16, 0, s15
	s_add_u32 s7, s19, s7
	s_cselect_b64 s[14:15], -1, 0
	s_cmp_lg_u64 s[14:15], 0
	s_addc_u32 s18, s17, s16
	s_ashr_i32 s14, s25, 31
	s_add_u32 s16, s24, s14
	s_mov_b32 s15, s14
	s_addc_u32 s17, s25, s14
	s_xor_b64 s[16:17], s[16:17], s[14:15]
	s_mul_i32 s20, s16, s18
	s_mul_hi_u32 s21, s16, s7
	s_mul_hi_u32 s19, s16, s18
	s_add_u32 s20, s21, s20
	s_addc_u32 s19, 0, s19
	s_mul_hi_u32 s28, s17, s7
	s_mul_i32 s7, s17, s7
	s_add_u32 s7, s20, s7
	s_mul_hi_u32 s21, s17, s18
	s_addc_u32 s7, s19, s28
	s_addc_u32 s19, s21, 0
	s_mul_i32 s18, s17, s18
	s_add_u32 s7, s7, s18
	s_addc_u32 s18, 0, s19
	s_mul_i32 s18, s4, s18
	s_mul_hi_u32 s19, s4, s7
	s_add_i32 s18, s19, s18
	s_mul_i32 s19, s5, s7
	s_add_i32 s28, s18, s19
	s_sub_i32 s20, s17, s28
	s_mul_i32 s7, s4, s7
	s_sub_u32 s7, s16, s7
	s_cselect_b64 s[18:19], -1, 0
	s_cmp_lg_u64 s[18:19], 0
	s_subb_u32 s16, s20, s5
	s_sub_u32 s29, s7, s4
	s_cselect_b64 s[20:21], -1, 0
	s_cmp_lg_u64 s[20:21], 0
	s_subb_u32 s34, s16, 0
	s_cmp_ge_u32 s34, s5
	s_cselect_b32 s35, -1, 0
	s_cmp_ge_u32 s29, s4
	s_cselect_b32 s36, -1, 0
	s_cmp_eq_u32 s34, s5
	s_cselect_b32 s35, s36, s35
	s_cmp_lg_u64 s[20:21], 0
	s_subb_u32 s16, s16, s5
	s_sub_u32 s36, s29, s4
	s_cselect_b64 s[20:21], -1, 0
	s_cmp_lg_u64 s[20:21], 0
	s_subb_u32 s16, s16, 0
	s_cmp_lg_u32 s35, 0
	s_cselect_b32 s20, s36, s29
	s_cselect_b32 s16, s16, s34
	s_cmp_lg_u64 s[18:19], 0
	s_subb_u32 s17, s17, s28
	s_cmp_ge_u32 s17, s5
	s_cselect_b32 s18, -1, 0
	s_cmp_ge_u32 s7, s4
	s_cselect_b32 s4, -1, 0
	s_cmp_eq_u32 s17, s5
	s_cselect_b32 s4, s4, s18
	s_cmp_lg_u32 s4, 0
	s_cselect_b32 s5, s16, s17
	s_cselect_b32 s4, s20, s7
	s_xor_b64 s[4:5], s[4:5], s[14:15]
	s_sub_u32 s48, s4, s14
	s_subb_u32 s49, s5, s14
	s_cbranch_execnz .LBB13_61
.LBB13_60:                              ;   in Loop: Header=BB13_16 Depth=1
	v_cvt_f32_u32_e32 v2, s6
	s_sub_i32 s4, 0, s6
	v_rcp_iflag_f32_e32 v2, v2
	v_mul_f32_e32 v2, 0x4f7ffffe, v2
	v_cvt_u32_f32_e32 v2, v2
	v_readfirstlane_b32 s5, v2
	s_mul_i32 s4, s4, s5
	s_mul_hi_u32 s4, s5, s4
	s_add_i32 s5, s5, s4
	s_mul_hi_u32 s4, s24, s5
	s_mul_i32 s4, s4, s6
	s_sub_i32 s4, s24, s4
	s_sub_i32 s5, s4, s6
	s_cmp_ge_u32 s4, s6
	s_cselect_b32 s4, s5, s4
	s_sub_i32 s5, s4, s6
	s_cmp_ge_u32 s4, s6
	s_cselect_b32 s52, s5, s4
	s_mov_b64 s[48:49], s[52:53]
.LBB13_61:                              ;   in Loop: Header=BB13_16 Depth=1
	s_sub_u32 s86, s24, s48
	s_subb_u32 s87, s25, s49
	v_cmp_gt_i64_e32 vcc, s[86:87], v[16:17]
	v_mov_b32_e32 v4, 0
	v_mov_b32_e32 v6, 0
	;; [unrolled: 1-line block ×8, first 2 shown]
	s_and_saveexec_b64 s[88:89], vcc
	s_cbranch_execz .LBB13_65
; %bb.62:                               ;   in Loop: Header=BB13_16 Depth=1
	s_mul_i32 s4, s71, s27
	s_mul_hi_u32 s5, s70, s27
	v_mov_b32_e32 v29, v17
	s_add_i32 s7, s5, s4
	s_mov_b64 s[90:91], 0
	s_mov_b64 s[92:93], s[54:55]
	;; [unrolled: 1-line block ×6, first 2 shown]
	v_mov_b32_e32 v28, v16
.LBB13_63:                              ;   Parent Loop BB13_16 Depth=1
                                        ; =>  This Inner Loop Header: Depth=2
	v_add_co_u32_e32 v4, vcc, s92, v23
	v_mov_b32_e32 v2, s93
	v_addc_co_u32_e32 v5, vcc, v2, v24, vcc
	global_load_sbyte v6, v[4:5], off
	v_add_co_u32_e32 v4, vcc, s92, v22
	v_addc_co_u32_e32 v5, vcc, v2, v37, vcc
	global_load_sbyte v7, v[4:5], off
	v_add_co_u32_e32 v4, vcc, s92, v21
	;; [unrolled: 3-line block ×3, first 2 shown]
	v_addc_co_u32_e32 v5, vcc, v2, v35, vcc
	global_load_sbyte v2, v[4:5], off
	s_waitcnt vmcnt(3)
	v_add_u32_e32 v4, 0x80, v6
	s_waitcnt vmcnt(2)
	v_add_u32_e32 v5, 0x80, v7
	v_and_b32_e32 v7, v4, v45
	v_bfe_u32 v4, v4, s12, 2
	v_cmp_eq_u32_e32 vcc, v7, v43
	v_and_b32_e32 v7, v5, v45
	s_waitcnt vmcnt(1)
	v_add_u32_e32 v6, 0x80, v8
	v_bfe_u32 v5, v5, s12, 2
	v_cmp_eq_u32_e64 s[20:21], 0, v4
	v_cmp_eq_u32_e64 s[4:5], v7, v43
	v_and_b32_e32 v7, v6, v45
	s_waitcnt vmcnt(0)
	v_add_u32_e32 v2, 0x80, v2
	v_bfe_u32 v6, v6, s12, 2
	s_and_b64 s[14:15], vcc, s[20:21]
	v_cmp_eq_u32_e64 s[20:21], 0, v5
	v_cmp_eq_u32_e64 s[16:17], v7, v43
	v_and_b32_e32 v7, v2, v45
	v_bfe_u32 v2, v2, s12, 2
	s_and_b64 s[28:29], s[4:5], s[20:21]
	v_cmp_eq_u32_e64 s[20:21], 0, v6
	v_cmp_eq_u32_e64 s[18:19], v7, v43
	s_and_b64 s[34:35], s[16:17], s[20:21]
	v_cmp_eq_u32_e64 s[20:21], 0, v2
	v_cndmask_b32_e64 v7, 0, 1, s[14:15]
	s_and_b64 s[40:41], s[18:19], s[20:21]
	v_cmp_ne_u32_e64 s[20:21], 0, v7
	v_cndmask_b32_e64 v7, 0, 1, s[28:29]
	s_bcnt1_i32_b64 s14, s[20:21]
	v_cmp_ne_u32_e64 s[20:21], 0, v7
	v_cndmask_b32_e64 v7, 0, 1, s[34:35]
	s_bcnt1_i32_b64 s15, s[20:21]
	;; [unrolled: 3-line block ×3, first 2 shown]
	v_cmp_ne_u32_e64 s[20:21], 0, v7
	s_bcnt1_i32_b64 s20, s[20:21]
	s_add_u32 s14, s14, s38
	s_addc_u32 s21, 0, s39
	s_add_u32 s14, s14, s15
	s_addc_u32 s15, s21, 0
	s_add_u32 s14, s14, s28
	s_addc_u32 s15, s15, 0
	s_add_u32 s38, s14, s20
	v_cmp_eq_u32_e64 s[20:21], 1, v4
	s_addc_u32 s39, s15, 0
	s_and_b64 s[14:15], vcc, s[20:21]
	v_cmp_eq_u32_e64 s[20:21], 1, v5
	s_and_b64 s[28:29], s[4:5], s[20:21]
	v_cmp_eq_u32_e64 s[20:21], 1, v6
	s_and_b64 s[34:35], s[16:17], s[20:21]
	v_cmp_eq_u32_e64 s[20:21], 1, v2
	v_cndmask_b32_e64 v7, 0, 1, s[14:15]
	s_and_b64 s[40:41], s[18:19], s[20:21]
	v_cmp_ne_u32_e64 s[20:21], 0, v7
	v_cndmask_b32_e64 v7, 0, 1, s[28:29]
	s_bcnt1_i32_b64 s14, s[20:21]
	v_cmp_ne_u32_e64 s[20:21], 0, v7
	v_cndmask_b32_e64 v7, 0, 1, s[34:35]
	s_bcnt1_i32_b64 s15, s[20:21]
	;; [unrolled: 3-line block ×3, first 2 shown]
	v_cmp_ne_u32_e64 s[20:21], 0, v7
	s_bcnt1_i32_b64 s20, s[20:21]
	s_add_u32 s14, s14, s36
	s_addc_u32 s21, 0, s37
	s_add_u32 s14, s14, s15
	s_addc_u32 s15, s21, 0
	;; [unrolled: 2-line block ×3, first 2 shown]
	s_add_u32 s36, s14, s20
	v_cmp_eq_u32_e64 s[20:21], 2, v4
	s_addc_u32 s37, s15, 0
	s_and_b64 s[14:15], vcc, s[20:21]
	v_cmp_eq_u32_e64 s[20:21], 2, v5
	s_and_b64 s[28:29], s[4:5], s[20:21]
	v_cmp_eq_u32_e64 s[20:21], 2, v6
	s_and_b64 s[34:35], s[16:17], s[20:21]
	v_cmp_eq_u32_e64 s[20:21], 2, v2
	v_cndmask_b32_e64 v7, 0, 1, s[14:15]
	s_and_b64 s[40:41], s[18:19], s[20:21]
	v_cmp_ne_u32_e64 s[20:21], 0, v7
	v_cndmask_b32_e64 v7, 0, 1, s[28:29]
	s_bcnt1_i32_b64 s14, s[20:21]
	v_cmp_ne_u32_e64 s[20:21], 0, v7
	v_cndmask_b32_e64 v7, 0, 1, s[34:35]
	s_bcnt1_i32_b64 s15, s[20:21]
	;; [unrolled: 3-line block ×3, first 2 shown]
	v_cmp_ne_u32_e64 s[20:21], 0, v7
	s_bcnt1_i32_b64 s20, s[20:21]
	s_add_u32 s14, s14, s50
	s_addc_u32 s21, 0, s51
	s_add_u32 s14, s14, s15
	s_addc_u32 s15, s21, 0
	;; [unrolled: 2-line block ×3, first 2 shown]
	s_add_u32 s50, s14, s20
	v_cmp_eq_u32_e64 s[20:21], 3, v4
	s_addc_u32 s51, s15, 0
	s_and_b64 s[14:15], vcc, s[20:21]
	v_cmp_eq_u32_e32 vcc, 3, v5
	s_and_b64 s[4:5], s[4:5], vcc
	v_cmp_eq_u32_e32 vcc, 3, v6
	s_and_b64 s[16:17], s[16:17], vcc
	v_cmp_eq_u32_e32 vcc, 3, v2
	v_cndmask_b32_e64 v2, 0, 1, s[14:15]
	s_and_b64 s[18:19], s[18:19], vcc
	v_cmp_ne_u32_e32 vcc, 0, v2
	v_cndmask_b32_e64 v2, 0, 1, s[4:5]
	s_bcnt1_i32_b64 s14, vcc
	v_cmp_ne_u32_e32 vcc, 0, v2
	v_cndmask_b32_e64 v2, 0, 1, s[16:17]
	s_bcnt1_i32_b64 s4, vcc
	;; [unrolled: 3-line block ×3, first 2 shown]
	v_cmp_ne_u32_e32 vcc, 0, v2
	s_bcnt1_i32_b64 s15, vcc
	s_add_u32 s14, s14, s94
	s_addc_u32 s16, 0, s95
	s_add_u32 s4, s14, s4
	s_addc_u32 s14, s16, 0
	;; [unrolled: 2-line block ×3, first 2 shown]
	s_add_u32 s94, s4, s15
	v_add_co_u32_e32 v28, vcc, s6, v28
	s_addc_u32 s95, s5, 0
	v_addc_co_u32_e32 v29, vcc, 0, v29, vcc
	s_mul_i32 s4, s70, s27
	s_add_u32 s92, s92, s4
	v_cmp_le_i64_e32 vcc, s[86:87], v[28:29]
	s_addc_u32 s93, s93, s7
	v_mov_b32_e32 v4, s38
	v_mov_b32_e32 v6, s36
	;; [unrolled: 1-line block ×4, first 2 shown]
	s_or_b64 s[90:91], vcc, s[90:91]
	v_mov_b32_e32 v5, s39
	v_mov_b32_e32 v7, s37
	;; [unrolled: 1-line block ×4, first 2 shown]
	s_andn2_b64 exec, exec, s[90:91]
	s_cbranch_execnz .LBB13_63
; %bb.64:                               ;   in Loop: Header=BB13_16 Depth=1
	s_or_b64 exec, exec, s[90:91]
.LBB13_65:                              ;   in Loop: Header=BB13_16 Depth=1
	s_or_b64 exec, exec, s[88:89]
	v_mov_b32_e32 v2, s87
	v_add_co_u32_e32 v28, vcc, s86, v0
	v_addc_co_u32_e32 v29, vcc, 0, v2, vcc
	v_cmp_gt_i64_e32 vcc, s[24:25], v[28:29]
	s_and_saveexec_b64 s[6:7], vcc
	s_cbranch_execz .LBB13_71
; %bb.66:                               ;   in Loop: Header=BB13_16 Depth=1
	v_mov_b32_e32 v30, s54
	v_mov_b32_e32 v31, s55
	v_mad_u64_u32 v[30:31], s[4:5], v28, s30, v[30:31]
	v_mul_lo_u32 v2, v28, s31
	v_mul_lo_u32 v47, v29, s30
	v_readlane_b32 s4, v57, 30
	v_readlane_b32 s5, v57, 31
	s_mov_b64 s[14:15], 0
	v_add3_u32 v31, v47, v31, v2
	global_load_ubyte v2, v[30:31], off
	v_add_co_u32_e32 v30, vcc, s27, v40
	v_addc_co_u32_e32 v31, vcc, 0, v41, vcc
	v_mov_b32_e32 v47, s49
	v_subrev_co_u32_e32 v48, vcc, s48, v30
	v_subb_co_u32_e32 v30, vcc, v31, v47, vcc
	v_mul_lo_u32 v47, s30, v30
	v_mov_b32_e32 v31, s5
	v_mov_b32_e32 v30, s4
	v_mul_lo_u32 v49, s31, v48
	v_mad_u64_u32 v[30:31], s[4:5], s30, v48, v[30:31]
	s_mul_i32 s4, s31, s27
	s_mul_hi_u32 s5, s30, s27
	v_add3_u32 v31, v49, v31, v47
	s_add_i32 s18, s5, s4
	s_branch .LBB13_68
.LBB13_67:                              ;   in Loop: Header=BB13_68 Depth=2
	s_or_b64 exec, exec, s[16:17]
	s_waitcnt vmcnt(0)
	v_add_u32_sdwa v2, sext(v2), s13 dst_sel:DWORD dst_unused:UNUSED_PAD src0_sel:BYTE_0 src1_sel:DWORD
	s_and_b64 s[4:5], exec, vcc
	v_and_b32_e32 v48, v2, v45
	v_bfe_u32 v2, v2, s12, 2
	s_or_b64 s[14:15], s[4:5], s[14:15]
	v_cmp_eq_u32_e32 vcc, v48, v43
	v_cmp_eq_u32_e64 s[4:5], 0, v2
	s_and_b64 s[4:5], vcc, s[4:5]
	v_cndmask_b32_e64 v48, 0, 1, s[4:5]
	v_cmp_ne_u32_e64 s[4:5], 0, v48
	s_bcnt1_i32_b64 s4, s[4:5]
	v_add_co_u32_e64 v4, s[4:5], s4, v4
	v_addc_co_u32_e64 v5, s[4:5], 0, v5, s[4:5]
	v_cmp_eq_u32_e64 s[4:5], 1, v2
	s_and_b64 s[4:5], vcc, s[4:5]
	v_cndmask_b32_e64 v48, 0, 1, s[4:5]
	v_cmp_ne_u32_e64 s[4:5], 0, v48
	s_bcnt1_i32_b64 s4, s[4:5]
	v_add_co_u32_e64 v6, s[4:5], s4, v6
	v_addc_co_u32_e64 v7, s[4:5], 0, v7, s[4:5]
	;; [unrolled: 7-line block ×3, first 2 shown]
	v_cmp_eq_u32_e64 s[4:5], 3, v2
	s_and_b64 s[4:5], vcc, s[4:5]
	v_cndmask_b32_e64 v2, 0, 1, s[4:5]
	v_cmp_ne_u32_e32 vcc, 0, v2
	s_bcnt1_i32_b64 s4, vcc
	v_add_co_u32_e32 v10, vcc, s4, v10
	v_addc_co_u32_e32 v11, vcc, 0, v11, vcc
	s_mul_i32 s4, s30, s27
	v_mov_b32_e32 v2, s18
	v_add_co_u32_e32 v30, vcc, s4, v30
	v_addc_co_u32_e32 v31, vcc, v31, v2, vcc
	v_mov_b32_e32 v2, v47
	s_andn2_b64 exec, exec, s[14:15]
	s_cbranch_execz .LBB13_70
.LBB13_68:                              ;   Parent Loop BB13_16 Depth=1
                                        ; =>  This Inner Loop Header: Depth=2
	v_add_co_u32_e32 v28, vcc, s27, v28
	v_addc_co_u32_e32 v29, vcc, 0, v29, vcc
	v_cmp_gt_i64_e64 s[4:5], s[24:25], v[28:29]
	v_cmp_le_i64_e32 vcc, s[24:25], v[28:29]
	v_mov_b32_e32 v47, 0
	s_and_saveexec_b64 s[16:17], s[4:5]
	s_cbranch_execz .LBB13_67
; %bb.69:                               ;   in Loop: Header=BB13_68 Depth=2
	global_load_ubyte v47, v[30:31], off
	s_branch .LBB13_67
.LBB13_70:                              ;   in Loop: Header=BB13_16 Depth=1
	s_or_b64 exec, exec, s[14:15]
.LBB13_71:                              ;   in Loop: Header=BB13_16 Depth=1
	s_or_b64 exec, exec, s[6:7]
	s_branch .LBB13_50
.LBB13_72:                              ;   in Loop: Header=BB13_16 Depth=1
	global_load_ushort v2, v3, s[62:63]
	v_mov_b32_e32 v8, 0
	v_mov_b32_e32 v9, 0
	s_waitcnt vmcnt(0)
	v_readfirstlane_b32 s4, v2
	s_and_b32 s27, 0xffff, s4
	s_lshl_b32 s6, s27, 2
	v_cvt_f32_u32_e32 v4, s6
	s_sub_i32 s4, 0, s6
	v_rcp_iflag_f32_e32 v6, v4
	v_mov_b32_e32 v4, 0
	v_mov_b32_e32 v5, 0
	v_mul_f32_e32 v6, 0x4f7ffffe, v6
	v_cvt_u32_f32_e32 v10, v6
	v_mov_b32_e32 v6, 0
	v_mov_b32_e32 v7, 0
	v_readfirstlane_b32 s5, v10
	s_mul_i32 s4, s4, s5
	s_mul_hi_u32 s4, s5, s4
	s_add_i32 s5, s5, s4
	s_mul_hi_u32 s4, s26, s5
	s_mul_i32 s5, s4, s6
	s_sub_i32 s5, s26, s5
	s_add_i32 s7, s4, 1
	s_sub_i32 s14, s5, s6
	s_cmp_ge_u32 s5, s6
	s_cselect_b32 s4, s7, s4
	s_cselect_b32 s5, s14, s5
	s_add_i32 s7, s4, 1
	s_cmp_ge_u32 s5, s6
	s_cselect_b32 s4, s7, s4
	s_mul_hi_u32 s37, s27, s4
	s_mul_i32 s36, s27, s4
	s_lshl_b64 s[38:39], s[36:37], 2
	v_cmp_gt_u64_e32 vcc, s[38:39], v[16:17]
	v_mov_b32_e32 v10, 0
	v_mov_b32_e32 v11, 0
	s_and_saveexec_b64 s[48:49], vcc
	s_cbranch_execz .LBB13_76
; %bb.73:                               ;   in Loop: Header=BB13_16 Depth=1
	v_mov_b32_e32 v29, v17
	s_mov_b64 s[50:51], 0
	v_mov_b32_e32 v30, v16
	s_mov_b64 s[86:87], 0
	s_mov_b64 s[88:89], 0
	;; [unrolled: 1-line block ×4, first 2 shown]
	v_mov_b32_e32 v28, v16
.LBB13_74:                              ;   Parent Loop BB13_16 Depth=1
                                        ; =>  This Inner Loop Header: Depth=2
	ds_read_b32 v4, v30
	v_add_u32_e32 v30, s6, v30
	s_waitcnt lgkmcnt(0)
	v_add_u32_sdwa v5, sext(v4), s13 dst_sel:DWORD dst_unused:UNUSED_PAD src0_sel:BYTE_0 src1_sel:DWORD
	v_add_u32_sdwa v6, sext(v4), s13 dst_sel:DWORD dst_unused:UNUSED_PAD src0_sel:BYTE_1 src1_sel:DWORD
	v_and_b32_e32 v8, v5, v45
	v_bfe_u32 v5, v5, s12, 2
	v_add_u32_sdwa v7, sext(v4), s13 dst_sel:DWORD dst_unused:UNUSED_PAD src0_sel:BYTE_2 src1_sel:DWORD
	v_cmp_eq_u32_e32 vcc, v8, v43
	v_and_b32_e32 v8, v6, v45
	v_bfe_u32 v6, v6, s12, 2
	v_cmp_eq_u32_e64 s[20:21], 0, v5
	v_add_u32_sdwa v4, sext(v4), s13 dst_sel:DWORD dst_unused:UNUSED_PAD src0_sel:BYTE_3 src1_sel:DWORD
	v_cmp_eq_u32_e64 s[4:5], v8, v43
	v_and_b32_e32 v8, v7, v45
	v_bfe_u32 v7, v7, s12, 2
	s_and_b64 s[14:15], vcc, s[20:21]
	v_cmp_eq_u32_e64 s[20:21], 0, v6
	v_cmp_eq_u32_e64 s[16:17], v8, v43
	v_and_b32_e32 v8, v4, v45
	v_bfe_u32 v4, v4, s12, 2
	s_and_b64 s[28:29], s[4:5], s[20:21]
	v_cmp_eq_u32_e64 s[20:21], 0, v7
	v_cmp_eq_u32_e64 s[18:19], v8, v43
	s_and_b64 s[34:35], s[16:17], s[20:21]
	v_cmp_eq_u32_e64 s[20:21], 0, v4
	v_cndmask_b32_e64 v8, 0, 1, s[14:15]
	s_and_b64 s[40:41], s[18:19], s[20:21]
	v_cmp_ne_u32_e64 s[20:21], 0, v8
	v_cndmask_b32_e64 v8, 0, 1, s[28:29]
	s_bcnt1_i32_b64 s7, s[20:21]
	v_cmp_ne_u32_e64 s[20:21], 0, v8
	v_cndmask_b32_e64 v8, 0, 1, s[34:35]
	s_bcnt1_i32_b64 s14, s[20:21]
	;; [unrolled: 3-line block ×3, first 2 shown]
	v_cmp_ne_u32_e64 s[20:21], 0, v8
	s_bcnt1_i32_b64 s20, s[20:21]
	s_add_u32 s7, s7, s92
	s_addc_u32 s21, 0, s93
	s_add_u32 s7, s7, s14
	s_addc_u32 s14, s21, 0
	;; [unrolled: 2-line block ×3, first 2 shown]
	s_add_u32 s92, s7, s20
	v_cmp_eq_u32_e64 s[20:21], 1, v5
	s_addc_u32 s93, s14, 0
	s_and_b64 s[14:15], vcc, s[20:21]
	v_cmp_eq_u32_e64 s[20:21], 1, v6
	s_and_b64 s[28:29], s[4:5], s[20:21]
	v_cmp_eq_u32_e64 s[20:21], 1, v7
	s_and_b64 s[34:35], s[16:17], s[20:21]
	v_cmp_eq_u32_e64 s[20:21], 1, v4
	v_cndmask_b32_e64 v8, 0, 1, s[14:15]
	s_and_b64 s[40:41], s[18:19], s[20:21]
	v_cmp_ne_u32_e64 s[20:21], 0, v8
	v_cndmask_b32_e64 v8, 0, 1, s[28:29]
	s_bcnt1_i32_b64 s7, s[20:21]
	v_cmp_ne_u32_e64 s[20:21], 0, v8
	v_cndmask_b32_e64 v8, 0, 1, s[34:35]
	s_bcnt1_i32_b64 s14, s[20:21]
	;; [unrolled: 3-line block ×3, first 2 shown]
	v_cmp_ne_u32_e64 s[20:21], 0, v8
	s_bcnt1_i32_b64 s20, s[20:21]
	s_add_u32 s7, s7, s90
	s_addc_u32 s21, 0, s91
	s_add_u32 s7, s7, s14
	s_addc_u32 s14, s21, 0
	;; [unrolled: 2-line block ×3, first 2 shown]
	s_add_u32 s90, s7, s20
	v_cmp_eq_u32_e64 s[20:21], 2, v5
	s_addc_u32 s91, s14, 0
	s_and_b64 s[14:15], vcc, s[20:21]
	v_cmp_eq_u32_e64 s[20:21], 2, v6
	s_and_b64 s[28:29], s[4:5], s[20:21]
	v_cmp_eq_u32_e64 s[20:21], 2, v7
	s_and_b64 s[34:35], s[16:17], s[20:21]
	v_cmp_eq_u32_e64 s[20:21], 2, v4
	v_cndmask_b32_e64 v8, 0, 1, s[14:15]
	s_and_b64 s[40:41], s[18:19], s[20:21]
	v_cmp_ne_u32_e64 s[20:21], 0, v8
	v_cndmask_b32_e64 v8, 0, 1, s[28:29]
	s_bcnt1_i32_b64 s7, s[20:21]
	v_cmp_ne_u32_e64 s[20:21], 0, v8
	v_cndmask_b32_e64 v8, 0, 1, s[34:35]
	s_bcnt1_i32_b64 s14, s[20:21]
	;; [unrolled: 3-line block ×3, first 2 shown]
	v_cmp_ne_u32_e64 s[20:21], 0, v8
	s_bcnt1_i32_b64 s20, s[20:21]
	s_add_u32 s7, s7, s88
	s_addc_u32 s21, 0, s89
	s_add_u32 s7, s7, s14
	s_addc_u32 s14, s21, 0
	;; [unrolled: 2-line block ×3, first 2 shown]
	s_add_u32 s88, s7, s20
	v_cmp_eq_u32_e64 s[20:21], 3, v5
	s_addc_u32 s89, s14, 0
	s_and_b64 s[14:15], vcc, s[20:21]
	v_cmp_eq_u32_e32 vcc, 3, v6
	s_and_b64 s[4:5], s[4:5], vcc
	v_cmp_eq_u32_e32 vcc, 3, v7
	s_and_b64 s[16:17], s[16:17], vcc
	v_cmp_eq_u32_e32 vcc, 3, v4
	v_cndmask_b32_e64 v4, 0, 1, s[14:15]
	s_and_b64 s[18:19], s[18:19], vcc
	v_cmp_ne_u32_e32 vcc, 0, v4
	v_cndmask_b32_e64 v4, 0, 1, s[4:5]
	s_bcnt1_i32_b64 s7, vcc
	v_cmp_ne_u32_e32 vcc, 0, v4
	v_cndmask_b32_e64 v4, 0, 1, s[16:17]
	s_bcnt1_i32_b64 s4, vcc
	;; [unrolled: 3-line block ×3, first 2 shown]
	v_cmp_ne_u32_e32 vcc, 0, v4
	s_bcnt1_i32_b64 s14, vcc
	s_add_u32 s7, s7, s86
	s_addc_u32 s15, 0, s87
	s_add_u32 s4, s7, s4
	s_addc_u32 s7, s15, 0
	s_add_u32 s4, s4, s5
	v_add_co_u32_e32 v28, vcc, s6, v28
	s_addc_u32 s5, s7, 0
	v_addc_co_u32_e32 v29, vcc, 0, v29, vcc
	s_add_u32 s86, s4, s14
	v_cmp_le_u64_e32 vcc, s[38:39], v[28:29]
	s_addc_u32 s87, s5, 0
	v_mov_b32_e32 v4, s92
	v_mov_b32_e32 v6, s90
	;; [unrolled: 1-line block ×4, first 2 shown]
	s_or_b64 s[50:51], vcc, s[50:51]
	v_mov_b32_e32 v5, s93
	v_mov_b32_e32 v7, s91
	v_mov_b32_e32 v9, s89
	v_mov_b32_e32 v11, s87
	s_andn2_b64 exec, exec, s[50:51]
	s_cbranch_execnz .LBB13_74
; %bb.75:                               ;   in Loop: Header=BB13_16 Depth=1
	s_or_b64 exec, exec, s[50:51]
.LBB13_76:                              ;   in Loop: Header=BB13_16 Depth=1
	s_or_b64 exec, exec, s[48:49]
	v_mov_b32_e32 v29, s39
	v_add_co_u32_e32 v28, vcc, s38, v0
	s_and_b32 s52, s26, 0x7fffffff
	v_addc_co_u32_e32 v29, vcc, 0, v29, vcc
	v_cmp_gt_u64_e32 vcc, s[52:53], v[28:29]
	s_and_saveexec_b64 s[6:7], vcc
	s_cbranch_execz .LBB13_80
; %bb.77:                               ;   in Loop: Header=BB13_16 Depth=1
	v_lshl_add_u32 v30, s36, 2, v0
	s_mov_b64 s[14:15], 0
.LBB13_78:                              ;   Parent Loop BB13_16 Depth=1
                                        ; =>  This Inner Loop Header: Depth=2
	ds_read_i8 v31, v30
	v_add_u32_e32 v30, s27, v30
	s_waitcnt lgkmcnt(0)
	v_add_u32_e32 v31, 0x80, v31
	v_and_b32_e32 v47, v31, v45
	v_bfe_u32 v31, v31, s12, 2
	v_cmp_eq_u32_e32 vcc, v47, v43
	v_cmp_eq_u32_e64 s[4:5], 0, v31
	s_and_b64 s[4:5], vcc, s[4:5]
	v_cndmask_b32_e64 v47, 0, 1, s[4:5]
	v_cmp_ne_u32_e64 s[4:5], 0, v47
	s_bcnt1_i32_b64 s4, s[4:5]
	v_add_co_u32_e64 v4, s[4:5], s4, v4
	v_addc_co_u32_e64 v5, s[4:5], 0, v5, s[4:5]
	v_cmp_eq_u32_e64 s[4:5], 1, v31
	s_and_b64 s[4:5], vcc, s[4:5]
	v_cndmask_b32_e64 v47, 0, 1, s[4:5]
	v_cmp_ne_u32_e64 s[4:5], 0, v47
	s_bcnt1_i32_b64 s4, s[4:5]
	v_add_co_u32_e64 v6, s[4:5], s4, v6
	v_addc_co_u32_e64 v7, s[4:5], 0, v7, s[4:5]
	v_cmp_eq_u32_e64 s[4:5], 2, v31
	s_and_b64 s[4:5], vcc, s[4:5]
	v_cndmask_b32_e64 v47, 0, 1, s[4:5]
	v_cmp_ne_u32_e64 s[4:5], 0, v47
	s_bcnt1_i32_b64 s4, s[4:5]
	v_add_co_u32_e64 v8, s[4:5], s4, v8
	v_addc_co_u32_e64 v9, s[4:5], 0, v9, s[4:5]
	v_cmp_eq_u32_e64 s[4:5], 3, v31
	s_and_b64 s[4:5], vcc, s[4:5]
	v_cndmask_b32_e64 v31, 0, 1, s[4:5]
	v_cmp_ne_u32_e32 vcc, 0, v31
	s_bcnt1_i32_b64 s4, vcc
	v_add_co_u32_e32 v10, vcc, s4, v10
	v_addc_co_u32_e32 v11, vcc, 0, v11, vcc
	v_add_co_u32_sdwa v28, vcc, v28, v2 dst_sel:DWORD dst_unused:UNUSED_PAD src0_sel:DWORD src1_sel:WORD_0
	v_addc_co_u32_e32 v29, vcc, 0, v29, vcc
	v_cmp_le_u64_e32 vcc, s[52:53], v[28:29]
	s_or_b64 s[14:15], vcc, s[14:15]
	s_andn2_b64 exec, exec, s[14:15]
	s_cbranch_execnz .LBB13_78
; %bb.79:                               ;   in Loop: Header=BB13_16 Depth=1
	s_or_b64 exec, exec, s[14:15]
.LBB13_80:                              ;   in Loop: Header=BB13_16 Depth=1
	s_or_b64 exec, exec, s[6:7]
	s_lshl_b32 s6, s56, 6
	s_and_saveexec_b64 s[4:5], s[10:11]
	s_cbranch_execnz .LBB13_51
	s_branch .LBB13_52
.LBB13_81:                              ;   in Loop: Header=BB13_16 Depth=1
                                        ; implicit-def: $sgpr48_sgpr49
	s_branch .LBB13_60
.LBB13_82:                              ;   in Loop: Header=BB13_16 Depth=1
	s_or_b64 exec, exec, s[14:15]
	s_waitcnt lgkmcnt(0)
	s_barrier
	s_mov_b64 s[4:5], exec
	v_readlane_b32 s14, v57, 10
	v_readlane_b32 s15, v57, 11
	s_and_b64 s[14:15], s[4:5], s[14:15]
	s_mov_b64 exec, s[14:15]
	s_cbranch_execz .LBB13_84
; %bb.83:                               ;   in Loop: Header=BB13_16 Depth=1
	ds_read_b32 v4, v3 offset:5136
	s_waitcnt lgkmcnt(0)
	v_ashrrev_i32_e32 v5, 31, v4
	ds_write_b64 v3, v[4:5] offset:5120
.LBB13_84:                              ;   in Loop: Header=BB13_16 Depth=1
	s_or_b64 exec, exec, s[4:5]
	s_waitcnt lgkmcnt(0)
	s_barrier
	s_mov_b64 s[4:5], -1
	s_and_b64 vcc, exec, s[6:7]
	s_cbranch_vccnz .LBB13_31
	s_branch .LBB13_46
.LBB13_85:                              ;   in Loop: Header=BB13_16 Depth=1
	v_mov_b32_e32 v4, 0
	v_mov_b32_e32 v5, 0
	s_mov_b32 s7, 0
.LBB13_86:                              ;   in Loop: Header=BB13_16 Depth=1
	v_readlane_b32 s14, v57, 28
	v_readlane_b32 s15, v57, 29
	s_andn2_b64 vcc, exec, s[14:15]
	s_cbranch_vccnz .LBB13_89
; %bb.87:                               ;   in Loop: Header=BB13_16 Depth=1
	s_lshl_b32 s14, s56, 9
	s_lshl_b32 s7, s7, 5
	s_add_i32 s14, s14, s7
	v_add_u32_e32 v2, s14, v42
	v_readlane_b32 s7, v57, 27
.LBB13_88:                              ;   Parent Loop BB13_16 Depth=1
                                        ; =>  This Inner Loop Header: Depth=2
	ds_read_b64 v[6:7], v2
	s_add_i32 s7, s7, -1
	v_add_u32_e32 v2, 32, v2
	s_cmp_lg_u32 s7, 0
	s_waitcnt lgkmcnt(0)
	v_add_co_u32_e32 v4, vcc, v6, v4
	v_addc_co_u32_e32 v5, vcc, v7, v5, vcc
	s_cbranch_scc1 .LBB13_88
.LBB13_89:                              ;   in Loop: Header=BB13_16 Depth=1
	v_add_lshl_u32 v2, s6, v32, 3
	ds_write_b64 v2, v[4:5] offset:3072
.LBB13_90:                              ;   in Loop: Header=BB13_16 Depth=1
	s_or_b64 exec, exec, s[4:5]
	s_lshl_b32 s4, s6, 3
	v_mov_b32_e32 v2, s4
	s_waitcnt lgkmcnt(0)
	s_barrier
	ds_read_b128 v[8:11], v2 offset:3088
	ds_read_b128 v[4:7], v2 offset:3072
	v_cmp_eq_u64_e64 s[4:5], 1, v[26:27]
	s_lshl_b32 s57, 3, s12
	s_not_b32 s46, s57
	s_waitcnt lgkmcnt(1)
	v_readfirstlane_b32 s86, v8
	s_waitcnt lgkmcnt(0)
	v_cmp_eq_u64_e32 vcc, 1, v[4:5]
	v_readfirstlane_b32 s87, v9
	v_readfirstlane_b32 s16, v10
	;; [unrolled: 1-line block ×3, first 2 shown]
	s_and_b64 s[20:21], vcc, s[4:5]
	s_mov_b64 s[4:5], -1
	s_mov_b64 s[14:15], -1
                                        ; implicit-def: $sgpr36_sgpr37
                                        ; implicit-def: $sgpr6_sgpr7
	s_and_saveexec_b64 s[18:19], s[20:21]
	s_cbranch_execz .LBB13_122
; %bb.91:                               ;   in Loop: Header=BB13_16 Depth=1
	ds_read_b64 v[8:9], v3 offset:5120
	s_waitcnt lgkmcnt(0)
	s_barrier
	v_readfirstlane_b32 s26, v8
	v_readfirstlane_b32 s27, v9
	s_mov_b64 s[6:7], exec
	v_readlane_b32 s14, v57, 40
	v_readlane_b32 s15, v57, 41
	s_and_b64 s[14:15], s[6:7], s[14:15]
	s_mov_b64 exec, s[14:15]
; %bb.92:                               ;   in Loop: Header=BB13_16 Depth=1
	ds_write_b8 v0, v3 offset:3072
; %bb.93:                               ;   in Loop: Header=BB13_16 Depth=1
	s_or_b64 exec, exec, s[6:7]
	v_cmp_lt_i64_e64 s[14:15], s[26:27], 1
	v_and_b32_e32 v43, s46, v43
	v_or_b32_e32 v45, s57, v45
	s_mov_b64 s[6:7], -1
	s_mov_b64 s[36:37], 0
	s_and_b64 vcc, exec, s[14:15]
	s_mov_b64 s[14:15], 0
	s_mov_b64 s[38:39], -1
	s_waitcnt lgkmcnt(0)
	s_barrier
                                        ; implicit-def: $vgpr46
	s_cbranch_vccz .LBB13_107
; %bb.94:                               ;   in Loop: Header=BB13_16 Depth=1
	s_mov_b32 s60, s53
	s_cmp_lg_u64 s[60:61], 0
	s_cbranch_scc0 .LBB13_148
; %bb.95:                               ;   in Loop: Header=BB13_16 Depth=1
	s_add_u32 s14, s23, 0
	s_addc_u32 s15, 0, 0
	s_xor_b64 s[14:15], s[14:15], 0
	v_cvt_f32_u32_e32 v2, s14
	v_cvt_f32_u32_e32 v8, s15
	s_sub_u32 s34, 0, s14
	s_subb_u32 s35, 0, s15
	v_mac_f32_e32 v2, 0x4f800000, v8
	v_rcp_f32_e32 v2, v2
	v_mul_f32_e32 v2, 0x5f7ffffc, v2
	v_mul_f32_e32 v8, 0x2f800000, v2
	v_trunc_f32_e32 v8, v8
	v_mac_f32_e32 v2, 0xcf800000, v8
	v_cvt_u32_f32_e32 v8, v8
	v_cvt_u32_f32_e32 v2, v2
	v_readfirstlane_b32 s38, v8
	v_readfirstlane_b32 s28, v2
	s_mul_i32 s29, s34, s38
	s_mul_hi_u32 s40, s34, s28
	s_mul_i32 s39, s35, s28
	s_add_i32 s29, s40, s29
	s_mul_i32 s41, s34, s28
	s_add_i32 s29, s29, s39
	s_mul_i32 s40, s28, s29
	s_mul_hi_u32 s42, s28, s41
	s_mul_hi_u32 s39, s28, s29
	s_add_u32 s40, s42, s40
	s_addc_u32 s39, 0, s39
	s_mul_hi_u32 s43, s38, s41
	s_mul_i32 s41, s38, s41
	s_add_u32 s40, s40, s41
	s_mul_hi_u32 s42, s38, s29
	s_addc_u32 s39, s39, s43
	s_addc_u32 s40, s42, 0
	s_mul_i32 s29, s38, s29
	s_add_u32 s29, s39, s29
	s_addc_u32 s39, 0, s40
	s_add_u32 s40, s28, s29
	s_cselect_b64 s[28:29], -1, 0
	s_cmp_lg_u64 s[28:29], 0
	s_addc_u32 s38, s38, s39
	s_mul_i32 s28, s34, s38
	s_mul_hi_u32 s29, s34, s40
	s_add_i32 s28, s29, s28
	s_mul_i32 s35, s35, s40
	s_add_i32 s28, s28, s35
	s_mul_i32 s34, s34, s40
	s_mul_hi_u32 s35, s38, s34
	s_mul_i32 s39, s38, s34
	s_mul_i32 s42, s40, s28
	s_mul_hi_u32 s34, s40, s34
	s_mul_hi_u32 s41, s40, s28
	s_add_u32 s34, s34, s42
	s_addc_u32 s41, 0, s41
	s_add_u32 s34, s34, s39
	s_mul_hi_u32 s29, s38, s28
	s_addc_u32 s34, s41, s35
	s_addc_u32 s29, s29, 0
	s_mul_i32 s28, s38, s28
	s_add_u32 s28, s34, s28
	s_addc_u32 s34, 0, s29
	s_add_u32 s39, s40, s28
	s_cselect_b64 s[28:29], -1, 0
	s_cmp_lg_u64 s[28:29], 0
	s_addc_u32 s38, s38, s34
	s_ashr_i32 s28, s61, 31
	v_readlane_b32 s34, v57, 19
	s_add_u32 s34, s34, s28
	s_mov_b32 s29, s28
	s_addc_u32 s35, s61, s28
	s_xor_b64 s[34:35], s[34:35], s[28:29]
	s_mul_i32 s41, s34, s38
	s_mul_hi_u32 s42, s34, s39
	s_mul_hi_u32 s40, s34, s38
	s_add_u32 s41, s42, s41
	s_addc_u32 s40, 0, s40
	s_mul_hi_u32 s43, s35, s39
	s_mul_i32 s39, s35, s39
	s_add_u32 s39, s41, s39
	s_mul_hi_u32 s42, s35, s38
	s_addc_u32 s39, s40, s43
	s_addc_u32 s40, s42, 0
	s_mul_i32 s38, s35, s38
	s_add_u32 s38, s39, s38
	s_addc_u32 s39, 0, s40
	s_mul_i32 s39, s14, s39
	s_mul_hi_u32 s40, s14, s38
	s_add_i32 s39, s40, s39
	s_mul_i32 s40, s15, s38
	s_add_i32 s42, s39, s40
	s_sub_i32 s40, s35, s42
	s_mul_i32 s38, s14, s38
	s_sub_u32 s34, s34, s38
	s_cselect_b64 s[38:39], -1, 0
	s_cmp_lg_u64 s[38:39], 0
	s_subb_u32 s43, s40, s15
	s_sub_u32 s44, s34, s14
	s_cselect_b64 s[40:41], -1, 0
	s_cmp_lg_u64 s[40:41], 0
	s_subb_u32 s45, s43, 0
	s_cmp_ge_u32 s45, s15
	s_cselect_b32 s47, -1, 0
	s_cmp_ge_u32 s44, s14
	s_cselect_b32 s48, -1, 0
	s_cmp_eq_u32 s45, s15
	s_cselect_b32 s47, s48, s47
	s_cmp_lg_u64 s[40:41], 0
	s_subb_u32 s43, s43, s15
	s_sub_u32 s48, s44, s14
	s_cselect_b64 s[40:41], -1, 0
	s_cmp_lg_u64 s[40:41], 0
	s_subb_u32 s40, s43, 0
	s_cmp_lg_u32 s47, 0
	s_cselect_b32 s41, s48, s44
	s_cselect_b32 s40, s40, s45
	s_cmp_lg_u64 s[38:39], 0
	s_subb_u32 s35, s35, s42
	s_cmp_ge_u32 s35, s15
	s_cselect_b32 s38, -1, 0
	s_cmp_ge_u32 s34, s14
	s_cselect_b32 s14, -1, 0
	s_cmp_eq_u32 s35, s15
	s_cselect_b32 s14, s14, s38
	s_cmp_lg_u32 s14, 0
	s_cselect_b32 s15, s40, s35
	s_cselect_b32 s14, s41, s34
	s_xor_b64 s[14:15], s[14:15], s[28:29]
	s_sub_u32 s14, s14, s28
	s_subb_u32 s15, s15, s28
	s_cbranch_execnz .LBB13_97
.LBB13_96:                              ;   in Loop: Header=BB13_16 Depth=1
	v_cvt_f32_u32_e32 v2, s23
	s_sub_i32 s14, 0, s23
	v_readlane_b32 s28, v57, 19
	v_rcp_iflag_f32_e32 v2, v2
	v_mul_f32_e32 v2, 0x4f7ffffe, v2
	v_cvt_u32_f32_e32 v2, v2
	v_readfirstlane_b32 s15, v2
	s_mul_i32 s14, s14, s15
	s_mul_hi_u32 s14, s15, s14
	s_add_i32 s15, s15, s14
	s_mul_hi_u32 s14, s28, s15
	s_mul_i32 s14, s14, s23
	s_sub_i32 s14, s28, s14
	s_sub_i32 s15, s14, s23
	s_cmp_ge_u32 s14, s23
	s_cselect_b32 s14, s15, s14
	s_sub_i32 s15, s14, s23
	s_cmp_ge_u32 s14, s23
	s_cselect_b32 s52, s15, s14
	s_mov_b64 s[14:15], s[52:53]
.LBB13_97:                              ;   in Loop: Header=BB13_16 Depth=1
	v_readlane_b32 s28, v57, 19
	s_sub_u32 s28, s28, s14
	s_subb_u32 s29, s61, s15
	v_cmp_gt_i64_e32 vcc, s[28:29], v[0:1]
	s_mov_b64 s[38:39], 0
	s_mov_b64 s[14:15], 0
                                        ; implicit-def: $vgpr46
	s_and_saveexec_b64 s[40:41], vcc
	s_cbranch_execz .LBB13_106
; %bb.98:                               ;   in Loop: Header=BB13_16 Depth=1
	v_mov_b32_e32 v8, v12
	v_mov_b32_e32 v11, v1
	;; [unrolled: 1-line block ×4, first 2 shown]
                                        ; implicit-def: $sgpr34_sgpr35
	s_branch .LBB13_101
.LBB13_99:                              ;   in Loop: Header=BB13_101 Depth=2
	s_or_b64 exec, exec, s[42:43]
	s_waitcnt lgkmcnt(0)
	s_barrier
	ds_read_u16 v2, v3 offset:3072
	s_mov_b64 s[42:43], -1
	s_waitcnt lgkmcnt(0)
	s_barrier
	v_cmp_ne_u32_sdwa s[44:45], v2, v3 src0_sel:BYTE_0 src1_sel:DWORD
	s_and_b64 vcc, exec, s[44:45]
	s_mov_b64 s[44:45], -1
	s_cbranch_vccz .LBB13_104
.LBB13_100:                             ;   in Loop: Header=BB13_101 Depth=2
	s_and_b64 s[42:43], exec, s[42:43]
	s_or_b64 s[14:15], s[42:43], s[14:15]
	s_andn2_b64 s[34:35], s[34:35], exec
	s_and_b64 s[42:43], s[44:45], exec
	s_or_b64 s[34:35], s[34:35], s[42:43]
	s_andn2_b64 exec, exec, s[14:15]
	s_cbranch_execz .LBB13_105
.LBB13_101:                             ;   Parent Loop BB13_16 Depth=1
                                        ; =>  This Inner Loop Header: Depth=2
	v_cmp_gt_i64_e32 vcc, s[24:25], v[10:11]
	s_and_saveexec_b64 s[42:43], vcc
	s_cbranch_execz .LBB13_99
; %bb.102:                              ;   in Loop: Header=BB13_101 Depth=2
	global_load_ubyte v2, v[8:9], off
	s_waitcnt vmcnt(0)
	v_add_u32_sdwa v28, sext(v2), s13 dst_sel:DWORD dst_unused:UNUSED_PAD src0_sel:BYTE_0 src1_sel:DWORD
	v_and_b32_e32 v28, v28, v45
	v_cmp_eq_u32_e32 vcc, v28, v43
	s_and_b64 exec, exec, vcc
	s_cbranch_execz .LBB13_99
; %bb.103:                              ;   in Loop: Header=BB13_101 Depth=2
	v_lshlrev_b16_e32 v2, 8, v2
	v_or_b32_e32 v2, 1, v2
	ds_write_b16 v3, v2 offset:3072
	s_branch .LBB13_99
.LBB13_104:                             ;   in Loop: Header=BB13_101 Depth=2
	v_add_co_u32_e32 v10, vcc, s23, v10
	v_addc_co_u32_e32 v11, vcc, 0, v11, vcc
	v_mov_b32_e32 v28, s33
	v_add_co_u32_e32 v8, vcc, s22, v8
	v_addc_co_u32_e32 v9, vcc, v9, v28, vcc
	v_cmp_le_i64_e32 vcc, s[28:29], v[10:11]
	s_mov_b64 s[44:45], 0
	s_orn2_b64 s[42:43], vcc, exec
	s_branch .LBB13_100
.LBB13_105:                             ;   in Loop: Header=BB13_16 Depth=1
	s_or_b64 exec, exec, s[14:15]
	v_lshrrev_b32_sdwa v46, v44, v2 dst_sel:DWORD dst_unused:UNUSED_PAD src0_sel:DWORD src1_sel:WORD_0
	s_and_b64 s[14:15], s[34:35], exec
.LBB13_106:                             ;   in Loop: Header=BB13_16 Depth=1
	s_or_b64 exec, exec, s[40:41]
.LBB13_107:                             ;   in Loop: Header=BB13_16 Depth=1
	s_and_b64 vcc, exec, s[38:39]
	s_cbranch_vccz .LBB13_121
; %bb.108:                              ;   in Loop: Header=BB13_16 Depth=1
	v_readlane_b32 s6, v57, 18
	s_add_u32 s38, s26, s6
	v_readlane_b32 s6, v57, 20
	s_addc_u32 s7, s27, s6
	s_mov_b32 s6, s53
	s_cmp_lg_u64 s[6:7], 0
	s_cbranch_scc0 .LBB13_149
; %bb.109:                              ;   in Loop: Header=BB13_16 Depth=1
	s_add_u32 s28, s23, 0
	s_addc_u32 s29, 0, 0
	s_xor_b64 s[36:37], s[28:29], 0
	v_cvt_f32_u32_e32 v2, s36
	v_cvt_f32_u32_e32 v8, s37
	s_sub_u32 s6, 0, s36
	s_subb_u32 s34, 0, s37
	v_mac_f32_e32 v2, 0x4f800000, v8
	v_rcp_f32_e32 v2, v2
	v_mul_f32_e32 v2, 0x5f7ffffc, v2
	v_mul_f32_e32 v8, 0x2f800000, v2
	v_trunc_f32_e32 v8, v8
	v_mac_f32_e32 v2, 0xcf800000, v8
	v_cvt_u32_f32_e32 v8, v8
	v_cvt_u32_f32_e32 v2, v2
	v_readfirstlane_b32 s35, v8
	v_readfirstlane_b32 s28, v2
	s_mul_i32 s29, s6, s35
	s_mul_hi_u32 s40, s6, s28
	s_mul_i32 s39, s34, s28
	s_add_i32 s29, s40, s29
	s_mul_i32 s41, s6, s28
	s_add_i32 s29, s29, s39
	s_mul_i32 s40, s28, s29
	s_mul_hi_u32 s42, s28, s41
	s_mul_hi_u32 s39, s28, s29
	s_add_u32 s40, s42, s40
	s_addc_u32 s39, 0, s39
	s_mul_hi_u32 s43, s35, s41
	s_mul_i32 s41, s35, s41
	s_add_u32 s40, s40, s41
	s_mul_hi_u32 s42, s35, s29
	s_addc_u32 s39, s39, s43
	s_addc_u32 s40, s42, 0
	s_mul_i32 s29, s35, s29
	s_add_u32 s29, s39, s29
	s_addc_u32 s39, 0, s40
	s_add_u32 s40, s28, s29
	s_cselect_b64 s[28:29], -1, 0
	s_cmp_lg_u64 s[28:29], 0
	s_addc_u32 s35, s35, s39
	s_mul_i32 s28, s6, s35
	s_mul_hi_u32 s29, s6, s40
	s_add_i32 s28, s29, s28
	s_mul_i32 s34, s34, s40
	s_add_i32 s28, s28, s34
	s_mul_i32 s6, s6, s40
	s_mul_hi_u32 s34, s35, s6
	s_mul_i32 s39, s35, s6
	s_mul_i32 s42, s40, s28
	s_mul_hi_u32 s6, s40, s6
	s_mul_hi_u32 s41, s40, s28
	s_add_u32 s6, s6, s42
	s_addc_u32 s41, 0, s41
	s_add_u32 s6, s6, s39
	s_mul_hi_u32 s29, s35, s28
	s_addc_u32 s6, s41, s34
	s_addc_u32 s29, s29, 0
	s_mul_i32 s28, s35, s28
	s_add_u32 s6, s6, s28
	s_addc_u32 s34, 0, s29
	s_add_u32 s6, s40, s6
	s_cselect_b64 s[28:29], -1, 0
	s_cmp_lg_u64 s[28:29], 0
	s_addc_u32 s39, s35, s34
	s_ashr_i32 s34, s7, 31
	s_add_u32 s28, s38, s34
	s_mov_b32 s35, s34
	s_addc_u32 s29, s7, s34
	s_xor_b64 s[28:29], s[28:29], s[34:35]
	s_mul_i32 s41, s28, s39
	s_mul_hi_u32 s42, s28, s6
	s_mul_hi_u32 s40, s28, s39
	s_add_u32 s41, s42, s41
	s_addc_u32 s40, 0, s40
	s_mul_hi_u32 s43, s29, s6
	s_mul_i32 s6, s29, s6
	s_add_u32 s6, s41, s6
	s_mul_hi_u32 s42, s29, s39
	s_addc_u32 s6, s40, s43
	s_addc_u32 s40, s42, 0
	s_mul_i32 s39, s29, s39
	s_add_u32 s6, s6, s39
	s_addc_u32 s39, 0, s40
	s_mul_i32 s39, s36, s39
	s_mul_hi_u32 s40, s36, s6
	s_add_i32 s39, s40, s39
	s_mul_i32 s40, s37, s6
	s_add_i32 s39, s39, s40
	s_sub_i32 s42, s29, s39
	s_mul_i32 s6, s36, s6
	s_sub_u32 s6, s28, s6
	s_cselect_b64 s[40:41], -1, 0
	s_cmp_lg_u64 s[40:41], 0
	s_subb_u32 s28, s42, s37
	s_sub_u32 s44, s6, s36
	s_cselect_b64 s[42:43], -1, 0
	s_cmp_lg_u64 s[42:43], 0
	s_subb_u32 s45, s28, 0
	s_cmp_ge_u32 s45, s37
	s_cselect_b32 s47, -1, 0
	s_cmp_ge_u32 s44, s36
	s_cselect_b32 s48, -1, 0
	s_cmp_eq_u32 s45, s37
	s_cselect_b32 s47, s48, s47
	s_cmp_lg_u64 s[42:43], 0
	s_subb_u32 s28, s28, s37
	s_sub_u32 s48, s44, s36
	s_cselect_b64 s[42:43], -1, 0
	s_cmp_lg_u64 s[42:43], 0
	s_subb_u32 s28, s28, 0
	s_cmp_lg_u32 s47, 0
	s_cselect_b32 s42, s48, s44
	s_cselect_b32 s28, s28, s45
	s_cmp_lg_u64 s[40:41], 0
	s_subb_u32 s29, s29, s39
	s_cmp_ge_u32 s29, s37
	s_cselect_b32 s39, -1, 0
	s_cmp_ge_u32 s6, s36
	s_cselect_b32 s36, -1, 0
	s_cmp_eq_u32 s29, s37
	s_cselect_b32 s36, s36, s39
	s_cmp_lg_u32 s36, 0
	s_cselect_b32 s29, s28, s29
	s_cselect_b32 s28, s42, s6
	s_xor_b64 s[28:29], s[28:29], s[34:35]
	s_sub_u32 s28, s28, s34
	s_subb_u32 s29, s29, s34
	s_cbranch_execnz .LBB13_111
.LBB13_110:                             ;   in Loop: Header=BB13_16 Depth=1
	v_cvt_f32_u32_e32 v2, s23
	s_sub_i32 s6, 0, s23
	v_rcp_iflag_f32_e32 v2, v2
	v_mul_f32_e32 v2, 0x4f7ffffe, v2
	v_cvt_u32_f32_e32 v2, v2
	v_readfirstlane_b32 s28, v2
	s_mul_i32 s6, s6, s28
	s_mul_hi_u32 s6, s28, s6
	s_add_i32 s28, s28, s6
	s_mul_hi_u32 s6, s38, s28
	s_mul_i32 s6, s6, s23
	s_sub_i32 s6, s38, s6
	s_sub_i32 s28, s6, s23
	s_cmp_ge_u32 s6, s23
	s_cselect_b32 s6, s28, s6
	s_sub_i32 s28, s6, s23
	s_cmp_ge_u32 s6, s23
	s_cselect_b32 s52, s28, s6
	s_mov_b64 s[28:29], s[52:53]
.LBB13_111:                             ;   in Loop: Header=BB13_16 Depth=1
	s_sub_u32 s28, s38, s28
	s_subb_u32 s29, s7, s29
	v_cmp_gt_i64_e32 vcc, s[28:29], v[0:1]
                                        ; implicit-def: $vgpr46
	s_and_saveexec_b64 s[6:7], vcc
	s_cbranch_execz .LBB13_120
; %bb.112:                              ;   in Loop: Header=BB13_16 Depth=1
	v_mov_b32_e32 v9, v1
	s_mov_b64 s[34:35], 0
	v_mov_b32_e32 v2, v0
	v_mov_b32_e32 v8, v0
                                        ; implicit-def: $sgpr36_sgpr37
	s_branch .LBB13_115
.LBB13_113:                             ;   in Loop: Header=BB13_115 Depth=2
	s_or_b64 exec, exec, s[38:39]
	s_waitcnt lgkmcnt(0)
	s_barrier
	ds_read_u16 v10, v3 offset:3072
	s_mov_b64 s[38:39], -1
	s_waitcnt lgkmcnt(0)
	s_barrier
	v_cmp_ne_u32_sdwa s[40:41], v10, v3 src0_sel:BYTE_0 src1_sel:DWORD
	s_and_b64 vcc, exec, s[40:41]
	s_mov_b64 s[40:41], -1
	s_cbranch_vccz .LBB13_118
.LBB13_114:                             ;   in Loop: Header=BB13_115 Depth=2
	s_and_b64 s[38:39], exec, s[38:39]
	s_or_b64 s[34:35], s[38:39], s[34:35]
	s_andn2_b64 s[36:37], s[36:37], exec
	s_and_b64 s[38:39], s[40:41], exec
	s_or_b64 s[36:37], s[36:37], s[38:39]
	s_andn2_b64 exec, exec, s[34:35]
	s_cbranch_execz .LBB13_119
.LBB13_115:                             ;   Parent Loop BB13_16 Depth=1
                                        ; =>  This Inner Loop Header: Depth=2
	v_cmp_gt_u64_e32 vcc, s[26:27], v[8:9]
	s_and_saveexec_b64 s[38:39], vcc
	s_cbranch_execz .LBB13_113
; %bb.116:                              ;   in Loop: Header=BB13_115 Depth=2
	ds_read_u8 v10, v2
	s_waitcnt lgkmcnt(0)
	v_add_u32_sdwa v11, sext(v10), s13 dst_sel:DWORD dst_unused:UNUSED_PAD src0_sel:BYTE_0 src1_sel:DWORD
	v_and_b32_e32 v11, v11, v45
	v_cmp_eq_u32_e32 vcc, v11, v43
	s_and_b64 exec, exec, vcc
	s_cbranch_execz .LBB13_113
; %bb.117:                              ;   in Loop: Header=BB13_115 Depth=2
	v_lshlrev_b16_e32 v10, 8, v10
	v_or_b32_e32 v10, 1, v10
	ds_write_b16 v3, v10 offset:3072
	s_branch .LBB13_113
.LBB13_118:                             ;   in Loop: Header=BB13_115 Depth=2
	v_add_co_u32_e32 v8, vcc, s23, v8
	v_addc_co_u32_e32 v9, vcc, 0, v9, vcc
	v_cmp_le_i64_e32 vcc, s[28:29], v[8:9]
	v_add_u32_e32 v2, s23, v2
	s_mov_b64 s[40:41], 0
	s_orn2_b64 s[38:39], vcc, exec
	s_branch .LBB13_114
.LBB13_119:                             ;   in Loop: Header=BB13_16 Depth=1
	s_or_b64 exec, exec, s[34:35]
	s_andn2_b64 s[14:15], s[14:15], exec
	s_and_b64 s[26:27], s[36:37], exec
	v_lshrrev_b32_sdwa v46, v44, v10 dst_sel:DWORD dst_unused:UNUSED_PAD src0_sel:DWORD src1_sel:WORD_0
	s_or_b64 s[14:15], s[14:15], s[26:27]
.LBB13_120:                             ;   in Loop: Header=BB13_16 Depth=1
	s_or_b64 exec, exec, s[6:7]
	s_mov_b64 s[6:7], 0
	s_mov_b64 s[36:37], -1
.LBB13_121:                             ;   in Loop: Header=BB13_16 Depth=1
	s_orn2_b64 s[14:15], s[14:15], exec
.LBB13_122:                             ;   in Loop: Header=BB13_16 Depth=1
	s_or_b64 exec, exec, s[18:19]
	s_andn2_b64 s[18:19], s[84:85], exec
	s_and_b64 s[26:27], s[36:37], exec
	s_or_b64 s[84:85], s[18:19], s[26:27]
	s_andn2_b64 s[18:19], s[82:83], exec
	s_and_b64 s[6:7], s[6:7], exec
	s_andn2_b64 s[80:81], s[80:81], exec
	s_or_b64 s[82:83], s[18:19], s[6:7]
                                        ; implicit-def: $vgpr8_vgpr9
	s_and_saveexec_b64 s[18:19], s[14:15]
	s_cbranch_execz .LBB13_15
; %bb.123:                              ;   in Loop: Header=BB13_16 Depth=1
	v_mov_b32_e32 v8, 1
	s_xor_b64 s[6:7], s[20:21], -1
	v_mov_b32_e32 v2, 1
	v_mov_b32_e32 v9, 0
	s_mov_b64 s[14:15], 0
	s_and_saveexec_b64 s[4:5], s[6:7]
	s_cbranch_execz .LBB13_132
; %bb.124:                              ;   in Loop: Header=BB13_16 Depth=1
	v_cmp_le_i64_e32 vcc, v[26:27], v[4:5]
	s_and_saveexec_b64 s[6:7], vcc
	s_xor_b64 s[6:7], exec, s[6:7]
	s_cbranch_execz .LBB13_129
; %bb.125:                              ;   in Loop: Header=BB13_16 Depth=1
	ds_read_b64 v[8:9], v3 offset:5120
	v_and_b32_e32 v43, s46, v43
	v_or_b32_e32 v45, s57, v45
	s_waitcnt lgkmcnt(0)
	v_cmp_ne_u64_e32 vcc, 0, v[8:9]
	s_cbranch_vccnz .LBB13_129
; %bb.126:                              ;   in Loop: Header=BB13_16 Depth=1
	s_mov_b64 s[14:15], exec
	v_readlane_b32 s20, v57, 10
	v_readlane_b32 s21, v57, 11
	s_and_b64 s[20:21], s[14:15], s[20:21]
	s_mov_b64 exec, s[20:21]
; %bb.127:                              ;   in Loop: Header=BB13_16 Depth=1
	ds_write_b64 v3, v[4:5] offset:5128
; %bb.128:                              ;   in Loop: Header=BB13_16 Depth=1
	s_or_b64 exec, exec, s[14:15]
	s_waitcnt lgkmcnt(0)
	s_barrier
.LBB13_129:                             ;   in Loop: Header=BB13_16 Depth=1
	s_or_saveexec_b64 s[6:7], s[6:7]
	s_mov_b64 s[14:15], 0
	v_mov_b32_e32 v2, 8
	s_xor_b64 exec, exec, s[6:7]
; %bb.130:                              ;   in Loop: Header=BB13_16 Depth=1
	v_sub_co_u32_e32 v26, vcc, v26, v4
	v_subb_co_u32_e32 v27, vcc, v27, v5, vcc
	v_mov_b32_e32 v2, 0
	s_mov_b64 s[14:15], exec
; %bb.131:                              ;   in Loop: Header=BB13_16 Depth=1
	s_or_b64 exec, exec, s[6:7]
	v_mov_b32_e32 v8, v26
	s_and_b64 s[14:15], s[14:15], exec
	v_mov_b32_e32 v9, v27
.LBB13_132:                             ;   in Loop: Header=BB13_16 Depth=1
	s_or_b64 exec, exec, s[4:5]
	s_mov_b64 s[20:21], -1
	s_mov_b64 s[6:7], -1
                                        ; implicit-def: $sgpr4_sgpr5
                                        ; implicit-def: $sgpr88_sgpr89
	s_and_saveexec_b64 s[26:27], s[14:15]
	s_xor_b64 s[26:27], exec, s[26:27]
	s_cbranch_execz .LBB13_274
; %bb.133:                              ;   in Loop: Header=BB13_16 Depth=1
	v_cmp_eq_u64_e32 vcc, 1, v[6:7]
	v_cmp_eq_u64_e64 s[4:5], 1, v[8:9]
                                        ; implicit-def: $sgpr88_sgpr89
	s_and_b64 s[36:37], vcc, s[4:5]
                                        ; implicit-def: $sgpr4_sgpr5
	s_and_saveexec_b64 s[38:39], s[36:37]
	s_cbranch_execz .LBB13_167
; %bb.134:                              ;   in Loop: Header=BB13_16 Depth=1
	ds_read_b64 v[4:5], v3 offset:5120
	s_waitcnt lgkmcnt(0)
	s_barrier
	v_readfirstlane_b32 s48, v4
	v_readfirstlane_b32 s49, v5
	s_mov_b64 s[4:5], exec
	v_readlane_b32 s6, v57, 40
	v_readlane_b32 s7, v57, 41
	s_and_b64 s[6:7], s[4:5], s[6:7]
	s_mov_b64 exec, s[6:7]
; %bb.135:                              ;   in Loop: Header=BB13_16 Depth=1
	ds_write_b8 v0, v3 offset:3072
; %bb.136:                              ;   in Loop: Header=BB13_16 Depth=1
	s_or_b64 exec, exec, s[4:5]
	v_cmp_gt_i64_e64 s[6:7], s[48:49], 0
	v_and_b32_e32 v4, s46, v43
	v_lshl_or_b32 v43, 1, s12, v4
	v_or_b32_e32 v45, s57, v45
	s_mov_b64 s[4:5], -1
	s_mov_b64 s[88:89], 0
	s_and_b64 vcc, exec, s[6:7]
	s_mov_b64 s[6:7], 0
	s_mov_b64 s[14:15], -1
	s_waitcnt lgkmcnt(0)
	s_barrier
                                        ; implicit-def: $vgpr46
	s_cbranch_vccnz .LBB13_152
; %bb.137:                              ;   in Loop: Header=BB13_16 Depth=1
	s_mov_b32 s60, s53
	s_cmp_lg_u64 s[60:61], 0
	s_cbranch_scc0 .LBB13_194
; %bb.138:                              ;   in Loop: Header=BB13_16 Depth=1
	s_add_u32 s6, s23, 0
	s_addc_u32 s7, 0, 0
	s_xor_b64 s[6:7], s[6:7], 0
	v_cvt_f32_u32_e32 v4, s6
	v_cvt_f32_u32_e32 v5, s7
	s_sub_u32 s28, 0, s6
	s_subb_u32 s29, 0, s7
	v_mac_f32_e32 v4, 0x4f800000, v5
	v_rcp_f32_e32 v4, v4
	v_mul_f32_e32 v4, 0x5f7ffffc, v4
	v_mul_f32_e32 v5, 0x2f800000, v4
	v_trunc_f32_e32 v5, v5
	v_mac_f32_e32 v4, 0xcf800000, v5
	v_cvt_u32_f32_e32 v5, v5
	v_cvt_u32_f32_e32 v4, v4
	v_readfirstlane_b32 s34, v5
	v_readfirstlane_b32 s14, v4
	s_mul_i32 s15, s28, s34
	s_mul_hi_u32 s40, s28, s14
	s_mul_i32 s35, s29, s14
	s_add_i32 s15, s40, s15
	s_mul_i32 s41, s28, s14
	s_add_i32 s15, s15, s35
	s_mul_i32 s40, s14, s15
	s_mul_hi_u32 s42, s14, s41
	s_mul_hi_u32 s35, s14, s15
	s_add_u32 s40, s42, s40
	s_addc_u32 s35, 0, s35
	s_mul_hi_u32 s43, s34, s41
	s_mul_i32 s41, s34, s41
	s_add_u32 s40, s40, s41
	s_mul_hi_u32 s42, s34, s15
	s_addc_u32 s35, s35, s43
	s_addc_u32 s40, s42, 0
	s_mul_i32 s15, s34, s15
	s_add_u32 s15, s35, s15
	s_addc_u32 s35, 0, s40
	s_add_u32 s40, s14, s15
	s_cselect_b64 s[14:15], -1, 0
	s_cmp_lg_u64 s[14:15], 0
	s_addc_u32 s34, s34, s35
	s_mul_i32 s14, s28, s34
	s_mul_hi_u32 s15, s28, s40
	s_add_i32 s14, s15, s14
	s_mul_i32 s29, s29, s40
	s_add_i32 s14, s14, s29
	s_mul_i32 s28, s28, s40
	s_mul_hi_u32 s29, s34, s28
	s_mul_i32 s35, s34, s28
	s_mul_i32 s42, s40, s14
	s_mul_hi_u32 s28, s40, s28
	s_mul_hi_u32 s41, s40, s14
	s_add_u32 s28, s28, s42
	s_addc_u32 s41, 0, s41
	s_add_u32 s28, s28, s35
	s_mul_hi_u32 s15, s34, s14
	s_addc_u32 s28, s41, s29
	s_addc_u32 s15, s15, 0
	s_mul_i32 s14, s34, s14
	s_add_u32 s14, s28, s14
	s_addc_u32 s28, 0, s15
	s_add_u32 s35, s40, s14
	s_cselect_b64 s[14:15], -1, 0
	s_cmp_lg_u64 s[14:15], 0
	s_addc_u32 s34, s34, s28
	s_ashr_i32 s14, s61, 31
	v_readlane_b32 s28, v57, 19
	s_add_u32 s28, s28, s14
	s_mov_b32 s15, s14
	s_addc_u32 s29, s61, s14
	s_xor_b64 s[28:29], s[28:29], s[14:15]
	s_mul_i32 s41, s28, s34
	s_mul_hi_u32 s42, s28, s35
	s_mul_hi_u32 s40, s28, s34
	s_add_u32 s41, s42, s41
	s_addc_u32 s40, 0, s40
	s_mul_hi_u32 s43, s29, s35
	s_mul_i32 s35, s29, s35
	s_add_u32 s35, s41, s35
	s_mul_hi_u32 s42, s29, s34
	s_addc_u32 s35, s40, s43
	s_addc_u32 s40, s42, 0
	s_mul_i32 s34, s29, s34
	s_add_u32 s34, s35, s34
	s_addc_u32 s35, 0, s40
	s_mul_i32 s35, s6, s35
	s_mul_hi_u32 s40, s6, s34
	s_add_i32 s35, s40, s35
	s_mul_i32 s40, s7, s34
	s_add_i32 s42, s35, s40
	s_sub_i32 s40, s29, s42
	s_mul_i32 s34, s6, s34
	s_sub_u32 s28, s28, s34
	s_cselect_b64 s[34:35], -1, 0
	s_cmp_lg_u64 s[34:35], 0
	s_subb_u32 s43, s40, s7
	s_sub_u32 s44, s28, s6
	s_cselect_b64 s[40:41], -1, 0
	s_cmp_lg_u64 s[40:41], 0
	s_subb_u32 s45, s43, 0
	s_cmp_ge_u32 s45, s7
	s_cselect_b32 s47, -1, 0
	s_cmp_ge_u32 s44, s6
	s_cselect_b32 s50, -1, 0
	s_cmp_eq_u32 s45, s7
	s_cselect_b32 s47, s50, s47
	s_cmp_lg_u64 s[40:41], 0
	s_subb_u32 s43, s43, s7
	s_sub_u32 s50, s44, s6
	s_cselect_b64 s[40:41], -1, 0
	s_cmp_lg_u64 s[40:41], 0
	s_subb_u32 s40, s43, 0
	s_cmp_lg_u32 s47, 0
	s_cselect_b32 s41, s50, s44
	s_cselect_b32 s40, s40, s45
	s_cmp_lg_u64 s[34:35], 0
	s_subb_u32 s29, s29, s42
	s_cmp_ge_u32 s29, s7
	s_cselect_b32 s34, -1, 0
	s_cmp_ge_u32 s28, s6
	s_cselect_b32 s6, -1, 0
	s_cmp_eq_u32 s29, s7
	s_cselect_b32 s6, s6, s34
	s_cmp_lg_u32 s6, 0
	s_cselect_b32 s7, s40, s29
	s_cselect_b32 s6, s41, s28
	s_xor_b64 s[6:7], s[6:7], s[14:15]
	s_sub_u32 s6, s6, s14
	s_subb_u32 s7, s7, s14
	s_cbranch_execnz .LBB13_140
.LBB13_139:                             ;   in Loop: Header=BB13_16 Depth=1
	v_cvt_f32_u32_e32 v4, s23
	s_sub_i32 s6, 0, s23
	v_readlane_b32 s14, v57, 19
	v_rcp_iflag_f32_e32 v4, v4
	v_mul_f32_e32 v4, 0x4f7ffffe, v4
	v_cvt_u32_f32_e32 v4, v4
	v_readfirstlane_b32 s7, v4
	s_mul_i32 s6, s6, s7
	s_mul_hi_u32 s6, s7, s6
	s_add_i32 s7, s7, s6
	s_mul_hi_u32 s6, s14, s7
	s_mul_i32 s6, s6, s23
	s_sub_i32 s6, s14, s6
	s_sub_i32 s7, s6, s23
	s_cmp_ge_u32 s6, s23
	s_cselect_b32 s6, s7, s6
	s_sub_i32 s7, s6, s23
	s_cmp_ge_u32 s6, s23
	s_cselect_b32 s52, s7, s6
	s_mov_b64 s[6:7], s[52:53]
.LBB13_140:                             ;   in Loop: Header=BB13_16 Depth=1
	v_readlane_b32 s14, v57, 19
	s_sub_u32 s42, s14, s6
	s_subb_u32 s43, s61, s7
	v_cmp_gt_i64_e32 vcc, s[42:43], v[0:1]
	s_mov_b64 s[14:15], 0
	s_mov_b64 s[6:7], 0
                                        ; implicit-def: $vgpr46
	s_and_saveexec_b64 s[40:41], vcc
	s_cbranch_execz .LBB13_151
; %bb.141:                              ;   in Loop: Header=BB13_16 Depth=1
	v_mov_b32_e32 v4, v12
	v_mov_b32_e32 v11, v1
	;; [unrolled: 1-line block ×4, first 2 shown]
                                        ; implicit-def: $sgpr28_sgpr29
	s_branch .LBB13_144
.LBB13_142:                             ;   in Loop: Header=BB13_144 Depth=2
	s_or_b64 exec, exec, s[34:35]
	s_waitcnt lgkmcnt(0)
	s_barrier
	ds_read_u16 v26, v3 offset:3072
	s_mov_b64 s[34:35], -1
	s_waitcnt lgkmcnt(0)
	s_barrier
	v_cmp_ne_u32_sdwa s[44:45], v26, v3 src0_sel:BYTE_0 src1_sel:DWORD
	s_and_b64 vcc, exec, s[44:45]
	s_mov_b64 s[44:45], -1
	s_cbranch_vccz .LBB13_147
.LBB13_143:                             ;   in Loop: Header=BB13_144 Depth=2
	s_and_b64 s[34:35], exec, s[34:35]
	s_or_b64 s[6:7], s[34:35], s[6:7]
	s_andn2_b64 s[28:29], s[28:29], exec
	s_and_b64 s[34:35], s[44:45], exec
	s_or_b64 s[28:29], s[28:29], s[34:35]
	s_andn2_b64 exec, exec, s[6:7]
	s_cbranch_execz .LBB13_150
.LBB13_144:                             ;   Parent Loop BB13_16 Depth=1
                                        ; =>  This Inner Loop Header: Depth=2
	v_cmp_gt_i64_e32 vcc, s[24:25], v[10:11]
	s_and_saveexec_b64 s[34:35], vcc
	s_cbranch_execz .LBB13_142
; %bb.145:                              ;   in Loop: Header=BB13_144 Depth=2
	global_load_ubyte v26, v[4:5], off
	s_waitcnt vmcnt(0)
	v_add_u32_sdwa v27, sext(v26), s13 dst_sel:DWORD dst_unused:UNUSED_PAD src0_sel:BYTE_0 src1_sel:DWORD
	v_and_b32_e32 v27, v27, v45
	v_cmp_eq_u32_e32 vcc, v27, v43
	s_and_b64 exec, exec, vcc
	s_cbranch_execz .LBB13_142
; %bb.146:                              ;   in Loop: Header=BB13_144 Depth=2
	v_lshlrev_b16_e32 v26, 8, v26
	v_or_b32_e32 v26, 1, v26
	ds_write_b16 v3, v26 offset:3072
	s_branch .LBB13_142
.LBB13_147:                             ;   in Loop: Header=BB13_144 Depth=2
	v_add_co_u32_e32 v10, vcc, s23, v10
	v_addc_co_u32_e32 v11, vcc, 0, v11, vcc
	v_mov_b32_e32 v27, s33
	v_add_co_u32_e32 v4, vcc, s22, v4
	v_addc_co_u32_e32 v5, vcc, v5, v27, vcc
	v_cmp_le_i64_e32 vcc, s[42:43], v[10:11]
	s_mov_b64 s[44:45], 0
	s_orn2_b64 s[34:35], vcc, exec
	s_branch .LBB13_143
.LBB13_148:                             ;   in Loop: Header=BB13_16 Depth=1
                                        ; implicit-def: $sgpr14_sgpr15
	s_branch .LBB13_96
.LBB13_149:                             ;   in Loop: Header=BB13_16 Depth=1
                                        ; implicit-def: $sgpr28_sgpr29
	s_branch .LBB13_110
.LBB13_150:                             ;   in Loop: Header=BB13_16 Depth=1
	s_or_b64 exec, exec, s[6:7]
	v_lshrrev_b32_sdwa v46, v44, v26 dst_sel:DWORD dst_unused:UNUSED_PAD src0_sel:DWORD src1_sel:WORD_0
	s_and_b64 s[6:7], s[28:29], exec
.LBB13_151:                             ;   in Loop: Header=BB13_16 Depth=1
	s_or_b64 exec, exec, s[40:41]
.LBB13_152:                             ;   in Loop: Header=BB13_16 Depth=1
	s_and_b64 vcc, exec, s[14:15]
	s_cbranch_vccz .LBB13_166
; %bb.153:                              ;   in Loop: Header=BB13_16 Depth=1
	v_readlane_b32 s4, v57, 18
	s_add_u32 s34, s48, s4
	v_readlane_b32 s4, v57, 20
	s_addc_u32 s5, s49, s4
	s_mov_b32 s4, s53
	s_cmp_lg_u64 s[4:5], 0
	s_cbranch_scc0 .LBB13_195
; %bb.154:                              ;   in Loop: Header=BB13_16 Depth=1
	s_add_u32 s14, s23, 0
	s_addc_u32 s15, 0, 0
	s_xor_b64 s[14:15], s[14:15], 0
	v_cvt_f32_u32_e32 v4, s14
	v_cvt_f32_u32_e32 v5, s15
	s_sub_u32 s4, 0, s14
	s_subb_u32 s35, 0, s15
	v_mac_f32_e32 v4, 0x4f800000, v5
	v_rcp_f32_e32 v4, v4
	v_mul_f32_e32 v4, 0x5f7ffffc, v4
	v_mul_f32_e32 v5, 0x2f800000, v4
	v_trunc_f32_e32 v5, v5
	v_mac_f32_e32 v4, 0xcf800000, v5
	v_cvt_u32_f32_e32 v5, v5
	v_cvt_u32_f32_e32 v4, v4
	v_readfirstlane_b32 s40, v5
	v_readfirstlane_b32 s28, v4
	s_mul_i32 s29, s4, s40
	s_mul_hi_u32 s42, s4, s28
	s_mul_i32 s41, s35, s28
	s_add_i32 s29, s42, s29
	s_mul_i32 s43, s4, s28
	s_add_i32 s29, s29, s41
	s_mul_i32 s42, s28, s29
	s_mul_hi_u32 s44, s28, s43
	s_mul_hi_u32 s41, s28, s29
	s_add_u32 s42, s44, s42
	s_addc_u32 s41, 0, s41
	s_mul_hi_u32 s45, s40, s43
	s_mul_i32 s43, s40, s43
	s_add_u32 s42, s42, s43
	s_mul_hi_u32 s44, s40, s29
	s_addc_u32 s41, s41, s45
	s_addc_u32 s42, s44, 0
	s_mul_i32 s29, s40, s29
	s_add_u32 s29, s41, s29
	s_addc_u32 s41, 0, s42
	s_add_u32 s42, s28, s29
	s_cselect_b64 s[28:29], -1, 0
	s_cmp_lg_u64 s[28:29], 0
	s_addc_u32 s40, s40, s41
	s_mul_i32 s28, s4, s40
	s_mul_hi_u32 s29, s4, s42
	s_add_i32 s28, s29, s28
	s_mul_i32 s35, s35, s42
	s_add_i32 s28, s28, s35
	s_mul_i32 s4, s4, s42
	s_mul_hi_u32 s35, s40, s4
	s_mul_i32 s41, s40, s4
	s_mul_i32 s44, s42, s28
	s_mul_hi_u32 s4, s42, s4
	s_mul_hi_u32 s43, s42, s28
	s_add_u32 s4, s4, s44
	s_addc_u32 s43, 0, s43
	s_add_u32 s4, s4, s41
	s_mul_hi_u32 s29, s40, s28
	s_addc_u32 s4, s43, s35
	s_addc_u32 s29, s29, 0
	s_mul_i32 s28, s40, s28
	s_add_u32 s4, s4, s28
	s_addc_u32 s35, 0, s29
	s_add_u32 s4, s42, s4
	s_cselect_b64 s[28:29], -1, 0
	s_cmp_lg_u64 s[28:29], 0
	s_addc_u32 s35, s40, s35
	s_ashr_i32 s28, s5, 31
	s_add_u32 s40, s34, s28
	s_mov_b32 s29, s28
	s_addc_u32 s41, s5, s28
	s_xor_b64 s[40:41], s[40:41], s[28:29]
	s_mul_i32 s43, s40, s35
	s_mul_hi_u32 s44, s40, s4
	s_mul_hi_u32 s42, s40, s35
	s_add_u32 s43, s44, s43
	s_addc_u32 s42, 0, s42
	s_mul_hi_u32 s45, s41, s4
	s_mul_i32 s4, s41, s4
	s_add_u32 s4, s43, s4
	s_mul_hi_u32 s44, s41, s35
	s_addc_u32 s4, s42, s45
	s_addc_u32 s42, s44, 0
	s_mul_i32 s35, s41, s35
	s_add_u32 s4, s4, s35
	s_addc_u32 s35, 0, s42
	s_mul_i32 s35, s14, s35
	s_mul_hi_u32 s42, s14, s4
	s_add_i32 s35, s42, s35
	s_mul_i32 s42, s15, s4
	s_add_i32 s35, s35, s42
	s_sub_i32 s44, s41, s35
	s_mul_i32 s4, s14, s4
	s_sub_u32 s4, s40, s4
	s_cselect_b64 s[42:43], -1, 0
	s_cmp_lg_u64 s[42:43], 0
	s_subb_u32 s40, s44, s15
	s_sub_u32 s47, s4, s14
	s_cselect_b64 s[44:45], -1, 0
	s_cmp_lg_u64 s[44:45], 0
	s_subb_u32 s50, s40, 0
	s_cmp_ge_u32 s50, s15
	s_cselect_b32 s51, -1, 0
	s_cmp_ge_u32 s47, s14
	s_cselect_b32 s52, -1, 0
	s_cmp_eq_u32 s50, s15
	s_cselect_b32 s51, s52, s51
	s_cmp_lg_u64 s[44:45], 0
	s_subb_u32 s40, s40, s15
	s_sub_u32 s52, s47, s14
	s_cselect_b64 s[44:45], -1, 0
	s_cmp_lg_u64 s[44:45], 0
	s_subb_u32 s40, s40, 0
	s_cmp_lg_u32 s51, 0
	s_cselect_b32 s44, s52, s47
	s_cselect_b32 s40, s40, s50
	s_cmp_lg_u64 s[42:43], 0
	s_subb_u32 s35, s41, s35
	s_cmp_ge_u32 s35, s15
	s_cselect_b32 s41, -1, 0
	s_cmp_ge_u32 s4, s14
	s_cselect_b32 s14, -1, 0
	s_cmp_eq_u32 s35, s15
	s_cselect_b32 s14, s14, s41
	s_cmp_lg_u32 s14, 0
	s_cselect_b32 s15, s40, s35
	s_cselect_b32 s14, s44, s4
	s_xor_b64 s[14:15], s[14:15], s[28:29]
	s_sub_u32 s14, s14, s28
	s_subb_u32 s15, s15, s28
	s_cbranch_execnz .LBB13_156
.LBB13_155:                             ;   in Loop: Header=BB13_16 Depth=1
	v_cvt_f32_u32_e32 v4, s23
	s_sub_i32 s4, 0, s23
	v_rcp_iflag_f32_e32 v4, v4
	v_mul_f32_e32 v4, 0x4f7ffffe, v4
	v_cvt_u32_f32_e32 v4, v4
	v_readfirstlane_b32 s14, v4
	s_mul_i32 s4, s4, s14
	s_mul_hi_u32 s4, s14, s4
	s_add_i32 s14, s14, s4
	s_mul_hi_u32 s4, s34, s14
	s_mul_i32 s4, s4, s23
	s_sub_i32 s4, s34, s4
	s_sub_i32 s14, s4, s23
	s_cmp_ge_u32 s4, s23
	s_cselect_b32 s4, s14, s4
	s_sub_i32 s14, s4, s23
	s_cmp_ge_u32 s4, s23
	s_cselect_b32 s52, s14, s4
	s_mov_b64 s[14:15], s[52:53]
.LBB13_156:                             ;   in Loop: Header=BB13_16 Depth=1
	s_sub_u32 s14, s34, s14
	s_subb_u32 s15, s5, s15
	v_cmp_gt_i64_e32 vcc, s[14:15], v[0:1]
                                        ; implicit-def: $vgpr46
	s_and_saveexec_b64 s[4:5], vcc
	s_cbranch_execz .LBB13_165
; %bb.157:                              ;   in Loop: Header=BB13_16 Depth=1
	v_mov_b32_e32 v5, v1
	s_mov_b64 s[28:29], 0
	v_mov_b32_e32 v10, v0
	v_mov_b32_e32 v4, v0
                                        ; implicit-def: $sgpr34_sgpr35
	s_branch .LBB13_160
.LBB13_158:                             ;   in Loop: Header=BB13_160 Depth=2
	s_or_b64 exec, exec, s[40:41]
	s_waitcnt lgkmcnt(0)
	s_barrier
	ds_read_u16 v11, v3 offset:3072
	s_mov_b64 s[40:41], -1
	s_waitcnt lgkmcnt(0)
	s_barrier
	v_cmp_eq_u32_sdwa s[42:43], v11, v3 src0_sel:BYTE_0 src1_sel:DWORD
	s_and_b64 vcc, exec, s[42:43]
	s_mov_b64 s[42:43], -1
	s_cbranch_vccnz .LBB13_163
.LBB13_159:                             ;   in Loop: Header=BB13_160 Depth=2
	s_and_b64 s[40:41], exec, s[40:41]
	s_or_b64 s[28:29], s[40:41], s[28:29]
	s_andn2_b64 s[34:35], s[34:35], exec
	s_and_b64 s[40:41], s[42:43], exec
	s_or_b64 s[34:35], s[34:35], s[40:41]
	s_andn2_b64 exec, exec, s[28:29]
	s_cbranch_execz .LBB13_164
.LBB13_160:                             ;   Parent Loop BB13_16 Depth=1
                                        ; =>  This Inner Loop Header: Depth=2
	v_cmp_gt_u64_e32 vcc, s[48:49], v[4:5]
	s_and_saveexec_b64 s[40:41], vcc
	s_cbranch_execz .LBB13_158
; %bb.161:                              ;   in Loop: Header=BB13_160 Depth=2
	ds_read_u8 v11, v10
	s_waitcnt lgkmcnt(0)
	v_add_u32_sdwa v26, sext(v11), s13 dst_sel:DWORD dst_unused:UNUSED_PAD src0_sel:BYTE_0 src1_sel:DWORD
	v_and_b32_e32 v26, v26, v45
	v_cmp_eq_u32_e32 vcc, v26, v43
	s_and_b64 exec, exec, vcc
	s_cbranch_execz .LBB13_158
; %bb.162:                              ;   in Loop: Header=BB13_160 Depth=2
	v_lshlrev_b16_e32 v11, 8, v11
	v_or_b32_e32 v11, 1, v11
	ds_write_b16 v3, v11 offset:3072
	s_branch .LBB13_158
.LBB13_163:                             ;   in Loop: Header=BB13_160 Depth=2
	v_add_co_u32_e32 v4, vcc, s23, v4
	v_addc_co_u32_e32 v5, vcc, 0, v5, vcc
	v_cmp_le_i64_e32 vcc, s[14:15], v[4:5]
	v_add_u32_e32 v10, s23, v10
	s_mov_b64 s[42:43], 0
	s_orn2_b64 s[40:41], vcc, exec
	s_branch .LBB13_159
.LBB13_164:                             ;   in Loop: Header=BB13_16 Depth=1
	s_or_b64 exec, exec, s[28:29]
	s_andn2_b64 s[6:7], s[6:7], exec
	s_and_b64 s[14:15], s[34:35], exec
	v_lshrrev_b32_sdwa v46, v44, v11 dst_sel:DWORD dst_unused:UNUSED_PAD src0_sel:DWORD src1_sel:WORD_0
	s_or_b64 s[6:7], s[6:7], s[14:15]
.LBB13_165:                             ;   in Loop: Header=BB13_16 Depth=1
	s_or_b64 exec, exec, s[4:5]
	s_mov_b64 s[4:5], 0
	s_mov_b64 s[88:89], -1
.LBB13_166:                             ;   in Loop: Header=BB13_16 Depth=1
	s_orn2_b64 s[6:7], s[6:7], exec
.LBB13_167:                             ;   in Loop: Header=BB13_16 Depth=1
	s_or_b64 exec, exec, s[38:39]
	s_mov_b64 s[14:15], 0
	s_and_saveexec_b64 s[90:91], s[6:7]
	s_cbranch_execz .LBB13_273
; %bb.168:                              ;   in Loop: Header=BB13_16 Depth=1
	v_mov_b32_e32 v4, 1
	s_xor_b64 s[28:29], s[36:37], -1
	v_mov_b32_e32 v2, 1
	v_mov_b32_e32 v5, 0
	s_and_saveexec_b64 s[6:7], s[28:29]
	s_cbranch_execz .LBB13_178
; %bb.169:                              ;   in Loop: Header=BB13_16 Depth=1
	v_cmp_le_i64_e32 vcc, v[8:9], v[6:7]
	s_and_saveexec_b64 s[14:15], vcc
	s_xor_b64 s[14:15], exec, s[14:15]
	s_cbranch_execz .LBB13_175
; %bb.170:                              ;   in Loop: Header=BB13_16 Depth=1
	ds_read_b64 v[4:5], v3 offset:5120
	v_and_b32_e32 v2, s46, v43
	v_lshl_or_b32 v43, 1, s12, v2
	v_or_b32_e32 v45, s57, v45
	s_waitcnt lgkmcnt(0)
	v_cmp_ne_u64_e32 vcc, 0, v[4:5]
	s_cbranch_vccnz .LBB13_174
; %bb.171:                              ;   in Loop: Header=BB13_16 Depth=1
	s_mov_b64 s[28:29], exec
	v_readlane_b32 s34, v57, 10
	v_readlane_b32 s35, v57, 11
	s_and_b64 s[34:35], s[28:29], s[34:35]
	s_mov_b64 exec, s[34:35]
; %bb.172:                              ;   in Loop: Header=BB13_16 Depth=1
	ds_write_b64 v3, v[6:7] offset:5128
; %bb.173:                              ;   in Loop: Header=BB13_16 Depth=1
	s_or_b64 exec, exec, s[28:29]
	s_waitcnt lgkmcnt(0)
	s_barrier
.LBB13_174:                             ;   in Loop: Header=BB13_16 Depth=1
                                        ; implicit-def: $vgpr4_vgpr5_vgpr6_vgpr7
.LBB13_175:                             ;   in Loop: Header=BB13_16 Depth=1
	s_or_saveexec_b64 s[14:15], s[14:15]
	s_mov_b64 s[28:29], 0
	v_mov_b32_e32 v2, 8
	s_xor_b64 exec, exec, s[14:15]
; %bb.176:                              ;   in Loop: Header=BB13_16 Depth=1
	v_sub_co_u32_e32 v8, vcc, v8, v6
	v_subb_co_u32_e32 v9, vcc, v9, v7, vcc
	v_mov_b32_e32 v2, 0
	s_mov_b64 s[28:29], exec
; %bb.177:                              ;   in Loop: Header=BB13_16 Depth=1
	s_or_b64 exec, exec, s[14:15]
	v_mov_b32_e32 v4, v8
	s_and_b64 s[14:15], s[28:29], exec
	v_mov_b32_e32 v5, v9
.LBB13_178:                             ;   in Loop: Header=BB13_16 Depth=1
	s_or_b64 exec, exec, s[6:7]
	s_mov_b64 s[6:7], -1
                                        ; implicit-def: $sgpr94_sgpr95
                                        ; implicit-def: $sgpr48_sgpr49
	s_and_saveexec_b64 s[92:93], s[14:15]
	s_cbranch_execz .LBB13_272
; %bb.179:                              ;   in Loop: Header=BB13_16 Depth=1
	s_cmp_eq_u64 s[86:87], 1
	v_cmp_eq_u64_e32 vcc, 1, v[4:5]
	s_cselect_b64 s[6:7], -1, 0
	s_and_b64 s[38:39], s[6:7], vcc
	s_mov_b64 s[6:7], -1
                                        ; implicit-def: $sgpr48_sgpr49
                                        ; implicit-def: $sgpr94_sgpr95
	s_and_saveexec_b64 s[36:37], s[38:39]
	s_cbranch_execz .LBB13_213
; %bb.180:                              ;   in Loop: Header=BB13_16 Depth=1
	ds_read_b64 v[6:7], v3 offset:5120
	s_waitcnt lgkmcnt(0)
	s_barrier
	v_readfirstlane_b32 s50, v6
	v_readfirstlane_b32 s51, v7
	s_mov_b64 s[6:7], exec
	v_readlane_b32 s14, v57, 40
	v_readlane_b32 s15, v57, 41
	s_and_b64 s[14:15], s[6:7], s[14:15]
	s_mov_b64 exec, s[14:15]
; %bb.181:                              ;   in Loop: Header=BB13_16 Depth=1
	ds_write_b8 v0, v3 offset:3072
; %bb.182:                              ;   in Loop: Header=BB13_16 Depth=1
	s_or_b64 exec, exec, s[6:7]
	v_cmp_gt_i64_e64 s[6:7], s[50:51], 0
	v_and_b32_e32 v6, s46, v43
	v_lshl_or_b32 v43, 2, s12, v6
	v_or_b32_e32 v45, s57, v45
	s_mov_b64 s[94:95], -1
	s_mov_b64 s[48:49], 0
	s_and_b64 vcc, exec, s[6:7]
	s_mov_b64 s[6:7], 0
	s_mov_b64 s[14:15], -1
	s_waitcnt lgkmcnt(0)
	s_barrier
                                        ; implicit-def: $vgpr46
	s_cbranch_vccnz .LBB13_198
; %bb.183:                              ;   in Loop: Header=BB13_16 Depth=1
	s_mov_b32 s60, s53
	s_cmp_lg_u64 s[60:61], 0
	s_cbranch_scc0 .LBB13_239
; %bb.184:                              ;   in Loop: Header=BB13_16 Depth=1
	s_add_u32 s6, s23, 0
	s_addc_u32 s7, 0, 0
	s_xor_b64 s[6:7], s[6:7], 0
	v_cvt_f32_u32_e32 v6, s6
	v_cvt_f32_u32_e32 v7, s7
	s_sub_u32 s28, 0, s6
	s_subb_u32 s29, 0, s7
	v_mac_f32_e32 v6, 0x4f800000, v7
	v_rcp_f32_e32 v6, v6
	v_mul_f32_e32 v6, 0x5f7ffffc, v6
	v_mul_f32_e32 v7, 0x2f800000, v6
	v_trunc_f32_e32 v7, v7
	v_mac_f32_e32 v6, 0xcf800000, v7
	v_cvt_u32_f32_e32 v7, v7
	v_cvt_u32_f32_e32 v6, v6
	v_readfirstlane_b32 s34, v7
	v_readfirstlane_b32 s14, v6
	s_mul_i32 s15, s28, s34
	s_mul_hi_u32 s40, s28, s14
	s_mul_i32 s35, s29, s14
	s_add_i32 s15, s40, s15
	s_mul_i32 s41, s28, s14
	s_add_i32 s15, s15, s35
	s_mul_i32 s40, s14, s15
	s_mul_hi_u32 s42, s14, s41
	s_mul_hi_u32 s35, s14, s15
	s_add_u32 s40, s42, s40
	s_addc_u32 s35, 0, s35
	s_mul_hi_u32 s43, s34, s41
	s_mul_i32 s41, s34, s41
	s_add_u32 s40, s40, s41
	s_mul_hi_u32 s42, s34, s15
	s_addc_u32 s35, s35, s43
	s_addc_u32 s40, s42, 0
	s_mul_i32 s15, s34, s15
	s_add_u32 s15, s35, s15
	s_addc_u32 s35, 0, s40
	s_add_u32 s40, s14, s15
	s_cselect_b64 s[14:15], -1, 0
	s_cmp_lg_u64 s[14:15], 0
	s_addc_u32 s34, s34, s35
	s_mul_i32 s14, s28, s34
	s_mul_hi_u32 s15, s28, s40
	s_add_i32 s14, s15, s14
	s_mul_i32 s29, s29, s40
	s_add_i32 s14, s14, s29
	s_mul_i32 s28, s28, s40
	s_mul_hi_u32 s29, s34, s28
	s_mul_i32 s35, s34, s28
	s_mul_i32 s42, s40, s14
	s_mul_hi_u32 s28, s40, s28
	s_mul_hi_u32 s41, s40, s14
	s_add_u32 s28, s28, s42
	s_addc_u32 s41, 0, s41
	s_add_u32 s28, s28, s35
	s_mul_hi_u32 s15, s34, s14
	s_addc_u32 s28, s41, s29
	s_addc_u32 s15, s15, 0
	s_mul_i32 s14, s34, s14
	s_add_u32 s14, s28, s14
	s_addc_u32 s28, 0, s15
	s_add_u32 s35, s40, s14
	s_cselect_b64 s[14:15], -1, 0
	s_cmp_lg_u64 s[14:15], 0
	s_addc_u32 s34, s34, s28
	s_ashr_i32 s14, s61, 31
	v_readlane_b32 s28, v57, 19
	s_add_u32 s28, s28, s14
	s_mov_b32 s15, s14
	s_addc_u32 s29, s61, s14
	s_xor_b64 s[28:29], s[28:29], s[14:15]
	s_mul_i32 s41, s28, s34
	s_mul_hi_u32 s42, s28, s35
	s_mul_hi_u32 s40, s28, s34
	s_add_u32 s41, s42, s41
	s_addc_u32 s40, 0, s40
	s_mul_hi_u32 s43, s29, s35
	s_mul_i32 s35, s29, s35
	s_add_u32 s35, s41, s35
	s_mul_hi_u32 s42, s29, s34
	s_addc_u32 s35, s40, s43
	s_addc_u32 s40, s42, 0
	s_mul_i32 s34, s29, s34
	s_add_u32 s34, s35, s34
	s_addc_u32 s35, 0, s40
	s_mul_i32 s35, s6, s35
	s_mul_hi_u32 s40, s6, s34
	s_add_i32 s35, s40, s35
	s_mul_i32 s40, s7, s34
	s_add_i32 s42, s35, s40
	s_sub_i32 s40, s29, s42
	s_mul_i32 s34, s6, s34
	s_sub_u32 s28, s28, s34
	s_cselect_b64 s[34:35], -1, 0
	s_cmp_lg_u64 s[34:35], 0
	s_subb_u32 s43, s40, s7
	s_sub_u32 s44, s28, s6
	s_cselect_b64 s[40:41], -1, 0
	s_cmp_lg_u64 s[40:41], 0
	s_subb_u32 s45, s43, 0
	s_cmp_ge_u32 s45, s7
	s_cselect_b32 s47, -1, 0
	s_cmp_ge_u32 s44, s6
	s_cselect_b32 s52, -1, 0
	s_cmp_eq_u32 s45, s7
	s_cselect_b32 s47, s52, s47
	s_cmp_lg_u64 s[40:41], 0
	s_subb_u32 s43, s43, s7
	s_sub_u32 s52, s44, s6
	s_cselect_b64 s[40:41], -1, 0
	s_cmp_lg_u64 s[40:41], 0
	s_subb_u32 s40, s43, 0
	s_cmp_lg_u32 s47, 0
	s_cselect_b32 s41, s52, s44
	s_cselect_b32 s40, s40, s45
	s_cmp_lg_u64 s[34:35], 0
	s_subb_u32 s29, s29, s42
	s_cmp_ge_u32 s29, s7
	s_cselect_b32 s34, -1, 0
	s_cmp_ge_u32 s28, s6
	s_cselect_b32 s6, -1, 0
	s_cmp_eq_u32 s29, s7
	s_cselect_b32 s6, s6, s34
	s_cmp_lg_u32 s6, 0
	s_cselect_b32 s7, s40, s29
	s_cselect_b32 s6, s41, s28
	s_xor_b64 s[6:7], s[6:7], s[14:15]
	s_sub_u32 s6, s6, s14
	s_subb_u32 s7, s7, s14
	s_cbranch_execnz .LBB13_186
.LBB13_185:                             ;   in Loop: Header=BB13_16 Depth=1
	v_cvt_f32_u32_e32 v6, s23
	s_sub_i32 s6, 0, s23
	v_readlane_b32 s14, v57, 19
	v_rcp_iflag_f32_e32 v6, v6
	v_mul_f32_e32 v6, 0x4f7ffffe, v6
	v_cvt_u32_f32_e32 v6, v6
	v_readfirstlane_b32 s7, v6
	s_mul_i32 s6, s6, s7
	s_mul_hi_u32 s6, s7, s6
	s_add_i32 s7, s7, s6
	s_mul_hi_u32 s6, s14, s7
	s_mul_i32 s6, s6, s23
	s_sub_i32 s6, s14, s6
	s_sub_i32 s7, s6, s23
	s_cmp_ge_u32 s6, s23
	s_cselect_b32 s6, s7, s6
	s_sub_i32 s7, s6, s23
	s_cmp_ge_u32 s6, s23
	s_cselect_b32 s52, s7, s6
	s_mov_b64 s[6:7], s[52:53]
.LBB13_186:                             ;   in Loop: Header=BB13_16 Depth=1
	v_readlane_b32 s14, v57, 19
	s_sub_u32 s42, s14, s6
	s_subb_u32 s43, s61, s7
	v_cmp_gt_i64_e32 vcc, s[42:43], v[0:1]
	s_mov_b64 s[14:15], 0
	s_mov_b64 s[6:7], 0
                                        ; implicit-def: $vgpr46
	s_and_saveexec_b64 s[40:41], vcc
	s_cbranch_execz .LBB13_197
; %bb.187:                              ;   in Loop: Header=BB13_16 Depth=1
	v_mov_b32_e32 v6, v12
	v_mov_b32_e32 v9, v1
	;; [unrolled: 1-line block ×4, first 2 shown]
                                        ; implicit-def: $sgpr28_sgpr29
	s_branch .LBB13_190
.LBB13_188:                             ;   in Loop: Header=BB13_190 Depth=2
	s_or_b64 exec, exec, s[34:35]
	s_waitcnt lgkmcnt(0)
	s_barrier
	ds_read_u16 v10, v3 offset:3072
	s_mov_b64 s[34:35], -1
	s_waitcnt lgkmcnt(0)
	s_barrier
	v_cmp_ne_u32_sdwa s[44:45], v10, v3 src0_sel:BYTE_0 src1_sel:DWORD
	s_and_b64 vcc, exec, s[44:45]
	s_mov_b64 s[44:45], -1
	s_cbranch_vccz .LBB13_193
.LBB13_189:                             ;   in Loop: Header=BB13_190 Depth=2
	s_and_b64 s[34:35], exec, s[34:35]
	s_or_b64 s[6:7], s[34:35], s[6:7]
	s_andn2_b64 s[28:29], s[28:29], exec
	s_and_b64 s[34:35], s[44:45], exec
	s_or_b64 s[28:29], s[28:29], s[34:35]
	s_andn2_b64 exec, exec, s[6:7]
	s_cbranch_execz .LBB13_196
.LBB13_190:                             ;   Parent Loop BB13_16 Depth=1
                                        ; =>  This Inner Loop Header: Depth=2
	v_cmp_gt_i64_e32 vcc, s[24:25], v[8:9]
	s_and_saveexec_b64 s[34:35], vcc
	s_cbranch_execz .LBB13_188
; %bb.191:                              ;   in Loop: Header=BB13_190 Depth=2
	global_load_ubyte v10, v[6:7], off
	s_waitcnt vmcnt(0)
	v_add_u32_sdwa v11, sext(v10), s13 dst_sel:DWORD dst_unused:UNUSED_PAD src0_sel:BYTE_0 src1_sel:DWORD
	v_and_b32_e32 v11, v11, v45
	v_cmp_eq_u32_e32 vcc, v11, v43
	s_and_b64 exec, exec, vcc
	s_cbranch_execz .LBB13_188
; %bb.192:                              ;   in Loop: Header=BB13_190 Depth=2
	v_lshlrev_b16_e32 v10, 8, v10
	v_or_b32_e32 v10, 1, v10
	ds_write_b16 v3, v10 offset:3072
	s_branch .LBB13_188
.LBB13_193:                             ;   in Loop: Header=BB13_190 Depth=2
	v_add_co_u32_e32 v8, vcc, s23, v8
	v_addc_co_u32_e32 v9, vcc, 0, v9, vcc
	v_mov_b32_e32 v11, s33
	v_add_co_u32_e32 v6, vcc, s22, v6
	v_addc_co_u32_e32 v7, vcc, v7, v11, vcc
	v_cmp_le_i64_e32 vcc, s[42:43], v[8:9]
	s_mov_b64 s[44:45], 0
	s_orn2_b64 s[34:35], vcc, exec
	s_branch .LBB13_189
.LBB13_194:                             ;   in Loop: Header=BB13_16 Depth=1
                                        ; implicit-def: $sgpr6_sgpr7
	s_andn2_b64 vcc, exec, s[14:15]
	s_cbranch_vccz .LBB13_139
	s_branch .LBB13_140
.LBB13_195:                             ;   in Loop: Header=BB13_16 Depth=1
                                        ; implicit-def: $sgpr14_sgpr15
	s_branch .LBB13_155
.LBB13_196:                             ;   in Loop: Header=BB13_16 Depth=1
	s_or_b64 exec, exec, s[6:7]
	v_lshrrev_b32_sdwa v46, v44, v10 dst_sel:DWORD dst_unused:UNUSED_PAD src0_sel:DWORD src1_sel:WORD_0
	s_and_b64 s[6:7], s[28:29], exec
.LBB13_197:                             ;   in Loop: Header=BB13_16 Depth=1
	s_or_b64 exec, exec, s[40:41]
.LBB13_198:                             ;   in Loop: Header=BB13_16 Depth=1
	s_and_b64 vcc, exec, s[14:15]
	s_cbranch_vccz .LBB13_212
; %bb.199:                              ;   in Loop: Header=BB13_16 Depth=1
	v_readlane_b32 s14, v57, 18
	s_add_u32 s42, s50, s14
	v_readlane_b32 s14, v57, 20
	s_addc_u32 s15, s51, s14
	s_mov_b32 s14, s53
	s_cmp_lg_u64 s[14:15], 0
	s_cbranch_scc0 .LBB13_240
; %bb.200:                              ;   in Loop: Header=BB13_16 Depth=1
	s_add_u32 s28, s23, 0
	s_addc_u32 s29, 0, 0
	s_xor_b64 s[40:41], s[28:29], 0
	v_cvt_f32_u32_e32 v6, s40
	v_cvt_f32_u32_e32 v7, s41
	s_sub_u32 s14, 0, s40
	s_subb_u32 s34, 0, s41
	s_mov_b64 s[94:95], s[64:65]
	v_mac_f32_e32 v6, 0x4f800000, v7
	v_rcp_f32_e32 v6, v6
	v_mul_f32_e32 v6, 0x5f7ffffc, v6
	v_mul_f32_e32 v7, 0x2f800000, v6
	v_trunc_f32_e32 v7, v7
	v_mac_f32_e32 v6, 0xcf800000, v7
	v_cvt_u32_f32_e32 v7, v7
	v_cvt_u32_f32_e32 v6, v6
	v_readfirstlane_b32 s35, v7
	v_readfirstlane_b32 s28, v6
	s_mul_i32 s29, s14, s35
	s_mul_hi_u32 s44, s14, s28
	s_mul_i32 s43, s34, s28
	s_add_i32 s29, s44, s29
	s_mul_i32 s45, s14, s28
	s_add_i32 s29, s29, s43
	s_mul_i32 s44, s28, s29
	s_mul_hi_u32 s47, s28, s45
	s_mul_hi_u32 s43, s28, s29
	s_add_u32 s44, s47, s44
	s_addc_u32 s43, 0, s43
	s_mul_hi_u32 s48, s35, s45
	s_mul_i32 s45, s35, s45
	s_add_u32 s44, s44, s45
	s_mul_hi_u32 s47, s35, s29
	s_addc_u32 s43, s43, s48
	s_addc_u32 s44, s47, 0
	s_mul_i32 s29, s35, s29
	s_add_u32 s29, s43, s29
	s_addc_u32 s43, 0, s44
	s_add_u32 s44, s28, s29
	s_cselect_b64 s[28:29], -1, 0
	s_cmp_lg_u64 s[28:29], 0
	s_addc_u32 s35, s35, s43
	s_mul_i32 s28, s14, s35
	s_mul_hi_u32 s29, s14, s44
	s_add_i32 s28, s29, s28
	s_mul_i32 s34, s34, s44
	s_add_i32 s28, s28, s34
	s_mul_i32 s14, s14, s44
	s_mul_hi_u32 s34, s35, s14
	s_mul_i32 s43, s35, s14
	s_mul_i32 s47, s44, s28
	s_mul_hi_u32 s14, s44, s14
	s_mul_hi_u32 s45, s44, s28
	s_add_u32 s14, s14, s47
	s_addc_u32 s45, 0, s45
	s_add_u32 s14, s14, s43
	s_mul_hi_u32 s29, s35, s28
	s_addc_u32 s14, s45, s34
	s_addc_u32 s29, s29, 0
	s_mul_i32 s28, s35, s28
	s_add_u32 s14, s14, s28
	s_addc_u32 s34, 0, s29
	s_add_u32 s14, s44, s14
	s_cselect_b64 s[28:29], -1, 0
	s_cmp_lg_u64 s[28:29], 0
	s_addc_u32 s43, s35, s34
	s_ashr_i32 s34, s15, 31
	s_add_u32 s28, s42, s34
	s_mov_b32 s35, s34
	s_addc_u32 s29, s15, s34
	s_xor_b64 s[28:29], s[28:29], s[34:35]
	s_mul_i32 s45, s28, s43
	s_mul_hi_u32 s47, s28, s14
	s_mul_hi_u32 s44, s28, s43
	s_add_u32 s45, s47, s45
	s_addc_u32 s44, 0, s44
	s_mul_hi_u32 s48, s29, s14
	s_mul_i32 s14, s29, s14
	s_add_u32 s14, s45, s14
	s_mul_hi_u32 s47, s29, s43
	s_addc_u32 s14, s44, s48
	s_addc_u32 s44, s47, 0
	s_mul_i32 s43, s29, s43
	s_add_u32 s14, s14, s43
	s_addc_u32 s43, 0, s44
	s_mul_i32 s43, s40, s43
	s_mul_hi_u32 s44, s40, s14
	s_add_i32 s43, s44, s43
	s_mul_i32 s44, s41, s14
	s_add_i32 s43, s43, s44
	s_sub_i32 s47, s29, s43
	s_mul_i32 s14, s40, s14
	s_sub_u32 s14, s28, s14
	s_cselect_b64 s[44:45], -1, 0
	s_cmp_lg_u64 s[44:45], 0
	s_subb_u32 s28, s47, s41
	s_sub_u32 s47, s14, s40
	s_cselect_b64 s[48:49], -1, 0
	s_cmp_lg_u64 s[48:49], 0
	s_subb_u32 s52, s28, 0
	s_cmp_ge_u32 s52, s41
	s_cselect_b32 s60, -1, 0
	s_cmp_ge_u32 s47, s40
	s_cselect_b32 s64, -1, 0
	s_cmp_eq_u32 s52, s41
	s_cselect_b32 s60, s64, s60
	s_cmp_lg_u64 s[48:49], 0
	s_subb_u32 s28, s28, s41
	s_sub_u32 s64, s47, s40
	s_cselect_b64 s[48:49], -1, 0
	s_cmp_lg_u64 s[48:49], 0
	s_subb_u32 s28, s28, 0
	s_cmp_lg_u32 s60, 0
	s_cselect_b32 s47, s64, s47
	s_cselect_b32 s28, s28, s52
	s_cmp_lg_u64 s[44:45], 0
	s_subb_u32 s29, s29, s43
	s_cmp_ge_u32 s29, s41
	s_cselect_b32 s43, -1, 0
	s_cmp_ge_u32 s14, s40
	s_cselect_b32 s40, -1, 0
	s_cmp_eq_u32 s29, s41
	s_cselect_b32 s40, s40, s43
	s_cmp_lg_u32 s40, 0
	s_cselect_b32 s29, s28, s29
	s_cselect_b32 s28, s47, s14
	s_xor_b64 s[28:29], s[28:29], s[34:35]
	s_sub_u32 s28, s28, s34
	s_mov_b64 s[64:65], s[94:95]
	s_subb_u32 s29, s29, s34
	s_cbranch_execnz .LBB13_202
.LBB13_201:                             ;   in Loop: Header=BB13_16 Depth=1
	v_cvt_f32_u32_e32 v6, s23
	s_sub_i32 s14, 0, s23
	v_rcp_iflag_f32_e32 v6, v6
	v_mul_f32_e32 v6, 0x4f7ffffe, v6
	v_cvt_u32_f32_e32 v6, v6
	v_readfirstlane_b32 s28, v6
	s_mul_i32 s14, s14, s28
	s_mul_hi_u32 s14, s28, s14
	s_add_i32 s28, s28, s14
	s_mul_hi_u32 s14, s42, s28
	s_mul_i32 s14, s14, s23
	s_sub_i32 s14, s42, s14
	s_sub_i32 s28, s14, s23
	s_cmp_ge_u32 s14, s23
	s_cselect_b32 s14, s28, s14
	s_sub_i32 s28, s14, s23
	s_cmp_ge_u32 s14, s23
	s_cselect_b32 s52, s28, s14
	s_mov_b64 s[28:29], s[52:53]
.LBB13_202:                             ;   in Loop: Header=BB13_16 Depth=1
	s_sub_u32 s28, s42, s28
	s_subb_u32 s29, s15, s29
	v_cmp_gt_i64_e32 vcc, s[28:29], v[0:1]
                                        ; implicit-def: $vgpr46
	s_and_saveexec_b64 s[14:15], vcc
	s_cbranch_execz .LBB13_211
; %bb.203:                              ;   in Loop: Header=BB13_16 Depth=1
	v_mov_b32_e32 v7, v1
	s_mov_b64 s[34:35], 0
	v_mov_b32_e32 v8, v0
	v_mov_b32_e32 v6, v0
                                        ; implicit-def: $sgpr40_sgpr41
	s_branch .LBB13_206
.LBB13_204:                             ;   in Loop: Header=BB13_206 Depth=2
	s_or_b64 exec, exec, s[42:43]
	s_waitcnt lgkmcnt(0)
	s_barrier
	ds_read_u16 v9, v3 offset:3072
	s_mov_b64 s[42:43], -1
	s_waitcnt lgkmcnt(0)
	s_barrier
	v_cmp_eq_u32_sdwa s[44:45], v9, v3 src0_sel:BYTE_0 src1_sel:DWORD
	s_and_b64 vcc, exec, s[44:45]
	s_mov_b64 s[44:45], -1
	s_cbranch_vccnz .LBB13_209
.LBB13_205:                             ;   in Loop: Header=BB13_206 Depth=2
	s_and_b64 s[42:43], exec, s[42:43]
	s_or_b64 s[34:35], s[42:43], s[34:35]
	s_andn2_b64 s[40:41], s[40:41], exec
	s_and_b64 s[42:43], s[44:45], exec
	s_or_b64 s[40:41], s[40:41], s[42:43]
	s_andn2_b64 exec, exec, s[34:35]
	s_cbranch_execz .LBB13_210
.LBB13_206:                             ;   Parent Loop BB13_16 Depth=1
                                        ; =>  This Inner Loop Header: Depth=2
	v_cmp_gt_u64_e32 vcc, s[50:51], v[6:7]
	s_and_saveexec_b64 s[42:43], vcc
	s_cbranch_execz .LBB13_204
; %bb.207:                              ;   in Loop: Header=BB13_206 Depth=2
	ds_read_u8 v9, v8
	s_waitcnt lgkmcnt(0)
	v_add_u32_sdwa v10, sext(v9), s13 dst_sel:DWORD dst_unused:UNUSED_PAD src0_sel:BYTE_0 src1_sel:DWORD
	v_and_b32_e32 v10, v10, v45
	v_cmp_eq_u32_e32 vcc, v10, v43
	s_and_b64 exec, exec, vcc
	s_cbranch_execz .LBB13_204
; %bb.208:                              ;   in Loop: Header=BB13_206 Depth=2
	v_lshlrev_b16_e32 v9, 8, v9
	v_or_b32_e32 v9, 1, v9
	ds_write_b16 v3, v9 offset:3072
	s_branch .LBB13_204
.LBB13_209:                             ;   in Loop: Header=BB13_206 Depth=2
	v_add_co_u32_e32 v6, vcc, s23, v6
	v_addc_co_u32_e32 v7, vcc, 0, v7, vcc
	v_cmp_le_i64_e32 vcc, s[28:29], v[6:7]
	v_add_u32_e32 v8, s23, v8
	s_mov_b64 s[44:45], 0
	s_orn2_b64 s[42:43], vcc, exec
	s_branch .LBB13_205
.LBB13_210:                             ;   in Loop: Header=BB13_16 Depth=1
	s_or_b64 exec, exec, s[34:35]
	s_andn2_b64 s[6:7], s[6:7], exec
	s_and_b64 s[28:29], s[40:41], exec
	v_lshrrev_b32_sdwa v46, v44, v9 dst_sel:DWORD dst_unused:UNUSED_PAD src0_sel:DWORD src1_sel:WORD_0
	s_or_b64 s[6:7], s[6:7], s[28:29]
.LBB13_211:                             ;   in Loop: Header=BB13_16 Depth=1
	s_or_b64 exec, exec, s[14:15]
	s_mov_b64 s[94:95], 0
	s_mov_b64 s[48:49], -1
.LBB13_212:                             ;   in Loop: Header=BB13_16 Depth=1
	s_orn2_b64 s[6:7], s[6:7], exec
.LBB13_213:                             ;   in Loop: Header=BB13_16 Depth=1
	s_or_b64 exec, exec, s[36:37]
	s_mov_b64 s[14:15], 0
	s_and_saveexec_b64 s[36:37], s[6:7]
	s_cbranch_execz .LBB13_271
; %bb.214:                              ;   in Loop: Header=BB13_16 Depth=1
	v_mov_b32_e32 v6, 1
	s_xor_b64 s[14:15], s[38:39], -1
	v_mov_b32_e32 v2, 1
	v_mov_b32_e32 v7, 0
	s_mov_b64 s[28:29], 0
	s_and_saveexec_b64 s[6:7], s[14:15]
	s_cbranch_execz .LBB13_223
; %bb.215:                              ;   in Loop: Header=BB13_16 Depth=1
	v_cmp_ge_i64_e32 vcc, s[86:87], v[4:5]
	s_and_saveexec_b64 s[14:15], vcc
	s_xor_b64 s[14:15], exec, s[14:15]
	s_cbranch_execz .LBB13_220
; %bb.216:                              ;   in Loop: Header=BB13_16 Depth=1
	ds_read_b64 v[6:7], v3 offset:5120
	v_and_b32_e32 v2, s46, v43
	v_lshl_or_b32 v43, 2, s12, v2
	v_or_b32_e32 v45, s57, v45
	s_waitcnt lgkmcnt(0)
	v_cmp_ne_u64_e32 vcc, 0, v[6:7]
	s_cbranch_vccnz .LBB13_220
; %bb.217:                              ;   in Loop: Header=BB13_16 Depth=1
	s_mov_b64 s[28:29], exec
	v_readlane_b32 s34, v57, 10
	v_readlane_b32 s35, v57, 11
	s_and_b64 s[34:35], s[28:29], s[34:35]
	s_mov_b64 exec, s[34:35]
; %bb.218:                              ;   in Loop: Header=BB13_16 Depth=1
	v_mov_b32_e32 v6, s86
	v_mov_b32_e32 v7, s87
	ds_write_b64 v3, v[6:7] offset:5128
; %bb.219:                              ;   in Loop: Header=BB13_16 Depth=1
	s_or_b64 exec, exec, s[28:29]
	s_waitcnt lgkmcnt(0)
	s_barrier
.LBB13_220:                             ;   in Loop: Header=BB13_16 Depth=1
	s_or_saveexec_b64 s[14:15], s[14:15]
	s_mov_b64 s[28:29], 0
	v_mov_b32_e32 v2, 8
	s_xor_b64 exec, exec, s[14:15]
; %bb.221:                              ;   in Loop: Header=BB13_16 Depth=1
	v_subrev_co_u32_e32 v4, vcc, s86, v4
	v_mov_b32_e32 v2, s87
	v_subb_co_u32_e32 v5, vcc, v5, v2, vcc
	v_mov_b32_e32 v2, 0
	s_mov_b64 s[28:29], exec
; %bb.222:                              ;   in Loop: Header=BB13_16 Depth=1
	s_or_b64 exec, exec, s[14:15]
	v_mov_b32_e32 v7, v5
	s_and_b64 s[28:29], s[28:29], exec
	v_mov_b32_e32 v6, v4
.LBB13_223:                             ;   in Loop: Header=BB13_16 Depth=1
	s_or_b64 exec, exec, s[6:7]
	s_mov_b64 s[14:15], -1
                                        ; implicit-def: $sgpr6_sgpr7
                                        ; implicit-def: $sgpr42_sgpr43
	s_and_saveexec_b64 s[38:39], s[28:29]
	s_cbranch_execz .LBB13_270
; %bb.224:                              ;   in Loop: Header=BB13_16 Depth=1
	s_cmp_eq_u64 s[16:17], 1
	v_cmp_eq_u64_e32 vcc, 1, v[6:7]
	s_cselect_b64 s[6:7], -1, 0
	s_and_b64 s[50:51], s[6:7], vcc
	s_mov_b64 s[28:29], -1
                                        ; implicit-def: $sgpr6_sgpr7
                                        ; implicit-def: $sgpr42_sgpr43
	s_and_saveexec_b64 s[86:87], s[50:51]
	s_cbranch_execz .LBB13_258
; %bb.225:                              ;   in Loop: Header=BB13_16 Depth=1
	ds_read_b64 v[4:5], v3 offset:5120
	s_waitcnt lgkmcnt(0)
	s_barrier
	v_readfirstlane_b32 s40, v4
	v_readfirstlane_b32 s41, v5
	s_mov_b64 s[6:7], exec
	v_readlane_b32 s14, v57, 40
	v_readlane_b32 s15, v57, 41
	s_and_b64 s[14:15], s[6:7], s[14:15]
	s_mov_b64 exec, s[14:15]
; %bb.226:                              ;   in Loop: Header=BB13_16 Depth=1
	ds_write_b8 v0, v3 offset:3072
; %bb.227:                              ;   in Loop: Header=BB13_16 Depth=1
	s_or_b64 exec, exec, s[6:7]
	v_cmp_gt_i64_e64 s[14:15], s[40:41], 0
	v_or_b32_e32 v43, s57, v43
	v_or_b32_e32 v45, s57, v45
	s_mov_b64 s[42:43], -1
	s_mov_b64 s[6:7], 0
	s_and_b64 vcc, exec, s[14:15]
	s_mov_b64 s[14:15], 0
	s_mov_b64 s[44:45], -1
	s_waitcnt lgkmcnt(0)
	s_barrier
                                        ; implicit-def: $vgpr46
	s_cbranch_vccnz .LBB13_243
; %bb.228:                              ;   in Loop: Header=BB13_16 Depth=1
	v_writelane_b32 v57, s64, 44
	v_writelane_b32 v57, s65, 45
	s_mov_b32 s60, s53
	v_writelane_b32 v57, s66, 46
	s_cmp_lg_u64 s[60:61], 0
	v_writelane_b32 v57, s67, 47
	s_cbranch_scc0 .LBB13_277
; %bb.229:                              ;   in Loop: Header=BB13_16 Depth=1
	s_add_u32 s14, s23, 0
	s_addc_u32 s15, 0, 0
	s_xor_b64 s[14:15], s[14:15], 0
	v_cvt_f32_u32_e32 v4, s14
	v_cvt_f32_u32_e32 v5, s15
	s_sub_u32 s34, 0, s14
	s_subb_u32 s35, 0, s15
	v_mac_f32_e32 v4, 0x4f800000, v5
	v_rcp_f32_e32 v4, v4
	v_mul_f32_e32 v4, 0x5f7ffffc, v4
	v_mul_f32_e32 v5, 0x2f800000, v4
	v_trunc_f32_e32 v5, v5
	v_mac_f32_e32 v4, 0xcf800000, v5
	v_cvt_u32_f32_e32 v5, v5
	v_cvt_u32_f32_e32 v4, v4
	v_readfirstlane_b32 s44, v5
	v_readfirstlane_b32 s28, v4
	s_mul_i32 s29, s34, s44
	s_mul_hi_u32 s46, s34, s28
	s_mul_i32 s45, s35, s28
	s_add_i32 s29, s46, s29
	s_mul_i32 s47, s34, s28
	s_add_i32 s29, s29, s45
	s_mul_i32 s46, s28, s29
	s_mul_hi_u32 s52, s28, s47
	s_mul_hi_u32 s45, s28, s29
	s_add_u32 s46, s52, s46
	s_addc_u32 s45, 0, s45
	s_mul_hi_u32 s60, s44, s47
	s_mul_i32 s47, s44, s47
	s_add_u32 s46, s46, s47
	s_mul_hi_u32 s52, s44, s29
	s_addc_u32 s45, s45, s60
	s_addc_u32 s46, s52, 0
	s_mul_i32 s29, s44, s29
	s_add_u32 s29, s45, s29
	s_addc_u32 s45, 0, s46
	s_add_u32 s46, s28, s29
	s_cselect_b64 s[28:29], -1, 0
	s_cmp_lg_u64 s[28:29], 0
	s_addc_u32 s44, s44, s45
	s_mul_i32 s28, s34, s44
	s_mul_hi_u32 s29, s34, s46
	s_add_i32 s28, s29, s28
	s_mul_i32 s35, s35, s46
	s_add_i32 s28, s28, s35
	s_mul_i32 s34, s34, s46
	s_mul_hi_u32 s35, s44, s34
	s_mul_i32 s45, s44, s34
	s_mul_i32 s52, s46, s28
	s_mul_hi_u32 s34, s46, s34
	s_mul_hi_u32 s47, s46, s28
	s_add_u32 s34, s34, s52
	s_addc_u32 s47, 0, s47
	s_add_u32 s34, s34, s45
	s_mul_hi_u32 s29, s44, s28
	s_addc_u32 s34, s47, s35
	s_addc_u32 s29, s29, 0
	s_mul_i32 s28, s44, s28
	s_add_u32 s28, s34, s28
	s_addc_u32 s34, 0, s29
	s_add_u32 s45, s46, s28
	s_cselect_b64 s[28:29], -1, 0
	s_cmp_lg_u64 s[28:29], 0
	s_addc_u32 s44, s44, s34
	s_ashr_i32 s28, s61, 31
	v_readlane_b32 s34, v57, 19
	s_add_u32 s34, s34, s28
	s_mov_b32 s29, s28
	s_addc_u32 s35, s61, s28
	s_xor_b64 s[34:35], s[34:35], s[28:29]
	s_mul_i32 s47, s34, s44
	s_mul_hi_u32 s52, s34, s45
	s_mul_hi_u32 s46, s34, s44
	s_add_u32 s47, s52, s47
	s_addc_u32 s46, 0, s46
	s_mul_hi_u32 s60, s35, s45
	s_mul_i32 s45, s35, s45
	s_add_u32 s45, s47, s45
	s_mul_hi_u32 s52, s35, s44
	s_addc_u32 s45, s46, s60
	s_addc_u32 s46, s52, 0
	s_mul_i32 s44, s35, s44
	s_add_u32 s44, s45, s44
	s_addc_u32 s45, 0, s46
	s_mul_i32 s45, s14, s45
	s_mul_hi_u32 s46, s14, s44
	s_add_i32 s45, s46, s45
	s_mul_i32 s46, s15, s44
	s_add_i32 s52, s45, s46
	s_sub_i32 s46, s35, s52
	s_mul_i32 s44, s14, s44
	s_sub_u32 s34, s34, s44
	s_cselect_b64 s[44:45], -1, 0
	s_cmp_lg_u64 s[44:45], 0
	s_subb_u32 s60, s46, s15
	s_sub_u32 s64, s34, s14
	s_cselect_b64 s[46:47], -1, 0
	s_cmp_lg_u64 s[46:47], 0
	s_subb_u32 s65, s60, 0
	s_cmp_ge_u32 s65, s15
	s_cselect_b32 s66, -1, 0
	s_cmp_ge_u32 s64, s14
	s_cselect_b32 s67, -1, 0
	s_cmp_eq_u32 s65, s15
	s_cselect_b32 s66, s67, s66
	s_cmp_lg_u64 s[46:47], 0
	s_subb_u32 s60, s60, s15
	s_sub_u32 s67, s64, s14
	s_cselect_b64 s[46:47], -1, 0
	s_cmp_lg_u64 s[46:47], 0
	s_subb_u32 s46, s60, 0
	s_cmp_lg_u32 s66, 0
	s_cselect_b32 s47, s67, s64
	s_cselect_b32 s46, s46, s65
	s_cmp_lg_u64 s[44:45], 0
	s_subb_u32 s35, s35, s52
	s_cmp_ge_u32 s35, s15
	s_cselect_b32 s44, -1, 0
	s_cmp_ge_u32 s34, s14
	s_cselect_b32 s14, -1, 0
	s_cmp_eq_u32 s35, s15
	s_cselect_b32 s14, s14, s44
	s_cmp_lg_u32 s14, 0
	s_cselect_b32 s15, s46, s35
	s_cselect_b32 s14, s47, s34
	s_xor_b64 s[14:15], s[14:15], s[28:29]
	s_sub_u32 s14, s14, s28
	s_subb_u32 s15, s15, s28
	s_cbranch_execnz .LBB13_231
.LBB13_230:                             ;   in Loop: Header=BB13_16 Depth=1
	v_cvt_f32_u32_e32 v4, s23
	s_sub_i32 s14, 0, s23
	v_readlane_b32 s28, v57, 19
	v_rcp_iflag_f32_e32 v4, v4
	v_mul_f32_e32 v4, 0x4f7ffffe, v4
	v_cvt_u32_f32_e32 v4, v4
	v_readfirstlane_b32 s15, v4
	s_mul_i32 s14, s14, s15
	s_mul_hi_u32 s14, s15, s14
	s_add_i32 s15, s15, s14
	s_mul_hi_u32 s14, s28, s15
	s_mul_i32 s14, s14, s23
	s_sub_i32 s14, s28, s14
	s_sub_i32 s15, s14, s23
	s_cmp_ge_u32 s14, s23
	s_cselect_b32 s14, s15, s14
	s_sub_i32 s15, s14, s23
	s_cmp_ge_u32 s14, s23
	s_cselect_b32 s52, s15, s14
	s_mov_b64 s[14:15], s[52:53]
.LBB13_231:                             ;   in Loop: Header=BB13_16 Depth=1
	v_readlane_b32 s28, v57, 19
	s_sub_u32 s28, s28, s14
	s_subb_u32 s29, s61, s15
	v_cmp_gt_i64_e32 vcc, s[28:29], v[0:1]
	s_mov_b64 s[44:45], 0
	s_mov_b64 s[14:15], 0
                                        ; implicit-def: $vgpr46
	s_and_saveexec_b64 s[46:47], vcc
	s_cbranch_execz .LBB13_242
; %bb.232:                              ;   in Loop: Header=BB13_16 Depth=1
	v_mov_b32_e32 v4, v12
	v_mov_b32_e32 v9, v1
	;; [unrolled: 1-line block ×4, first 2 shown]
                                        ; implicit-def: $sgpr34_sgpr35
	s_branch .LBB13_235
.LBB13_233:                             ;   in Loop: Header=BB13_235 Depth=2
	s_or_b64 exec, exec, s[64:65]
	s_waitcnt lgkmcnt(0)
	s_barrier
	ds_read_u16 v10, v3 offset:3072
	s_mov_b64 s[64:65], -1
	s_waitcnt lgkmcnt(0)
	s_barrier
	v_cmp_ne_u32_sdwa s[66:67], v10, v3 src0_sel:BYTE_0 src1_sel:DWORD
	s_and_b64 vcc, exec, s[66:67]
	s_mov_b64 s[66:67], -1
	s_cbranch_vccz .LBB13_238
.LBB13_234:                             ;   in Loop: Header=BB13_235 Depth=2
	s_and_b64 s[64:65], exec, s[64:65]
	s_or_b64 s[14:15], s[64:65], s[14:15]
	s_andn2_b64 s[34:35], s[34:35], exec
	s_and_b64 s[64:65], s[66:67], exec
	s_or_b64 s[34:35], s[34:35], s[64:65]
	s_andn2_b64 exec, exec, s[14:15]
	s_cbranch_execz .LBB13_241
.LBB13_235:                             ;   Parent Loop BB13_16 Depth=1
                                        ; =>  This Inner Loop Header: Depth=2
	v_cmp_gt_i64_e32 vcc, s[24:25], v[8:9]
	s_and_saveexec_b64 s[64:65], vcc
	s_cbranch_execz .LBB13_233
; %bb.236:                              ;   in Loop: Header=BB13_235 Depth=2
	global_load_ubyte v10, v[4:5], off
	s_waitcnt vmcnt(0)
	v_add_u32_sdwa v11, sext(v10), s13 dst_sel:DWORD dst_unused:UNUSED_PAD src0_sel:BYTE_0 src1_sel:DWORD
	v_and_b32_e32 v11, v11, v45
	v_cmp_eq_u32_e32 vcc, v11, v43
	s_and_b64 exec, exec, vcc
	s_cbranch_execz .LBB13_233
; %bb.237:                              ;   in Loop: Header=BB13_235 Depth=2
	v_lshlrev_b16_e32 v10, 8, v10
	v_or_b32_e32 v10, 1, v10
	ds_write_b16 v3, v10 offset:3072
	s_branch .LBB13_233
.LBB13_238:                             ;   in Loop: Header=BB13_235 Depth=2
	v_add_co_u32_e32 v8, vcc, s23, v8
	v_addc_co_u32_e32 v9, vcc, 0, v9, vcc
	v_mov_b32_e32 v11, s33
	v_add_co_u32_e32 v4, vcc, s22, v4
	v_addc_co_u32_e32 v5, vcc, v5, v11, vcc
	v_cmp_le_i64_e32 vcc, s[28:29], v[8:9]
	s_mov_b64 s[66:67], 0
	s_orn2_b64 s[64:65], vcc, exec
	s_branch .LBB13_234
.LBB13_239:                             ;   in Loop: Header=BB13_16 Depth=1
                                        ; implicit-def: $sgpr6_sgpr7
	s_andn2_b64 vcc, exec, s[14:15]
	s_cbranch_vccz .LBB13_185
	s_branch .LBB13_186
.LBB13_240:                             ;   in Loop: Header=BB13_16 Depth=1
                                        ; implicit-def: $sgpr28_sgpr29
	s_branch .LBB13_201
.LBB13_241:                             ;   in Loop: Header=BB13_16 Depth=1
	s_or_b64 exec, exec, s[14:15]
	v_lshrrev_b32_sdwa v46, v44, v10 dst_sel:DWORD dst_unused:UNUSED_PAD src0_sel:DWORD src1_sel:WORD_0
	s_and_b64 s[14:15], s[34:35], exec
.LBB13_242:                             ;   in Loop: Header=BB13_16 Depth=1
	s_or_b64 exec, exec, s[46:47]
	v_readlane_b32 s64, v57, 44
	v_readlane_b32 s66, v57, 46
	;; [unrolled: 1-line block ×4, first 2 shown]
.LBB13_243:                             ;   in Loop: Header=BB13_16 Depth=1
	s_and_b64 vcc, exec, s[44:45]
	s_cbranch_vccz .LBB13_257
; %bb.244:                              ;   in Loop: Header=BB13_16 Depth=1
	v_readlane_b32 s6, v57, 18
	s_add_u32 s44, s40, s6
	v_readlane_b32 s6, v57, 20
	s_addc_u32 s7, s41, s6
	s_mov_b32 s6, s53
	s_cmp_lg_u64 s[6:7], 0
	s_cbranch_scc0 .LBB13_278
; %bb.245:                              ;   in Loop: Header=BB13_16 Depth=1
	s_add_u32 s28, s23, 0
	s_addc_u32 s29, 0, 0
	s_xor_b64 s[42:43], s[28:29], 0
	v_cvt_f32_u32_e32 v4, s42
	v_cvt_f32_u32_e32 v5, s43
	s_sub_u32 s6, 0, s42
	s_subb_u32 s34, 0, s43
	v_writelane_b32 v57, s38, 46
	v_mac_f32_e32 v4, 0x4f800000, v5
	v_rcp_f32_e32 v4, v4
	v_writelane_b32 v57, s39, 47
	s_mov_b64 s[38:39], s[14:15]
	s_mov_b64 s[14:15], s[86:87]
	v_mul_f32_e32 v4, 0x5f7ffffc, v4
	v_mul_f32_e32 v5, 0x2f800000, v4
	v_trunc_f32_e32 v5, v5
	v_mac_f32_e32 v4, 0xcf800000, v5
	v_cvt_u32_f32_e32 v5, v5
	v_cvt_u32_f32_e32 v4, v4
	s_mov_b64 s[86:87], s[50:51]
	s_mov_b64 s[50:51], s[64:65]
	v_readfirstlane_b32 s35, v5
	v_readfirstlane_b32 s28, v4
	s_mul_i32 s29, s6, s35
	s_mul_hi_u32 s46, s6, s28
	s_mul_i32 s45, s34, s28
	s_add_i32 s29, s46, s29
	s_mul_i32 s47, s6, s28
	s_add_i32 s29, s29, s45
	s_mul_i32 s46, s28, s29
	s_mul_hi_u32 s52, s28, s47
	s_mul_hi_u32 s45, s28, s29
	s_add_u32 s46, s52, s46
	s_addc_u32 s45, 0, s45
	s_mul_hi_u32 s60, s35, s47
	s_mul_i32 s47, s35, s47
	s_add_u32 s46, s46, s47
	s_mul_hi_u32 s52, s35, s29
	s_addc_u32 s45, s45, s60
	s_addc_u32 s46, s52, 0
	s_mul_i32 s29, s35, s29
	s_add_u32 s29, s45, s29
	s_addc_u32 s45, 0, s46
	s_add_u32 s46, s28, s29
	s_cselect_b64 s[28:29], -1, 0
	s_cmp_lg_u64 s[28:29], 0
	s_addc_u32 s35, s35, s45
	s_mul_i32 s28, s6, s35
	s_mul_hi_u32 s29, s6, s46
	s_add_i32 s28, s29, s28
	s_mul_i32 s34, s34, s46
	s_add_i32 s28, s28, s34
	s_mul_i32 s6, s6, s46
	s_mul_hi_u32 s34, s35, s6
	s_mul_i32 s45, s35, s6
	s_mul_i32 s52, s46, s28
	s_mul_hi_u32 s6, s46, s6
	s_mul_hi_u32 s47, s46, s28
	s_add_u32 s6, s6, s52
	s_addc_u32 s47, 0, s47
	s_add_u32 s6, s6, s45
	s_mul_hi_u32 s29, s35, s28
	s_addc_u32 s6, s47, s34
	s_addc_u32 s29, s29, 0
	s_mul_i32 s28, s35, s28
	s_add_u32 s6, s6, s28
	s_addc_u32 s34, 0, s29
	s_add_u32 s6, s46, s6
	s_cselect_b64 s[28:29], -1, 0
	s_cmp_lg_u64 s[28:29], 0
	s_addc_u32 s45, s35, s34
	s_ashr_i32 s34, s7, 31
	s_add_u32 s28, s44, s34
	s_mov_b32 s35, s34
	s_addc_u32 s29, s7, s34
	s_xor_b64 s[28:29], s[28:29], s[34:35]
	s_mul_i32 s47, s28, s45
	s_mul_hi_u32 s52, s28, s6
	s_mul_hi_u32 s46, s28, s45
	s_add_u32 s47, s52, s47
	s_addc_u32 s46, 0, s46
	s_mul_hi_u32 s60, s29, s6
	s_mul_i32 s6, s29, s6
	s_add_u32 s6, s47, s6
	s_mul_hi_u32 s52, s29, s45
	s_addc_u32 s6, s46, s60
	s_addc_u32 s46, s52, 0
	s_mul_i32 s45, s29, s45
	s_add_u32 s6, s6, s45
	s_addc_u32 s45, 0, s46
	s_mul_i32 s45, s42, s45
	s_mul_hi_u32 s46, s42, s6
	s_add_i32 s45, s46, s45
	s_mul_i32 s46, s43, s6
	s_add_i32 s45, s45, s46
	s_sub_i32 s52, s29, s45
	s_mul_i32 s6, s42, s6
	s_sub_u32 s6, s28, s6
	s_cselect_b64 s[46:47], -1, 0
	s_cmp_lg_u64 s[46:47], 0
	s_subb_u32 s28, s52, s43
	s_sub_u32 s52, s6, s42
	s_cselect_b64 s[64:65], -1, 0
	s_cmp_lg_u64 s[64:65], 0
	s_subb_u32 s60, s28, 0
	s_cmp_ge_u32 s60, s43
	s_mov_b32 vcc_lo, s66
	s_cselect_b32 s66, -1, 0
	s_cmp_ge_u32 s52, s42
	s_cselect_b32 s67, -1, 0
	s_cmp_eq_u32 s60, s43
	s_cselect_b32 s66, s67, s66
	s_cmp_lg_u64 s[64:65], 0
	s_subb_u32 s28, s28, s43
	s_sub_u32 s67, s52, s42
	s_cselect_b64 s[64:65], -1, 0
	s_cmp_lg_u64 s[64:65], 0
	s_subb_u32 s28, s28, 0
	s_cmp_lg_u32 s66, 0
	s_cselect_b32 s52, s67, s52
	s_cselect_b32 s28, s28, s60
	s_cmp_lg_u64 s[46:47], 0
	s_subb_u32 s29, s29, s45
	s_cmp_ge_u32 s29, s43
	s_cselect_b32 s45, -1, 0
	s_cmp_ge_u32 s6, s42
	s_cselect_b32 s42, -1, 0
	s_cmp_eq_u32 s29, s43
	s_cselect_b32 s42, s42, s45
	s_cmp_lg_u32 s42, 0
	s_cselect_b32 s29, s28, s29
	s_cselect_b32 s28, s52, s6
	s_xor_b64 s[28:29], s[28:29], s[34:35]
	s_mov_b64 s[64:65], s[50:51]
	s_mov_b64 s[50:51], s[86:87]
	s_mov_b64 s[86:87], s[14:15]
	s_mov_b64 s[14:15], s[38:39]
	v_readlane_b32 s38, v57, 46
	s_sub_u32 s28, s28, s34
	v_readlane_b32 s39, v57, 47
	s_mov_b32 s66, vcc_lo
	s_subb_u32 s29, s29, s34
	s_cbranch_execnz .LBB13_247
.LBB13_246:                             ;   in Loop: Header=BB13_16 Depth=1
	v_cvt_f32_u32_e32 v4, s23
	s_sub_i32 s6, 0, s23
	v_rcp_iflag_f32_e32 v4, v4
	v_mul_f32_e32 v4, 0x4f7ffffe, v4
	v_cvt_u32_f32_e32 v4, v4
	v_readfirstlane_b32 s28, v4
	s_mul_i32 s6, s6, s28
	s_mul_hi_u32 s6, s28, s6
	s_add_i32 s28, s28, s6
	s_mul_hi_u32 s6, s44, s28
	s_mul_i32 s6, s6, s23
	s_sub_i32 s6, s44, s6
	s_sub_i32 s28, s6, s23
	s_cmp_ge_u32 s6, s23
	s_cselect_b32 s6, s28, s6
	s_sub_i32 s28, s6, s23
	s_cmp_ge_u32 s6, s23
	s_cselect_b32 s52, s28, s6
	s_mov_b64 s[28:29], s[52:53]
.LBB13_247:                             ;   in Loop: Header=BB13_16 Depth=1
	s_sub_u32 s28, s44, s28
	s_subb_u32 s29, s7, s29
	v_cmp_gt_i64_e32 vcc, s[28:29], v[0:1]
                                        ; implicit-def: $vgpr46
	s_and_saveexec_b64 s[6:7], vcc
	s_cbranch_execz .LBB13_256
; %bb.248:                              ;   in Loop: Header=BB13_16 Depth=1
	v_mov_b32_e32 v5, v1
	s_mov_b64 s[34:35], 0
	v_mov_b32_e32 v8, v0
	v_mov_b32_e32 v4, v0
                                        ; implicit-def: $sgpr42_sgpr43
	s_branch .LBB13_251
.LBB13_249:                             ;   in Loop: Header=BB13_251 Depth=2
	s_or_b64 exec, exec, s[44:45]
	s_waitcnt lgkmcnt(0)
	s_barrier
	ds_read_u16 v9, v3 offset:3072
	s_mov_b64 s[44:45], -1
	s_waitcnt lgkmcnt(0)
	s_barrier
	v_cmp_eq_u32_sdwa s[46:47], v9, v3 src0_sel:BYTE_0 src1_sel:DWORD
	s_and_b64 vcc, exec, s[46:47]
	s_mov_b64 s[46:47], -1
	s_cbranch_vccnz .LBB13_254
.LBB13_250:                             ;   in Loop: Header=BB13_251 Depth=2
	s_and_b64 s[44:45], exec, s[44:45]
	s_or_b64 s[34:35], s[44:45], s[34:35]
	s_andn2_b64 s[42:43], s[42:43], exec
	s_and_b64 s[44:45], s[46:47], exec
	s_or_b64 s[42:43], s[42:43], s[44:45]
	s_andn2_b64 exec, exec, s[34:35]
	s_cbranch_execz .LBB13_255
.LBB13_251:                             ;   Parent Loop BB13_16 Depth=1
                                        ; =>  This Inner Loop Header: Depth=2
	v_cmp_gt_u64_e32 vcc, s[40:41], v[4:5]
	s_and_saveexec_b64 s[44:45], vcc
	s_cbranch_execz .LBB13_249
; %bb.252:                              ;   in Loop: Header=BB13_251 Depth=2
	ds_read_u8 v9, v8
	s_waitcnt lgkmcnt(0)
	v_add_u32_sdwa v10, sext(v9), s13 dst_sel:DWORD dst_unused:UNUSED_PAD src0_sel:BYTE_0 src1_sel:DWORD
	v_and_b32_e32 v10, v10, v45
	v_cmp_eq_u32_e32 vcc, v10, v43
	s_and_b64 exec, exec, vcc
	s_cbranch_execz .LBB13_249
; %bb.253:                              ;   in Loop: Header=BB13_251 Depth=2
	v_lshlrev_b16_e32 v9, 8, v9
	v_or_b32_e32 v9, 1, v9
	ds_write_b16 v3, v9 offset:3072
	s_branch .LBB13_249
.LBB13_254:                             ;   in Loop: Header=BB13_251 Depth=2
	v_add_co_u32_e32 v4, vcc, s23, v4
	v_addc_co_u32_e32 v5, vcc, 0, v5, vcc
	v_cmp_le_i64_e32 vcc, s[28:29], v[4:5]
	v_add_u32_e32 v8, s23, v8
	s_mov_b64 s[46:47], 0
	s_orn2_b64 s[44:45], vcc, exec
	s_branch .LBB13_250
.LBB13_255:                             ;   in Loop: Header=BB13_16 Depth=1
	s_or_b64 exec, exec, s[34:35]
	s_andn2_b64 s[14:15], s[14:15], exec
	s_and_b64 s[28:29], s[42:43], exec
	v_lshrrev_b32_sdwa v46, v44, v9 dst_sel:DWORD dst_unused:UNUSED_PAD src0_sel:DWORD src1_sel:WORD_0
	s_or_b64 s[14:15], s[14:15], s[28:29]
.LBB13_256:                             ;   in Loop: Header=BB13_16 Depth=1
	s_or_b64 exec, exec, s[6:7]
	s_mov_b64 s[42:43], 0
	s_mov_b64 s[6:7], -1
.LBB13_257:                             ;   in Loop: Header=BB13_16 Depth=1
	s_orn2_b64 s[28:29], s[14:15], exec
.LBB13_258:                             ;   in Loop: Header=BB13_16 Depth=1
	s_or_b64 exec, exec, s[86:87]
	s_mov_b64 s[34:35], 0
	s_and_saveexec_b64 s[14:15], s[28:29]
	s_cbranch_execz .LBB13_269
; %bb.259:                              ;   in Loop: Header=BB13_16 Depth=1
	v_mov_b32_e32 v4, 1
	s_xor_b64 s[28:29], s[50:51], -1
	v_mov_b32_e32 v5, 0
	v_mov_b32_e32 v2, 1
	s_and_saveexec_b64 s[40:41], s[28:29]
	s_cbranch_execz .LBB13_268
; %bb.260:                              ;   in Loop: Header=BB13_16 Depth=1
	v_cmp_ge_i64_e32 vcc, s[16:17], v[6:7]
	s_and_saveexec_b64 s[28:29], vcc
	s_xor_b64 s[28:29], exec, s[28:29]
	s_cbranch_execz .LBB13_265
; %bb.261:                              ;   in Loop: Header=BB13_16 Depth=1
	ds_read_b64 v[4:5], v3 offset:5120
	v_or_b32_e32 v43, s57, v43
	v_or_b32_e32 v45, s57, v45
	s_waitcnt lgkmcnt(0)
	v_cmp_ne_u64_e32 vcc, 0, v[4:5]
	s_cbranch_vccnz .LBB13_265
; %bb.262:                              ;   in Loop: Header=BB13_16 Depth=1
	s_mov_b64 s[34:35], exec
	v_readlane_b32 s44, v57, 10
	v_readlane_b32 s45, v57, 11
	s_and_b64 s[44:45], s[34:35], s[44:45]
	s_mov_b64 exec, s[44:45]
; %bb.263:                              ;   in Loop: Header=BB13_16 Depth=1
	v_mov_b32_e32 v4, s16
	v_mov_b32_e32 v5, s17
	ds_write_b64 v3, v[4:5] offset:5128
; %bb.264:                              ;   in Loop: Header=BB13_16 Depth=1
	s_or_b64 exec, exec, s[34:35]
	s_waitcnt lgkmcnt(0)
	s_barrier
.LBB13_265:                             ;   in Loop: Header=BB13_16 Depth=1
	s_andn2_saveexec_b64 s[28:29], s[28:29]
; %bb.266:                              ;   in Loop: Header=BB13_16 Depth=1
	v_mov_b32_e32 v2, s17
	v_subrev_co_u32_e32 v6, vcc, s16, v6
	v_subb_co_u32_e32 v7, vcc, v7, v2, vcc
; %bb.267:                              ;   in Loop: Header=BB13_16 Depth=1
	s_or_b64 exec, exec, s[28:29]
	v_mov_b32_e32 v4, v6
	v_mov_b32_e32 v2, 8
	;; [unrolled: 1-line block ×3, first 2 shown]
.LBB13_268:                             ;   in Loop: Header=BB13_16 Depth=1
	s_or_b64 exec, exec, s[40:41]
	v_mov_b32_e32 v7, v5
	s_mov_b64 s[34:35], exec
	v_mov_b32_e32 v6, v4
.LBB13_269:                             ;   in Loop: Header=BB13_16 Depth=1
	s_or_b64 exec, exec, s[14:15]
	s_orn2_b64 s[14:15], s[34:35], exec
.LBB13_270:                             ;   in Loop: Header=BB13_16 Depth=1
	s_or_b64 exec, exec, s[38:39]
	s_andn2_b64 s[16:17], s[48:49], exec
	s_and_b64 s[6:7], s[6:7], exec
	s_or_b64 s[48:49], s[16:17], s[6:7]
	s_andn2_b64 s[6:7], s[94:95], exec
	s_and_b64 s[16:17], s[42:43], exec
	v_mov_b32_e32 v4, v6
	s_or_b64 s[94:95], s[6:7], s[16:17]
	s_and_b64 s[14:15], s[14:15], exec
	v_mov_b32_e32 v5, v7
.LBB13_271:                             ;   in Loop: Header=BB13_16 Depth=1
	s_or_b64 exec, exec, s[36:37]
	s_orn2_b64 s[6:7], s[14:15], exec
.LBB13_272:                             ;   in Loop: Header=BB13_16 Depth=1
	s_or_b64 exec, exec, s[92:93]
	s_andn2_b64 s[14:15], s[88:89], exec
	s_and_b64 s[16:17], s[48:49], exec
	s_or_b64 s[88:89], s[14:15], s[16:17]
	s_andn2_b64 s[4:5], s[4:5], exec
	s_and_b64 s[14:15], s[94:95], exec
	v_mov_b32_e32 v9, v5
	s_or_b64 s[4:5], s[4:5], s[14:15]
	s_and_b64 s[14:15], s[6:7], exec
	v_mov_b32_e32 v8, v4
.LBB13_273:                             ;   in Loop: Header=BB13_16 Depth=1
	s_or_b64 exec, exec, s[90:91]
	s_orn2_b64 s[6:7], s[14:15], exec
.LBB13_274:                             ;   in Loop: Header=BB13_16 Depth=1
	s_or_b64 exec, exec, s[26:27]
	s_mov_b64 s[14:15], 0
	s_and_saveexec_b64 s[16:17], s[6:7]
	s_xor_b64 s[6:7], exec, s[16:17]
	s_cbranch_execz .LBB13_14
; %bb.275:                              ;   in Loop: Header=BB13_16 Depth=1
	v_and_b32_e32 v2, 7, v2
	v_cmp_eq_u32_e32 vcc, 0, v2
	s_mov_b64 s[16:17], -1
	s_mov_b64 s[14:15], -1
	s_and_saveexec_b64 s[20:21], vcc
	s_cbranch_execz .LBB13_13
; %bb.276:                              ;   in Loop: Header=BB13_16 Depth=1
	s_xor_b32 s56, s56, 1
	s_add_i32 s26, s12, -2
	s_cmp_eq_u32 s12, 0
	s_cselect_b64 s[16:17], -1, 0
	s_xor_b64 s[14:15], exec, -1
	s_orn2_b64 s[16:17], s[16:17], exec
	s_mov_b32 s12, s26
	s_branch .LBB13_13
.LBB13_277:                             ;   in Loop: Header=BB13_16 Depth=1
                                        ; implicit-def: $sgpr14_sgpr15
	s_andn2_b64 vcc, exec, s[28:29]
	s_cbranch_vccz .LBB13_230
	s_branch .LBB13_231
.LBB13_278:                             ;   in Loop: Header=BB13_16 Depth=1
                                        ; implicit-def: $sgpr28_sgpr29
	s_branch .LBB13_246
.LBB13_279:
	s_or_b64 exec, exec, s[72:73]
	s_xor_b64 s[6:7], s[78:79], -1
	s_xor_b64 s[0:1], s[74:75], -1
	;; [unrolled: 1-line block ×3, first 2 shown]
	s_mov_b64 s[2:3], 0
	s_and_saveexec_b64 s[4:5], s[0:1]
	s_xor_b64 s[4:5], exec, s[4:5]
	s_cbranch_execnz .LBB13_284
; %bb.280:
	s_andn2_saveexec_b64 s[0:1], s[4:5]
	s_cbranch_execnz .LBB13_309
.LBB13_281:
	s_or_b64 exec, exec, s[0:1]
	s_and_saveexec_b64 s[0:1], s[2:3]
.LBB13_282:
	; divergent unreachable
.LBB13_283:
	s_endpgm
.LBB13_284:
	s_and_saveexec_b64 s[0:1], s[6:7]
	s_xor_b64 s[6:7], exec, s[0:1]
	s_cbranch_execz .LBB13_307
; %bb.285:
	s_and_saveexec_b64 s[0:1], s[10:11]
	s_xor_b64 s[2:3], exec, s[0:1]
; %bb.286:
	v_xor_b32_e32 v46, 0xffffff80, v43
; %bb.287:
	s_or_b64 exec, exec, s[2:3]
	s_mov_b64 s[2:3], exec
	v_readlane_b32 s0, v57, 10
	v_readlane_b32 s1, v57, 11
	s_and_b64 s[0:1], s[2:3], s[0:1]
	s_mov_b64 exec, s[0:1]
; %bb.288:
	v_mov_b32_e32 v2, 0
	v_mov_b32_e32 v3, s24
	ds_write_b32 v2, v3 offset:5140
; %bb.289:
	s_or_b64 exec, exec, s[2:3]
	s_waitcnt lgkmcnt(0)
	s_barrier
	s_mov_b64 s[10:11], exec
	v_readlane_b32 s0, v57, 42
	v_readlane_b32 s1, v57, 43
	s_and_b64 s[0:1], s[10:11], s[0:1]
	s_mov_b64 exec, s[0:1]
	s_cbranch_execz .LBB13_304
; %bb.290:
	v_mov_b32_e32 v2, 0
	ds_read_b32 v4, v2 offset:5140
	s_mov_b64 s[8:9], 0
                                        ; implicit-def: $sgpr12_sgpr13
                                        ; implicit-def: $sgpr14_sgpr15
                                        ; implicit-def: $sgpr16_sgpr17
	s_waitcnt lgkmcnt(0)
	v_ashrrev_i32_e32 v5, 31, v4
	s_branch .LBB13_293
.LBB13_291:                             ;   in Loop: Header=BB13_293 Depth=1
	s_or_b64 exec, exec, s[26:27]
	s_andn2_b64 s[0:1], s[16:17], exec
	s_and_b64 s[16:17], s[20:21], exec
	s_or_b64 s[16:17], s[0:1], s[16:17]
	s_andn2_b64 s[0:1], s[14:15], exec
	s_and_b64 s[2:3], s[2:3], exec
	s_or_b64 s[14:15], s[0:1], s[2:3]
.LBB13_292:                             ;   in Loop: Header=BB13_293 Depth=1
	s_or_b64 exec, exec, s[18:19]
	s_and_b64 s[0:1], exec, s[14:15]
	s_or_b64 s[8:9], s[0:1], s[8:9]
	s_andn2_b64 s[0:1], s[12:13], exec
	s_and_b64 s[2:3], s[16:17], exec
	s_or_b64 s[12:13], s[0:1], s[2:3]
	s_andn2_b64 exec, exec, s[8:9]
	s_cbranch_execz .LBB13_299
.LBB13_293:                             ; =>This Inner Loop Header: Depth=1
	v_mov_b32_e32 v3, v1
	v_mov_b32_e32 v2, v0
	v_cmp_lt_i64_e32 vcc, v[2:3], v[4:5]
	s_or_b64 s[16:17], s[16:17], exec
	s_or_b64 s[14:15], s[14:15], exec
                                        ; implicit-def: $vgpr0_vgpr1
	s_and_saveexec_b64 s[18:19], vcc
	s_cbranch_execz .LBB13_292
; %bb.294:                              ;   in Loop: Header=BB13_293 Depth=1
	global_load_ubyte v0, v[12:13], off
	s_mov_b64 s[2:3], -1
	s_mov_b64 s[20:21], 0
	s_waitcnt vmcnt(0)
	v_cmp_ne_u16_sdwa s[0:1], v0, v46 src0_sel:DWORD src1_sel:BYTE_0
                                        ; implicit-def: $vgpr0_vgpr1
	s_and_saveexec_b64 s[26:27], s[0:1]
	s_cbranch_execz .LBB13_291
; %bb.295:                              ;   in Loop: Header=BB13_293 Depth=1
	v_add_co_u32_e32 v0, vcc, s23, v2
	v_addc_co_u32_e32 v1, vcc, 0, v3, vcc
	v_mov_b32_e32 v3, s33
	v_cmp_le_i64_e32 vcc, s[24:25], v[0:1]
	v_add_co_u32_e64 v12, s[2:3], s22, v12
	v_addc_co_u32_e64 v13, s[2:3], v13, v3, s[2:3]
	s_mov_b64 s[20:21], exec
	s_orn2_b64 s[2:3], vcc, exec
	s_branch .LBB13_291
.LBB13_296:
                                        ; implicit-def: $sgpr16_sgpr17
	s_branch .LBB13_3
.LBB13_297:
                                        ; implicit-def: $sgpr0_sgpr1
                                        ; kill: killed $sgpr0_sgpr1
	s_branch .LBB13_6
.LBB13_298:
                                        ; implicit-def: $sgpr8_sgpr9
                                        ; kill: killed $sgpr8_sgpr9
	s_load_dwordx2 s[18:19], s[4:5], 0x0
	s_branch .LBB13_9
.LBB13_299:
	s_or_b64 exec, exec, s[8:9]
	s_xor_b64 s[0:1], s[12:13], -1
	s_and_saveexec_b64 s[2:3], s[0:1]
	s_xor_b64 s[2:3], exec, s[2:3]
	s_cbranch_execz .LBB13_304
; %bb.300:
	s_mov_b64 s[2:3], exec
	s_brev_b32 s0, -2
.LBB13_301:                             ; =>This Inner Loop Header: Depth=1
	s_ff1_i32_b64 s1, s[2:3]
	v_readlane_b32 s12, v2, s1
	s_lshl_b64 s[8:9], 1, s1
	s_min_i32 s0, s0, s12
	s_andn2_b64 s[2:3], s[2:3], s[8:9]
	s_cmp_lg_u64 s[2:3], 0
	s_cbranch_scc1 .LBB13_301
; %bb.302:
	v_mbcnt_lo_u32_b32 v0, exec_lo, 0
	v_mbcnt_hi_u32_b32 v0, exec_hi, v0
	v_cmp_eq_u32_e32 vcc, 0, v0
	s_and_saveexec_b64 s[2:3], vcc
	s_xor_b64 s[2:3], exec, s[2:3]
; %bb.303:
	v_mov_b32_e32 v0, 0
	v_mov_b32_e32 v1, s0
	ds_min_i32 v0, v1 offset:5140
.LBB13_304:
	s_or_b64 exec, exec, s[10:11]
	s_waitcnt lgkmcnt(0)
	s_barrier
	s_mov_b64 s[2:3], exec
	v_readlane_b32 s0, v57, 10
	v_readlane_b32 s1, v57, 11
	s_and_b64 s[0:1], s[2:3], s[0:1]
	s_mov_b64 exec, s[0:1]
	s_cbranch_execz .LBB13_306
; %bb.305:
	v_readlane_b32 s14, v57, 2
	v_readlane_b32 s15, v57, 3
	s_mul_i32 s0, s14, s65
	s_mul_hi_u32 s1, s14, s64
	s_add_i32 s0, s1, s0
	s_mul_i32 s1, s15, s64
	s_add_i32 s0, s0, s1
	s_mul_i32 s1, s14, s64
	v_readlane_b32 s16, v57, 36
	s_sub_u32 s1, s66, s1
	v_readlane_b32 s18, v57, 38
	v_readlane_b32 s19, v57, 39
	s_subb_u32 s0, 0, s0
	s_mul_i32 s8, s1, s19
	s_mul_hi_u32 s9, s1, s18
	v_readlane_b32 s17, v57, 37
	s_add_i32 s8, s9, s8
	s_mul_i32 s0, s0, s18
	s_add_i32 s11, s8, s0
	s_mul_i32 s10, s1, s18
	s_mul_i32 s0, s14, s17
	s_mul_hi_u32 s1, s14, s16
	v_readlane_b32 s8, v57, 0
	s_add_i32 s0, s1, s0
	s_mul_i32 s1, s15, s16
	s_mul_i32 s13, s14, s16
	v_readlane_b32 s9, v57, 1
	v_readlane_b32 s14, v57, 4
	s_add_i32 s12, s0, s1
	v_readlane_b32 s15, v57, 5
	s_mul_i32 s0, s14, s9
	s_mul_hi_u32 s1, s14, s8
	s_add_i32 s0, s1, s0
	s_mul_i32 s1, s15, s8
	s_add_i32 s0, s0, s1
	s_mul_i32 s1, s14, s8
	v_readlane_b32 s16, v57, 32
	s_sub_u32 s8, s66, s1
	v_readlane_b32 s18, v57, 34
	v_readlane_b32 s19, v57, 35
	s_subb_u32 s0, 0, s0
	s_mul_i32 s1, s8, s19
	s_mul_hi_u32 s9, s8, s18
	v_readlane_b32 s17, v57, 33
	s_add_i32 s1, s9, s1
	s_mul_i32 s0, s0, s18
	s_add_i32 s1, s1, s0
	s_mul_i32 s0, s8, s18
	s_mul_i32 s8, s14, s17
	s_mul_hi_u32 s9, s14, s16
	s_add_i32 s8, s9, s8
	s_mul_i32 s9, s15, s16
	s_add_i32 s9, s8, s9
	s_mul_i32 s8, s14, s16
	v_readlane_b32 s14, v57, 8
	v_readlane_b32 s15, v57, 9
	s_add_u32 s13, s14, s13
	s_addc_u32 s12, s15, s12
	v_mov_b32_e32 v2, 0
	s_add_u32 s10, s13, s10
	ds_read_b32 v0, v2 offset:5140
	s_addc_u32 s11, s12, s11
	s_lshl_b64 s[8:9], s[8:9], 3
	v_readlane_b32 s12, v57, 6
	v_readlane_b32 s13, v57, 7
	s_add_u32 s8, s12, s8
	s_addc_u32 s9, s13, s9
	s_lshl_b64 s[0:1], s[0:1], 3
	s_add_u32 s0, s8, s0
	s_addc_u32 s1, s9, s1
	s_waitcnt lgkmcnt(0)
	v_ashrrev_i32_e32 v1, 31, v0
	global_store_dwordx2 v2, v[0:1], s[0:1]
	global_store_byte v2, v46, s[10:11]
.LBB13_306:
	s_or_b64 exec, exec, s[2:3]
.LBB13_307:
	s_or_saveexec_b64 s[0:1], s[6:7]
	s_mov_b64 s[2:3], 0
	s_xor_b64 exec, exec, s[0:1]
	s_cbranch_execnz .LBB13_310
.LBB13_308:
	s_or_b64 exec, exec, s[0:1]
	s_and_b64 s[2:3], s[2:3], exec
	s_andn2_saveexec_b64 s[0:1], s[4:5]
	s_cbranch_execz .LBB13_281
.LBB13_309:
	s_or_b64 s[2:3], s[2:3], exec
	s_trap 2
	s_or_b64 exec, exec, s[0:1]
	s_and_saveexec_b64 s[0:1], s[2:3]
	s_cbranch_execnz .LBB13_282
	s_branch .LBB13_283
.LBB13_310:
	s_mov_b64 s[2:3], exec
	s_trap 2
	s_branch .LBB13_308
	.section	.rodata,"a",@progbits
	.p2align	6, 0x0
	.amdhsa_kernel _ZN2at6native12_GLOBAL__N_114gatherKthValueIalLi2EEEvNS_4cuda6detail10TensorInfoIKT_T0_EES8_S8_S8_S8_NS5_IS6_S8_EENS5_IlS8_EE
		.amdhsa_group_segment_fixed_size 5144
		.amdhsa_private_segment_fixed_size 0
		.amdhsa_kernarg_size 1536
		.amdhsa_user_sgpr_count 6
		.amdhsa_user_sgpr_private_segment_buffer 1
		.amdhsa_user_sgpr_dispatch_ptr 0
		.amdhsa_user_sgpr_queue_ptr 0
		.amdhsa_user_sgpr_kernarg_segment_ptr 1
		.amdhsa_user_sgpr_dispatch_id 0
		.amdhsa_user_sgpr_flat_scratch_init 0
		.amdhsa_user_sgpr_private_segment_size 0
		.amdhsa_uses_dynamic_stack 0
		.amdhsa_system_sgpr_private_segment_wavefront_offset 0
		.amdhsa_system_sgpr_workgroup_id_x 1
		.amdhsa_system_sgpr_workgroup_id_y 1
		.amdhsa_system_sgpr_workgroup_id_z 1
		.amdhsa_system_sgpr_workgroup_info 0
		.amdhsa_system_vgpr_workitem_id 0
		.amdhsa_next_free_vgpr 58
		.amdhsa_next_free_sgpr 96
		.amdhsa_reserve_vcc 1
		.amdhsa_reserve_flat_scratch 0
		.amdhsa_float_round_mode_32 0
		.amdhsa_float_round_mode_16_64 0
		.amdhsa_float_denorm_mode_32 3
		.amdhsa_float_denorm_mode_16_64 3
		.amdhsa_dx10_clamp 1
		.amdhsa_ieee_mode 1
		.amdhsa_fp16_overflow 0
		.amdhsa_exception_fp_ieee_invalid_op 0
		.amdhsa_exception_fp_denorm_src 0
		.amdhsa_exception_fp_ieee_div_zero 0
		.amdhsa_exception_fp_ieee_overflow 0
		.amdhsa_exception_fp_ieee_underflow 0
		.amdhsa_exception_fp_ieee_inexact 0
		.amdhsa_exception_int_div_zero 0
	.end_amdhsa_kernel
	.section	.text._ZN2at6native12_GLOBAL__N_114gatherKthValueIalLi2EEEvNS_4cuda6detail10TensorInfoIKT_T0_EES8_S8_S8_S8_NS5_IS6_S8_EENS5_IlS8_EE,"axG",@progbits,_ZN2at6native12_GLOBAL__N_114gatherKthValueIalLi2EEEvNS_4cuda6detail10TensorInfoIKT_T0_EES8_S8_S8_S8_NS5_IS6_S8_EENS5_IlS8_EE,comdat
.Lfunc_end13:
	.size	_ZN2at6native12_GLOBAL__N_114gatherKthValueIalLi2EEEvNS_4cuda6detail10TensorInfoIKT_T0_EES8_S8_S8_S8_NS5_IS6_S8_EENS5_IlS8_EE, .Lfunc_end13-_ZN2at6native12_GLOBAL__N_114gatherKthValueIalLi2EEEvNS_4cuda6detail10TensorInfoIKT_T0_EES8_S8_S8_S8_NS5_IS6_S8_EENS5_IlS8_EE
                                        ; -- End function
	.set _ZN2at6native12_GLOBAL__N_114gatherKthValueIalLi2EEEvNS_4cuda6detail10TensorInfoIKT_T0_EES8_S8_S8_S8_NS5_IS6_S8_EENS5_IlS8_EE.num_vgpr, 58
	.set _ZN2at6native12_GLOBAL__N_114gatherKthValueIalLi2EEEvNS_4cuda6detail10TensorInfoIKT_T0_EES8_S8_S8_S8_NS5_IS6_S8_EENS5_IlS8_EE.num_agpr, 0
	.set _ZN2at6native12_GLOBAL__N_114gatherKthValueIalLi2EEEvNS_4cuda6detail10TensorInfoIKT_T0_EES8_S8_S8_S8_NS5_IS6_S8_EENS5_IlS8_EE.numbered_sgpr, 96
	.set _ZN2at6native12_GLOBAL__N_114gatherKthValueIalLi2EEEvNS_4cuda6detail10TensorInfoIKT_T0_EES8_S8_S8_S8_NS5_IS6_S8_EENS5_IlS8_EE.num_named_barrier, 0
	.set _ZN2at6native12_GLOBAL__N_114gatherKthValueIalLi2EEEvNS_4cuda6detail10TensorInfoIKT_T0_EES8_S8_S8_S8_NS5_IS6_S8_EENS5_IlS8_EE.private_seg_size, 0
	.set _ZN2at6native12_GLOBAL__N_114gatherKthValueIalLi2EEEvNS_4cuda6detail10TensorInfoIKT_T0_EES8_S8_S8_S8_NS5_IS6_S8_EENS5_IlS8_EE.uses_vcc, 1
	.set _ZN2at6native12_GLOBAL__N_114gatherKthValueIalLi2EEEvNS_4cuda6detail10TensorInfoIKT_T0_EES8_S8_S8_S8_NS5_IS6_S8_EENS5_IlS8_EE.uses_flat_scratch, 0
	.set _ZN2at6native12_GLOBAL__N_114gatherKthValueIalLi2EEEvNS_4cuda6detail10TensorInfoIKT_T0_EES8_S8_S8_S8_NS5_IS6_S8_EENS5_IlS8_EE.has_dyn_sized_stack, 0
	.set _ZN2at6native12_GLOBAL__N_114gatherKthValueIalLi2EEEvNS_4cuda6detail10TensorInfoIKT_T0_EES8_S8_S8_S8_NS5_IS6_S8_EENS5_IlS8_EE.has_recursion, 0
	.set _ZN2at6native12_GLOBAL__N_114gatherKthValueIalLi2EEEvNS_4cuda6detail10TensorInfoIKT_T0_EES8_S8_S8_S8_NS5_IS6_S8_EENS5_IlS8_EE.has_indirect_call, 0
	.section	.AMDGPU.csdata,"",@progbits
; Kernel info:
; codeLenInByte = 18888
; TotalNumSgprs: 100
; NumVgprs: 58
; ScratchSize: 0
; MemoryBound: 0
; FloatMode: 240
; IeeeMode: 1
; LDSByteSize: 5144 bytes/workgroup (compile time only)
; SGPRBlocks: 12
; VGPRBlocks: 14
; NumSGPRsForWavesPerEU: 100
; NumVGPRsForWavesPerEU: 58
; Occupancy: 4
; WaveLimiterHint : 1
; COMPUTE_PGM_RSRC2:SCRATCH_EN: 0
; COMPUTE_PGM_RSRC2:USER_SGPR: 6
; COMPUTE_PGM_RSRC2:TRAP_HANDLER: 0
; COMPUTE_PGM_RSRC2:TGID_X_EN: 1
; COMPUTE_PGM_RSRC2:TGID_Y_EN: 1
; COMPUTE_PGM_RSRC2:TGID_Z_EN: 1
; COMPUTE_PGM_RSRC2:TIDIG_COMP_CNT: 0
	.section	.text._ZN2at6native12_GLOBAL__N_114gatherKthValueIalLi3EEEvNS_4cuda6detail10TensorInfoIKT_T0_EES8_S8_S8_S8_NS5_IS6_S8_EENS5_IlS8_EE,"axG",@progbits,_ZN2at6native12_GLOBAL__N_114gatherKthValueIalLi3EEEvNS_4cuda6detail10TensorInfoIKT_T0_EES8_S8_S8_S8_NS5_IS6_S8_EENS5_IlS8_EE,comdat
	.globl	_ZN2at6native12_GLOBAL__N_114gatherKthValueIalLi3EEEvNS_4cuda6detail10TensorInfoIKT_T0_EES8_S8_S8_S8_NS5_IS6_S8_EENS5_IlS8_EE ; -- Begin function _ZN2at6native12_GLOBAL__N_114gatherKthValueIalLi3EEEvNS_4cuda6detail10TensorInfoIKT_T0_EES8_S8_S8_S8_NS5_IS6_S8_EENS5_IlS8_EE
	.p2align	8
	.type	_ZN2at6native12_GLOBAL__N_114gatherKthValueIalLi3EEEvNS_4cuda6detail10TensorInfoIKT_T0_EES8_S8_S8_S8_NS5_IS6_S8_EENS5_IlS8_EE,@function
_ZN2at6native12_GLOBAL__N_114gatherKthValueIalLi3EEEvNS_4cuda6detail10TensorInfoIKT_T0_EES8_S8_S8_S8_NS5_IS6_S8_EENS5_IlS8_EE: ; @_ZN2at6native12_GLOBAL__N_114gatherKthValueIalLi3EEEvNS_4cuda6detail10TensorInfoIKT_T0_EES8_S8_S8_S8_NS5_IS6_S8_EENS5_IlS8_EE
; %bb.0:
	s_load_dwordx2 s[18:19], s[4:5], 0x500
	s_load_dwordx8 s[24:31], s[4:5], 0x1a0
	s_add_u32 s16, s4, 0x500
	s_addc_u32 s17, s5, 0
	s_mov_b32 s49, 0
	s_waitcnt lgkmcnt(0)
	s_mul_i32 s0, s19, s8
	s_add_i32 s0, s0, s7
	s_mul_i32 s0, s0, s18
	s_add_i32 s48, s0, s6
	v_mov_b32_e32 v1, s48
	v_mov_b32_e32 v2, s49
	v_cmp_le_i64_e32 vcc, s[28:29], v[1:2]
	s_cbranch_vccnz .LBB14_301
; %bb.1:
	s_load_dwordx4 s[8:11], s[4:5], 0x10
	s_mov_b32 s0, s49
	s_waitcnt lgkmcnt(0)
	s_mov_b32 s1, s11
	s_cmp_lg_u64 s[0:1], 0
	s_cbranch_scc0 .LBB14_6
; %bb.2:
	s_ashr_i32 s0, s11, 31
	s_add_u32 s2, s10, s0
	s_mov_b32 s1, s0
	s_addc_u32 s3, s11, s0
	s_xor_b64 s[2:3], s[2:3], s[0:1]
	v_cvt_f32_u32_e32 v1, s2
	v_cvt_f32_u32_e32 v2, s3
	s_sub_u32 s7, 0, s2
	s_subb_u32 s19, 0, s3
	v_madmk_f32 v1, v2, 0x4f800000, v1
	v_rcp_f32_e32 v1, v1
	v_mul_f32_e32 v1, 0x5f7ffffc, v1
	v_mul_f32_e32 v2, 0x2f800000, v1
	v_trunc_f32_e32 v2, v2
	v_madmk_f32 v1, v2, 0xcf800000, v1
	v_cvt_u32_f32_e32 v2, v2
	v_cvt_u32_f32_e32 v1, v1
	v_readfirstlane_b32 s20, v2
	v_readfirstlane_b32 s14, v1
	s_mul_i32 s15, s7, s20
	s_mul_hi_u32 s22, s7, s14
	s_mul_i32 s21, s19, s14
	s_add_i32 s15, s22, s15
	s_add_i32 s15, s15, s21
	s_mul_i32 s23, s7, s14
	s_mul_i32 s22, s14, s15
	s_mul_hi_u32 s28, s14, s23
	s_mul_hi_u32 s21, s14, s15
	s_add_u32 s22, s28, s22
	s_addc_u32 s21, 0, s21
	s_mul_hi_u32 s29, s20, s23
	s_mul_i32 s23, s20, s23
	s_add_u32 s22, s22, s23
	s_mul_hi_u32 s28, s20, s15
	s_addc_u32 s21, s21, s29
	s_addc_u32 s22, s28, 0
	s_mul_i32 s15, s20, s15
	s_add_u32 s15, s21, s15
	s_addc_u32 s21, 0, s22
	s_add_u32 s22, s14, s15
	s_cselect_b64 s[14:15], -1, 0
	s_cmp_lg_u64 s[14:15], 0
	s_addc_u32 s20, s20, s21
	s_mul_i32 s14, s7, s20
	s_mul_hi_u32 s15, s7, s22
	s_add_i32 s14, s15, s14
	s_mul_i32 s19, s19, s22
	s_add_i32 s14, s14, s19
	s_mul_i32 s7, s7, s22
	s_mul_hi_u32 s19, s20, s7
	s_mul_i32 s21, s20, s7
	s_mul_i32 s28, s22, s14
	s_mul_hi_u32 s7, s22, s7
	s_mul_hi_u32 s23, s22, s14
	s_add_u32 s7, s7, s28
	s_addc_u32 s23, 0, s23
	s_add_u32 s7, s7, s21
	s_mul_hi_u32 s15, s20, s14
	s_addc_u32 s7, s23, s19
	s_addc_u32 s15, s15, 0
	s_mul_i32 s14, s20, s14
	s_add_u32 s7, s7, s14
	s_addc_u32 s19, 0, s15
	s_add_u32 s7, s22, s7
	s_cselect_b64 s[14:15], -1, 0
	s_cmp_lg_u64 s[14:15], 0
	s_addc_u32 s19, s20, s19
	s_add_u32 s14, s48, 0
	s_addc_u32 s15, 0, 0
	s_xor_b64 s[14:15], s[14:15], 0
	s_mul_i32 s21, s14, s19
	s_mul_hi_u32 s22, s14, s7
	s_mul_hi_u32 s20, s14, s19
	s_add_u32 s21, s22, s21
	s_addc_u32 s20, 0, s20
	s_mul_hi_u32 s23, s15, s7
	s_mul_i32 s7, s15, s7
	s_add_u32 s7, s21, s7
	s_mul_hi_u32 s22, s15, s19
	s_addc_u32 s7, s20, s23
	s_addc_u32 s20, s22, 0
	s_mul_i32 s19, s15, s19
	s_add_u32 s7, s7, s19
	s_addc_u32 s19, 0, s20
	s_mul_i32 s20, s2, s19
	s_mul_hi_u32 s21, s2, s7
	s_add_i32 s20, s21, s20
	s_mul_i32 s21, s3, s7
	s_add_i32 s28, s20, s21
	s_sub_i32 s22, s15, s28
	s_mul_i32 s20, s2, s7
	s_sub_u32 s14, s14, s20
	s_cselect_b64 s[20:21], -1, 0
	s_cmp_lg_u64 s[20:21], 0
	s_subb_u32 s29, s22, s3
	s_sub_u32 s33, s14, s2
	s_cselect_b64 s[22:23], -1, 0
	s_cmp_lg_u64 s[22:23], 0
	s_subb_u32 s22, s29, 0
	s_cmp_ge_u32 s22, s3
	s_cselect_b32 s23, -1, 0
	s_cmp_ge_u32 s33, s2
	s_cselect_b32 s29, -1, 0
	s_cmp_eq_u32 s22, s3
	s_cselect_b32 s22, s29, s23
	s_add_u32 s23, s7, 1
	s_addc_u32 s29, s19, 0
	s_add_u32 s33, s7, 2
	s_addc_u32 s34, s19, 0
	s_cmp_lg_u32 s22, 0
	s_cselect_b32 s22, s33, s23
	s_cselect_b32 s23, s34, s29
	s_cmp_lg_u64 s[20:21], 0
	s_subb_u32 s15, s15, s28
	s_cmp_ge_u32 s15, s3
	s_cselect_b32 s20, -1, 0
	s_cmp_ge_u32 s14, s2
	s_cselect_b32 s2, -1, 0
	s_cmp_eq_u32 s15, s3
	s_cselect_b32 s2, s2, s20
	s_cmp_lg_u32 s2, 0
	s_cselect_b32 s3, s23, s19
	s_cselect_b32 s2, s22, s7
	s_xor_b64 s[0:1], 0, s[0:1]
	s_xor_b64 s[2:3], s[2:3], s[0:1]
	s_sub_u32 s2, s2, s0
	s_subb_u32 s3, s3, s1
	s_cbranch_execnz .LBB14_4
.LBB14_3:
	v_cvt_f32_u32_e32 v1, s10
	s_sub_i32 s0, 0, s10
	s_mov_b32 s3, 0
	v_rcp_iflag_f32_e32 v1, v1
	v_mul_f32_e32 v1, 0x4f7ffffe, v1
	v_cvt_u32_f32_e32 v1, v1
	v_readfirstlane_b32 s1, v1
	s_mul_i32 s0, s0, s1
	s_mul_hi_u32 s0, s1, s0
	s_add_i32 s1, s1, s0
	s_mul_hi_u32 s0, s48, s1
	s_mul_i32 s2, s0, s10
	s_sub_i32 s2, s48, s2
	s_add_i32 s1, s0, 1
	s_sub_i32 s7, s2, s10
	s_cmp_ge_u32 s2, s10
	s_cselect_b32 s0, s1, s0
	s_cselect_b32 s2, s7, s2
	s_add_i32 s1, s0, 1
	s_cmp_ge_u32 s2, s10
	s_cselect_b32 s2, s1, s0
.LBB14_4:
	s_or_b64 s[0:1], s[2:3], s[8:9]
	s_mov_b32 s0, 0
	s_cmp_lg_u64 s[0:1], 0
	s_cbranch_scc0 .LBB14_7
; %bb.5:
	s_ashr_i32 s12, s9, 31
	s_add_u32 s0, s8, s12
	s_mov_b32 s13, s12
	s_addc_u32 s1, s9, s12
	s_xor_b64 s[14:15], s[0:1], s[12:13]
	v_cvt_f32_u32_e32 v1, s14
	v_cvt_f32_u32_e32 v2, s15
	s_sub_u32 s7, 0, s14
	s_subb_u32 s19, 0, s15
	s_mov_b64 s[0:1], 0
	v_madmk_f32 v1, v2, 0x4f800000, v1
	v_rcp_f32_e32 v1, v1
	v_mul_f32_e32 v1, 0x5f7ffffc, v1
	v_mul_f32_e32 v2, 0x2f800000, v1
	v_trunc_f32_e32 v2, v2
	v_madmk_f32 v1, v2, 0xcf800000, v1
	v_cvt_u32_f32_e32 v2, v2
	v_cvt_u32_f32_e32 v1, v1
	v_readfirstlane_b32 s22, v2
	v_readfirstlane_b32 s20, v1
	s_mul_i32 s21, s7, s22
	s_mul_hi_u32 s28, s7, s20
	s_mul_i32 s23, s19, s20
	s_add_i32 s21, s28, s21
	s_add_i32 s21, s21, s23
	s_mul_i32 s29, s7, s20
	s_mul_i32 s28, s20, s21
	s_mul_hi_u32 s33, s20, s29
	s_mul_hi_u32 s23, s20, s21
	s_add_u32 s28, s33, s28
	s_addc_u32 s23, 0, s23
	s_mul_hi_u32 s34, s22, s29
	s_mul_i32 s29, s22, s29
	s_add_u32 s28, s28, s29
	s_mul_hi_u32 s33, s22, s21
	s_addc_u32 s23, s23, s34
	s_addc_u32 s28, s33, 0
	s_mul_i32 s21, s22, s21
	s_add_u32 s21, s23, s21
	s_addc_u32 s23, 0, s28
	s_add_u32 s28, s20, s21
	s_cselect_b64 s[20:21], -1, 0
	s_cmp_lg_u64 s[20:21], 0
	s_addc_u32 s22, s22, s23
	s_mul_i32 s20, s7, s22
	s_mul_hi_u32 s21, s7, s28
	s_add_i32 s20, s21, s20
	s_mul_i32 s19, s19, s28
	s_add_i32 s20, s20, s19
	s_mul_i32 s7, s7, s28
	s_mul_hi_u32 s21, s22, s7
	s_mul_i32 s23, s22, s7
	s_mul_i32 s33, s28, s20
	s_mul_hi_u32 s7, s28, s7
	s_mul_hi_u32 s29, s28, s20
	s_add_u32 s7, s7, s33
	s_addc_u32 s29, 0, s29
	s_add_u32 s7, s7, s23
	s_mul_hi_u32 s19, s22, s20
	s_addc_u32 s7, s29, s21
	s_addc_u32 s19, s19, 0
	s_mul_i32 s20, s22, s20
	s_add_u32 s7, s7, s20
	s_addc_u32 s19, 0, s19
	s_add_u32 s7, s28, s7
	s_cselect_b64 s[20:21], -1, 0
	s_cmp_lg_u64 s[20:21], 0
	s_addc_u32 s19, s22, s19
	s_ashr_i32 s20, s3, 31
	s_add_u32 s22, s2, s20
	s_mov_b32 s21, s20
	s_addc_u32 s23, s3, s20
	s_xor_b64 s[22:23], s[22:23], s[20:21]
	s_mul_i32 s29, s22, s19
	s_mul_hi_u32 s33, s22, s7
	s_mul_hi_u32 s28, s22, s19
	s_add_u32 s29, s33, s29
	s_addc_u32 s28, 0, s28
	s_mul_hi_u32 s34, s23, s7
	s_mul_i32 s7, s23, s7
	s_add_u32 s7, s29, s7
	s_mul_hi_u32 s33, s23, s19
	s_addc_u32 s7, s28, s34
	s_addc_u32 s28, s33, 0
	s_mul_i32 s19, s23, s19
	s_add_u32 s7, s7, s19
	s_addc_u32 s19, 0, s28
	s_mul_i32 s28, s14, s19
	s_mul_hi_u32 s29, s14, s7
	s_add_i32 s28, s29, s28
	s_mul_i32 s29, s15, s7
	s_add_i32 s33, s28, s29
	s_sub_i32 s34, s23, s33
	s_mul_i32 s28, s14, s7
	s_sub_u32 s22, s22, s28
	s_cselect_b64 s[28:29], -1, 0
	s_cmp_lg_u64 s[28:29], 0
	s_subb_u32 s36, s34, s15
	s_sub_u32 s37, s22, s14
	s_cselect_b64 s[34:35], -1, 0
	s_cmp_lg_u64 s[34:35], 0
	s_subb_u32 s34, s36, 0
	s_cmp_ge_u32 s34, s15
	s_cselect_b32 s35, -1, 0
	s_cmp_ge_u32 s37, s14
	s_cselect_b32 s36, -1, 0
	s_cmp_eq_u32 s34, s15
	s_cselect_b32 s34, s36, s35
	s_add_u32 s35, s7, 1
	s_addc_u32 s36, s19, 0
	s_add_u32 s37, s7, 2
	s_addc_u32 s38, s19, 0
	s_cmp_lg_u32 s34, 0
	s_cselect_b32 s34, s37, s35
	s_cselect_b32 s35, s38, s36
	s_cmp_lg_u64 s[28:29], 0
	s_subb_u32 s23, s23, s33
	s_cmp_ge_u32 s23, s15
	s_cselect_b32 s28, -1, 0
	s_cmp_ge_u32 s22, s14
	s_cselect_b32 s14, -1, 0
	s_cmp_eq_u32 s23, s15
	s_cselect_b32 s14, s14, s28
	s_cmp_lg_u32 s14, 0
	s_cselect_b32 s15, s35, s19
	s_cselect_b32 s14, s34, s7
	s_xor_b64 s[12:13], s[20:21], s[12:13]
	s_xor_b64 s[14:15], s[14:15], s[12:13]
	s_sub_u32 s20, s14, s12
	s_subb_u32 s21, s15, s13
	s_branch .LBB14_8
.LBB14_6:
                                        ; implicit-def: $sgpr2_sgpr3
	s_branch .LBB14_3
.LBB14_7:
	s_mov_b64 s[0:1], -1
                                        ; implicit-def: $sgpr20_sgpr21
.LBB14_8:
	s_load_dwordx4 s[12:15], s[4:5], 0x1d0
                                        ; implicit-def: $vgpr57 : SGPR spill to VGPR lane
	s_andn2_b64 vcc, exec, s[0:1]
	s_waitcnt lgkmcnt(0)
	v_writelane_b32 v57, s12, 0
	v_writelane_b32 v57, s13, 1
	;; [unrolled: 1-line block ×4, first 2 shown]
	s_cbranch_vccnz .LBB14_10
; %bb.9:
	v_cvt_f32_u32_e32 v1, s8
	s_sub_i32 s0, 0, s8
	s_mov_b32 s21, 0
	v_rcp_iflag_f32_e32 v1, v1
	v_mul_f32_e32 v1, 0x4f7ffffe, v1
	v_cvt_u32_f32_e32 v1, v1
	v_readfirstlane_b32 s1, v1
	s_mul_i32 s0, s0, s1
	s_mul_hi_u32 s0, s1, s0
	s_add_i32 s1, s1, s0
	s_mul_hi_u32 s0, s2, s1
	s_mul_i32 s7, s0, s8
	s_sub_i32 s7, s2, s7
	s_add_i32 s1, s0, 1
	s_sub_i32 s12, s7, s8
	s_cmp_ge_u32 s7, s8
	s_cselect_b32 s0, s1, s0
	s_cselect_b32 s7, s12, s7
	s_add_i32 s1, s0, 1
	s_cmp_ge_u32 s7, s8
	s_cselect_b32 s20, s1, s0
.LBB14_10:
	s_load_dwordx4 s[12:15], s[4:5], 0x1d0
	s_mov_b32 s0, 0
	s_waitcnt lgkmcnt(0)
	s_mov_b32 s1, s15
	s_cmp_lg_u64 s[0:1], 0
	s_cbranch_scc0 .LBB14_15
; %bb.11:
	s_ashr_i32 s0, s15, 31
	s_add_u32 s12, s14, s0
	s_mov_b32 s1, s0
	s_addc_u32 s13, s15, s0
	s_xor_b64 s[14:15], s[12:13], s[0:1]
	v_cvt_f32_u32_e32 v1, s14
	v_cvt_f32_u32_e32 v2, s15
	s_sub_u32 s7, 0, s14
	s_subb_u32 s19, 0, s15
	v_madmk_f32 v1, v2, 0x4f800000, v1
	v_rcp_f32_e32 v1, v1
	v_mul_f32_e32 v1, 0x5f7ffffc, v1
	v_mul_f32_e32 v2, 0x2f800000, v1
	v_trunc_f32_e32 v2, v2
	v_madmk_f32 v1, v2, 0xcf800000, v1
	v_cvt_u32_f32_e32 v2, v2
	v_cvt_u32_f32_e32 v1, v1
	v_readfirstlane_b32 s28, v2
	v_readfirstlane_b32 s22, v1
	s_mul_i32 s23, s7, s28
	s_mul_hi_u32 s33, s7, s22
	s_mul_i32 s29, s19, s22
	s_add_i32 s23, s33, s23
	s_add_i32 s23, s23, s29
	s_mul_i32 s34, s7, s22
	s_mul_i32 s33, s22, s23
	s_mul_hi_u32 s35, s22, s34
	s_mul_hi_u32 s29, s22, s23
	s_add_u32 s33, s35, s33
	s_addc_u32 s29, 0, s29
	s_mul_hi_u32 s36, s28, s34
	s_mul_i32 s34, s28, s34
	s_add_u32 s33, s33, s34
	s_mul_hi_u32 s35, s28, s23
	s_addc_u32 s29, s29, s36
	s_addc_u32 s33, s35, 0
	s_mul_i32 s23, s28, s23
	s_add_u32 s23, s29, s23
	s_addc_u32 s29, 0, s33
	s_add_u32 s33, s22, s23
	s_cselect_b64 s[22:23], -1, 0
	s_cmp_lg_u64 s[22:23], 0
	s_addc_u32 s28, s28, s29
	s_mul_i32 s22, s7, s28
	s_mul_hi_u32 s23, s7, s33
	s_add_i32 s22, s23, s22
	s_mul_i32 s19, s19, s33
	s_add_i32 s22, s22, s19
	s_mul_i32 s7, s7, s33
	s_mul_hi_u32 s23, s28, s7
	s_mul_i32 s29, s28, s7
	s_mul_i32 s35, s33, s22
	s_mul_hi_u32 s7, s33, s7
	s_mul_hi_u32 s34, s33, s22
	s_add_u32 s7, s7, s35
	s_addc_u32 s34, 0, s34
	s_add_u32 s7, s7, s29
	s_mul_hi_u32 s19, s28, s22
	s_addc_u32 s7, s34, s23
	s_addc_u32 s19, s19, 0
	s_mul_i32 s22, s28, s22
	s_add_u32 s7, s7, s22
	s_addc_u32 s19, 0, s19
	s_add_u32 s7, s33, s7
	s_cselect_b64 s[22:23], -1, 0
	s_cmp_lg_u64 s[22:23], 0
	s_addc_u32 s19, s28, s19
	s_add_u32 s22, s48, 0
	s_addc_u32 s23, 0, 0
	s_xor_b64 s[22:23], s[22:23], 0
	s_mul_i32 s29, s22, s19
	s_mul_hi_u32 s33, s22, s7
	s_mul_hi_u32 s28, s22, s19
	s_add_u32 s29, s33, s29
	s_addc_u32 s28, 0, s28
	s_mul_hi_u32 s34, s23, s7
	s_mul_i32 s7, s23, s7
	s_add_u32 s7, s29, s7
	s_mul_hi_u32 s33, s23, s19
	s_addc_u32 s7, s28, s34
	s_addc_u32 s28, s33, 0
	s_mul_i32 s19, s23, s19
	s_add_u32 s7, s7, s19
	s_addc_u32 s19, 0, s28
	s_mul_i32 s28, s14, s19
	s_mul_hi_u32 s29, s14, s7
	s_add_i32 s28, s29, s28
	s_mul_i32 s29, s15, s7
	s_add_i32 s33, s28, s29
	s_sub_i32 s34, s23, s33
	s_mul_i32 s28, s14, s7
	s_sub_u32 s22, s22, s28
	s_cselect_b64 s[28:29], -1, 0
	s_cmp_lg_u64 s[28:29], 0
	s_subb_u32 s36, s34, s15
	s_sub_u32 s37, s22, s14
	s_cselect_b64 s[34:35], -1, 0
	s_cmp_lg_u64 s[34:35], 0
	s_subb_u32 s34, s36, 0
	s_cmp_ge_u32 s34, s15
	s_cselect_b32 s35, -1, 0
	s_cmp_ge_u32 s37, s14
	s_cselect_b32 s36, -1, 0
	s_cmp_eq_u32 s34, s15
	s_cselect_b32 s34, s36, s35
	s_add_u32 s35, s7, 1
	s_addc_u32 s36, s19, 0
	s_add_u32 s37, s7, 2
	s_addc_u32 s38, s19, 0
	s_cmp_lg_u32 s34, 0
	s_cselect_b32 s34, s37, s35
	s_cselect_b32 s35, s38, s36
	s_cmp_lg_u64 s[28:29], 0
	s_subb_u32 s23, s23, s33
	s_cmp_ge_u32 s23, s15
	s_cselect_b32 s28, -1, 0
	s_cmp_ge_u32 s22, s14
	s_cselect_b32 s14, -1, 0
	s_cmp_eq_u32 s23, s15
	s_cselect_b32 s14, s14, s28
	s_cmp_lg_u32 s14, 0
	s_cselect_b32 s15, s35, s19
	s_cselect_b32 s14, s34, s7
	s_xor_b64 s[0:1], 0, s[0:1]
	s_xor_b64 s[14:15], s[14:15], s[0:1]
	s_sub_u32 s22, s14, s0
	s_subb_u32 s23, s15, s1
	s_cbranch_execnz .LBB14_13
.LBB14_12:
	s_load_dwordx4 s[12:15], s[4:5], 0x1d0
	s_mov_b32 s23, 0
	s_waitcnt lgkmcnt(0)
	v_cvt_f32_u32_e32 v1, s14
	s_sub_i32 s0, 0, s14
	v_rcp_iflag_f32_e32 v1, v1
	v_mul_f32_e32 v1, 0x4f7ffffe, v1
	v_cvt_u32_f32_e32 v1, v1
	v_readfirstlane_b32 s1, v1
	s_mul_i32 s0, s0, s1
	s_mul_hi_u32 s0, s1, s0
	s_add_i32 s1, s1, s0
	s_mul_hi_u32 s0, s48, s1
	s_mul_i32 s7, s0, s14
	s_sub_i32 s7, s48, s7
	s_add_i32 s1, s0, 1
	s_sub_i32 s12, s7, s14
	s_cmp_ge_u32 s7, s14
	s_cselect_b32 s0, s1, s0
	s_cselect_b32 s7, s12, s7
	s_add_i32 s1, s0, 1
	s_cmp_ge_u32 s7, s14
	s_cselect_b32 s22, s1, s0
.LBB14_13:
	s_load_dwordx4 s[36:39], s[4:5], 0x1d0
	s_waitcnt lgkmcnt(0)
	s_or_b64 s[0:1], s[22:23], s[36:37]
	s_mov_b32 s0, 0
	s_cmp_lg_u64 s[0:1], 0
	v_writelane_b32 v57, s22, 4
	v_writelane_b32 v57, s23, 5
	s_cbranch_scc0 .LBB14_16
; %bb.14:
	s_ashr_i32 s12, s37, 31
	s_add_u32 s0, s36, s12
	s_mov_b32 s13, s12
	s_addc_u32 s1, s37, s12
	s_xor_b64 s[14:15], s[0:1], s[12:13]
	v_cvt_f32_u32_e32 v1, s14
	v_cvt_f32_u32_e32 v2, s15
	s_sub_u32 s7, 0, s14
	s_subb_u32 s19, 0, s15
	s_mov_b64 s[0:1], 0
	v_madmk_f32 v1, v2, 0x4f800000, v1
	v_rcp_f32_e32 v1, v1
	v_mul_f32_e32 v1, 0x5f7ffffc, v1
	v_mul_f32_e32 v2, 0x2f800000, v1
	v_trunc_f32_e32 v2, v2
	v_madmk_f32 v1, v2, 0xcf800000, v1
	v_cvt_u32_f32_e32 v2, v2
	v_cvt_u32_f32_e32 v1, v1
	v_readfirstlane_b32 s28, v2
	v_readfirstlane_b32 s22, v1
	s_mul_i32 s23, s7, s28
	s_mul_hi_u32 s33, s7, s22
	s_mul_i32 s29, s19, s22
	s_add_i32 s23, s33, s23
	s_add_i32 s23, s23, s29
	s_mul_i32 s34, s7, s22
	s_mul_i32 s33, s22, s23
	s_mul_hi_u32 s35, s22, s34
	s_mul_hi_u32 s29, s22, s23
	s_add_u32 s33, s35, s33
	s_addc_u32 s29, 0, s29
	s_mul_hi_u32 s36, s28, s34
	s_mul_i32 s34, s28, s34
	s_add_u32 s33, s33, s34
	s_mul_hi_u32 s35, s28, s23
	s_addc_u32 s29, s29, s36
	s_addc_u32 s33, s35, 0
	s_mul_i32 s23, s28, s23
	s_add_u32 s23, s29, s23
	s_addc_u32 s29, 0, s33
	s_add_u32 s33, s22, s23
	s_cselect_b64 s[22:23], -1, 0
	s_cmp_lg_u64 s[22:23], 0
	s_addc_u32 s28, s28, s29
	s_mul_i32 s22, s7, s28
	s_mul_hi_u32 s23, s7, s33
	s_add_i32 s22, s23, s22
	s_mul_i32 s19, s19, s33
	s_add_i32 s22, s22, s19
	s_mul_i32 s7, s7, s33
	s_mul_hi_u32 s23, s28, s7
	s_mul_i32 s29, s28, s7
	s_mul_i32 s35, s33, s22
	s_mul_hi_u32 s7, s33, s7
	s_mul_hi_u32 s34, s33, s22
	s_add_u32 s7, s7, s35
	s_addc_u32 s34, 0, s34
	s_add_u32 s7, s7, s29
	s_mul_hi_u32 s19, s28, s22
	s_addc_u32 s7, s34, s23
	s_addc_u32 s19, s19, 0
	s_mul_i32 s22, s28, s22
	s_add_u32 s7, s7, s22
	s_addc_u32 s19, 0, s19
	s_add_u32 s7, s33, s7
	s_cselect_b64 s[22:23], -1, 0
	s_cmp_lg_u64 s[22:23], 0
	v_readlane_b32 s22, v57, 4
	v_readlane_b32 s23, v57, 5
	s_addc_u32 s19, s28, s19
	s_ashr_i32 s22, s23, 31
	v_readlane_b32 s28, v57, 4
	v_readlane_b32 s34, v57, 4
	;; [unrolled: 1-line block ×3, first 2 shown]
	s_add_u32 s28, s28, s22
	v_readlane_b32 s35, v57, 5
	s_mov_b32 s23, s22
	s_addc_u32 s29, s35, s22
	s_xor_b64 s[28:29], s[28:29], s[22:23]
	s_mul_i32 s34, s28, s19
	s_mul_hi_u32 s35, s28, s7
	s_mul_hi_u32 s33, s28, s19
	s_add_u32 s34, s35, s34
	s_addc_u32 s33, 0, s33
	s_mul_hi_u32 s36, s29, s7
	s_mul_i32 s7, s29, s7
	s_add_u32 s7, s34, s7
	s_mul_hi_u32 s35, s29, s19
	s_addc_u32 s7, s33, s36
	s_addc_u32 s33, s35, 0
	s_mul_i32 s19, s29, s19
	s_add_u32 s7, s7, s19
	s_addc_u32 s19, 0, s33
	s_mul_i32 s33, s14, s19
	s_mul_hi_u32 s34, s14, s7
	s_add_i32 s33, s34, s33
	s_mul_i32 s34, s15, s7
	s_add_i32 s33, s33, s34
	s_sub_i32 s36, s29, s33
	s_mul_i32 s34, s14, s7
	s_sub_u32 s28, s28, s34
	s_cselect_b64 s[34:35], -1, 0
	s_cmp_lg_u64 s[34:35], 0
	s_subb_u32 s38, s36, s15
	s_sub_u32 s39, s28, s14
	s_cselect_b64 s[36:37], -1, 0
	s_cmp_lg_u64 s[36:37], 0
	s_subb_u32 s36, s38, 0
	s_cmp_ge_u32 s36, s15
	s_cselect_b32 s37, -1, 0
	s_cmp_ge_u32 s39, s14
	s_cselect_b32 s38, -1, 0
	s_cmp_eq_u32 s36, s15
	s_cselect_b32 s36, s38, s37
	s_add_u32 s37, s7, 1
	s_addc_u32 s38, s19, 0
	s_add_u32 s39, s7, 2
	s_addc_u32 s40, s19, 0
	s_cmp_lg_u32 s36, 0
	s_cselect_b32 s36, s39, s37
	s_cselect_b32 s37, s40, s38
	s_cmp_lg_u64 s[34:35], 0
	s_subb_u32 s29, s29, s33
	s_cmp_ge_u32 s29, s15
	s_cselect_b32 s33, -1, 0
	s_cmp_ge_u32 s28, s14
	s_cselect_b32 s14, -1, 0
	s_cmp_eq_u32 s29, s15
	s_cselect_b32 s14, s14, s33
	s_cmp_lg_u32 s14, 0
	s_cselect_b32 s15, s37, s19
	s_cselect_b32 s14, s36, s7
	s_xor_b64 s[12:13], s[22:23], s[12:13]
	s_xor_b64 s[14:15], s[14:15], s[12:13]
	s_sub_u32 s12, s14, s12
	v_readlane_b32 s22, v57, 4
	s_subb_u32 s13, s15, s13
	v_readlane_b32 s23, v57, 5
	v_writelane_b32 v57, s12, 10
	v_writelane_b32 v57, s13, 11
	s_branch .LBB14_17
.LBB14_15:
                                        ; implicit-def: $sgpr22_sgpr23
	s_branch .LBB14_12
.LBB14_16:
	s_mov_b64 s[0:1], -1
                                        ; implicit-def: $sgpr12_sgpr13
                                        ; kill: killed $sgpr12_sgpr13
.LBB14_17:
	s_load_dwordx4 s[12:15], s[4:5], 0x370
	s_andn2_b64 vcc, exec, s[0:1]
	s_waitcnt lgkmcnt(0)
	v_writelane_b32 v57, s12, 6
	v_writelane_b32 v57, s13, 7
	;; [unrolled: 1-line block ×4, first 2 shown]
	s_cbranch_vccnz .LBB14_19
; %bb.18:
	s_load_dwordx4 s[12:15], s[4:5], 0x1d0
	s_waitcnt lgkmcnt(0)
	s_mov_b64 s[38:39], s[14:15]
	s_mov_b64 s[36:37], s[12:13]
	v_cvt_f32_u32_e32 v1, s36
	s_sub_i32 s0, 0, s36
	s_mov_b32 s13, 0
	v_rcp_iflag_f32_e32 v1, v1
	v_mul_f32_e32 v1, 0x4f7ffffe, v1
	v_cvt_u32_f32_e32 v1, v1
	v_readfirstlane_b32 s1, v1
	s_mul_i32 s0, s0, s1
	s_mul_hi_u32 s0, s1, s0
	s_add_i32 s1, s1, s0
	s_mul_hi_u32 s0, s22, s1
	s_mul_i32 s7, s0, s36
	s_sub_i32 s7, s22, s7
	s_add_i32 s1, s0, 1
	s_sub_i32 s12, s7, s36
	s_cmp_ge_u32 s7, s36
	s_cselect_b32 s0, s1, s0
	s_cselect_b32 s7, s12, s7
	s_add_i32 s1, s0, 1
	s_cmp_ge_u32 s7, s36
	s_cselect_b32 s12, s1, s0
	v_writelane_b32 v57, s12, 10
	v_writelane_b32 v57, s13, 11
.LBB14_19:
	s_load_dwordx4 s[12:15], s[4:5], 0x370
	s_mov_b32 s0, 0
	s_waitcnt lgkmcnt(0)
	s_mov_b32 s1, s15
	s_cmp_lg_u64 s[0:1], 0
	s_cbranch_scc0 .LBB14_24
; %bb.20:
	s_ashr_i32 s0, s15, 31
	s_add_u32 s12, s14, s0
	s_mov_b32 s1, s0
	s_addc_u32 s13, s15, s0
	s_xor_b64 s[14:15], s[12:13], s[0:1]
	v_cvt_f32_u32_e32 v1, s14
	v_cvt_f32_u32_e32 v2, s15
	s_sub_u32 s7, 0, s14
	s_subb_u32 s19, 0, s15
	v_madmk_f32 v1, v2, 0x4f800000, v1
	v_rcp_f32_e32 v1, v1
	v_mul_f32_e32 v1, 0x5f7ffffc, v1
	v_mul_f32_e32 v2, 0x2f800000, v1
	v_trunc_f32_e32 v2, v2
	v_madmk_f32 v1, v2, 0xcf800000, v1
	v_cvt_u32_f32_e32 v2, v2
	v_cvt_u32_f32_e32 v1, v1
	v_readfirstlane_b32 s28, v2
	v_readfirstlane_b32 s22, v1
	s_mul_i32 s23, s7, s28
	s_mul_hi_u32 s33, s7, s22
	s_mul_i32 s29, s19, s22
	s_add_i32 s23, s33, s23
	s_add_i32 s23, s23, s29
	s_mul_i32 s34, s7, s22
	s_mul_i32 s33, s22, s23
	s_mul_hi_u32 s35, s22, s34
	s_mul_hi_u32 s29, s22, s23
	s_add_u32 s33, s35, s33
	s_addc_u32 s29, 0, s29
	s_mul_hi_u32 s36, s28, s34
	s_mul_i32 s34, s28, s34
	s_add_u32 s33, s33, s34
	s_mul_hi_u32 s35, s28, s23
	s_addc_u32 s29, s29, s36
	s_addc_u32 s33, s35, 0
	s_mul_i32 s23, s28, s23
	s_add_u32 s23, s29, s23
	s_addc_u32 s29, 0, s33
	s_add_u32 s33, s22, s23
	s_cselect_b64 s[22:23], -1, 0
	s_cmp_lg_u64 s[22:23], 0
	s_addc_u32 s28, s28, s29
	s_mul_i32 s22, s7, s28
	s_mul_hi_u32 s23, s7, s33
	s_add_i32 s22, s23, s22
	s_mul_i32 s19, s19, s33
	s_add_i32 s22, s22, s19
	s_mul_i32 s7, s7, s33
	s_mul_hi_u32 s23, s28, s7
	s_mul_i32 s29, s28, s7
	s_mul_i32 s35, s33, s22
	s_mul_hi_u32 s7, s33, s7
	s_mul_hi_u32 s34, s33, s22
	s_add_u32 s7, s7, s35
	s_addc_u32 s34, 0, s34
	s_add_u32 s7, s7, s29
	s_mul_hi_u32 s19, s28, s22
	s_addc_u32 s7, s34, s23
	s_addc_u32 s19, s19, 0
	s_mul_i32 s22, s28, s22
	s_add_u32 s7, s7, s22
	s_addc_u32 s19, 0, s19
	s_add_u32 s7, s33, s7
	s_cselect_b64 s[22:23], -1, 0
	s_cmp_lg_u64 s[22:23], 0
	s_addc_u32 s19, s28, s19
	s_add_u32 s22, s48, 0
	s_addc_u32 s23, 0, 0
	s_xor_b64 s[22:23], s[22:23], 0
	s_mul_i32 s29, s22, s19
	s_mul_hi_u32 s33, s22, s7
	s_mul_hi_u32 s28, s22, s19
	s_add_u32 s29, s33, s29
	s_addc_u32 s28, 0, s28
	s_mul_hi_u32 s34, s23, s7
	s_mul_i32 s7, s23, s7
	s_add_u32 s7, s29, s7
	s_mul_hi_u32 s33, s23, s19
	s_addc_u32 s7, s28, s34
	s_addc_u32 s28, s33, 0
	s_mul_i32 s19, s23, s19
	s_add_u32 s7, s7, s19
	s_addc_u32 s19, 0, s28
	s_mul_i32 s28, s14, s19
	s_mul_hi_u32 s29, s14, s7
	s_add_i32 s28, s29, s28
	s_mul_i32 s29, s15, s7
	s_add_i32 s33, s28, s29
	s_sub_i32 s34, s23, s33
	s_mul_i32 s28, s14, s7
	s_sub_u32 s22, s22, s28
	s_cselect_b64 s[28:29], -1, 0
	s_cmp_lg_u64 s[28:29], 0
	s_subb_u32 s36, s34, s15
	s_sub_u32 s37, s22, s14
	s_cselect_b64 s[34:35], -1, 0
	s_cmp_lg_u64 s[34:35], 0
	s_subb_u32 s34, s36, 0
	s_cmp_ge_u32 s34, s15
	s_cselect_b32 s35, -1, 0
	s_cmp_ge_u32 s37, s14
	s_cselect_b32 s36, -1, 0
	s_cmp_eq_u32 s34, s15
	s_cselect_b32 s34, s36, s35
	s_add_u32 s35, s7, 1
	s_addc_u32 s36, s19, 0
	s_add_u32 s37, s7, 2
	s_addc_u32 s38, s19, 0
	s_cmp_lg_u32 s34, 0
	s_cselect_b32 s34, s37, s35
	s_cselect_b32 s35, s38, s36
	s_cmp_lg_u64 s[28:29], 0
	s_subb_u32 s23, s23, s33
	s_cmp_ge_u32 s23, s15
	s_cselect_b32 s28, -1, 0
	s_cmp_ge_u32 s22, s14
	s_cselect_b32 s14, -1, 0
	s_cmp_eq_u32 s23, s15
	s_cselect_b32 s14, s14, s28
	s_cmp_lg_u32 s14, 0
	s_cselect_b32 s15, s35, s19
	s_cselect_b32 s14, s34, s7
	s_xor_b64 s[0:1], 0, s[0:1]
	s_xor_b64 s[14:15], s[14:15], s[0:1]
	s_sub_u32 s42, s14, s0
	s_subb_u32 s43, s15, s1
	s_cbranch_execnz .LBB14_22
.LBB14_21:
	s_load_dwordx4 s[12:15], s[4:5], 0x370
	s_mov_b32 s43, 0
	s_waitcnt lgkmcnt(0)
	v_cvt_f32_u32_e32 v1, s14
	s_sub_i32 s0, 0, s14
	v_rcp_iflag_f32_e32 v1, v1
	v_mul_f32_e32 v1, 0x4f7ffffe, v1
	v_cvt_u32_f32_e32 v1, v1
	v_readfirstlane_b32 s1, v1
	s_mul_i32 s0, s0, s1
	s_mul_hi_u32 s0, s1, s0
	s_add_i32 s1, s1, s0
	s_mul_hi_u32 s0, s48, s1
	s_mul_i32 s7, s0, s14
	s_sub_i32 s7, s48, s7
	s_add_i32 s1, s0, 1
	s_sub_i32 s12, s7, s14
	s_cmp_ge_u32 s7, s14
	s_cselect_b32 s0, s1, s0
	s_cselect_b32 s7, s12, s7
	s_add_i32 s1, s0, 1
	s_cmp_ge_u32 s7, s14
	s_cselect_b32 s42, s1, s0
.LBB14_22:
	s_load_dwordx2 s[28:29], s[4:5], 0xe0
	s_load_dwordx4 s[12:15], s[4:5], 0xd0
	s_load_dwordx4 s[36:39], s[4:5], 0x370
	s_waitcnt lgkmcnt(0)
	s_or_b64 s[0:1], s[42:43], s[36:37]
	s_mov_b32 s0, 0
	s_cmp_lg_u64 s[0:1], 0
	v_writelane_b32 v57, s42, 12
	v_writelane_b32 v57, s43, 13
	s_cbranch_scc0 .LBB14_25
; %bb.23:
	s_ashr_i32 s34, s37, 31
	s_add_u32 s0, s36, s34
	s_mov_b32 s35, s34
	s_addc_u32 s1, s37, s34
	s_xor_b64 s[44:45], s[0:1], s[34:35]
	v_cvt_f32_u32_e32 v1, s44
	v_cvt_f32_u32_e32 v2, s45
	s_sub_u32 s7, 0, s44
	s_subb_u32 s19, 0, s45
	s_mov_b64 s[0:1], 0
	v_madmk_f32 v1, v2, 0x4f800000, v1
	v_rcp_f32_e32 v1, v1
	v_mul_f32_e32 v1, 0x5f7ffffc, v1
	v_mul_f32_e32 v2, 0x2f800000, v1
	v_trunc_f32_e32 v2, v2
	v_madmk_f32 v1, v2, 0xcf800000, v1
	v_cvt_u32_f32_e32 v2, v2
	v_cvt_u32_f32_e32 v1, v1
	v_readfirstlane_b32 s33, v2
	v_readfirstlane_b32 s22, v1
	s_mul_i32 s23, s7, s33
	s_mul_hi_u32 s37, s7, s22
	s_mul_i32 s36, s19, s22
	s_add_i32 s23, s37, s23
	s_add_i32 s23, s23, s36
	s_mul_i32 s38, s7, s22
	s_mul_i32 s37, s22, s23
	s_mul_hi_u32 s39, s22, s38
	s_mul_hi_u32 s36, s22, s23
	s_add_u32 s37, s39, s37
	s_addc_u32 s36, 0, s36
	s_mul_hi_u32 s40, s33, s38
	s_mul_i32 s38, s33, s38
	s_add_u32 s37, s37, s38
	s_mul_hi_u32 s39, s33, s23
	s_addc_u32 s36, s36, s40
	s_addc_u32 s37, s39, 0
	s_mul_i32 s23, s33, s23
	s_add_u32 s23, s36, s23
	s_addc_u32 s36, 0, s37
	s_add_u32 s37, s22, s23
	s_cselect_b64 s[22:23], -1, 0
	s_cmp_lg_u64 s[22:23], 0
	s_addc_u32 s33, s33, s36
	s_mul_i32 s22, s7, s33
	s_mul_hi_u32 s23, s7, s37
	s_add_i32 s22, s23, s22
	s_mul_i32 s19, s19, s37
	s_add_i32 s22, s22, s19
	s_mul_i32 s7, s7, s37
	s_mul_hi_u32 s23, s33, s7
	s_mul_i32 s36, s33, s7
	s_mul_i32 s39, s37, s22
	s_mul_hi_u32 s7, s37, s7
	s_mul_hi_u32 s38, s37, s22
	s_add_u32 s7, s7, s39
	s_addc_u32 s38, 0, s38
	s_add_u32 s7, s7, s36
	s_mul_hi_u32 s19, s33, s22
	s_addc_u32 s7, s38, s23
	s_addc_u32 s19, s19, 0
	s_mul_i32 s22, s33, s22
	s_add_u32 s7, s7, s22
	s_addc_u32 s19, 0, s19
	s_add_u32 s7, s37, s7
	s_cselect_b64 s[22:23], -1, 0
	s_cmp_lg_u64 s[22:23], 0
	s_addc_u32 s19, s33, s19
	s_ashr_i32 s22, s43, 31
	s_add_u32 s36, s42, s22
	s_mov_b32 s23, s22
	s_addc_u32 s37, s43, s22
	s_xor_b64 s[36:37], s[36:37], s[22:23]
	s_mul_i32 s38, s36, s19
	s_mul_hi_u32 s39, s36, s7
	s_mul_hi_u32 s33, s36, s19
	s_add_u32 s38, s39, s38
	s_addc_u32 s33, 0, s33
	s_mul_hi_u32 s40, s37, s7
	s_mul_i32 s7, s37, s7
	s_add_u32 s7, s38, s7
	s_mul_hi_u32 s39, s37, s19
	s_addc_u32 s7, s33, s40
	s_addc_u32 s33, s39, 0
	s_mul_i32 s19, s37, s19
	s_add_u32 s7, s7, s19
	s_addc_u32 s19, 0, s33
	s_mul_i32 s33, s44, s19
	s_mul_hi_u32 s38, s44, s7
	s_add_i32 s33, s38, s33
	s_mul_i32 s38, s45, s7
	s_add_i32 s33, s33, s38
	s_sub_i32 s40, s37, s33
	s_mul_i32 s38, s44, s7
	s_sub_u32 s36, s36, s38
	s_cselect_b64 s[38:39], -1, 0
	s_cmp_lg_u64 s[38:39], 0
	s_subb_u32 s42, s40, s45
	s_sub_u32 s43, s36, s44
	s_cselect_b64 s[40:41], -1, 0
	s_cmp_lg_u64 s[40:41], 0
	s_subb_u32 s40, s42, 0
	s_cmp_ge_u32 s40, s45
	s_cselect_b32 s41, -1, 0
	s_cmp_ge_u32 s43, s44
	s_cselect_b32 s42, -1, 0
	s_cmp_eq_u32 s40, s45
	s_cselect_b32 s40, s42, s41
	s_add_u32 s41, s7, 1
	s_addc_u32 s42, s19, 0
	s_add_u32 s43, s7, 2
	s_addc_u32 s46, s19, 0
	s_cmp_lg_u32 s40, 0
	s_cselect_b32 s40, s43, s41
	s_cselect_b32 s41, s46, s42
	s_cmp_lg_u64 s[38:39], 0
	s_subb_u32 s33, s37, s33
	s_cmp_ge_u32 s33, s45
	s_cselect_b32 s37, -1, 0
	s_cmp_ge_u32 s36, s44
	s_cselect_b32 s36, -1, 0
	s_cmp_eq_u32 s33, s45
	s_cselect_b32 s33, s36, s37
	s_cmp_lg_u32 s33, 0
	s_cselect_b32 s37, s41, s19
	s_cselect_b32 s36, s40, s7
	s_xor_b64 s[22:23], s[22:23], s[34:35]
	s_xor_b64 s[34:35], s[36:37], s[22:23]
	s_sub_u32 s22, s34, s22
	s_subb_u32 s23, s35, s23
	v_writelane_b32 v57, s22, 26
	v_writelane_b32 v57, s23, 27
	s_branch .LBB14_26
.LBB14_24:
                                        ; implicit-def: $sgpr42_sgpr43
	s_branch .LBB14_21
.LBB14_25:
	s_mov_b64 s[0:1], -1
                                        ; implicit-def: $sgpr22_sgpr23
                                        ; kill: killed $sgpr22_sgpr23
.LBB14_26:
	s_load_dwordx2 s[22:23], s[4:5], 0x440
	s_load_dwordx4 s[36:39], s[4:5], 0x430
	s_andn2_b64 vcc, exec, s[0:1]
	s_load_dwordx2 s[34:35], s[4:5], 0x0
	s_waitcnt lgkmcnt(0)
	v_writelane_b32 v57, s22, 14
	v_writelane_b32 v57, s23, 15
	s_load_dwordx2 s[22:23], s[4:5], 0x2a0
	v_writelane_b32 v57, s36, 16
	v_writelane_b32 v57, s37, 17
	;; [unrolled: 1-line block ×4, first 2 shown]
	s_load_dwordx4 s[36:39], s[4:5], 0x290
	s_waitcnt lgkmcnt(0)
	v_writelane_b32 v57, s22, 20
	v_writelane_b32 v57, s23, 21
	;; [unrolled: 1-line block ×6, first 2 shown]
	s_cbranch_vccnz .LBB14_28
; %bb.27:
	s_load_dwordx4 s[36:39], s[4:5], 0x370
	v_readlane_b32 s22, v57, 12
	s_waitcnt lgkmcnt(0)
	s_mov_b32 s37, 0
	v_readlane_b32 s23, v57, 13
	v_cvt_f32_u32_e32 v1, s36
	s_sub_i32 s0, 0, s36
	v_rcp_iflag_f32_e32 v1, v1
	v_mul_f32_e32 v1, 0x4f7ffffe, v1
	v_cvt_u32_f32_e32 v1, v1
	v_readfirstlane_b32 s1, v1
	s_mul_i32 s0, s0, s1
	s_mul_hi_u32 s0, s1, s0
	s_add_i32 s1, s1, s0
	s_mul_hi_u32 s0, s22, s1
	s_mul_i32 s7, s0, s36
	s_sub_i32 s7, s22, s7
	s_add_i32 s1, s0, 1
	s_sub_i32 s19, s7, s36
	s_cmp_ge_u32 s7, s36
	s_cselect_b32 s0, s1, s0
	s_cselect_b32 s7, s19, s7
	s_add_i32 s1, s0, 1
	s_cmp_ge_u32 s7, s36
	s_cselect_b32 s36, s1, s0
	v_writelane_b32 v57, s36, 26
	v_writelane_b32 v57, s37, 27
.LBB14_28:
	s_load_dwordx2 s[0:1], s[4:5], 0x360
	s_mov_b32 s65, 0
	s_waitcnt lgkmcnt(0)
	v_writelane_b32 v57, s0, 28
	v_writelane_b32 v57, s1, 29
	s_load_dwordx2 s[0:1], s[4:5], 0x1c0
	s_waitcnt lgkmcnt(0)
	v_writelane_b32 v57, s0, 30
	v_writelane_b32 v57, s1, 31
	v_cmp_eq_u32_e64 s[0:1], 0, v0
	s_mov_b64 s[4:5], exec
	v_writelane_b32 v57, s0, 32
	v_writelane_b32 v57, s1, 33
	s_and_b64 s[0:1], s[4:5], s[0:1]
	s_mov_b64 exec, s[0:1]
	s_cbranch_execz .LBB14_30
; %bb.29:
	v_mov_b32_e32 v1, 0
	v_mov_b32_e32 v3, s24
	;; [unrolled: 1-line block ×4, first 2 shown]
	ds_write_b32 v1, v1 offset:5136
	ds_write_b128 v1, v[1:4] offset:5120
.LBB14_30:
	s_or_b64 exec, exec, s[4:5]
	s_mul_i32 s0, s20, s9
	s_mul_hi_u32 s1, s20, s8
	s_add_i32 s0, s1, s0
	s_mul_i32 s1, s21, s8
	s_add_i32 s0, s0, s1
	s_mul_i32 s1, s20, s8
	s_sub_u32 s1, s2, s1
	s_subb_u32 s0, s3, s0
	s_mul_i32 s4, s1, s15
	s_mul_hi_u32 s5, s1, s14
	s_add_i32 s4, s5, s4
	s_mul_i32 s0, s0, s14
	s_add_i32 s4, s4, s0
	s_mul_i32 s5, s1, s14
	s_mul_i32 s0, s20, s13
	s_mul_hi_u32 s1, s20, s12
	s_add_i32 s0, s1, s0
	s_mul_i32 s1, s21, s12
	s_add_i32 s7, s0, s1
	s_mul_i32 s0, s2, s11
	s_mul_hi_u32 s1, s2, s10
	s_add_i32 s0, s1, s0
	s_mul_i32 s1, s3, s10
	s_add_i32 s0, s0, s1
	s_mul_i32 s1, s2, s10
	s_mov_b32 s2, s48
	v_writelane_b32 v57, s2, 34
	s_sub_u32 s1, s48, s1
	v_writelane_b32 v57, s3, 35
	s_subb_u32 s0, 0, s0
	s_mul_i32 s2, s1, s29
	s_mul_hi_u32 s3, s1, s28
	s_add_i32 s2, s3, s2
	s_mul_i32 s0, s0, s28
	s_mul_i32 s8, s20, s12
	s_add_i32 s9, s2, s0
	s_add_u32 s0, s34, s8
	s_mul_i32 s10, s1, s28
	s_addc_u32 s1, s35, s7
	s_add_u32 s0, s0, s5
	s_addc_u32 s1, s1, s4
	s_add_u32 s66, s0, s10
	s_addc_u32 s67, s1, s9
	v_mad_u64_u32 v[4:5], s[0:1], s30, v0, 0
	v_mbcnt_lo_u32_b32 v1, -1, 0
	v_mbcnt_hi_u32_b32 v32, -1, v1
	v_mov_b32_e32 v1, v5
	v_mov_b32_e32 v5, 0xc00
	v_mad_u64_u32 v[1:2], s[0:1], s31, v0, v[1:2]
	v_mov_b32_e32 v6, 0
	v_cmp_gt_i64_e64 s[0:1], s[24:25], v[5:6]
	s_waitcnt lgkmcnt(0)
	v_writelane_b32 v57, s0, 36
	s_barrier
	v_writelane_b32 v57, s1, 37
	s_load_dword s0, s[16:17], 0xc
	v_cmp_gt_u32_e32 vcc, 64, v0
	v_cmp_gt_i32_e64 s[2:3], 4, v32
	s_and_b64 s[68:69], vcc, s[2:3]
	v_mov_b32_e32 v2, s67
	v_add_co_u32_e32 v14, vcc, s66, v4
	v_mov_b32_e32 v3, 0
	v_addc_co_u32_e32 v15, vcc, v2, v1, vcc
	s_waitcnt lgkmcnt(0)
	s_and_b32 s23, s0, 0xffff
	s_bfe_u32 s0, s0, 0xa0006
	v_add_u32_e32 v2, 2, v0
	s_cmp_gt_u32 s23, 63
	v_cmp_gt_i64_e32 vcc, s[24:25], v[2:3]
	s_cselect_b64 s[2:3], -1, 0
	v_mov_b32_e32 v6, s25
	v_writelane_b32 v57, s2, 38
	s_add_u32 s1, s23, -1
	v_cndmask_b32_e32 v7, 0, v6, vcc
	v_mov_b32_e32 v6, s24
	v_writelane_b32 v57, s3, 39
	s_addc_u32 s2, 0, -1
	v_cndmask_b32_e32 v2, v2, v6, vcc
	v_not_b32_e32 v6, v0
	v_writelane_b32 v57, s1, 40
	s_add_u32 s1, s1, s24
	v_add_co_u32_e32 v6, vcc, v2, v6
	v_writelane_b32 v57, s1, 41
	v_addc_co_u32_e32 v7, vcc, -1, v7, vcc
	v_writelane_b32 v57, s2, 42
	s_addc_u32 s73, s2, s25
	v_cmp_lt_u64_e64 s[2:3], 3, v[6:7]
	s_cmp_lt_u32 s6, s18
	v_writelane_b32 v57, s2, 43
	v_and_b32_e32 v18, -4, v6
	v_mov_b32_e32 v19, v7
	s_cselect_b32 s1, 12, 18
	v_writelane_b32 v57, s3, 44
	v_cmp_ne_u64_e64 s[2:3], v[6:7], v[18:19]
	s_add_u32 s74, s16, s1
	s_addc_u32 s75, s17, 0
	v_writelane_b32 v57, s2, 45
	s_add_i32 s1, s0, -1
	v_writelane_b32 v57, s3, 46
	s_bfe_u32 s2, s23, 0x30006
	s_and_b32 s1, s1, 0xffff
	s_cmp_gt_u32 s1, 6
	s_cselect_b64 s[12:13], -1, 0
	v_writelane_b32 v57, s12, 47
	s_and_b32 s22, s0, 0x3f8
	v_writelane_b32 v57, s13, 48
	s_cmp_lg_u32 s2, 0
	v_writelane_b32 v57, s2, 49
	s_cselect_b64 s[0:1], -1, 0
	v_writelane_b32 v57, s0, 50
	v_lshlrev_b32_e32 v16, 2, v0
	v_writelane_b32 v57, s1, 51
	s_add_u32 s0, s8, s10
	s_addc_u32 s2, s7, s9
	v_or_b32_e32 v6, 3, v16
	s_add_u32 s3, s0, s5
	v_mad_u64_u32 v[20:21], s[0:1], s30, v6, 0
	s_addc_u32 s0, s2, s4
	s_add_u32 s2, s34, s3
	v_or_b32_e32 v11, 2, v16
	s_addc_u32 s3, s35, s0
	v_mov_b32_e32 v2, v21
	v_mad_u64_u32 v[21:22], s[0:1], s30, v11, 0
	v_mov_b32_e32 v9, s30
	v_mad_u64_u32 v[6:7], s[0:1], s31, v6, v[2:3]
	v_mov_b32_e32 v2, s3
	v_writelane_b32 v57, s2, 52
	v_add_co_u32_e32 v12, vcc, s2, v4
	v_mov_b32_e32 v10, s31
	v_mov_b32_e32 v5, v1
	v_addc_co_u32_e32 v13, vcc, v2, v1, vcc
	v_mov_b32_e32 v1, v22
	v_mad_u64_u32 v[22:23], s[0:1], s30, v16, v[9:10]
	v_lshlrev_b64 v[7:8], v32, -1
	v_mad_u64_u32 v[1:2], s[0:1], s31, v11, v[1:2]
	v_mov_b32_e32 v2, v23
	v_not_b32_e32 v33, v8
	v_mad_u64_u32 v[8:9], s[0:1], s31, v16, v[2:3]
	v_writelane_b32 v57, s3, 53
	v_cmp_gt_u32_e64 s[0:1], 2, v0
	v_lshlrev_b32_e32 v2, 2, v32
	v_mov_b32_e32 v36, v1
	v_writelane_b32 v57, s0, 54
	v_mov_b32_e32 v1, v3
	v_and_b32_e32 v38, 0x100, v2
	v_lshrrev_b32_e32 v2, 1, v0
	v_writelane_b32 v57, s1, 55
	v_cmp_gt_i64_e64 s[0:1], s[24:25], v[0:1]
	v_and_b32_e32 v2, 0x1e0, v2
	v_or_b32_e32 v39, 0xc00, v2
	v_mov_b32_e32 v2, s25
	v_add_co_u32_e32 v40, vcc, s24, v0
	v_writelane_b32 v57, s0, 56
	v_lshlrev_b64 v[23:24], 2, v[4:5]
	v_addc_co_u32_e32 v41, vcc, 0, v2, vcc
	v_mov_b32_e32 v2, 0xc00
	s_mul_i32 s4, s31, s23
	s_mul_hi_u32 s5, s30, s23
	v_mov_b32_e32 v26, s26
	v_not_b32_e32 v34, v7
	v_mov_b32_e32 v35, v6
	v_mov_b32_e32 v37, v8
	v_cmp_eq_u32_e64 s[10:11], 0, v32
	v_writelane_b32 v57, s1, 57
	v_mov_b32_e32 v17, v3
	s_mov_b32 s0, s30
	s_mov_b32 s1, s31
	s_mov_b32 s2, s30
	s_mov_b32 s3, s31
	s_mov_b32 s70, s30
	s_mov_b32 s71, s31
	s_mov_b32 s80, s30
	s_mov_b32 s81, s31
	s_mov_b32 s12, 6
	s_lshl_b64 s[82:83], s[30:31], 2
	v_lshl_or_b32 v42, v32, 3, v2
	s_add_i32 s33, s5, s4
	s_mul_i32 s42, s30, s23
	s_mov_b64 s[84:85], 0
	s_movk_i32 s13, 0x80
	s_mov_b32 s78, 0xc0c0004
	s_mov_b32 s79, 0
	v_mov_b32_e32 v44, 8
	v_mov_b32_e32 v46, 0
	;; [unrolled: 1-line block ×4, first 2 shown]
	v_add_co_u32_e32 v25, vcc, v18, v0
	v_mov_b32_e32 v27, s27
                                        ; implicit-def: $sgpr86_sgpr87
                                        ; implicit-def: $sgpr90_sgpr91
                                        ; implicit-def: $sgpr88_sgpr89
                                        ; implicit-def: $sgpr94_sgpr95
                                        ; implicit-def: $sgpr58_sgpr59
                                        ; implicit-def: $sgpr92_sgpr93
	s_branch .LBB14_34
.LBB14_31:                              ;   in Loop: Header=BB14_34 Depth=1
	s_or_b64 exec, exec, s[16:17]
	s_and_b64 s[6:7], s[6:7], exec
	s_andn2_b64 s[56:57], s[56:57], exec
	s_andn2_b64 s[14:15], s[14:15], exec
	s_orn2_b64 s[20:21], s[8:9], exec
.LBB14_32:                              ;   in Loop: Header=BB14_34 Depth=1
	s_or_b64 exec, exec, s[4:5]
	s_andn2_b64 s[4:5], s[92:93], exec
	s_and_b64 s[6:7], s[6:7], exec
	s_or_b64 s[92:93], s[4:5], s[6:7]
	s_andn2_b64 s[4:5], s[58:59], exec
	s_and_b64 s[6:7], s[56:57], exec
	s_or_b64 s[58:59], s[4:5], s[6:7]
	;; [unrolled: 3-line block ×3, first 2 shown]
	s_orn2_b64 s[4:5], s[20:21], exec
.LBB14_33:                              ;   in Loop: Header=BB14_34 Depth=1
	s_or_b64 exec, exec, s[18:19]
	s_and_b64 s[4:5], exec, s[4:5]
	s_or_b64 s[84:85], s[4:5], s[84:85]
	s_andn2_b64 s[4:5], s[88:89], exec
	s_and_b64 s[6:7], s[92:93], exec
	s_or_b64 s[88:89], s[4:5], s[6:7]
	s_andn2_b64 s[4:5], s[90:91], exec
	s_and_b64 s[6:7], s[58:59], exec
	s_or_b64 s[90:91], s[4:5], s[6:7]
	s_andn2_b64 s[4:5], s[86:87], exec
	s_and_b64 s[6:7], s[94:95], exec
	v_mov_b32_e32 v27, v9
	s_or_b64 s[86:87], s[4:5], s[6:7]
	v_mov_b32_e32 v26, v8
	s_andn2_b64 exec, exec, s[84:85]
	s_cbranch_execz .LBB14_297
.LBB14_34:                              ; =>This Loop Header: Depth=1
                                        ;     Child Loop BB14_39 Depth 2
                                        ;     Child Loop BB14_53 Depth 2
	;; [unrolled: 1-line block ×17, first 2 shown]
	ds_read_b128 v[4:7], v3 offset:5120
	s_waitcnt lgkmcnt(0)
	v_readfirstlane_b32 s27, v5
	v_readfirstlane_b32 s26, v4
	v_cmp_gt_i64_e64 s[4:5], s[26:27], 0
	s_and_b64 vcc, exec, s[4:5]
	s_cbranch_vccnz .LBB14_66
; %bb.35:                               ;   in Loop: Header=BB14_34 Depth=1
	v_readlane_b32 s4, v57, 36
	v_readlane_b32 s5, v57, 37
	s_and_b64 vcc, exec, s[4:5]
	s_cbranch_vccz .LBB14_47
; %bb.36:                               ;   in Loop: Header=BB14_34 Depth=1
	s_mov_b64 s[4:5], 0xc01
	v_cmp_gt_i64_e32 vcc, s[4:5], v[6:7]
	s_mov_b64 s[4:5], 0
	s_mov_b64 s[6:7], 0
	s_cbranch_vccz .LBB14_48
; %bb.37:                               ;   in Loop: Header=BB14_34 Depth=1
	global_load_ubyte v8, v[14:15], off
	global_load_ushort v6, v3, s[74:75]
	s_waitcnt vmcnt(0)
	v_and_b32_e32 v2, 0xffff, v6
	v_add_co_u32_e32 v7, vcc, v0, v2
	v_addc_co_u32_e64 v4, s[6:7], 0, 0, vcc
	v_readlane_b32 s6, v57, 52
	v_mul_lo_u32 v9, s30, v4
	v_readlane_b32 s7, v57, 53
	v_mov_b32_e32 v4, s6
	v_mov_b32_e32 v5, s7
	v_mul_lo_u32 v10, s31, v7
	v_mad_u64_u32 v[4:5], s[6:7], s30, v7, v[4:5]
	v_readfirstlane_b32 s6, v6
	s_and_b32 s6, 0xffff, s6
	s_mul_i32 s7, s31, s6
	s_mul_hi_u32 s8, s30, s6
	v_mov_b32_e32 v7, v1
	v_add3_u32 v5, v10, v5, v9
	s_add_i32 s27, s8, s7
	s_mul_i32 s28, s30, s6
	s_mov_b64 s[6:7], 0
	v_mov_b32_e32 v6, v0
	s_branch .LBB14_39
.LBB14_38:                              ;   in Loop: Header=BB14_39 Depth=2
	s_or_b64 exec, exec, s[8:9]
	v_mov_b32_e32 v8, s27
	v_add_co_u32_e32 v4, vcc, s28, v4
	v_addc_co_u32_e32 v5, vcc, v5, v8, vcc
	s_waitcnt vmcnt(0)
	v_mov_b32_e32 v8, v9
	s_andn2_b64 exec, exec, s[6:7]
	s_cbranch_execz .LBB14_100
.LBB14_39:                              ;   Parent Loop BB14_34 Depth=1
                                        ; =>  This Inner Loop Header: Depth=2
	v_add_co_u32_e32 v6, vcc, v6, v2
	v_addc_co_u32_e32 v7, vcc, 0, v7, vcc
	v_cmp_gt_i64_e64 s[14:15], s[24:25], v[6:7]
	v_cmp_le_i64_e32 vcc, s[24:25], v[6:7]
	s_waitcnt lgkmcnt(0)
	v_mov_b32_e32 v10, 0
	v_mov_b32_e32 v9, 0
	s_and_saveexec_b64 s[8:9], s[14:15]
	s_cbranch_execz .LBB14_41
; %bb.40:                               ;   in Loop: Header=BB14_39 Depth=2
	global_load_ubyte v9, v[4:5], off
.LBB14_41:                              ;   in Loop: Header=BB14_39 Depth=2
	s_or_b64 exec, exec, s[8:9]
	v_add_u32_sdwa v11, sext(v8), s13 dst_sel:DWORD dst_unused:UNUSED_PAD src0_sel:BYTE_0 src1_sel:DWORD
	v_and_b32_e32 v11, v11, v45
	v_cmp_eq_u32_e64 s[14:15], v11, v43
	s_cmp_lg_u64 s[14:15], 0
	s_cselect_b64 s[8:9], -1, 0
	s_and_b64 s[16:17], s[10:11], s[8:9]
	s_and_saveexec_b64 s[8:9], s[16:17]
	s_cbranch_execz .LBB14_45
; %bb.42:                               ;   in Loop: Header=BB14_39 Depth=2
	s_mov_b64 s[20:21], exec
	v_mbcnt_lo_u32_b32 v10, s20, 0
	v_mbcnt_hi_u32_b32 v10, s21, v10
	s_bcnt1_i32_b64 s29, s[14:15]
	v_cmp_eq_u32_e64 s[16:17], 0, v10
                                        ; implicit-def: $vgpr11
	s_and_saveexec_b64 s[18:19], s[16:17]
; %bb.43:                               ;   in Loop: Header=BB14_39 Depth=2
	s_bcnt1_i32_b64 s16, s[20:21]
	s_mul_i32 s16, s29, s16
	v_mov_b32_e32 v11, s16
	ds_add_rtn_u32 v11, v3, v11 offset:5136
; %bb.44:                               ;   in Loop: Header=BB14_39 Depth=2
	s_or_b64 exec, exec, s[18:19]
	s_waitcnt lgkmcnt(0)
	v_readfirstlane_b32 s16, v11
	v_mov_b32_e32 v11, s16
	v_mad_u32_u24 v10, s29, v10, v11
.LBB14_45:                              ;   in Loop: Header=BB14_39 Depth=2
	s_or_b64 exec, exec, s[8:9]
	ds_bpermute_b32 v10, v38, v10
	s_and_b64 s[8:9], exec, vcc
	s_or_b64 s[6:7], s[8:9], s[6:7]
	s_and_saveexec_b64 s[8:9], s[14:15]
	s_cbranch_execz .LBB14_38
; %bb.46:                               ;   in Loop: Header=BB14_39 Depth=2
	v_and_b32_e32 v28, s14, v34
	v_and_b32_e32 v11, s15, v33
	v_bcnt_u32_b32 v28, v28, 0
	v_bcnt_u32_b32 v11, v11, v28
	s_waitcnt lgkmcnt(0)
	v_add_u32_e32 v10, v10, v11
	ds_write_b8 v10, v8
	s_branch .LBB14_38
.LBB14_47:                              ;   in Loop: Header=BB14_34 Depth=1
	s_mov_b64 s[4:5], -1
	s_mov_b64 s[6:7], 0
.LBB14_48:                              ;   in Loop: Header=BB14_34 Depth=1
	s_and_b64 vcc, exec, s[4:5]
	s_cbranch_vccz .LBB14_64
.LBB14_49:                              ;   in Loop: Header=BB14_34 Depth=1
	s_mov_b64 s[4:5], exec
	v_readlane_b32 s6, v57, 56
	v_readlane_b32 s7, v57, 57
	s_and_b64 s[6:7], s[4:5], s[6:7]
	s_mov_b64 exec, s[6:7]
	s_cbranch_execz .LBB14_61
; %bb.50:                               ;   in Loop: Header=BB14_34 Depth=1
	global_load_ushort v2, v3, s[74:75]
	global_load_ubyte v30, v[14:15], off
	v_mov_b32_e32 v8, v0
	s_waitcnt vmcnt(1)
	v_readfirstlane_b32 s8, v2
	v_add_u32_sdwa v2, v2, v0 dst_sel:DWORD dst_unused:UNUSED_PAD src0_sel:WORD_0 src1_sel:DWORD
	v_cmp_gt_i64_e32 vcc, s[24:25], v[2:3]
	s_and_saveexec_b64 s[6:7], vcc
	s_cbranch_execz .LBB14_60
; %bb.51:                               ;   in Loop: Header=BB14_34 Depth=1
	s_and_b32 s20, s8, 0xffff
	s_cmp_eq_u32 s20, 1
	v_readlane_b32 s14, v57, 43
                                        ; implicit-def: $vgpr8_vgpr9
	s_cselect_b64 s[8:9], -1, 0
	v_readlane_b32 s15, v57, 44
	v_mov_b32_e32 v10, v1
	v_mov_b32_e32 v5, v3
	s_and_b64 s[16:17], s[14:15], s[8:9]
	s_mov_b64 s[8:9], -1
	v_mov_b32_e32 v9, v0
	v_mov_b32_e32 v4, v2
	s_and_saveexec_b64 s[14:15], s[16:17]
	s_cbranch_execz .LBB14_55
; %bb.52:                               ;   in Loop: Header=BB14_34 Depth=1
	v_add_co_u32_e32 v8, vcc, 3, v2
	v_addc_co_u32_e64 v9, s[8:9], 0, 0, vcc
	v_add_co_u32_e32 v6, vcc, 2, v2
	v_addc_co_u32_e64 v7, s[8:9], 0, 0, vcc
	;; [unrolled: 2-line block ×3, first 2 shown]
	v_mov_b32_e32 v29, v19
	v_mov_b32_e32 v11, v9
	s_waitcnt vmcnt(0)
	v_lshlrev_b32_e32 v47, 24, v30
	s_mov_b64 s[16:17], 0
	v_mov_b32_e32 v28, v18
	v_mov_b32_e32 v31, v0
	;; [unrolled: 1-line block ×9, first 2 shown]
.LBB14_53:                              ;   Parent Loop BB14_34 Depth=1
                                        ; =>  This Inner Loop Header: Depth=2
	v_mul_lo_u32 v30, v9, s70
	v_mul_lo_u32 v50, v8, s71
	v_mad_u64_u32 v[48:49], s[8:9], v8, s70, 0
	v_mul_lo_u32 v51, v7, s2
	v_mul_lo_u32 v52, v6, s3
	v_add3_u32 v30, v49, v50, v30
	v_mad_u64_u32 v[49:50], s[8:9], v6, s2, 0
	v_mul_lo_u32 v54, v4, s1
	v_mul_lo_u32 v56, v11, s80
	v_add3_u32 v53, v50, v52, v51
	v_mul_lo_u32 v52, v5, s0
	v_mad_u64_u32 v[50:51], s[8:9], v4, s0, 0
	v_add3_u32 v51, v51, v54, v52
	v_add_co_u32_e32 v50, vcc, s66, v50
	v_mov_b32_e32 v54, s67
	v_addc_co_u32_e32 v51, vcc, v54, v51, vcc
	v_add_co_u32_e32 v52, vcc, s66, v49
	v_addc_co_u32_e32 v53, vcc, v54, v53, vcc
	v_add_co_u32_e32 v48, vcc, s66, v48
	v_addc_co_u32_e32 v49, vcc, v54, v30, vcc
	v_mov_b32_e32 v54, s66
	v_mov_b32_e32 v55, s67
	v_mad_u64_u32 v[54:55], s[8:9], v10, s80, v[54:55]
	v_mul_lo_u32 v30, v10, s81
	v_add_co_u32_e32 v10, vcc, 4, v10
	v_addc_co_u32_e32 v11, vcc, 0, v11, vcc
	v_add3_u32 v55, v56, v55, v30
	global_load_ubyte v30, v[54:55], off
	s_nop 0
	global_load_ubyte v52, v[52:53], off
	s_nop 0
	global_load_ubyte v50, v[50:51], off
	v_add_co_u32_e32 v8, vcc, 4, v8
	global_load_ubyte v48, v[48:49], off
	v_addc_co_u32_e32 v9, vcc, 0, v9, vcc
	v_add_co_u32_e32 v6, vcc, 4, v6
	v_addc_co_u32_e32 v7, vcc, 0, v7, vcc
	v_add_co_u32_e32 v4, vcc, 4, v4
	v_addc_co_u32_e32 v5, vcc, 0, v5, vcc
	v_add_co_u32_e32 v28, vcc, -4, v28
	s_mov_b32 s8, 0xc0c0007
	v_addc_co_u32_e32 v29, vcc, -1, v29, vcc
	v_cmp_eq_u64_e32 vcc, 0, v[28:29]
	s_or_b64 s[16:17], vcc, s[16:17]
	s_waitcnt vmcnt(1)
	v_perm_b32 v51, v50, v52, s78
	v_perm_b32 v47, v47, v50, s8
	s_waitcnt vmcnt(0)
	v_perm_b32 v49, v48, v30, s78
	v_perm_b32 v48, v52, v48, s78
	v_lshl_or_b32 v49, v49, 16, v51
	v_lshl_or_b32 v47, v48, 16, v47
	ds_write_b32 v31, v47
	v_add_u32_e32 v31, 4, v31
	v_mov_b32_e32 v47, v49
	s_andn2_b64 exec, exec, s[16:17]
	s_cbranch_execnz .LBB14_53
; %bb.54:                               ;   in Loop: Header=BB14_34 Depth=1
	s_or_b64 exec, exec, s[16:17]
	v_readlane_b32 s8, v57, 45
	v_add_co_u32_e32 v4, vcc, v2, v18
	v_readlane_b32 s9, v57, 46
	v_addc_co_u32_e32 v5, vcc, 0, v19, vcc
	v_add_co_u32_e32 v8, vcc, -1, v4
	s_orn2_b64 s[8:9], s[8:9], exec
	v_mov_b32_e32 v9, v25
	v_mov_b32_e32 v10, v26
.LBB14_55:                              ;   in Loop: Header=BB14_34 Depth=1
	s_or_b64 exec, exec, s[14:15]
	s_and_saveexec_b64 s[16:17], s[8:9]
	s_cbranch_execz .LBB14_59
; %bb.56:                               ;   in Loop: Header=BB14_34 Depth=1
	v_readlane_b32 s8, v57, 52
	v_readlane_b32 s9, v57, 53
	v_mov_b32_e32 v6, s8
	v_mov_b32_e32 v7, s9
	v_mad_u64_u32 v[6:7], s[8:9], s30, v4, v[6:7]
	v_mul_lo_u32 v2, s30, v5
	v_mul_lo_u32 v8, s31, v4
	s_mul_i32 s9, s31, s20
	s_mul_hi_u32 s14, s30, s20
	s_mov_b64 s[18:19], 0
	s_sub_u32 s8, 0, s20
	v_add3_u32 v7, v8, v7, v2
	s_add_i32 s9, s14, s9
.LBB14_57:                              ;   Parent Loop BB14_34 Depth=1
                                        ; =>  This Inner Loop Header: Depth=2
	global_load_ubyte v2, v[6:7], off
	v_mov_b32_e32 v11, v5
	v_mov_b32_e32 v10, v4
	v_add_co_u32_e32 v4, vcc, s20, v10
	v_addc_co_u32_e32 v5, vcc, 0, v11, vcc
	s_mul_i32 s14, s30, s20
	v_add_co_u32_e32 v6, vcc, s14, v6
	v_mov_b32_e32 v8, s9
	v_addc_co_u32_e32 v7, vcc, v7, v8, vcc
	v_cmp_le_i64_e32 vcc, s[24:25], v[4:5]
	s_waitcnt vmcnt(1)
	ds_write_b8 v9, v30
	v_add_co_u32_e64 v8, s[14:15], s8, v4
	s_or_b64 s[18:19], vcc, s[18:19]
	v_mov_b32_e32 v9, v10
	v_mov_b32_e32 v10, v11
	s_waitcnt vmcnt(0)
	v_mov_b32_e32 v30, v2
	s_andn2_b64 exec, exec, s[18:19]
	s_cbranch_execnz .LBB14_57
; %bb.58:                               ;   in Loop: Header=BB14_34 Depth=1
	s_or_b64 exec, exec, s[18:19]
	v_mov_b32_e32 v30, v2
.LBB14_59:                              ;   in Loop: Header=BB14_34 Depth=1
	s_or_b64 exec, exec, s[16:17]
.LBB14_60:                              ;   in Loop: Header=BB14_34 Depth=1
	s_or_b64 exec, exec, s[6:7]
	s_waitcnt vmcnt(0)
	ds_write_b8 v8, v30
.LBB14_61:                              ;   in Loop: Header=BB14_34 Depth=1
	s_or_b64 exec, exec, s[4:5]
	s_waitcnt lgkmcnt(0)
	s_barrier
	s_mov_b64 s[4:5], exec
	v_readlane_b32 s6, v57, 32
	v_readlane_b32 s7, v57, 33
	s_and_b64 s[6:7], s[4:5], s[6:7]
	s_mov_b64 exec, s[6:7]
; %bb.62:                               ;   in Loop: Header=BB14_34 Depth=1
	v_mov_b32_e32 v4, s24
	v_mov_b32_e32 v5, s25
	ds_write_b64 v3, v[4:5] offset:5120
; %bb.63:                               ;   in Loop: Header=BB14_34 Depth=1
	s_or_b64 exec, exec, s[4:5]
	s_mov_b64 s[6:7], -1
	s_waitcnt lgkmcnt(0)
	s_barrier
.LBB14_64:                              ;   in Loop: Header=BB14_34 Depth=1
	s_and_b64 vcc, exec, s[6:7]
	s_cbranch_vccz .LBB14_66
; %bb.65:                               ;   in Loop: Header=BB14_34 Depth=1
	ds_read_b64 v[4:5], v3 offset:5120
	s_waitcnt lgkmcnt(0)
	v_readfirstlane_b32 s26, v4
.LBB14_66:                              ;   in Loop: Header=BB14_34 Depth=1
	s_cmp_lt_i32 s26, 1
	s_mov_b64 s[4:5], -1
                                        ; implicit-def: $vgpr10_vgpr11
                                        ; implicit-def: $vgpr6_vgpr7
	s_cbranch_scc1 .LBB14_76
; %bb.67:                               ;   in Loop: Header=BB14_34 Depth=1
	s_and_b64 vcc, exec, s[4:5]
	s_cbranch_vccnz .LBB14_90
.LBB14_68:                              ;   in Loop: Header=BB14_34 Depth=1
	s_lshl_b32 s6, s79, 6
	s_and_saveexec_b64 s[4:5], s[10:11]
	s_cbranch_execz .LBB14_70
.LBB14_69:                              ;   in Loop: Header=BB14_34 Depth=1
	v_lshl_add_u32 v2, s6, 3, v39
	ds_write_b128 v2, v[4:7]
	ds_write_b128 v2, v[8:11] offset:16
.LBB14_70:                              ;   in Loop: Header=BB14_34 Depth=1
	s_or_b64 exec, exec, s[4:5]
	s_waitcnt lgkmcnt(0)
	s_barrier
	s_and_saveexec_b64 s[4:5], s[68:69]
	s_cbranch_execz .LBB14_108
; %bb.71:                               ;   in Loop: Header=BB14_34 Depth=1
	v_readlane_b32 s8, v57, 38
	v_mov_b32_e32 v4, 0
	v_readlane_b32 s9, v57, 39
	v_mov_b32_e32 v5, 0
	s_andn2_b64 vcc, exec, s[8:9]
	s_cbranch_vccnz .LBB14_107
; %bb.72:                               ;   in Loop: Header=BB14_34 Depth=1
	v_readlane_b32 s8, v57, 47
	v_readlane_b32 s9, v57, 48
	s_andn2_b64 vcc, exec, s[8:9]
	s_cbranch_vccnz .LBB14_103
; %bb.73:                               ;   in Loop: Header=BB14_34 Depth=1
	v_mov_b32_e32 v4, 0
	v_lshl_add_u32 v2, s79, 9, v42
	v_mov_b32_e32 v5, 0
	s_mov_b32 s7, 0
.LBB14_74:                              ;   Parent Loop BB14_34 Depth=1
                                        ; =>  This Inner Loop Header: Depth=2
	ds_read2_b64 v[6:9], v2 offset1:4
	s_add_i32 s7, s7, 8
	s_cmp_eq_u32 s22, s7
	s_waitcnt lgkmcnt(0)
	v_add_co_u32_e32 v4, vcc, v6, v4
	v_addc_co_u32_e32 v5, vcc, v7, v5, vcc
	v_add_co_u32_e32 v8, vcc, v8, v4
	v_addc_co_u32_e32 v9, vcc, v9, v5, vcc
	ds_read2_b64 v[4:7], v2 offset0:8 offset1:12
	s_waitcnt lgkmcnt(0)
	v_add_co_u32_e32 v4, vcc, v4, v8
	v_addc_co_u32_e32 v5, vcc, v5, v9, vcc
	v_add_co_u32_e32 v8, vcc, v6, v4
	v_addc_co_u32_e32 v9, vcc, v7, v5, vcc
	ds_read2_b64 v[4:7], v2 offset0:16 offset1:20
	;; [unrolled: 6-line block ×3, first 2 shown]
	v_add_u32_e32 v2, 0x100, v2
	s_waitcnt lgkmcnt(0)
	v_add_co_u32_e32 v4, vcc, v4, v8
	v_addc_co_u32_e32 v5, vcc, v5, v9, vcc
	v_add_co_u32_e32 v4, vcc, v6, v4
	v_addc_co_u32_e32 v5, vcc, v7, v5, vcc
	s_cbranch_scc0 .LBB14_74
; %bb.75:                               ;   in Loop: Header=BB14_34 Depth=1
	s_mov_b32 s7, s22
	s_branch .LBB14_104
.LBB14_76:                              ;   in Loop: Header=BB14_34 Depth=1
	global_load_ushort v2, v3, s[74:75]
	s_mov_b32 s4, s65
	s_waitcnt vmcnt(0)
	v_readfirstlane_b32 s5, v2
	s_and_b32 s27, s5, 0xffff
	s_lshl_b32 s8, s27, 2
	s_mov_b32 s5, s25
	s_cmp_lg_u64 s[4:5], 0
	s_cbranch_scc0 .LBB14_99
; %bb.77:                               ;   in Loop: Header=BB14_34 Depth=1
	s_add_u32 s4, s8, 0
	s_addc_u32 s5, 0, 0
	s_xor_b64 s[4:5], s[4:5], 0
	v_cvt_f32_u32_e32 v2, s4
	v_cvt_f32_u32_e32 v4, s5
	s_sub_u32 s9, 0, s4
	s_subb_u32 s14, 0, s5
	v_mac_f32_e32 v2, 0x4f800000, v4
	v_rcp_f32_e32 v2, v2
	v_mul_f32_e32 v2, 0x5f7ffffc, v2
	v_mul_f32_e32 v4, 0x2f800000, v2
	v_trunc_f32_e32 v4, v4
	v_mac_f32_e32 v2, 0xcf800000, v4
	v_cvt_u32_f32_e32 v4, v4
	v_cvt_u32_f32_e32 v2, v2
	v_readfirstlane_b32 s15, v4
	v_readfirstlane_b32 s6, v2
	s_mul_i32 s7, s9, s15
	s_mul_hi_u32 s17, s9, s6
	s_mul_i32 s16, s14, s6
	s_add_i32 s7, s17, s7
	s_mul_i32 s18, s9, s6
	s_add_i32 s7, s7, s16
	s_mul_i32 s17, s6, s7
	s_mul_hi_u32 s19, s6, s18
	s_mul_hi_u32 s16, s6, s7
	s_add_u32 s17, s19, s17
	s_addc_u32 s16, 0, s16
	s_mul_hi_u32 s20, s15, s18
	s_mul_i32 s18, s15, s18
	s_add_u32 s17, s17, s18
	s_mul_hi_u32 s19, s15, s7
	s_addc_u32 s16, s16, s20
	s_addc_u32 s17, s19, 0
	s_mul_i32 s7, s15, s7
	s_add_u32 s7, s16, s7
	s_addc_u32 s16, 0, s17
	s_add_u32 s17, s6, s7
	s_cselect_b64 s[6:7], -1, 0
	s_cmp_lg_u64 s[6:7], 0
	s_addc_u32 s15, s15, s16
	s_mul_i32 s6, s9, s15
	s_mul_hi_u32 s7, s9, s17
	s_add_i32 s6, s7, s6
	s_mul_i32 s14, s14, s17
	s_add_i32 s6, s6, s14
	s_mul_i32 s9, s9, s17
	s_mul_hi_u32 s14, s15, s9
	s_mul_i32 s16, s15, s9
	s_mul_i32 s19, s17, s6
	s_mul_hi_u32 s9, s17, s9
	s_mul_hi_u32 s18, s17, s6
	s_add_u32 s9, s9, s19
	s_addc_u32 s18, 0, s18
	s_add_u32 s9, s9, s16
	s_mul_hi_u32 s7, s15, s6
	s_addc_u32 s9, s18, s14
	s_addc_u32 s7, s7, 0
	s_mul_i32 s6, s15, s6
	s_add_u32 s6, s9, s6
	s_addc_u32 s9, 0, s7
	s_add_u32 s16, s17, s6
	s_cselect_b64 s[6:7], -1, 0
	s_cmp_lg_u64 s[6:7], 0
	s_addc_u32 s9, s15, s9
	s_ashr_i32 s6, s25, 31
	s_add_u32 s14, s24, s6
	s_mov_b32 s7, s6
	s_addc_u32 s15, s25, s6
	s_xor_b64 s[14:15], s[14:15], s[6:7]
	s_mul_i32 s18, s14, s9
	s_mul_hi_u32 s19, s14, s16
	s_mul_hi_u32 s17, s14, s9
	s_add_u32 s18, s19, s18
	s_addc_u32 s17, 0, s17
	s_mul_hi_u32 s20, s15, s16
	s_mul_i32 s16, s15, s16
	s_add_u32 s16, s18, s16
	s_mul_hi_u32 s19, s15, s9
	s_addc_u32 s16, s17, s20
	s_addc_u32 s17, s19, 0
	s_mul_i32 s9, s15, s9
	s_add_u32 s9, s16, s9
	s_addc_u32 s16, 0, s17
	s_mul_i32 s16, s4, s16
	s_mul_hi_u32 s17, s4, s9
	s_add_i32 s16, s17, s16
	s_mul_i32 s17, s5, s9
	s_add_i32 s20, s16, s17
	s_sub_i32 s18, s15, s20
	s_mul_i32 s9, s4, s9
	s_sub_u32 s9, s14, s9
	s_cselect_b64 s[16:17], -1, 0
	s_cmp_lg_u64 s[16:17], 0
	s_subb_u32 s14, s18, s5
	s_sub_u32 s21, s9, s4
	s_cselect_b64 s[18:19], -1, 0
	s_cmp_lg_u64 s[18:19], 0
	s_subb_u32 s28, s14, 0
	s_cmp_ge_u32 s28, s5
	s_cselect_b32 s29, -1, 0
	s_cmp_ge_u32 s21, s4
	s_cselect_b32 s34, -1, 0
	s_cmp_eq_u32 s28, s5
	s_cselect_b32 s29, s34, s29
	s_cmp_lg_u64 s[18:19], 0
	s_subb_u32 s14, s14, s5
	s_sub_u32 s34, s21, s4
	s_cselect_b64 s[18:19], -1, 0
	s_cmp_lg_u64 s[18:19], 0
	s_subb_u32 s14, s14, 0
	s_cmp_lg_u32 s29, 0
	s_cselect_b32 s18, s34, s21
	s_cselect_b32 s14, s14, s28
	s_cmp_lg_u64 s[16:17], 0
	s_subb_u32 s15, s15, s20
	s_cmp_ge_u32 s15, s5
	s_cselect_b32 s16, -1, 0
	s_cmp_ge_u32 s9, s4
	s_cselect_b32 s4, -1, 0
	s_cmp_eq_u32 s15, s5
	s_cselect_b32 s4, s4, s16
	s_cmp_lg_u32 s4, 0
	s_cselect_b32 s5, s14, s15
	s_cselect_b32 s4, s18, s9
	s_xor_b64 s[4:5], s[4:5], s[6:7]
	s_sub_u32 s44, s4, s6
	s_subb_u32 s45, s5, s6
	s_cbranch_execnz .LBB14_79
.LBB14_78:                              ;   in Loop: Header=BB14_34 Depth=1
	v_cvt_f32_u32_e32 v2, s8
	s_sub_i32 s4, 0, s8
	v_rcp_iflag_f32_e32 v2, v2
	v_mul_f32_e32 v2, 0x4f7ffffe, v2
	v_cvt_u32_f32_e32 v2, v2
	v_readfirstlane_b32 s5, v2
	s_mul_i32 s4, s4, s5
	s_mul_hi_u32 s4, s5, s4
	s_add_i32 s5, s5, s4
	s_mul_hi_u32 s4, s24, s5
	s_mul_i32 s4, s4, s8
	s_sub_i32 s4, s24, s4
	s_sub_i32 s5, s4, s8
	s_cmp_ge_u32 s4, s8
	s_cselect_b32 s4, s5, s4
	s_sub_i32 s5, s4, s8
	s_cmp_ge_u32 s4, s8
	s_cselect_b32 s64, s5, s4
	s_mov_b64 s[44:45], s[64:65]
.LBB14_79:                              ;   in Loop: Header=BB14_34 Depth=1
	s_sub_u32 s46, s24, s44
	s_subb_u32 s47, s25, s45
	v_cmp_gt_i64_e32 vcc, s[46:47], v[16:17]
	v_mov_b32_e32 v4, 0
	v_mov_b32_e32 v6, 0
	;; [unrolled: 1-line block ×8, first 2 shown]
	s_and_saveexec_b64 s[48:49], vcc
	s_cbranch_execz .LBB14_83
; %bb.80:                               ;   in Loop: Header=BB14_34 Depth=1
	s_mul_i32 s4, s83, s27
	s_mul_hi_u32 s5, s82, s27
	v_mov_b32_e32 v29, v17
	s_add_i32 s9, s5, s4
	s_mov_b64 s[50:51], 0
	s_mov_b64 s[56:57], s[66:67]
	s_mov_b64 s[60:61], 0
	s_mov_b64 s[62:63], 0
	s_mov_b64 s[6:7], 0
	s_mov_b64 s[4:5], 0
	v_mov_b32_e32 v28, v16
.LBB14_81:                              ;   Parent Loop BB14_34 Depth=1
                                        ; =>  This Inner Loop Header: Depth=2
	v_add_co_u32_e32 v4, vcc, s56, v23
	v_mov_b32_e32 v2, s57
	v_addc_co_u32_e32 v5, vcc, v2, v24, vcc
	global_load_sbyte v6, v[4:5], off
	v_add_co_u32_e32 v4, vcc, s56, v22
	v_addc_co_u32_e32 v5, vcc, v2, v37, vcc
	global_load_sbyte v7, v[4:5], off
	v_add_co_u32_e32 v4, vcc, s56, v21
	;; [unrolled: 3-line block ×3, first 2 shown]
	v_addc_co_u32_e32 v5, vcc, v2, v35, vcc
	global_load_sbyte v2, v[4:5], off
	s_waitcnt vmcnt(3)
	v_add_u32_e32 v4, 0x80, v6
	s_waitcnt vmcnt(2)
	v_add_u32_e32 v5, 0x80, v7
	v_and_b32_e32 v7, v4, v45
	v_bfe_u32 v4, v4, s12, 2
	v_cmp_eq_u32_e32 vcc, v7, v43
	v_and_b32_e32 v7, v5, v45
	s_waitcnt vmcnt(1)
	v_add_u32_e32 v6, 0x80, v8
	v_bfe_u32 v5, v5, s12, 2
	v_cmp_eq_u32_e64 s[20:21], 0, v4
	v_cmp_eq_u32_e64 s[14:15], v7, v43
	v_and_b32_e32 v7, v6, v45
	s_waitcnt vmcnt(0)
	v_add_u32_e32 v2, 0x80, v2
	v_bfe_u32 v6, v6, s12, 2
	s_and_b64 s[28:29], vcc, s[20:21]
	v_cmp_eq_u32_e64 s[20:21], 0, v5
	v_cmp_eq_u32_e64 s[16:17], v7, v43
	v_and_b32_e32 v7, v2, v45
	v_bfe_u32 v2, v2, s12, 2
	s_and_b64 s[34:35], s[14:15], s[20:21]
	v_cmp_eq_u32_e64 s[20:21], 0, v6
	v_cmp_eq_u32_e64 s[18:19], v7, v43
	s_and_b64 s[36:37], s[16:17], s[20:21]
	v_cmp_eq_u32_e64 s[20:21], 0, v2
	v_cndmask_b32_e64 v7, 0, 1, s[28:29]
	s_and_b64 s[38:39], s[18:19], s[20:21]
	v_cmp_ne_u32_e64 s[20:21], 0, v7
	v_cndmask_b32_e64 v7, 0, 1, s[34:35]
	s_bcnt1_i32_b64 s28, s[20:21]
	v_cmp_ne_u32_e64 s[20:21], 0, v7
	v_cndmask_b32_e64 v7, 0, 1, s[36:37]
	s_bcnt1_i32_b64 s29, s[20:21]
	;; [unrolled: 3-line block ×3, first 2 shown]
	v_cmp_ne_u32_e64 s[20:21], 0, v7
	s_bcnt1_i32_b64 s20, s[20:21]
	s_add_u32 s4, s28, s4
	s_addc_u32 s5, 0, s5
	s_add_u32 s4, s4, s29
	s_addc_u32 s5, s5, 0
	;; [unrolled: 2-line block ×3, first 2 shown]
	s_add_u32 s4, s4, s20
	v_cmp_eq_u32_e64 s[20:21], 1, v4
	s_addc_u32 s5, s5, 0
	s_and_b64 s[28:29], vcc, s[20:21]
	v_cmp_eq_u32_e64 s[20:21], 1, v5
	s_and_b64 s[34:35], s[14:15], s[20:21]
	v_cmp_eq_u32_e64 s[20:21], 1, v6
	s_and_b64 s[36:37], s[16:17], s[20:21]
	v_cmp_eq_u32_e64 s[20:21], 1, v2
	v_cndmask_b32_e64 v7, 0, 1, s[28:29]
	s_and_b64 s[38:39], s[18:19], s[20:21]
	v_cmp_ne_u32_e64 s[20:21], 0, v7
	v_cndmask_b32_e64 v7, 0, 1, s[34:35]
	s_bcnt1_i32_b64 s28, s[20:21]
	v_cmp_ne_u32_e64 s[20:21], 0, v7
	v_cndmask_b32_e64 v7, 0, 1, s[36:37]
	s_bcnt1_i32_b64 s29, s[20:21]
	;; [unrolled: 3-line block ×3, first 2 shown]
	v_cmp_ne_u32_e64 s[20:21], 0, v7
	s_bcnt1_i32_b64 s20, s[20:21]
	s_add_u32 s6, s28, s6
	s_addc_u32 s7, 0, s7
	s_add_u32 s6, s6, s29
	s_addc_u32 s7, s7, 0
	;; [unrolled: 2-line block ×3, first 2 shown]
	s_add_u32 s6, s6, s20
	v_cmp_eq_u32_e64 s[20:21], 2, v4
	s_addc_u32 s7, s7, 0
	s_and_b64 s[28:29], vcc, s[20:21]
	v_cmp_eq_u32_e64 s[20:21], 2, v5
	s_and_b64 s[34:35], s[14:15], s[20:21]
	v_cmp_eq_u32_e64 s[20:21], 2, v6
	s_and_b64 s[36:37], s[16:17], s[20:21]
	v_cmp_eq_u32_e64 s[20:21], 2, v2
	v_cndmask_b32_e64 v7, 0, 1, s[28:29]
	s_and_b64 s[38:39], s[18:19], s[20:21]
	v_cmp_ne_u32_e64 s[20:21], 0, v7
	v_cndmask_b32_e64 v7, 0, 1, s[34:35]
	s_bcnt1_i32_b64 s28, s[20:21]
	v_cmp_ne_u32_e64 s[20:21], 0, v7
	v_cndmask_b32_e64 v7, 0, 1, s[36:37]
	s_bcnt1_i32_b64 s29, s[20:21]
	;; [unrolled: 3-line block ×3, first 2 shown]
	v_cmp_ne_u32_e64 s[20:21], 0, v7
	s_bcnt1_i32_b64 s20, s[20:21]
	s_add_u32 s21, s28, s62
	s_addc_u32 s28, 0, s63
	s_add_u32 s21, s21, s29
	s_addc_u32 s28, s28, 0
	;; [unrolled: 2-line block ×3, first 2 shown]
	s_add_u32 s62, s21, s20
	v_cmp_eq_u32_e64 s[20:21], 3, v4
	s_addc_u32 s63, s28, 0
	s_and_b64 s[20:21], vcc, s[20:21]
	v_cmp_eq_u32_e32 vcc, 3, v5
	s_and_b64 s[14:15], s[14:15], vcc
	v_cmp_eq_u32_e32 vcc, 3, v6
	s_and_b64 s[16:17], s[16:17], vcc
	v_cmp_eq_u32_e32 vcc, 3, v2
	v_cndmask_b32_e64 v2, 0, 1, s[20:21]
	s_and_b64 s[18:19], s[18:19], vcc
	v_cmp_ne_u32_e32 vcc, 0, v2
	v_cndmask_b32_e64 v2, 0, 1, s[14:15]
	s_bcnt1_i32_b64 s20, vcc
	v_cmp_ne_u32_e32 vcc, 0, v2
	v_cndmask_b32_e64 v2, 0, 1, s[16:17]
	s_bcnt1_i32_b64 s14, vcc
	;; [unrolled: 3-line block ×3, first 2 shown]
	v_cmp_ne_u32_e32 vcc, 0, v2
	s_bcnt1_i32_b64 s16, vcc
	s_add_u32 s17, s20, s60
	s_addc_u32 s18, 0, s61
	s_add_u32 s14, s17, s14
	s_addc_u32 s17, s18, 0
	;; [unrolled: 2-line block ×3, first 2 shown]
	s_add_u32 s60, s14, s16
	v_add_co_u32_e32 v28, vcc, s8, v28
	s_addc_u32 s61, s15, 0
	v_addc_co_u32_e32 v29, vcc, 0, v29, vcc
	s_mul_i32 s14, s82, s27
	s_add_u32 s56, s56, s14
	v_cmp_le_i64_e32 vcc, s[46:47], v[28:29]
	s_addc_u32 s57, s57, s9
	v_mov_b32_e32 v4, s4
	v_mov_b32_e32 v6, s6
	;; [unrolled: 1-line block ×4, first 2 shown]
	s_or_b64 s[50:51], vcc, s[50:51]
	v_mov_b32_e32 v5, s5
	v_mov_b32_e32 v7, s7
	;; [unrolled: 1-line block ×4, first 2 shown]
	s_andn2_b64 exec, exec, s[50:51]
	s_cbranch_execnz .LBB14_81
; %bb.82:                               ;   in Loop: Header=BB14_34 Depth=1
	s_or_b64 exec, exec, s[50:51]
.LBB14_83:                              ;   in Loop: Header=BB14_34 Depth=1
	s_or_b64 exec, exec, s[48:49]
	v_mov_b32_e32 v2, s47
	v_add_co_u32_e32 v28, vcc, s46, v0
	v_addc_co_u32_e32 v29, vcc, 0, v2, vcc
	v_cmp_gt_i64_e32 vcc, s[24:25], v[28:29]
	s_and_saveexec_b64 s[4:5], vcc
	s_cbranch_execz .LBB14_89
; %bb.84:                               ;   in Loop: Header=BB14_34 Depth=1
	v_mov_b32_e32 v30, s66
	v_mov_b32_e32 v31, s67
	v_mad_u64_u32 v[30:31], s[6:7], v28, s30, v[30:31]
	v_mul_lo_u32 v2, v28, s31
	v_mul_lo_u32 v47, v29, s30
	v_readlane_b32 s6, v57, 52
	v_readlane_b32 s7, v57, 53
	v_add3_u32 v31, v47, v31, v2
	global_load_ubyte v2, v[30:31], off
	v_add_co_u32_e32 v30, vcc, s27, v40
	v_addc_co_u32_e32 v31, vcc, 0, v41, vcc
	v_mov_b32_e32 v47, s45
	v_subrev_co_u32_e32 v48, vcc, s44, v30
	v_subb_co_u32_e32 v30, vcc, v31, v47, vcc
	v_mul_lo_u32 v47, s30, v30
	v_mov_b32_e32 v31, s7
	v_mov_b32_e32 v30, s6
	v_mul_lo_u32 v49, s31, v48
	v_mad_u64_u32 v[30:31], s[6:7], s30, v48, v[30:31]
	s_mul_i32 s6, s31, s27
	s_mul_hi_u32 s7, s30, s27
	v_add3_u32 v31, v49, v31, v47
	s_add_i32 s16, s7, s6
	s_mov_b64 s[6:7], 0
	s_branch .LBB14_86
.LBB14_85:                              ;   in Loop: Header=BB14_86 Depth=2
	s_or_b64 exec, exec, s[8:9]
	s_waitcnt vmcnt(0)
	v_add_u32_sdwa v2, sext(v2), s13 dst_sel:DWORD dst_unused:UNUSED_PAD src0_sel:BYTE_0 src1_sel:DWORD
	s_and_b64 s[8:9], exec, vcc
	v_and_b32_e32 v48, v2, v45
	v_bfe_u32 v2, v2, s12, 2
	s_or_b64 s[6:7], s[8:9], s[6:7]
	v_cmp_eq_u32_e32 vcc, v48, v43
	v_cmp_eq_u32_e64 s[14:15], 0, v2
	s_and_b64 s[8:9], vcc, s[14:15]
	v_cndmask_b32_e64 v48, 0, 1, s[8:9]
	v_cmp_ne_u32_e64 s[14:15], 0, v48
	s_bcnt1_i32_b64 s8, s[14:15]
	v_add_co_u32_e64 v4, s[14:15], s8, v4
	v_addc_co_u32_e64 v5, s[14:15], 0, v5, s[14:15]
	v_cmp_eq_u32_e64 s[14:15], 1, v2
	s_and_b64 s[8:9], vcc, s[14:15]
	v_cndmask_b32_e64 v48, 0, 1, s[8:9]
	v_cmp_ne_u32_e64 s[14:15], 0, v48
	s_bcnt1_i32_b64 s8, s[14:15]
	v_add_co_u32_e64 v6, s[14:15], s8, v6
	v_addc_co_u32_e64 v7, s[14:15], 0, v7, s[14:15]
	;; [unrolled: 7-line block ×3, first 2 shown]
	v_cmp_eq_u32_e64 s[14:15], 3, v2
	s_and_b64 s[8:9], vcc, s[14:15]
	v_cndmask_b32_e64 v2, 0, 1, s[8:9]
	v_cmp_ne_u32_e32 vcc, 0, v2
	s_bcnt1_i32_b64 s8, vcc
	v_add_co_u32_e32 v10, vcc, s8, v10
	v_addc_co_u32_e32 v11, vcc, 0, v11, vcc
	s_mul_i32 s8, s30, s27
	v_mov_b32_e32 v2, s16
	v_add_co_u32_e32 v30, vcc, s8, v30
	v_addc_co_u32_e32 v31, vcc, v31, v2, vcc
	v_mov_b32_e32 v2, v47
	s_andn2_b64 exec, exec, s[6:7]
	s_cbranch_execz .LBB14_88
.LBB14_86:                              ;   Parent Loop BB14_34 Depth=1
                                        ; =>  This Inner Loop Header: Depth=2
	v_add_co_u32_e32 v28, vcc, s27, v28
	v_addc_co_u32_e32 v29, vcc, 0, v29, vcc
	v_cmp_gt_i64_e64 s[14:15], s[24:25], v[28:29]
	v_cmp_le_i64_e32 vcc, s[24:25], v[28:29]
	v_mov_b32_e32 v47, 0
	s_and_saveexec_b64 s[8:9], s[14:15]
	s_cbranch_execz .LBB14_85
; %bb.87:                               ;   in Loop: Header=BB14_86 Depth=2
	global_load_ubyte v47, v[30:31], off
	s_branch .LBB14_85
.LBB14_88:                              ;   in Loop: Header=BB14_34 Depth=1
	s_or_b64 exec, exec, s[6:7]
.LBB14_89:                              ;   in Loop: Header=BB14_34 Depth=1
	s_or_b64 exec, exec, s[4:5]
	s_branch .LBB14_68
.LBB14_90:                              ;   in Loop: Header=BB14_34 Depth=1
	global_load_ushort v2, v3, s[74:75]
	v_mov_b32_e32 v8, 0
	v_mov_b32_e32 v9, 0
	s_waitcnt vmcnt(0)
	v_readfirstlane_b32 s4, v2
	s_and_b32 s8, 0xffff, s4
	s_lshl_b32 s9, s8, 2
	v_cvt_f32_u32_e32 v4, s9
	s_sub_i32 s4, 0, s9
	v_rcp_iflag_f32_e32 v6, v4
	v_mov_b32_e32 v4, 0
	v_mov_b32_e32 v5, 0
	v_mul_f32_e32 v6, 0x4f7ffffe, v6
	v_cvt_u32_f32_e32 v10, v6
	v_mov_b32_e32 v6, 0
	v_mov_b32_e32 v7, 0
	v_readfirstlane_b32 s5, v10
	s_mul_i32 s4, s4, s5
	s_mul_hi_u32 s4, s5, s4
	s_add_i32 s5, s5, s4
	s_mul_hi_u32 s4, s26, s5
	s_mul_i32 s5, s4, s9
	s_sub_i32 s5, s26, s5
	s_add_i32 s6, s4, 1
	s_sub_i32 s7, s5, s9
	s_cmp_ge_u32 s5, s9
	s_cselect_b32 s4, s6, s4
	s_cselect_b32 s5, s7, s5
	s_add_i32 s6, s4, 1
	s_cmp_ge_u32 s5, s9
	s_cselect_b32 s4, s6, s4
	s_mul_hi_u32 s5, s8, s4
	s_mul_i32 s4, s8, s4
	s_lshl_b64 s[6:7], s[4:5], 2
	v_cmp_gt_u64_e32 vcc, s[6:7], v[16:17]
	v_mov_b32_e32 v10, 0
	v_mov_b32_e32 v11, 0
	s_and_saveexec_b64 s[44:45], vcc
	s_cbranch_execz .LBB14_94
; %bb.91:                               ;   in Loop: Header=BB14_34 Depth=1
	v_mov_b32_e32 v29, v17
	s_mov_b64 s[46:47], 0
	v_mov_b32_e32 v30, v16
	s_mov_b64 s[48:49], 0
	s_mov_b64 s[50:51], 0
	;; [unrolled: 1-line block ×4, first 2 shown]
	v_mov_b32_e32 v28, v16
.LBB14_92:                              ;   Parent Loop BB14_34 Depth=1
                                        ; =>  This Inner Loop Header: Depth=2
	ds_read_b32 v4, v30
	v_add_u32_e32 v30, s9, v30
	s_waitcnt lgkmcnt(0)
	v_add_u32_sdwa v5, sext(v4), s13 dst_sel:DWORD dst_unused:UNUSED_PAD src0_sel:BYTE_0 src1_sel:DWORD
	v_add_u32_sdwa v6, sext(v4), s13 dst_sel:DWORD dst_unused:UNUSED_PAD src0_sel:BYTE_1 src1_sel:DWORD
	v_and_b32_e32 v8, v5, v45
	v_bfe_u32 v5, v5, s12, 2
	v_add_u32_sdwa v7, sext(v4), s13 dst_sel:DWORD dst_unused:UNUSED_PAD src0_sel:BYTE_2 src1_sel:DWORD
	v_cmp_eq_u32_e32 vcc, v8, v43
	v_and_b32_e32 v8, v6, v45
	v_bfe_u32 v6, v6, s12, 2
	v_cmp_eq_u32_e64 s[20:21], 0, v5
	v_add_u32_sdwa v4, sext(v4), s13 dst_sel:DWORD dst_unused:UNUSED_PAD src0_sel:BYTE_3 src1_sel:DWORD
	v_cmp_eq_u32_e64 s[14:15], v8, v43
	v_and_b32_e32 v8, v7, v45
	v_bfe_u32 v7, v7, s12, 2
	s_and_b64 s[28:29], vcc, s[20:21]
	v_cmp_eq_u32_e64 s[20:21], 0, v6
	v_cmp_eq_u32_e64 s[16:17], v8, v43
	v_and_b32_e32 v8, v4, v45
	v_bfe_u32 v4, v4, s12, 2
	s_and_b64 s[34:35], s[14:15], s[20:21]
	v_cmp_eq_u32_e64 s[20:21], 0, v7
	v_cmp_eq_u32_e64 s[18:19], v8, v43
	s_and_b64 s[36:37], s[16:17], s[20:21]
	v_cmp_eq_u32_e64 s[20:21], 0, v4
	v_cndmask_b32_e64 v8, 0, 1, s[28:29]
	s_and_b64 s[38:39], s[18:19], s[20:21]
	v_cmp_ne_u32_e64 s[20:21], 0, v8
	v_cndmask_b32_e64 v8, 0, 1, s[34:35]
	s_bcnt1_i32_b64 s5, s[20:21]
	v_cmp_ne_u32_e64 s[20:21], 0, v8
	v_cndmask_b32_e64 v8, 0, 1, s[36:37]
	s_bcnt1_i32_b64 s27, s[20:21]
	;; [unrolled: 3-line block ×3, first 2 shown]
	v_cmp_ne_u32_e64 s[20:21], 0, v8
	s_bcnt1_i32_b64 s20, s[20:21]
	s_add_u32 s5, s5, s60
	s_addc_u32 s21, 0, s61
	s_add_u32 s5, s5, s27
	s_addc_u32 s21, s21, 0
	;; [unrolled: 2-line block ×4, first 2 shown]
	v_cmp_eq_u32_e64 s[20:21], 1, v5
	s_and_b64 s[28:29], vcc, s[20:21]
	v_cmp_eq_u32_e64 s[20:21], 1, v6
	s_and_b64 s[34:35], s[14:15], s[20:21]
	v_cmp_eq_u32_e64 s[20:21], 1, v7
	s_and_b64 s[36:37], s[16:17], s[20:21]
	v_cmp_eq_u32_e64 s[20:21], 1, v4
	v_cndmask_b32_e64 v8, 0, 1, s[28:29]
	s_and_b64 s[38:39], s[18:19], s[20:21]
	v_cmp_ne_u32_e64 s[20:21], 0, v8
	v_cndmask_b32_e64 v8, 0, 1, s[34:35]
	s_bcnt1_i32_b64 s5, s[20:21]
	v_cmp_ne_u32_e64 s[20:21], 0, v8
	v_cndmask_b32_e64 v8, 0, 1, s[36:37]
	s_bcnt1_i32_b64 s27, s[20:21]
	;; [unrolled: 3-line block ×3, first 2 shown]
	v_cmp_ne_u32_e64 s[20:21], 0, v8
	s_bcnt1_i32_b64 s20, s[20:21]
	s_add_u32 s5, s5, s56
	s_addc_u32 s21, 0, s57
	s_add_u32 s5, s5, s27
	s_addc_u32 s21, s21, 0
	;; [unrolled: 2-line block ×4, first 2 shown]
	v_cmp_eq_u32_e64 s[20:21], 2, v5
	s_and_b64 s[28:29], vcc, s[20:21]
	v_cmp_eq_u32_e64 s[20:21], 2, v6
	s_and_b64 s[34:35], s[14:15], s[20:21]
	v_cmp_eq_u32_e64 s[20:21], 2, v7
	s_and_b64 s[36:37], s[16:17], s[20:21]
	v_cmp_eq_u32_e64 s[20:21], 2, v4
	v_cndmask_b32_e64 v8, 0, 1, s[28:29]
	s_and_b64 s[38:39], s[18:19], s[20:21]
	v_cmp_ne_u32_e64 s[20:21], 0, v8
	v_cndmask_b32_e64 v8, 0, 1, s[34:35]
	s_bcnt1_i32_b64 s5, s[20:21]
	v_cmp_ne_u32_e64 s[20:21], 0, v8
	v_cndmask_b32_e64 v8, 0, 1, s[36:37]
	s_bcnt1_i32_b64 s27, s[20:21]
	;; [unrolled: 3-line block ×3, first 2 shown]
	v_cmp_ne_u32_e64 s[20:21], 0, v8
	s_bcnt1_i32_b64 s20, s[20:21]
	s_add_u32 s5, s5, s50
	s_addc_u32 s21, 0, s51
	s_add_u32 s5, s5, s27
	s_addc_u32 s21, s21, 0
	;; [unrolled: 2-line block ×4, first 2 shown]
	v_cmp_eq_u32_e64 s[20:21], 3, v5
	s_and_b64 s[20:21], vcc, s[20:21]
	v_cmp_eq_u32_e32 vcc, 3, v6
	s_and_b64 s[14:15], s[14:15], vcc
	v_cmp_eq_u32_e32 vcc, 3, v7
	s_and_b64 s[16:17], s[16:17], vcc
	v_cmp_eq_u32_e32 vcc, 3, v4
	v_cndmask_b32_e64 v4, 0, 1, s[20:21]
	s_and_b64 s[18:19], s[18:19], vcc
	v_cmp_ne_u32_e32 vcc, 0, v4
	v_cndmask_b32_e64 v4, 0, 1, s[14:15]
	s_bcnt1_i32_b64 s5, vcc
	v_cmp_ne_u32_e32 vcc, 0, v4
	v_cndmask_b32_e64 v4, 0, 1, s[16:17]
	s_bcnt1_i32_b64 s14, vcc
	;; [unrolled: 3-line block ×3, first 2 shown]
	v_cmp_ne_u32_e32 vcc, 0, v4
	s_bcnt1_i32_b64 s16, vcc
	s_add_u32 s5, s5, s48
	s_addc_u32 s17, 0, s49
	s_add_u32 s5, s5, s14
	s_addc_u32 s14, s17, 0
	s_add_u32 s5, s5, s15
	v_add_co_u32_e32 v28, vcc, s9, v28
	s_addc_u32 s14, s14, 0
	v_addc_co_u32_e32 v29, vcc, 0, v29, vcc
	s_add_u32 s48, s5, s16
	v_cmp_le_u64_e32 vcc, s[6:7], v[28:29]
	s_addc_u32 s49, s14, 0
	v_mov_b32_e32 v4, s60
	v_mov_b32_e32 v6, s56
	;; [unrolled: 1-line block ×4, first 2 shown]
	s_or_b64 s[46:47], vcc, s[46:47]
	v_mov_b32_e32 v5, s61
	v_mov_b32_e32 v7, s57
	;; [unrolled: 1-line block ×4, first 2 shown]
	s_andn2_b64 exec, exec, s[46:47]
	s_cbranch_execnz .LBB14_92
; %bb.93:                               ;   in Loop: Header=BB14_34 Depth=1
	s_or_b64 exec, exec, s[46:47]
.LBB14_94:                              ;   in Loop: Header=BB14_34 Depth=1
	s_or_b64 exec, exec, s[44:45]
	v_mov_b32_e32 v29, s7
	v_add_co_u32_e32 v28, vcc, s6, v0
	s_and_b32 s64, s26, 0x7fffffff
	v_addc_co_u32_e32 v29, vcc, 0, v29, vcc
	v_cmp_gt_u64_e32 vcc, s[64:65], v[28:29]
	s_and_saveexec_b64 s[6:7], vcc
	s_cbranch_execz .LBB14_98
; %bb.95:                               ;   in Loop: Header=BB14_34 Depth=1
	v_lshl_add_u32 v30, s4, 2, v0
	s_mov_b64 s[4:5], 0
.LBB14_96:                              ;   Parent Loop BB14_34 Depth=1
                                        ; =>  This Inner Loop Header: Depth=2
	ds_read_i8 v31, v30
	v_add_u32_e32 v30, s8, v30
	s_waitcnt lgkmcnt(0)
	v_add_u32_e32 v31, 0x80, v31
	v_and_b32_e32 v47, v31, v45
	v_bfe_u32 v31, v31, s12, 2
	v_cmp_eq_u32_e32 vcc, v47, v43
	v_cmp_eq_u32_e64 s[14:15], 0, v31
	s_and_b64 s[14:15], vcc, s[14:15]
	v_cndmask_b32_e64 v47, 0, 1, s[14:15]
	v_cmp_ne_u32_e64 s[14:15], 0, v47
	s_bcnt1_i32_b64 s9, s[14:15]
	v_add_co_u32_e64 v4, s[14:15], s9, v4
	v_addc_co_u32_e64 v5, s[14:15], 0, v5, s[14:15]
	v_cmp_eq_u32_e64 s[14:15], 1, v31
	s_and_b64 s[14:15], vcc, s[14:15]
	v_cndmask_b32_e64 v47, 0, 1, s[14:15]
	v_cmp_ne_u32_e64 s[14:15], 0, v47
	s_bcnt1_i32_b64 s9, s[14:15]
	v_add_co_u32_e64 v6, s[14:15], s9, v6
	v_addc_co_u32_e64 v7, s[14:15], 0, v7, s[14:15]
	;; [unrolled: 7-line block ×3, first 2 shown]
	v_cmp_eq_u32_e64 s[14:15], 3, v31
	s_and_b64 s[14:15], vcc, s[14:15]
	v_cndmask_b32_e64 v31, 0, 1, s[14:15]
	v_cmp_ne_u32_e32 vcc, 0, v31
	s_bcnt1_i32_b64 s9, vcc
	v_add_co_u32_e32 v10, vcc, s9, v10
	v_addc_co_u32_e32 v11, vcc, 0, v11, vcc
	v_add_co_u32_sdwa v28, vcc, v28, v2 dst_sel:DWORD dst_unused:UNUSED_PAD src0_sel:DWORD src1_sel:WORD_0
	v_addc_co_u32_e32 v29, vcc, 0, v29, vcc
	v_cmp_le_u64_e32 vcc, s[64:65], v[28:29]
	s_or_b64 s[4:5], vcc, s[4:5]
	s_andn2_b64 exec, exec, s[4:5]
	s_cbranch_execnz .LBB14_96
; %bb.97:                               ;   in Loop: Header=BB14_34 Depth=1
	s_or_b64 exec, exec, s[4:5]
.LBB14_98:                              ;   in Loop: Header=BB14_34 Depth=1
	s_or_b64 exec, exec, s[6:7]
	s_lshl_b32 s6, s79, 6
	s_and_saveexec_b64 s[4:5], s[10:11]
	s_cbranch_execnz .LBB14_69
	s_branch .LBB14_70
.LBB14_99:                              ;   in Loop: Header=BB14_34 Depth=1
                                        ; implicit-def: $sgpr44_sgpr45
	s_branch .LBB14_78
.LBB14_100:                             ;   in Loop: Header=BB14_34 Depth=1
	s_or_b64 exec, exec, s[6:7]
	s_waitcnt lgkmcnt(0)
	s_barrier
	s_mov_b64 s[6:7], exec
	v_readlane_b32 s8, v57, 32
	v_readlane_b32 s9, v57, 33
	s_and_b64 s[8:9], s[6:7], s[8:9]
	s_mov_b64 exec, s[8:9]
	s_cbranch_execz .LBB14_102
; %bb.101:                              ;   in Loop: Header=BB14_34 Depth=1
	ds_read_b32 v4, v3 offset:5136
	s_waitcnt lgkmcnt(0)
	v_ashrrev_i32_e32 v5, 31, v4
	ds_write_b64 v3, v[4:5] offset:5120
.LBB14_102:                             ;   in Loop: Header=BB14_34 Depth=1
	s_or_b64 exec, exec, s[6:7]
	s_waitcnt lgkmcnt(0)
	s_barrier
	s_mov_b64 s[6:7], -1
	s_and_b64 vcc, exec, s[4:5]
	s_cbranch_vccnz .LBB14_49
	s_branch .LBB14_64
.LBB14_103:                             ;   in Loop: Header=BB14_34 Depth=1
	v_mov_b32_e32 v4, 0
	v_mov_b32_e32 v5, 0
	s_mov_b32 s7, 0
.LBB14_104:                             ;   in Loop: Header=BB14_34 Depth=1
	v_readlane_b32 s8, v57, 50
	v_readlane_b32 s9, v57, 51
	s_andn2_b64 vcc, exec, s[8:9]
	s_cbranch_vccnz .LBB14_107
; %bb.105:                              ;   in Loop: Header=BB14_34 Depth=1
	s_lshl_b32 s8, s79, 9
	s_lshl_b32 s7, s7, 5
	s_add_i32 s8, s8, s7
	v_add_u32_e32 v2, s8, v42
	v_readlane_b32 s7, v57, 49
.LBB14_106:                             ;   Parent Loop BB14_34 Depth=1
                                        ; =>  This Inner Loop Header: Depth=2
	ds_read_b64 v[6:7], v2
	s_add_i32 s7, s7, -1
	v_add_u32_e32 v2, 32, v2
	s_cmp_lg_u32 s7, 0
	s_waitcnt lgkmcnt(0)
	v_add_co_u32_e32 v4, vcc, v6, v4
	v_addc_co_u32_e32 v5, vcc, v7, v5, vcc
	s_cbranch_scc1 .LBB14_106
.LBB14_107:                             ;   in Loop: Header=BB14_34 Depth=1
	v_add_lshl_u32 v2, s6, v32, 3
	ds_write_b64 v2, v[4:5] offset:3072
.LBB14_108:                             ;   in Loop: Header=BB14_34 Depth=1
	s_or_b64 exec, exec, s[4:5]
	s_lshl_b32 s4, s6, 3
	v_mov_b32_e32 v2, s4
	s_waitcnt lgkmcnt(0)
	s_barrier
	ds_read_b128 v[8:11], v2 offset:3088
	ds_read_b128 v[4:7], v2 offset:3072
	v_cmp_eq_u64_e64 s[14:15], 1, v[26:27]
	s_lshl_b32 s43, 3, s12
	s_not_b32 s40, s43
	s_waitcnt lgkmcnt(1)
	v_readfirstlane_b32 s60, v8
	s_waitcnt lgkmcnt(0)
	v_cmp_eq_u64_e32 vcc, 1, v[4:5]
	v_readfirstlane_b32 s61, v9
	v_readfirstlane_b32 s16, v10
	;; [unrolled: 1-line block ×3, first 2 shown]
	s_and_b64 s[6:7], vcc, s[14:15]
	s_mov_b64 s[4:5], -1
	s_mov_b64 s[8:9], -1
                                        ; implicit-def: $sgpr26_sgpr27
                                        ; implicit-def: $sgpr20_sgpr21
	s_and_saveexec_b64 s[14:15], s[6:7]
	s_cbranch_execz .LBB14_140
; %bb.109:                              ;   in Loop: Header=BB14_34 Depth=1
	ds_read_b64 v[8:9], v3 offset:5120
	s_waitcnt lgkmcnt(0)
	s_barrier
	v_readfirstlane_b32 s18, v8
	v_readfirstlane_b32 s19, v9
	s_mov_b64 s[8:9], exec
	v_readlane_b32 s20, v57, 54
	v_readlane_b32 s21, v57, 55
	s_and_b64 s[20:21], s[8:9], s[20:21]
	s_mov_b64 exec, s[20:21]
; %bb.110:                              ;   in Loop: Header=BB14_34 Depth=1
	ds_write_b8 v0, v3 offset:3072
; %bb.111:                              ;   in Loop: Header=BB14_34 Depth=1
	s_or_b64 exec, exec, s[8:9]
	v_cmp_lt_i64_e64 s[8:9], s[18:19], 1
	v_and_b32_e32 v43, s40, v43
	v_or_b32_e32 v45, s43, v45
	s_mov_b64 s[20:21], -1
	s_mov_b64 s[26:27], 0
	s_and_b64 vcc, exec, s[8:9]
	s_mov_b64 s[28:29], 0
	s_mov_b64 s[34:35], -1
	s_waitcnt lgkmcnt(0)
	s_barrier
                                        ; implicit-def: $vgpr46
	s_cbranch_vccz .LBB14_125
; %bb.112:                              ;   in Loop: Header=BB14_34 Depth=1
	s_mov_b32 s72, s65
	s_cmp_lg_u64 s[72:73], 0
	s_cbranch_scc0 .LBB14_166
; %bb.113:                              ;   in Loop: Header=BB14_34 Depth=1
	s_add_u32 s8, s23, 0
	s_addc_u32 s9, 0, 0
	s_xor_b64 s[28:29], s[8:9], 0
	v_cvt_f32_u32_e32 v2, s28
	v_cvt_f32_u32_e32 v8, s29
	s_sub_u32 s34, 0, s28
	s_subb_u32 s35, 0, s29
	v_readlane_b32 s49, v57, 41
	v_mac_f32_e32 v2, 0x4f800000, v8
	v_rcp_f32_e32 v2, v2
	v_mul_f32_e32 v2, 0x5f7ffffc, v2
	v_mul_f32_e32 v8, 0x2f800000, v2
	v_trunc_f32_e32 v8, v8
	v_mac_f32_e32 v2, 0xcf800000, v8
	v_cvt_u32_f32_e32 v8, v8
	v_cvt_u32_f32_e32 v2, v2
	v_readfirstlane_b32 s36, v8
	v_readfirstlane_b32 s8, v2
	s_mul_i32 s9, s34, s36
	s_mul_hi_u32 s38, s34, s8
	s_mul_i32 s37, s35, s8
	s_add_i32 s9, s38, s9
	s_mul_i32 s39, s34, s8
	s_add_i32 s9, s9, s37
	s_mul_i32 s38, s8, s9
	s_mul_hi_u32 s41, s8, s39
	s_mul_hi_u32 s37, s8, s9
	s_add_u32 s38, s41, s38
	s_addc_u32 s37, 0, s37
	s_mul_hi_u32 s44, s36, s39
	s_mul_i32 s39, s36, s39
	s_add_u32 s38, s38, s39
	s_mul_hi_u32 s41, s36, s9
	s_addc_u32 s37, s37, s44
	s_addc_u32 s38, s41, 0
	s_mul_i32 s9, s36, s9
	s_add_u32 s9, s37, s9
	s_addc_u32 s37, 0, s38
	s_add_u32 s38, s8, s9
	s_cselect_b64 s[8:9], -1, 0
	s_cmp_lg_u64 s[8:9], 0
	s_addc_u32 s36, s36, s37
	s_mul_i32 s8, s34, s36
	s_mul_hi_u32 s9, s34, s38
	s_add_i32 s8, s9, s8
	s_mul_i32 s35, s35, s38
	s_add_i32 s8, s8, s35
	s_mul_i32 s34, s34, s38
	s_mul_hi_u32 s35, s36, s34
	s_mul_i32 s37, s36, s34
	s_mul_i32 s41, s38, s8
	s_mul_hi_u32 s34, s38, s34
	s_mul_hi_u32 s39, s38, s8
	s_add_u32 s34, s34, s41
	s_addc_u32 s39, 0, s39
	s_add_u32 s34, s34, s37
	s_mul_hi_u32 s9, s36, s8
	s_addc_u32 s34, s39, s35
	s_addc_u32 s9, s9, 0
	s_mul_i32 s8, s36, s8
	s_add_u32 s8, s34, s8
	s_addc_u32 s34, 0, s9
	s_add_u32 s37, s38, s8
	s_cselect_b64 s[8:9], -1, 0
	s_cmp_lg_u64 s[8:9], 0
	s_addc_u32 s36, s36, s34
	s_ashr_i32 s34, s73, 31
	s_add_u32 s8, s49, s34
	s_mov_b32 s35, s34
	s_addc_u32 s9, s73, s34
	s_xor_b64 s[8:9], s[8:9], s[34:35]
	s_mul_i32 s39, s8, s36
	s_mul_hi_u32 s41, s8, s37
	s_mul_hi_u32 s38, s8, s36
	s_add_u32 s39, s41, s39
	s_addc_u32 s38, 0, s38
	s_mul_hi_u32 s44, s9, s37
	s_mul_i32 s37, s9, s37
	s_add_u32 s37, s39, s37
	s_mul_hi_u32 s41, s9, s36
	s_addc_u32 s37, s38, s44
	s_addc_u32 s38, s41, 0
	s_mul_i32 s36, s9, s36
	s_add_u32 s36, s37, s36
	s_addc_u32 s37, 0, s38
	s_mul_i32 s37, s28, s37
	s_mul_hi_u32 s38, s28, s36
	s_add_i32 s37, s38, s37
	s_mul_i32 s38, s29, s36
	s_add_i32 s41, s37, s38
	s_sub_i32 s38, s9, s41
	s_mul_i32 s36, s28, s36
	s_sub_u32 s8, s8, s36
	s_cselect_b64 s[36:37], -1, 0
	s_cmp_lg_u64 s[36:37], 0
	s_subb_u32 s44, s38, s29
	s_sub_u32 s45, s8, s28
	s_cselect_b64 s[38:39], -1, 0
	s_cmp_lg_u64 s[38:39], 0
	s_subb_u32 s46, s44, 0
	s_cmp_ge_u32 s46, s29
	s_cselect_b32 s47, -1, 0
	s_cmp_ge_u32 s45, s28
	s_cselect_b32 s48, -1, 0
	s_cmp_eq_u32 s46, s29
	s_cselect_b32 s47, s48, s47
	s_cmp_lg_u64 s[38:39], 0
	s_subb_u32 s44, s44, s29
	s_sub_u32 s48, s45, s28
	s_cselect_b64 s[38:39], -1, 0
	s_cmp_lg_u64 s[38:39], 0
	s_subb_u32 s38, s44, 0
	s_cmp_lg_u32 s47, 0
	s_cselect_b32 s39, s48, s45
	s_cselect_b32 s38, s38, s46
	s_cmp_lg_u64 s[36:37], 0
	s_subb_u32 s9, s9, s41
	s_cmp_ge_u32 s9, s29
	s_cselect_b32 s36, -1, 0
	s_cmp_ge_u32 s8, s28
	s_cselect_b32 s28, -1, 0
	s_cmp_eq_u32 s9, s29
	s_cselect_b32 s28, s28, s36
	s_cmp_lg_u32 s28, 0
	s_cselect_b32 s9, s38, s9
	s_cselect_b32 s8, s39, s8
	s_xor_b64 s[8:9], s[8:9], s[34:35]
	s_sub_u32 s8, s8, s34
	s_subb_u32 s9, s9, s34
	s_cbranch_execnz .LBB14_115
.LBB14_114:                             ;   in Loop: Header=BB14_34 Depth=1
	v_cvt_f32_u32_e32 v2, s23
	s_sub_i32 s8, 0, s23
	v_rcp_iflag_f32_e32 v2, v2
	v_mul_f32_e32 v2, 0x4f7ffffe, v2
	v_cvt_u32_f32_e32 v2, v2
	v_readfirstlane_b32 s9, v2
	s_mul_i32 s8, s8, s9
	s_mul_hi_u32 s8, s9, s8
	s_add_i32 s9, s9, s8
	s_mul_hi_u32 s8, s49, s9
	s_mul_i32 s8, s8, s23
	s_sub_i32 s8, s49, s8
	s_sub_i32 s9, s8, s23
	s_cmp_ge_u32 s8, s23
	s_cselect_b32 s8, s9, s8
	s_sub_i32 s9, s8, s23
	s_cmp_ge_u32 s8, s23
	s_cselect_b32 s64, s9, s8
	s_mov_b64 s[8:9], s[64:65]
.LBB14_115:                             ;   in Loop: Header=BB14_34 Depth=1
	s_sub_u32 s8, s49, s8
	s_subb_u32 s9, s73, s9
	v_cmp_gt_i64_e32 vcc, s[8:9], v[0:1]
	s_mov_b64 s[34:35], 0
	s_mov_b64 s[28:29], 0
                                        ; implicit-def: $vgpr46
	s_and_saveexec_b64 s[44:45], vcc
	s_cbranch_execz .LBB14_124
; %bb.116:                              ;   in Loop: Header=BB14_34 Depth=1
	v_mov_b32_e32 v8, v12
	v_mov_b32_e32 v11, v1
	;; [unrolled: 1-line block ×4, first 2 shown]
                                        ; implicit-def: $sgpr36_sgpr37
	s_branch .LBB14_119
.LBB14_117:                             ;   in Loop: Header=BB14_119 Depth=2
	s_or_b64 exec, exec, s[38:39]
	s_waitcnt lgkmcnt(0)
	s_barrier
	ds_read_u16 v2, v3 offset:3072
	s_mov_b64 s[38:39], -1
	s_waitcnt lgkmcnt(0)
	s_barrier
	v_cmp_ne_u32_sdwa s[46:47], v2, v3 src0_sel:BYTE_0 src1_sel:DWORD
	s_and_b64 vcc, exec, s[46:47]
	s_mov_b64 s[46:47], -1
	s_cbranch_vccz .LBB14_122
.LBB14_118:                             ;   in Loop: Header=BB14_119 Depth=2
	s_and_b64 s[38:39], exec, s[38:39]
	s_or_b64 s[28:29], s[38:39], s[28:29]
	s_andn2_b64 s[36:37], s[36:37], exec
	s_and_b64 s[38:39], s[46:47], exec
	s_or_b64 s[36:37], s[36:37], s[38:39]
	s_andn2_b64 exec, exec, s[28:29]
	s_cbranch_execz .LBB14_123
.LBB14_119:                             ;   Parent Loop BB14_34 Depth=1
                                        ; =>  This Inner Loop Header: Depth=2
	v_cmp_gt_i64_e32 vcc, s[24:25], v[10:11]
	s_and_saveexec_b64 s[38:39], vcc
	s_cbranch_execz .LBB14_117
; %bb.120:                              ;   in Loop: Header=BB14_119 Depth=2
	global_load_ubyte v2, v[8:9], off
	s_waitcnt vmcnt(0)
	v_add_u32_sdwa v28, sext(v2), s13 dst_sel:DWORD dst_unused:UNUSED_PAD src0_sel:BYTE_0 src1_sel:DWORD
	v_and_b32_e32 v28, v28, v45
	v_cmp_eq_u32_e32 vcc, v28, v43
	s_and_b64 exec, exec, vcc
	s_cbranch_execz .LBB14_117
; %bb.121:                              ;   in Loop: Header=BB14_119 Depth=2
	v_lshlrev_b16_e32 v2, 8, v2
	v_or_b32_e32 v2, 1, v2
	ds_write_b16 v3, v2 offset:3072
	s_branch .LBB14_117
.LBB14_122:                             ;   in Loop: Header=BB14_119 Depth=2
	v_add_co_u32_e32 v10, vcc, s23, v10
	v_addc_co_u32_e32 v11, vcc, 0, v11, vcc
	v_mov_b32_e32 v28, s33
	v_add_co_u32_e32 v8, vcc, s42, v8
	v_addc_co_u32_e32 v9, vcc, v9, v28, vcc
	v_cmp_le_i64_e32 vcc, s[8:9], v[10:11]
	s_mov_b64 s[46:47], 0
	s_orn2_b64 s[38:39], vcc, exec
	s_branch .LBB14_118
.LBB14_123:                             ;   in Loop: Header=BB14_34 Depth=1
	s_or_b64 exec, exec, s[28:29]
	v_lshrrev_b32_sdwa v46, v44, v2 dst_sel:DWORD dst_unused:UNUSED_PAD src0_sel:DWORD src1_sel:WORD_0
	s_and_b64 s[28:29], s[36:37], exec
.LBB14_124:                             ;   in Loop: Header=BB14_34 Depth=1
	s_or_b64 exec, exec, s[44:45]
.LBB14_125:                             ;   in Loop: Header=BB14_34 Depth=1
	s_and_b64 vcc, exec, s[34:35]
	s_cbranch_vccz .LBB14_139
; %bb.126:                              ;   in Loop: Header=BB14_34 Depth=1
	v_readlane_b32 s8, v57, 40
	s_add_u32 s34, s18, s8
	v_readlane_b32 s8, v57, 42
	s_addc_u32 s21, s19, s8
	s_mov_b32 s20, s65
	s_cmp_lg_u64 s[20:21], 0
	s_cbranch_scc0 .LBB14_167
; %bb.127:                              ;   in Loop: Header=BB14_34 Depth=1
	s_add_u32 s8, s23, 0
	s_addc_u32 s9, 0, 0
	s_xor_b64 s[26:27], s[8:9], 0
	v_cvt_f32_u32_e32 v2, s26
	v_cvt_f32_u32_e32 v8, s27
	s_sub_u32 s20, 0, s26
	s_subb_u32 s35, 0, s27
	v_mac_f32_e32 v2, 0x4f800000, v8
	v_rcp_f32_e32 v2, v2
	v_mul_f32_e32 v2, 0x5f7ffffc, v2
	v_mul_f32_e32 v8, 0x2f800000, v2
	v_trunc_f32_e32 v8, v8
	v_mac_f32_e32 v2, 0xcf800000, v8
	v_cvt_u32_f32_e32 v8, v8
	v_cvt_u32_f32_e32 v2, v2
	v_readfirstlane_b32 s36, v8
	v_readfirstlane_b32 s8, v2
	s_mul_i32 s9, s20, s36
	s_mul_hi_u32 s38, s20, s8
	s_mul_i32 s37, s35, s8
	s_add_i32 s9, s38, s9
	s_mul_i32 s39, s20, s8
	s_add_i32 s9, s9, s37
	s_mul_i32 s38, s8, s9
	s_mul_hi_u32 s41, s8, s39
	s_mul_hi_u32 s37, s8, s9
	s_add_u32 s38, s41, s38
	s_addc_u32 s37, 0, s37
	s_mul_hi_u32 s44, s36, s39
	s_mul_i32 s39, s36, s39
	s_add_u32 s38, s38, s39
	s_mul_hi_u32 s41, s36, s9
	s_addc_u32 s37, s37, s44
	s_addc_u32 s38, s41, 0
	s_mul_i32 s9, s36, s9
	s_add_u32 s9, s37, s9
	s_addc_u32 s37, 0, s38
	s_add_u32 s38, s8, s9
	s_cselect_b64 s[8:9], -1, 0
	s_cmp_lg_u64 s[8:9], 0
	s_addc_u32 s36, s36, s37
	s_mul_i32 s8, s20, s36
	s_mul_hi_u32 s9, s20, s38
	s_add_i32 s8, s9, s8
	s_mul_i32 s35, s35, s38
	s_add_i32 s8, s8, s35
	s_mul_i32 s20, s20, s38
	s_mul_hi_u32 s35, s36, s20
	s_mul_i32 s37, s36, s20
	s_mul_i32 s41, s38, s8
	s_mul_hi_u32 s20, s38, s20
	s_mul_hi_u32 s39, s38, s8
	s_add_u32 s20, s20, s41
	s_addc_u32 s39, 0, s39
	s_add_u32 s20, s20, s37
	s_mul_hi_u32 s9, s36, s8
	s_addc_u32 s20, s39, s35
	s_addc_u32 s9, s9, 0
	s_mul_i32 s8, s36, s8
	s_add_u32 s8, s20, s8
	s_addc_u32 s20, 0, s9
	s_add_u32 s35, s38, s8
	s_cselect_b64 s[8:9], -1, 0
	s_cmp_lg_u64 s[8:9], 0
	s_addc_u32 s20, s36, s20
	s_ashr_i32 s36, s21, 31
	s_add_u32 s8, s34, s36
	s_mov_b32 s37, s36
	s_addc_u32 s9, s21, s36
	s_xor_b64 s[8:9], s[8:9], s[36:37]
	s_mul_i32 s39, s8, s20
	s_mul_hi_u32 s41, s8, s35
	s_mul_hi_u32 s38, s8, s20
	s_add_u32 s39, s41, s39
	s_addc_u32 s38, 0, s38
	s_mul_hi_u32 s44, s9, s35
	s_mul_i32 s35, s9, s35
	s_add_u32 s35, s39, s35
	s_mul_hi_u32 s41, s9, s20
	s_addc_u32 s35, s38, s44
	s_addc_u32 s38, s41, 0
	s_mul_i32 s20, s9, s20
	s_add_u32 s20, s35, s20
	s_addc_u32 s35, 0, s38
	s_mul_i32 s35, s26, s35
	s_mul_hi_u32 s38, s26, s20
	s_add_i32 s35, s38, s35
	s_mul_i32 s38, s27, s20
	s_add_i32 s35, s35, s38
	s_sub_i32 s41, s9, s35
	s_mul_i32 s20, s26, s20
	s_sub_u32 s8, s8, s20
	s_cselect_b64 s[38:39], -1, 0
	s_cmp_lg_u64 s[38:39], 0
	s_subb_u32 s20, s41, s27
	s_sub_u32 s41, s8, s26
	s_cselect_b64 s[44:45], -1, 0
	s_cmp_lg_u64 s[44:45], 0
	s_subb_u32 s46, s20, 0
	s_cmp_ge_u32 s46, s27
	s_cselect_b32 s47, -1, 0
	s_cmp_ge_u32 s41, s26
	s_cselect_b32 s48, -1, 0
	s_cmp_eq_u32 s46, s27
	s_cselect_b32 s47, s48, s47
	s_cmp_lg_u64 s[44:45], 0
	s_subb_u32 s20, s20, s27
	s_sub_u32 s48, s41, s26
	s_cselect_b64 s[44:45], -1, 0
	s_cmp_lg_u64 s[44:45], 0
	s_subb_u32 s20, s20, 0
	s_cmp_lg_u32 s47, 0
	s_cselect_b32 s41, s48, s41
	s_cselect_b32 s20, s20, s46
	s_cmp_lg_u64 s[38:39], 0
	s_subb_u32 s9, s9, s35
	s_cmp_ge_u32 s9, s27
	s_cselect_b32 s35, -1, 0
	s_cmp_ge_u32 s8, s26
	s_cselect_b32 s26, -1, 0
	s_cmp_eq_u32 s9, s27
	s_cselect_b32 s26, s26, s35
	s_cmp_lg_u32 s26, 0
	s_cselect_b32 s9, s20, s9
	s_cselect_b32 s8, s41, s8
	s_xor_b64 s[8:9], s[8:9], s[36:37]
	s_sub_u32 s8, s8, s36
	s_subb_u32 s9, s9, s36
	s_cbranch_execnz .LBB14_129
.LBB14_128:                             ;   in Loop: Header=BB14_34 Depth=1
	v_cvt_f32_u32_e32 v2, s23
	s_sub_i32 s8, 0, s23
	v_rcp_iflag_f32_e32 v2, v2
	v_mul_f32_e32 v2, 0x4f7ffffe, v2
	v_cvt_u32_f32_e32 v2, v2
	v_readfirstlane_b32 s9, v2
	s_mul_i32 s8, s8, s9
	s_mul_hi_u32 s8, s9, s8
	s_add_i32 s9, s9, s8
	s_mul_hi_u32 s8, s34, s9
	s_mul_i32 s8, s8, s23
	s_sub_i32 s8, s34, s8
	s_sub_i32 s9, s8, s23
	s_cmp_ge_u32 s8, s23
	s_cselect_b32 s8, s9, s8
	s_sub_i32 s9, s8, s23
	s_cmp_ge_u32 s8, s23
	s_cselect_b32 s64, s9, s8
	s_mov_b64 s[8:9], s[64:65]
.LBB14_129:                             ;   in Loop: Header=BB14_34 Depth=1
	s_sub_u32 s20, s34, s8
	s_subb_u32 s21, s21, s9
	v_cmp_gt_i64_e32 vcc, s[20:21], v[0:1]
                                        ; implicit-def: $vgpr46
	s_and_saveexec_b64 s[8:9], vcc
	s_cbranch_execz .LBB14_138
; %bb.130:                              ;   in Loop: Header=BB14_34 Depth=1
	v_mov_b32_e32 v9, v1
	s_mov_b64 s[26:27], 0
	v_mov_b32_e32 v2, v0
	v_mov_b32_e32 v8, v0
                                        ; implicit-def: $sgpr34_sgpr35
	s_branch .LBB14_133
.LBB14_131:                             ;   in Loop: Header=BB14_133 Depth=2
	s_or_b64 exec, exec, s[36:37]
	s_waitcnt lgkmcnt(0)
	s_barrier
	ds_read_u16 v10, v3 offset:3072
	s_mov_b64 s[36:37], -1
	s_waitcnt lgkmcnt(0)
	s_barrier
	v_cmp_ne_u32_sdwa s[38:39], v10, v3 src0_sel:BYTE_0 src1_sel:DWORD
	s_and_b64 vcc, exec, s[38:39]
	s_mov_b64 s[38:39], -1
	s_cbranch_vccz .LBB14_136
.LBB14_132:                             ;   in Loop: Header=BB14_133 Depth=2
	s_and_b64 s[36:37], exec, s[36:37]
	s_or_b64 s[26:27], s[36:37], s[26:27]
	s_andn2_b64 s[34:35], s[34:35], exec
	s_and_b64 s[36:37], s[38:39], exec
	s_or_b64 s[34:35], s[34:35], s[36:37]
	s_andn2_b64 exec, exec, s[26:27]
	s_cbranch_execz .LBB14_137
.LBB14_133:                             ;   Parent Loop BB14_34 Depth=1
                                        ; =>  This Inner Loop Header: Depth=2
	v_cmp_gt_u64_e32 vcc, s[18:19], v[8:9]
	s_and_saveexec_b64 s[36:37], vcc
	s_cbranch_execz .LBB14_131
; %bb.134:                              ;   in Loop: Header=BB14_133 Depth=2
	ds_read_u8 v10, v2
	s_waitcnt lgkmcnt(0)
	v_add_u32_sdwa v11, sext(v10), s13 dst_sel:DWORD dst_unused:UNUSED_PAD src0_sel:BYTE_0 src1_sel:DWORD
	v_and_b32_e32 v11, v11, v45
	v_cmp_eq_u32_e32 vcc, v11, v43
	s_and_b64 exec, exec, vcc
	s_cbranch_execz .LBB14_131
; %bb.135:                              ;   in Loop: Header=BB14_133 Depth=2
	v_lshlrev_b16_e32 v10, 8, v10
	v_or_b32_e32 v10, 1, v10
	ds_write_b16 v3, v10 offset:3072
	s_branch .LBB14_131
.LBB14_136:                             ;   in Loop: Header=BB14_133 Depth=2
	v_add_co_u32_e32 v8, vcc, s23, v8
	v_addc_co_u32_e32 v9, vcc, 0, v9, vcc
	v_cmp_le_i64_e32 vcc, s[20:21], v[8:9]
	v_add_u32_e32 v2, s23, v2
	s_mov_b64 s[38:39], 0
	s_orn2_b64 s[36:37], vcc, exec
	s_branch .LBB14_132
.LBB14_137:                             ;   in Loop: Header=BB14_34 Depth=1
	s_or_b64 exec, exec, s[26:27]
	s_andn2_b64 s[18:19], s[28:29], exec
	s_and_b64 s[20:21], s[34:35], exec
	v_lshrrev_b32_sdwa v46, v44, v10 dst_sel:DWORD dst_unused:UNUSED_PAD src0_sel:DWORD src1_sel:WORD_0
	s_or_b64 s[28:29], s[18:19], s[20:21]
.LBB14_138:                             ;   in Loop: Header=BB14_34 Depth=1
	s_or_b64 exec, exec, s[8:9]
	s_mov_b64 s[20:21], 0
	s_mov_b64 s[26:27], -1
.LBB14_139:                             ;   in Loop: Header=BB14_34 Depth=1
	s_orn2_b64 s[8:9], s[28:29], exec
.LBB14_140:                             ;   in Loop: Header=BB14_34 Depth=1
	s_or_b64 exec, exec, s[14:15]
	s_andn2_b64 s[14:15], s[58:59], exec
	s_and_b64 s[18:19], s[26:27], exec
	s_or_b64 s[58:59], s[14:15], s[18:19]
	s_andn2_b64 s[14:15], s[94:95], exec
	s_and_b64 s[18:19], s[20:21], exec
	s_andn2_b64 s[92:93], s[92:93], exec
	s_or_b64 s[94:95], s[14:15], s[18:19]
                                        ; implicit-def: $vgpr8_vgpr9
	s_and_saveexec_b64 s[18:19], s[8:9]
	s_cbranch_execz .LBB14_33
; %bb.141:                              ;   in Loop: Header=BB14_34 Depth=1
	v_mov_b32_e32 v8, 1
	s_xor_b64 s[8:9], s[6:7], -1
	v_mov_b32_e32 v2, 1
	v_mov_b32_e32 v9, 0
	s_mov_b64 s[6:7], 0
	s_and_saveexec_b64 s[4:5], s[8:9]
	s_cbranch_execz .LBB14_150
; %bb.142:                              ;   in Loop: Header=BB14_34 Depth=1
	v_cmp_le_i64_e32 vcc, v[26:27], v[4:5]
	s_and_saveexec_b64 s[6:7], vcc
	s_xor_b64 s[6:7], exec, s[6:7]
	s_cbranch_execz .LBB14_147
; %bb.143:                              ;   in Loop: Header=BB14_34 Depth=1
	ds_read_b64 v[8:9], v3 offset:5120
	v_and_b32_e32 v43, s40, v43
	v_or_b32_e32 v45, s43, v45
	s_waitcnt lgkmcnt(0)
	v_cmp_ne_u64_e32 vcc, 0, v[8:9]
	s_cbranch_vccnz .LBB14_147
; %bb.144:                              ;   in Loop: Header=BB14_34 Depth=1
	s_mov_b64 s[8:9], exec
	v_readlane_b32 s14, v57, 32
	v_readlane_b32 s15, v57, 33
	s_and_b64 s[14:15], s[8:9], s[14:15]
	s_mov_b64 exec, s[14:15]
; %bb.145:                              ;   in Loop: Header=BB14_34 Depth=1
	ds_write_b64 v3, v[4:5] offset:5128
; %bb.146:                              ;   in Loop: Header=BB14_34 Depth=1
	s_or_b64 exec, exec, s[8:9]
	s_waitcnt lgkmcnt(0)
	s_barrier
.LBB14_147:                             ;   in Loop: Header=BB14_34 Depth=1
	s_or_saveexec_b64 s[6:7], s[6:7]
	s_mov_b64 s[8:9], 0
	v_mov_b32_e32 v2, 8
	s_xor_b64 exec, exec, s[6:7]
; %bb.148:                              ;   in Loop: Header=BB14_34 Depth=1
	v_sub_co_u32_e32 v26, vcc, v26, v4
	v_subb_co_u32_e32 v27, vcc, v27, v5, vcc
	v_mov_b32_e32 v2, 0
	s_mov_b64 s[8:9], exec
; %bb.149:                              ;   in Loop: Header=BB14_34 Depth=1
	s_or_b64 exec, exec, s[6:7]
	v_mov_b32_e32 v8, v26
	s_and_b64 s[6:7], s[8:9], exec
	v_mov_b32_e32 v9, v27
.LBB14_150:                             ;   in Loop: Header=BB14_34 Depth=1
	s_or_b64 exec, exec, s[4:5]
	s_mov_b64 s[20:21], -1
	s_mov_b64 s[4:5], -1
                                        ; implicit-def: $sgpr14_sgpr15
                                        ; implicit-def: $sgpr56_sgpr57
	s_and_saveexec_b64 s[8:9], s[6:7]
	s_xor_b64 s[26:27], exec, s[8:9]
	s_cbranch_execz .LBB14_292
; %bb.151:                              ;   in Loop: Header=BB14_34 Depth=1
	v_cmp_eq_u64_e32 vcc, 1, v[6:7]
	v_cmp_eq_u64_e64 s[14:15], 1, v[8:9]
	s_mov_b64 s[8:9], -1
	s_and_b64 s[4:5], vcc, s[14:15]
                                        ; implicit-def: $sgpr56_sgpr57
                                        ; implicit-def: $sgpr14_sgpr15
	s_and_saveexec_b64 s[6:7], s[4:5]
	s_cbranch_execz .LBB14_185
; %bb.152:                              ;   in Loop: Header=BB14_34 Depth=1
	ds_read_b64 v[4:5], v3 offset:5120
	s_waitcnt lgkmcnt(0)
	s_barrier
	v_readfirstlane_b32 s44, v4
	v_readfirstlane_b32 s45, v5
	s_mov_b64 s[8:9], exec
	v_readlane_b32 s14, v57, 54
	v_readlane_b32 s15, v57, 55
	s_and_b64 s[14:15], s[8:9], s[14:15]
	s_mov_b64 exec, s[14:15]
; %bb.153:                              ;   in Loop: Header=BB14_34 Depth=1
	ds_write_b8 v0, v3 offset:3072
; %bb.154:                              ;   in Loop: Header=BB14_34 Depth=1
	s_or_b64 exec, exec, s[8:9]
	v_cmp_gt_i64_e64 s[8:9], s[44:45], 0
	v_and_b32_e32 v4, s40, v43
	v_lshl_or_b32 v43, 1, s12, v4
	v_or_b32_e32 v45, s43, v45
	s_mov_b64 s[14:15], -1
	s_mov_b64 s[56:57], 0
	s_and_b64 vcc, exec, s[8:9]
	s_mov_b64 s[28:29], 0
	s_mov_b64 s[34:35], -1
	s_waitcnt lgkmcnt(0)
	s_barrier
                                        ; implicit-def: $vgpr46
	s_cbranch_vccnz .LBB14_170
; %bb.155:                              ;   in Loop: Header=BB14_34 Depth=1
	s_mov_b32 s72, s65
	s_cmp_lg_u64 s[72:73], 0
	s_cbranch_scc0 .LBB14_212
; %bb.156:                              ;   in Loop: Header=BB14_34 Depth=1
	s_add_u32 s8, s23, 0
	s_addc_u32 s9, 0, 0
	s_xor_b64 s[28:29], s[8:9], 0
	v_cvt_f32_u32_e32 v4, s28
	v_cvt_f32_u32_e32 v5, s29
	s_sub_u32 s34, 0, s28
	s_subb_u32 s35, 0, s29
	v_readlane_b32 s51, v57, 41
	v_mac_f32_e32 v4, 0x4f800000, v5
	v_rcp_f32_e32 v4, v4
	v_mul_f32_e32 v4, 0x5f7ffffc, v4
	v_mul_f32_e32 v5, 0x2f800000, v4
	v_trunc_f32_e32 v5, v5
	v_mac_f32_e32 v4, 0xcf800000, v5
	v_cvt_u32_f32_e32 v5, v5
	v_cvt_u32_f32_e32 v4, v4
	v_readfirstlane_b32 s36, v5
	v_readfirstlane_b32 s8, v4
	s_mul_i32 s9, s34, s36
	s_mul_hi_u32 s38, s34, s8
	s_mul_i32 s37, s35, s8
	s_add_i32 s9, s38, s9
	s_mul_i32 s39, s34, s8
	s_add_i32 s9, s9, s37
	s_mul_i32 s38, s8, s9
	s_mul_hi_u32 s41, s8, s39
	s_mul_hi_u32 s37, s8, s9
	s_add_u32 s38, s41, s38
	s_addc_u32 s37, 0, s37
	s_mul_hi_u32 s46, s36, s39
	s_mul_i32 s39, s36, s39
	s_add_u32 s38, s38, s39
	s_mul_hi_u32 s41, s36, s9
	s_addc_u32 s37, s37, s46
	s_addc_u32 s38, s41, 0
	s_mul_i32 s9, s36, s9
	s_add_u32 s9, s37, s9
	s_addc_u32 s37, 0, s38
	s_add_u32 s38, s8, s9
	s_cselect_b64 s[8:9], -1, 0
	s_cmp_lg_u64 s[8:9], 0
	s_addc_u32 s36, s36, s37
	s_mul_i32 s8, s34, s36
	s_mul_hi_u32 s9, s34, s38
	s_add_i32 s8, s9, s8
	s_mul_i32 s35, s35, s38
	s_add_i32 s8, s8, s35
	s_mul_i32 s34, s34, s38
	s_mul_hi_u32 s35, s36, s34
	s_mul_i32 s37, s36, s34
	s_mul_i32 s41, s38, s8
	s_mul_hi_u32 s34, s38, s34
	s_mul_hi_u32 s39, s38, s8
	s_add_u32 s34, s34, s41
	s_addc_u32 s39, 0, s39
	s_add_u32 s34, s34, s37
	s_mul_hi_u32 s9, s36, s8
	s_addc_u32 s34, s39, s35
	s_addc_u32 s9, s9, 0
	s_mul_i32 s8, s36, s8
	s_add_u32 s8, s34, s8
	s_addc_u32 s34, 0, s9
	s_add_u32 s37, s38, s8
	s_cselect_b64 s[8:9], -1, 0
	s_cmp_lg_u64 s[8:9], 0
	s_addc_u32 s36, s36, s34
	s_ashr_i32 s34, s73, 31
	s_add_u32 s8, s51, s34
	s_mov_b32 s35, s34
	s_addc_u32 s9, s73, s34
	s_xor_b64 s[8:9], s[8:9], s[34:35]
	s_mul_i32 s39, s8, s36
	s_mul_hi_u32 s41, s8, s37
	s_mul_hi_u32 s38, s8, s36
	s_add_u32 s39, s41, s39
	s_addc_u32 s38, 0, s38
	s_mul_hi_u32 s46, s9, s37
	s_mul_i32 s37, s9, s37
	s_add_u32 s37, s39, s37
	s_mul_hi_u32 s41, s9, s36
	s_addc_u32 s37, s38, s46
	s_addc_u32 s38, s41, 0
	s_mul_i32 s36, s9, s36
	s_add_u32 s36, s37, s36
	s_addc_u32 s37, 0, s38
	s_mul_i32 s37, s28, s37
	s_mul_hi_u32 s38, s28, s36
	s_add_i32 s37, s38, s37
	s_mul_i32 s38, s29, s36
	s_add_i32 s41, s37, s38
	s_sub_i32 s38, s9, s41
	s_mul_i32 s36, s28, s36
	s_sub_u32 s8, s8, s36
	s_cselect_b64 s[36:37], -1, 0
	s_cmp_lg_u64 s[36:37], 0
	s_subb_u32 s46, s38, s29
	s_sub_u32 s47, s8, s28
	s_cselect_b64 s[38:39], -1, 0
	s_cmp_lg_u64 s[38:39], 0
	s_subb_u32 s48, s46, 0
	s_cmp_ge_u32 s48, s29
	s_cselect_b32 s49, -1, 0
	s_cmp_ge_u32 s47, s28
	s_cselect_b32 s50, -1, 0
	s_cmp_eq_u32 s48, s29
	s_cselect_b32 s49, s50, s49
	s_cmp_lg_u64 s[38:39], 0
	s_subb_u32 s46, s46, s29
	s_sub_u32 s50, s47, s28
	s_cselect_b64 s[38:39], -1, 0
	s_cmp_lg_u64 s[38:39], 0
	s_subb_u32 s38, s46, 0
	s_cmp_lg_u32 s49, 0
	s_cselect_b32 s39, s50, s47
	s_cselect_b32 s38, s38, s48
	s_cmp_lg_u64 s[36:37], 0
	s_subb_u32 s9, s9, s41
	s_cmp_ge_u32 s9, s29
	s_cselect_b32 s36, -1, 0
	s_cmp_ge_u32 s8, s28
	s_cselect_b32 s28, -1, 0
	s_cmp_eq_u32 s9, s29
	s_cselect_b32 s28, s28, s36
	s_cmp_lg_u32 s28, 0
	s_cselect_b32 s9, s38, s9
	s_cselect_b32 s8, s39, s8
	s_xor_b64 s[8:9], s[8:9], s[34:35]
	s_sub_u32 s8, s8, s34
	s_subb_u32 s9, s9, s34
	s_cbranch_execnz .LBB14_158
.LBB14_157:                             ;   in Loop: Header=BB14_34 Depth=1
	v_cvt_f32_u32_e32 v4, s23
	s_sub_i32 s8, 0, s23
	v_rcp_iflag_f32_e32 v4, v4
	v_mul_f32_e32 v4, 0x4f7ffffe, v4
	v_cvt_u32_f32_e32 v4, v4
	v_readfirstlane_b32 s9, v4
	s_mul_i32 s8, s8, s9
	s_mul_hi_u32 s8, s9, s8
	s_add_i32 s9, s9, s8
	s_mul_hi_u32 s8, s51, s9
	s_mul_i32 s8, s8, s23
	s_sub_i32 s8, s51, s8
	s_sub_i32 s9, s8, s23
	s_cmp_ge_u32 s8, s23
	s_cselect_b32 s8, s9, s8
	s_sub_i32 s9, s8, s23
	s_cmp_ge_u32 s8, s23
	s_cselect_b32 s64, s9, s8
	s_mov_b64 s[8:9], s[64:65]
.LBB14_158:                             ;   in Loop: Header=BB14_34 Depth=1
	s_sub_u32 s48, s51, s8
	s_subb_u32 s49, s73, s9
	v_cmp_gt_i64_e32 vcc, s[48:49], v[0:1]
	s_mov_b64 s[34:35], 0
	s_mov_b64 s[28:29], 0
                                        ; implicit-def: $vgpr46
	s_and_saveexec_b64 s[46:47], vcc
	s_cbranch_execz .LBB14_169
; %bb.159:                              ;   in Loop: Header=BB14_34 Depth=1
	v_mov_b32_e32 v4, v12
	v_mov_b32_e32 v11, v1
	s_mov_b64 s[8:9], 0
	v_mov_b32_e32 v5, v13
	v_mov_b32_e32 v10, v0
                                        ; implicit-def: $sgpr28_sgpr29
	s_branch .LBB14_162
.LBB14_160:                             ;   in Loop: Header=BB14_162 Depth=2
	s_or_b64 exec, exec, s[36:37]
	s_waitcnt lgkmcnt(0)
	s_barrier
	ds_read_u16 v26, v3 offset:3072
	s_mov_b64 s[36:37], -1
	s_waitcnt lgkmcnt(0)
	s_barrier
	v_cmp_ne_u32_sdwa s[38:39], v26, v3 src0_sel:BYTE_0 src1_sel:DWORD
	s_and_b64 vcc, exec, s[38:39]
	s_mov_b64 s[38:39], -1
	s_cbranch_vccz .LBB14_165
.LBB14_161:                             ;   in Loop: Header=BB14_162 Depth=2
	s_and_b64 s[36:37], exec, s[36:37]
	s_or_b64 s[8:9], s[36:37], s[8:9]
	s_andn2_b64 s[28:29], s[28:29], exec
	s_and_b64 s[36:37], s[38:39], exec
	s_or_b64 s[28:29], s[28:29], s[36:37]
	s_andn2_b64 exec, exec, s[8:9]
	s_cbranch_execz .LBB14_168
.LBB14_162:                             ;   Parent Loop BB14_34 Depth=1
                                        ; =>  This Inner Loop Header: Depth=2
	v_cmp_gt_i64_e32 vcc, s[24:25], v[10:11]
	s_and_saveexec_b64 s[36:37], vcc
	s_cbranch_execz .LBB14_160
; %bb.163:                              ;   in Loop: Header=BB14_162 Depth=2
	global_load_ubyte v26, v[4:5], off
	s_waitcnt vmcnt(0)
	v_add_u32_sdwa v27, sext(v26), s13 dst_sel:DWORD dst_unused:UNUSED_PAD src0_sel:BYTE_0 src1_sel:DWORD
	v_and_b32_e32 v27, v27, v45
	v_cmp_eq_u32_e32 vcc, v27, v43
	s_and_b64 exec, exec, vcc
	s_cbranch_execz .LBB14_160
; %bb.164:                              ;   in Loop: Header=BB14_162 Depth=2
	v_lshlrev_b16_e32 v26, 8, v26
	v_or_b32_e32 v26, 1, v26
	ds_write_b16 v3, v26 offset:3072
	s_branch .LBB14_160
.LBB14_165:                             ;   in Loop: Header=BB14_162 Depth=2
	v_add_co_u32_e32 v10, vcc, s23, v10
	v_addc_co_u32_e32 v11, vcc, 0, v11, vcc
	v_mov_b32_e32 v27, s33
	v_add_co_u32_e32 v4, vcc, s42, v4
	v_addc_co_u32_e32 v5, vcc, v5, v27, vcc
	v_cmp_le_i64_e32 vcc, s[48:49], v[10:11]
	s_mov_b64 s[38:39], 0
	s_orn2_b64 s[36:37], vcc, exec
	s_branch .LBB14_161
.LBB14_166:                             ;   in Loop: Header=BB14_34 Depth=1
	v_readlane_b32 s49, v57, 41
                                        ; implicit-def: $sgpr8_sgpr9
	s_branch .LBB14_114
.LBB14_167:                             ;   in Loop: Header=BB14_34 Depth=1
                                        ; implicit-def: $sgpr8_sgpr9
	s_branch .LBB14_128
.LBB14_168:                             ;   in Loop: Header=BB14_34 Depth=1
	s_or_b64 exec, exec, s[8:9]
	v_lshrrev_b32_sdwa v46, v44, v26 dst_sel:DWORD dst_unused:UNUSED_PAD src0_sel:DWORD src1_sel:WORD_0
	s_and_b64 s[28:29], s[28:29], exec
.LBB14_169:                             ;   in Loop: Header=BB14_34 Depth=1
	s_or_b64 exec, exec, s[46:47]
.LBB14_170:                             ;   in Loop: Header=BB14_34 Depth=1
	s_and_b64 vcc, exec, s[34:35]
	s_cbranch_vccz .LBB14_184
; %bb.171:                              ;   in Loop: Header=BB14_34 Depth=1
	v_readlane_b32 s8, v57, 40
	s_add_u32 s36, s44, s8
	v_readlane_b32 s8, v57, 42
	s_addc_u32 s15, s45, s8
	s_mov_b32 s14, s65
	s_cmp_lg_u64 s[14:15], 0
	s_cbranch_scc0 .LBB14_213
; %bb.172:                              ;   in Loop: Header=BB14_34 Depth=1
	s_add_u32 s8, s23, 0
	s_addc_u32 s9, 0, 0
	s_xor_b64 s[34:35], s[8:9], 0
	v_cvt_f32_u32_e32 v4, s34
	v_cvt_f32_u32_e32 v5, s35
	s_sub_u32 s14, 0, s34
	s_subb_u32 s37, 0, s35
	v_mac_f32_e32 v4, 0x4f800000, v5
	v_rcp_f32_e32 v4, v4
	v_mul_f32_e32 v4, 0x5f7ffffc, v4
	v_mul_f32_e32 v5, 0x2f800000, v4
	v_trunc_f32_e32 v5, v5
	v_mac_f32_e32 v4, 0xcf800000, v5
	v_cvt_u32_f32_e32 v5, v5
	v_cvt_u32_f32_e32 v4, v4
	v_readfirstlane_b32 s38, v5
	v_readfirstlane_b32 s8, v4
	s_mul_i32 s9, s14, s38
	s_mul_hi_u32 s41, s14, s8
	s_mul_i32 s39, s37, s8
	s_add_i32 s9, s41, s9
	s_mul_i32 s46, s14, s8
	s_add_i32 s9, s9, s39
	s_mul_i32 s41, s8, s9
	s_mul_hi_u32 s47, s8, s46
	s_mul_hi_u32 s39, s8, s9
	s_add_u32 s41, s47, s41
	s_addc_u32 s39, 0, s39
	s_mul_hi_u32 s48, s38, s46
	s_mul_i32 s46, s38, s46
	s_add_u32 s41, s41, s46
	s_mul_hi_u32 s47, s38, s9
	s_addc_u32 s39, s39, s48
	s_addc_u32 s41, s47, 0
	s_mul_i32 s9, s38, s9
	s_add_u32 s9, s39, s9
	s_addc_u32 s39, 0, s41
	s_add_u32 s41, s8, s9
	s_cselect_b64 s[8:9], -1, 0
	s_cmp_lg_u64 s[8:9], 0
	s_addc_u32 s38, s38, s39
	s_mul_i32 s8, s14, s38
	s_mul_hi_u32 s9, s14, s41
	s_add_i32 s8, s9, s8
	s_mul_i32 s37, s37, s41
	s_add_i32 s8, s8, s37
	s_mul_i32 s14, s14, s41
	s_mul_hi_u32 s37, s38, s14
	s_mul_i32 s39, s38, s14
	s_mul_i32 s47, s41, s8
	s_mul_hi_u32 s14, s41, s14
	s_mul_hi_u32 s46, s41, s8
	s_add_u32 s14, s14, s47
	s_addc_u32 s46, 0, s46
	s_add_u32 s14, s14, s39
	s_mul_hi_u32 s9, s38, s8
	s_addc_u32 s14, s46, s37
	s_addc_u32 s9, s9, 0
	s_mul_i32 s8, s38, s8
	s_add_u32 s8, s14, s8
	s_addc_u32 s14, 0, s9
	s_add_u32 s37, s41, s8
	s_cselect_b64 s[8:9], -1, 0
	s_cmp_lg_u64 s[8:9], 0
	s_addc_u32 s14, s38, s14
	s_ashr_i32 s38, s15, 31
	s_add_u32 s8, s36, s38
	s_mov_b32 s39, s38
	s_addc_u32 s9, s15, s38
	s_xor_b64 s[8:9], s[8:9], s[38:39]
	s_mul_i32 s46, s8, s14
	s_mul_hi_u32 s47, s8, s37
	s_mul_hi_u32 s41, s8, s14
	s_add_u32 s46, s47, s46
	s_addc_u32 s41, 0, s41
	s_mul_hi_u32 s48, s9, s37
	s_mul_i32 s37, s9, s37
	s_add_u32 s37, s46, s37
	s_mul_hi_u32 s47, s9, s14
	s_addc_u32 s37, s41, s48
	s_addc_u32 s41, s47, 0
	s_mul_i32 s14, s9, s14
	s_add_u32 s14, s37, s14
	s_addc_u32 s37, 0, s41
	s_mul_i32 s37, s34, s37
	s_mul_hi_u32 s41, s34, s14
	s_add_i32 s37, s41, s37
	s_mul_i32 s41, s35, s14
	s_add_i32 s37, s37, s41
	s_sub_i32 s41, s9, s37
	s_mul_i32 s14, s34, s14
	s_sub_u32 s8, s8, s14
	s_cselect_b64 s[46:47], -1, 0
	s_cmp_lg_u64 s[46:47], 0
	s_subb_u32 s14, s41, s35
	s_sub_u32 s41, s8, s34
	s_cselect_b64 s[48:49], -1, 0
	s_cmp_lg_u64 s[48:49], 0
	s_subb_u32 s50, s14, 0
	s_cmp_ge_u32 s50, s35
	s_cselect_b32 s51, -1, 0
	s_cmp_ge_u32 s41, s34
	s_cselect_b32 s52, -1, 0
	s_cmp_eq_u32 s50, s35
	s_cselect_b32 s51, s52, s51
	s_cmp_lg_u64 s[48:49], 0
	s_subb_u32 s14, s14, s35
	s_sub_u32 s52, s41, s34
	s_cselect_b64 s[48:49], -1, 0
	s_cmp_lg_u64 s[48:49], 0
	s_subb_u32 s14, s14, 0
	s_cmp_lg_u32 s51, 0
	s_cselect_b32 s41, s52, s41
	s_cselect_b32 s14, s14, s50
	s_cmp_lg_u64 s[46:47], 0
	s_subb_u32 s9, s9, s37
	s_cmp_ge_u32 s9, s35
	s_cselect_b32 s37, -1, 0
	s_cmp_ge_u32 s8, s34
	s_cselect_b32 s34, -1, 0
	s_cmp_eq_u32 s9, s35
	s_cselect_b32 s34, s34, s37
	s_cmp_lg_u32 s34, 0
	s_cselect_b32 s9, s14, s9
	s_cselect_b32 s8, s41, s8
	s_xor_b64 s[8:9], s[8:9], s[38:39]
	s_sub_u32 s8, s8, s38
	s_subb_u32 s9, s9, s38
	s_cbranch_execnz .LBB14_174
.LBB14_173:                             ;   in Loop: Header=BB14_34 Depth=1
	v_cvt_f32_u32_e32 v4, s23
	s_sub_i32 s8, 0, s23
	v_rcp_iflag_f32_e32 v4, v4
	v_mul_f32_e32 v4, 0x4f7ffffe, v4
	v_cvt_u32_f32_e32 v4, v4
	v_readfirstlane_b32 s9, v4
	s_mul_i32 s8, s8, s9
	s_mul_hi_u32 s8, s9, s8
	s_add_i32 s9, s9, s8
	s_mul_hi_u32 s8, s36, s9
	s_mul_i32 s8, s8, s23
	s_sub_i32 s8, s36, s8
	s_sub_i32 s9, s8, s23
	s_cmp_ge_u32 s8, s23
	s_cselect_b32 s8, s9, s8
	s_sub_i32 s9, s8, s23
	s_cmp_ge_u32 s8, s23
	s_cselect_b32 s64, s9, s8
	s_mov_b64 s[8:9], s[64:65]
.LBB14_174:                             ;   in Loop: Header=BB14_34 Depth=1
	s_sub_u32 s14, s36, s8
	s_subb_u32 s15, s15, s9
	v_cmp_gt_i64_e32 vcc, s[14:15], v[0:1]
                                        ; implicit-def: $vgpr46
	s_and_saveexec_b64 s[8:9], vcc
	s_cbranch_execz .LBB14_183
; %bb.175:                              ;   in Loop: Header=BB14_34 Depth=1
	v_mov_b32_e32 v5, v1
	s_mov_b64 s[34:35], 0
	v_mov_b32_e32 v10, v0
	v_mov_b32_e32 v4, v0
                                        ; implicit-def: $sgpr36_sgpr37
	s_branch .LBB14_178
.LBB14_176:                             ;   in Loop: Header=BB14_178 Depth=2
	s_or_b64 exec, exec, s[38:39]
	s_waitcnt lgkmcnt(0)
	s_barrier
	ds_read_u16 v11, v3 offset:3072
	s_mov_b64 s[38:39], -1
	s_waitcnt lgkmcnt(0)
	s_barrier
	v_cmp_eq_u32_sdwa s[46:47], v11, v3 src0_sel:BYTE_0 src1_sel:DWORD
	s_and_b64 vcc, exec, s[46:47]
	s_mov_b64 s[46:47], -1
	s_cbranch_vccnz .LBB14_181
.LBB14_177:                             ;   in Loop: Header=BB14_178 Depth=2
	s_and_b64 s[38:39], exec, s[38:39]
	s_or_b64 s[34:35], s[38:39], s[34:35]
	s_andn2_b64 s[36:37], s[36:37], exec
	s_and_b64 s[38:39], s[46:47], exec
	s_or_b64 s[36:37], s[36:37], s[38:39]
	s_andn2_b64 exec, exec, s[34:35]
	s_cbranch_execz .LBB14_182
.LBB14_178:                             ;   Parent Loop BB14_34 Depth=1
                                        ; =>  This Inner Loop Header: Depth=2
	v_cmp_gt_u64_e32 vcc, s[44:45], v[4:5]
	s_and_saveexec_b64 s[38:39], vcc
	s_cbranch_execz .LBB14_176
; %bb.179:                              ;   in Loop: Header=BB14_178 Depth=2
	ds_read_u8 v11, v10
	s_waitcnt lgkmcnt(0)
	v_add_u32_sdwa v26, sext(v11), s13 dst_sel:DWORD dst_unused:UNUSED_PAD src0_sel:BYTE_0 src1_sel:DWORD
	v_and_b32_e32 v26, v26, v45
	v_cmp_eq_u32_e32 vcc, v26, v43
	s_and_b64 exec, exec, vcc
	s_cbranch_execz .LBB14_176
; %bb.180:                              ;   in Loop: Header=BB14_178 Depth=2
	v_lshlrev_b16_e32 v11, 8, v11
	v_or_b32_e32 v11, 1, v11
	ds_write_b16 v3, v11 offset:3072
	s_branch .LBB14_176
.LBB14_181:                             ;   in Loop: Header=BB14_178 Depth=2
	v_add_co_u32_e32 v4, vcc, s23, v4
	v_addc_co_u32_e32 v5, vcc, 0, v5, vcc
	v_cmp_le_i64_e32 vcc, s[14:15], v[4:5]
	v_add_u32_e32 v10, s23, v10
	s_mov_b64 s[46:47], 0
	s_orn2_b64 s[38:39], vcc, exec
	s_branch .LBB14_177
.LBB14_182:                             ;   in Loop: Header=BB14_34 Depth=1
	s_or_b64 exec, exec, s[34:35]
	s_andn2_b64 s[14:15], s[28:29], exec
	s_and_b64 s[28:29], s[36:37], exec
	v_lshrrev_b32_sdwa v46, v44, v11 dst_sel:DWORD dst_unused:UNUSED_PAD src0_sel:DWORD src1_sel:WORD_0
	s_or_b64 s[28:29], s[14:15], s[28:29]
.LBB14_183:                             ;   in Loop: Header=BB14_34 Depth=1
	s_or_b64 exec, exec, s[8:9]
	s_mov_b64 s[14:15], 0
	s_mov_b64 s[56:57], -1
.LBB14_184:                             ;   in Loop: Header=BB14_34 Depth=1
	s_orn2_b64 s[8:9], s[28:29], exec
.LBB14_185:                             ;   in Loop: Header=BB14_34 Depth=1
	s_or_b64 exec, exec, s[6:7]
	s_mov_b64 s[6:7], 0
	s_and_saveexec_b64 s[62:63], s[8:9]
	s_cbranch_execz .LBB14_291
; %bb.186:                              ;   in Loop: Header=BB14_34 Depth=1
	v_mov_b32_e32 v4, 1
	s_xor_b64 s[8:9], s[4:5], -1
	v_mov_b32_e32 v2, 1
	v_mov_b32_e32 v5, 0
	s_and_saveexec_b64 s[4:5], s[8:9]
	s_cbranch_execz .LBB14_196
; %bb.187:                              ;   in Loop: Header=BB14_34 Depth=1
	v_cmp_le_i64_e32 vcc, v[8:9], v[6:7]
	s_and_saveexec_b64 s[6:7], vcc
	s_xor_b64 s[6:7], exec, s[6:7]
	s_cbranch_execz .LBB14_193
; %bb.188:                              ;   in Loop: Header=BB14_34 Depth=1
	ds_read_b64 v[4:5], v3 offset:5120
	v_and_b32_e32 v2, s40, v43
	v_lshl_or_b32 v43, 1, s12, v2
	v_or_b32_e32 v45, s43, v45
	s_waitcnt lgkmcnt(0)
	v_cmp_ne_u64_e32 vcc, 0, v[4:5]
	s_cbranch_vccnz .LBB14_192
; %bb.189:                              ;   in Loop: Header=BB14_34 Depth=1
	s_mov_b64 s[8:9], exec
	v_readlane_b32 s28, v57, 32
	v_readlane_b32 s29, v57, 33
	s_and_b64 s[28:29], s[8:9], s[28:29]
	s_mov_b64 exec, s[28:29]
; %bb.190:                              ;   in Loop: Header=BB14_34 Depth=1
	ds_write_b64 v3, v[6:7] offset:5128
; %bb.191:                              ;   in Loop: Header=BB14_34 Depth=1
	s_or_b64 exec, exec, s[8:9]
	s_waitcnt lgkmcnt(0)
	s_barrier
.LBB14_192:                             ;   in Loop: Header=BB14_34 Depth=1
                                        ; implicit-def: $vgpr4_vgpr5_vgpr6_vgpr7
.LBB14_193:                             ;   in Loop: Header=BB14_34 Depth=1
	s_or_saveexec_b64 s[6:7], s[6:7]
	s_mov_b64 s[8:9], 0
	v_mov_b32_e32 v2, 8
	s_xor_b64 exec, exec, s[6:7]
; %bb.194:                              ;   in Loop: Header=BB14_34 Depth=1
	v_sub_co_u32_e32 v8, vcc, v8, v6
	v_subb_co_u32_e32 v9, vcc, v9, v7, vcc
	v_mov_b32_e32 v2, 0
	s_mov_b64 s[8:9], exec
; %bb.195:                              ;   in Loop: Header=BB14_34 Depth=1
	s_or_b64 exec, exec, s[6:7]
	v_mov_b32_e32 v4, v8
	s_and_b64 s[6:7], s[8:9], exec
	v_mov_b32_e32 v5, v9
.LBB14_196:                             ;   in Loop: Header=BB14_34 Depth=1
	s_or_b64 exec, exec, s[4:5]
	s_mov_b64 s[4:5], -1
                                        ; implicit-def: $sgpr46_sgpr47
                                        ; implicit-def: $sgpr48_sgpr49
	s_and_saveexec_b64 s[44:45], s[6:7]
	s_cbranch_execz .LBB14_290
; %bb.197:                              ;   in Loop: Header=BB14_34 Depth=1
	s_cmp_eq_u64 s[60:61], 1
	v_cmp_eq_u64_e32 vcc, 1, v[4:5]
	s_cselect_b64 s[4:5], -1, 0
	s_and_b64 s[6:7], s[4:5], vcc
	s_mov_b64 s[8:9], -1
                                        ; implicit-def: $sgpr48_sgpr49
                                        ; implicit-def: $sgpr46_sgpr47
	s_and_saveexec_b64 s[4:5], s[6:7]
	s_cbranch_execz .LBB14_231
; %bb.198:                              ;   in Loop: Header=BB14_34 Depth=1
	ds_read_b64 v[6:7], v3 offset:5120
	s_waitcnt lgkmcnt(0)
	s_barrier
	v_readfirstlane_b32 s50, v6
	v_readfirstlane_b32 s51, v7
	s_mov_b64 s[8:9], exec
	v_readlane_b32 s28, v57, 54
	v_readlane_b32 s29, v57, 55
	s_and_b64 s[28:29], s[8:9], s[28:29]
	s_mov_b64 exec, s[28:29]
; %bb.199:                              ;   in Loop: Header=BB14_34 Depth=1
	ds_write_b8 v0, v3 offset:3072
; %bb.200:                              ;   in Loop: Header=BB14_34 Depth=1
	s_or_b64 exec, exec, s[8:9]
	v_cmp_gt_i64_e64 s[8:9], s[50:51], 0
	v_and_b32_e32 v6, s40, v43
	v_lshl_or_b32 v43, 2, s12, v6
	v_or_b32_e32 v45, s43, v45
	s_mov_b64 s[46:47], -1
	s_mov_b64 s[48:49], 0
	s_and_b64 vcc, exec, s[8:9]
	s_mov_b64 s[28:29], 0
	s_mov_b64 s[34:35], -1
	s_waitcnt lgkmcnt(0)
	s_barrier
                                        ; implicit-def: $vgpr46
	s_cbranch_vccnz .LBB14_216
; %bb.201:                              ;   in Loop: Header=BB14_34 Depth=1
	s_mov_b32 s72, s65
	s_cmp_lg_u64 s[72:73], 0
	s_cbranch_scc0 .LBB14_257
; %bb.202:                              ;   in Loop: Header=BB14_34 Depth=1
	s_add_u32 s8, s23, 0
	s_addc_u32 s9, 0, 0
	s_xor_b64 s[28:29], s[8:9], 0
	v_cvt_f32_u32_e32 v6, s28
	v_cvt_f32_u32_e32 v7, s29
	s_sub_u32 s34, 0, s28
	s_subb_u32 s35, 0, s29
	v_readlane_b32 s72, v57, 41
	v_mac_f32_e32 v6, 0x4f800000, v7
	v_rcp_f32_e32 v6, v6
	v_mul_f32_e32 v6, 0x5f7ffffc, v6
	v_mul_f32_e32 v7, 0x2f800000, v6
	v_trunc_f32_e32 v7, v7
	v_mac_f32_e32 v6, 0xcf800000, v7
	v_cvt_u32_f32_e32 v7, v7
	v_cvt_u32_f32_e32 v6, v6
	v_readfirstlane_b32 s36, v7
	v_readfirstlane_b32 s8, v6
	s_mul_i32 s9, s34, s36
	s_mul_hi_u32 s38, s34, s8
	s_mul_i32 s37, s35, s8
	s_add_i32 s9, s38, s9
	s_mul_i32 s39, s34, s8
	s_add_i32 s9, s9, s37
	s_mul_i32 s38, s8, s9
	s_mul_hi_u32 s41, s8, s39
	s_mul_hi_u32 s37, s8, s9
	s_add_u32 s38, s41, s38
	s_addc_u32 s37, 0, s37
	s_mul_hi_u32 s52, s36, s39
	s_mul_i32 s39, s36, s39
	s_add_u32 s38, s38, s39
	s_mul_hi_u32 s41, s36, s9
	s_addc_u32 s37, s37, s52
	s_addc_u32 s38, s41, 0
	s_mul_i32 s9, s36, s9
	s_add_u32 s9, s37, s9
	s_addc_u32 s37, 0, s38
	s_add_u32 s38, s8, s9
	s_cselect_b64 s[8:9], -1, 0
	s_cmp_lg_u64 s[8:9], 0
	s_addc_u32 s36, s36, s37
	s_mul_i32 s8, s34, s36
	s_mul_hi_u32 s9, s34, s38
	s_add_i32 s8, s9, s8
	s_mul_i32 s35, s35, s38
	s_add_i32 s8, s8, s35
	s_mul_i32 s34, s34, s38
	s_mul_hi_u32 s35, s36, s34
	s_mul_i32 s37, s36, s34
	s_mul_i32 s41, s38, s8
	s_mul_hi_u32 s34, s38, s34
	s_mul_hi_u32 s39, s38, s8
	s_add_u32 s34, s34, s41
	s_addc_u32 s39, 0, s39
	s_add_u32 s34, s34, s37
	s_mul_hi_u32 s9, s36, s8
	s_addc_u32 s34, s39, s35
	s_addc_u32 s9, s9, 0
	s_mul_i32 s8, s36, s8
	s_add_u32 s8, s34, s8
	s_addc_u32 s34, 0, s9
	s_add_u32 s37, s38, s8
	s_cselect_b64 s[8:9], -1, 0
	s_cmp_lg_u64 s[8:9], 0
	s_addc_u32 s36, s36, s34
	s_ashr_i32 s34, s73, 31
	s_add_u32 s8, s72, s34
	s_mov_b32 s35, s34
	s_addc_u32 s9, s73, s34
	s_xor_b64 s[8:9], s[8:9], s[34:35]
	s_mul_i32 s39, s8, s36
	s_mul_hi_u32 s41, s8, s37
	s_mul_hi_u32 s38, s8, s36
	s_add_u32 s39, s41, s39
	s_addc_u32 s38, 0, s38
	s_mul_hi_u32 s52, s9, s37
	s_mul_i32 s37, s9, s37
	s_add_u32 s37, s39, s37
	s_mul_hi_u32 s41, s9, s36
	s_addc_u32 s37, s38, s52
	s_addc_u32 s38, s41, 0
	s_mul_i32 s36, s9, s36
	s_add_u32 s36, s37, s36
	s_addc_u32 s37, 0, s38
	s_mul_i32 s37, s28, s37
	s_mul_hi_u32 s38, s28, s36
	s_add_i32 s37, s38, s37
	s_mul_i32 s38, s29, s36
	s_add_i32 s41, s37, s38
	s_sub_i32 s38, s9, s41
	s_mul_i32 s36, s28, s36
	s_sub_u32 s8, s8, s36
	s_cselect_b64 s[36:37], -1, 0
	s_cmp_lg_u64 s[36:37], 0
	s_subb_u32 s52, s38, s29
	s_sub_u32 s53, s8, s28
	s_cselect_b64 s[38:39], -1, 0
	s_cmp_lg_u64 s[38:39], 0
	s_subb_u32 s54, s52, 0
	s_cmp_ge_u32 s54, s29
	s_cselect_b32 s55, -1, 0
	s_cmp_ge_u32 s53, s28
	s_cselect_b32 s64, -1, 0
	s_cmp_eq_u32 s54, s29
	s_cselect_b32 s55, s64, s55
	s_cmp_lg_u64 s[38:39], 0
	s_subb_u32 s52, s52, s29
	s_sub_u32 s64, s53, s28
	s_cselect_b64 s[38:39], -1, 0
	s_cmp_lg_u64 s[38:39], 0
	s_subb_u32 s38, s52, 0
	s_cmp_lg_u32 s55, 0
	s_cselect_b32 s39, s64, s53
	s_cselect_b32 s38, s38, s54
	s_cmp_lg_u64 s[36:37], 0
	s_subb_u32 s9, s9, s41
	s_cmp_ge_u32 s9, s29
	s_cselect_b32 s36, -1, 0
	s_cmp_ge_u32 s8, s28
	s_cselect_b32 s28, -1, 0
	s_cmp_eq_u32 s9, s29
	s_cselect_b32 s28, s28, s36
	s_cmp_lg_u32 s28, 0
	s_cselect_b32 s9, s38, s9
	s_cselect_b32 s8, s39, s8
	s_xor_b64 s[8:9], s[8:9], s[34:35]
	s_sub_u32 s8, s8, s34
	s_subb_u32 s9, s9, s34
	s_cbranch_execnz .LBB14_204
.LBB14_203:                             ;   in Loop: Header=BB14_34 Depth=1
	v_cvt_f32_u32_e32 v6, s23
	s_sub_i32 s8, 0, s23
	v_rcp_iflag_f32_e32 v6, v6
	v_mul_f32_e32 v6, 0x4f7ffffe, v6
	v_cvt_u32_f32_e32 v6, v6
	v_readfirstlane_b32 s9, v6
	s_mul_i32 s8, s8, s9
	s_mul_hi_u32 s8, s9, s8
	s_add_i32 s9, s9, s8
	s_mul_hi_u32 s8, s72, s9
	s_mul_i32 s8, s8, s23
	s_sub_i32 s8, s72, s8
	s_sub_i32 s9, s8, s23
	s_cmp_ge_u32 s8, s23
	s_cselect_b32 s8, s9, s8
	s_sub_i32 s9, s8, s23
	s_cmp_ge_u32 s8, s23
	s_cselect_b32 s64, s9, s8
	s_mov_b64 s[8:9], s[64:65]
.LBB14_204:                             ;   in Loop: Header=BB14_34 Depth=1
	s_sub_u32 s54, s72, s8
	s_subb_u32 s55, s73, s9
	v_cmp_gt_i64_e32 vcc, s[54:55], v[0:1]
	s_mov_b64 s[34:35], 0
	s_mov_b64 s[28:29], 0
                                        ; implicit-def: $vgpr46
	s_and_saveexec_b64 s[52:53], vcc
	s_cbranch_execz .LBB14_215
; %bb.205:                              ;   in Loop: Header=BB14_34 Depth=1
	v_mov_b32_e32 v6, v12
	v_mov_b32_e32 v9, v1
	s_mov_b64 s[8:9], 0
	v_mov_b32_e32 v7, v13
	v_mov_b32_e32 v8, v0
                                        ; implicit-def: $sgpr28_sgpr29
	s_branch .LBB14_208
.LBB14_206:                             ;   in Loop: Header=BB14_208 Depth=2
	s_or_b64 exec, exec, s[36:37]
	s_waitcnt lgkmcnt(0)
	s_barrier
	ds_read_u16 v10, v3 offset:3072
	s_mov_b64 s[36:37], -1
	s_waitcnt lgkmcnt(0)
	s_barrier
	v_cmp_ne_u32_sdwa s[38:39], v10, v3 src0_sel:BYTE_0 src1_sel:DWORD
	s_and_b64 vcc, exec, s[38:39]
	s_mov_b64 s[38:39], -1
	s_cbranch_vccz .LBB14_211
.LBB14_207:                             ;   in Loop: Header=BB14_208 Depth=2
	s_and_b64 s[36:37], exec, s[36:37]
	s_or_b64 s[8:9], s[36:37], s[8:9]
	s_andn2_b64 s[28:29], s[28:29], exec
	s_and_b64 s[36:37], s[38:39], exec
	s_or_b64 s[28:29], s[28:29], s[36:37]
	s_andn2_b64 exec, exec, s[8:9]
	s_cbranch_execz .LBB14_214
.LBB14_208:                             ;   Parent Loop BB14_34 Depth=1
                                        ; =>  This Inner Loop Header: Depth=2
	v_cmp_gt_i64_e32 vcc, s[24:25], v[8:9]
	s_and_saveexec_b64 s[36:37], vcc
	s_cbranch_execz .LBB14_206
; %bb.209:                              ;   in Loop: Header=BB14_208 Depth=2
	global_load_ubyte v10, v[6:7], off
	s_waitcnt vmcnt(0)
	v_add_u32_sdwa v11, sext(v10), s13 dst_sel:DWORD dst_unused:UNUSED_PAD src0_sel:BYTE_0 src1_sel:DWORD
	v_and_b32_e32 v11, v11, v45
	v_cmp_eq_u32_e32 vcc, v11, v43
	s_and_b64 exec, exec, vcc
	s_cbranch_execz .LBB14_206
; %bb.210:                              ;   in Loop: Header=BB14_208 Depth=2
	v_lshlrev_b16_e32 v10, 8, v10
	v_or_b32_e32 v10, 1, v10
	ds_write_b16 v3, v10 offset:3072
	s_branch .LBB14_206
.LBB14_211:                             ;   in Loop: Header=BB14_208 Depth=2
	v_add_co_u32_e32 v8, vcc, s23, v8
	v_addc_co_u32_e32 v9, vcc, 0, v9, vcc
	v_mov_b32_e32 v11, s33
	v_add_co_u32_e32 v6, vcc, s42, v6
	v_addc_co_u32_e32 v7, vcc, v7, v11, vcc
	v_cmp_le_i64_e32 vcc, s[54:55], v[8:9]
	s_mov_b64 s[38:39], 0
	s_orn2_b64 s[36:37], vcc, exec
	s_branch .LBB14_207
.LBB14_212:                             ;   in Loop: Header=BB14_34 Depth=1
                                        ; implicit-def: $sgpr8_sgpr9
	v_readlane_b32 s51, v57, 41
	s_branch .LBB14_157
.LBB14_213:                             ;   in Loop: Header=BB14_34 Depth=1
                                        ; implicit-def: $sgpr8_sgpr9
	s_branch .LBB14_173
.LBB14_214:                             ;   in Loop: Header=BB14_34 Depth=1
	s_or_b64 exec, exec, s[8:9]
	v_lshrrev_b32_sdwa v46, v44, v10 dst_sel:DWORD dst_unused:UNUSED_PAD src0_sel:DWORD src1_sel:WORD_0
	s_and_b64 s[28:29], s[28:29], exec
.LBB14_215:                             ;   in Loop: Header=BB14_34 Depth=1
	s_or_b64 exec, exec, s[52:53]
.LBB14_216:                             ;   in Loop: Header=BB14_34 Depth=1
	s_and_b64 vcc, exec, s[34:35]
	s_cbranch_vccz .LBB14_230
; %bb.217:                              ;   in Loop: Header=BB14_34 Depth=1
	v_readlane_b32 s8, v57, 40
	s_add_u32 s38, s50, s8
	v_readlane_b32 s8, v57, 42
	s_addc_u32 s35, s51, s8
	s_mov_b32 s34, s65
	s_cmp_lg_u64 s[34:35], 0
	s_cbranch_scc0 .LBB14_258
; %bb.218:                              ;   in Loop: Header=BB14_34 Depth=1
	s_add_u32 s8, s23, 0
	s_addc_u32 s9, 0, 0
	s_xor_b64 s[46:47], s[8:9], 0
	v_cvt_f32_u32_e32 v6, s46
	v_cvt_f32_u32_e32 v7, s47
	s_sub_u32 s34, 0, s46
	s_subb_u32 s36, 0, s47
	v_mac_f32_e32 v6, 0x4f800000, v7
	v_rcp_f32_e32 v6, v6
	v_mul_f32_e32 v6, 0x5f7ffffc, v6
	v_mul_f32_e32 v7, 0x2f800000, v6
	v_trunc_f32_e32 v7, v7
	v_mac_f32_e32 v6, 0xcf800000, v7
	v_cvt_u32_f32_e32 v7, v7
	v_cvt_u32_f32_e32 v6, v6
	v_readfirstlane_b32 s37, v7
	v_readfirstlane_b32 s8, v6
	s_mul_i32 s9, s34, s37
	s_mul_hi_u32 s41, s34, s8
	s_mul_i32 s39, s36, s8
	s_add_i32 s9, s41, s9
	s_mul_i32 s48, s34, s8
	s_add_i32 s9, s9, s39
	s_mul_i32 s41, s8, s9
	s_mul_hi_u32 s49, s8, s48
	s_mul_hi_u32 s39, s8, s9
	s_add_u32 s41, s49, s41
	s_addc_u32 s39, 0, s39
	s_mul_hi_u32 s52, s37, s48
	s_mul_i32 s48, s37, s48
	s_add_u32 s41, s41, s48
	s_mul_hi_u32 s49, s37, s9
	s_addc_u32 s39, s39, s52
	s_addc_u32 s41, s49, 0
	s_mul_i32 s9, s37, s9
	s_add_u32 s9, s39, s9
	s_addc_u32 s39, 0, s41
	s_add_u32 s41, s8, s9
	s_cselect_b64 s[8:9], -1, 0
	s_cmp_lg_u64 s[8:9], 0
	s_addc_u32 s37, s37, s39
	s_mul_i32 s8, s34, s37
	s_mul_hi_u32 s9, s34, s41
	s_add_i32 s8, s9, s8
	s_mul_i32 s36, s36, s41
	s_add_i32 s8, s8, s36
	s_mul_i32 s34, s34, s41
	s_mul_hi_u32 s36, s37, s34
	s_mul_i32 s39, s37, s34
	s_mul_i32 s49, s41, s8
	s_mul_hi_u32 s34, s41, s34
	s_mul_hi_u32 s48, s41, s8
	s_add_u32 s34, s34, s49
	s_addc_u32 s48, 0, s48
	s_add_u32 s34, s34, s39
	s_mul_hi_u32 s9, s37, s8
	s_addc_u32 s34, s48, s36
	s_addc_u32 s9, s9, 0
	s_mul_i32 s8, s37, s8
	s_add_u32 s8, s34, s8
	s_addc_u32 s34, 0, s9
	s_add_u32 s39, s41, s8
	s_cselect_b64 s[8:9], -1, 0
	s_cmp_lg_u64 s[8:9], 0
	s_addc_u32 s34, s37, s34
	s_ashr_i32 s36, s35, 31
	s_add_u32 s8, s38, s36
	s_mov_b32 s37, s36
	s_addc_u32 s9, s35, s36
	s_xor_b64 s[8:9], s[8:9], s[36:37]
	s_mul_i32 s48, s8, s34
	s_mul_hi_u32 s49, s8, s39
	s_mul_hi_u32 s41, s8, s34
	s_add_u32 s48, s49, s48
	s_addc_u32 s41, 0, s41
	s_mul_hi_u32 s52, s9, s39
	s_mul_i32 s39, s9, s39
	s_add_u32 s39, s48, s39
	s_mul_hi_u32 s49, s9, s34
	s_addc_u32 s39, s41, s52
	s_addc_u32 s41, s49, 0
	s_mul_i32 s34, s9, s34
	s_add_u32 s34, s39, s34
	s_addc_u32 s39, 0, s41
	s_mul_i32 s39, s46, s39
	s_mul_hi_u32 s41, s46, s34
	s_add_i32 s39, s41, s39
	s_mul_i32 s41, s47, s34
	s_add_i32 s39, s39, s41
	s_sub_i32 s41, s9, s39
	s_mul_i32 s34, s46, s34
	s_sub_u32 s8, s8, s34
	s_cselect_b64 s[48:49], -1, 0
	s_cmp_lg_u64 s[48:49], 0
	s_subb_u32 s34, s41, s47
	s_sub_u32 s41, s8, s46
	s_cselect_b64 s[52:53], -1, 0
	s_cmp_lg_u64 s[52:53], 0
	s_subb_u32 s54, s34, 0
	s_cmp_ge_u32 s54, s47
	s_cselect_b32 s55, -1, 0
	s_cmp_ge_u32 s41, s46
	s_cselect_b32 s64, -1, 0
	s_cmp_eq_u32 s54, s47
	s_cselect_b32 s55, s64, s55
	s_cmp_lg_u64 s[52:53], 0
	s_subb_u32 s34, s34, s47
	s_sub_u32 s64, s41, s46
	s_cselect_b64 s[52:53], -1, 0
	s_cmp_lg_u64 s[52:53], 0
	s_subb_u32 s34, s34, 0
	s_cmp_lg_u32 s55, 0
	s_cselect_b32 s41, s64, s41
	s_cselect_b32 s34, s34, s54
	s_cmp_lg_u64 s[48:49], 0
	s_subb_u32 s9, s9, s39
	s_cmp_ge_u32 s9, s47
	s_cselect_b32 s39, -1, 0
	s_cmp_ge_u32 s8, s46
	s_cselect_b32 s46, -1, 0
	s_cmp_eq_u32 s9, s47
	s_cselect_b32 s39, s46, s39
	s_cmp_lg_u32 s39, 0
	s_cselect_b32 s9, s34, s9
	s_cselect_b32 s8, s41, s8
	s_xor_b64 s[8:9], s[8:9], s[36:37]
	s_sub_u32 s8, s8, s36
	s_subb_u32 s9, s9, s36
	s_cbranch_execnz .LBB14_220
.LBB14_219:                             ;   in Loop: Header=BB14_34 Depth=1
	v_cvt_f32_u32_e32 v6, s23
	s_sub_i32 s8, 0, s23
	v_rcp_iflag_f32_e32 v6, v6
	v_mul_f32_e32 v6, 0x4f7ffffe, v6
	v_cvt_u32_f32_e32 v6, v6
	v_readfirstlane_b32 s9, v6
	s_mul_i32 s8, s8, s9
	s_mul_hi_u32 s8, s9, s8
	s_add_i32 s9, s9, s8
	s_mul_hi_u32 s8, s38, s9
	s_mul_i32 s8, s8, s23
	s_sub_i32 s8, s38, s8
	s_sub_i32 s9, s8, s23
	s_cmp_ge_u32 s8, s23
	s_cselect_b32 s8, s9, s8
	s_sub_i32 s9, s8, s23
	s_cmp_ge_u32 s8, s23
	s_cselect_b32 s64, s9, s8
	s_mov_b64 s[8:9], s[64:65]
.LBB14_220:                             ;   in Loop: Header=BB14_34 Depth=1
	s_sub_u32 s34, s38, s8
	s_subb_u32 s35, s35, s9
	v_cmp_gt_i64_e32 vcc, s[34:35], v[0:1]
                                        ; implicit-def: $vgpr46
	s_and_saveexec_b64 s[8:9], vcc
	s_cbranch_execz .LBB14_229
; %bb.221:                              ;   in Loop: Header=BB14_34 Depth=1
	v_mov_b32_e32 v7, v1
	s_mov_b64 s[36:37], 0
	v_mov_b32_e32 v8, v0
	v_mov_b32_e32 v6, v0
                                        ; implicit-def: $sgpr38_sgpr39
	s_branch .LBB14_224
.LBB14_222:                             ;   in Loop: Header=BB14_224 Depth=2
	s_or_b64 exec, exec, s[46:47]
	s_waitcnt lgkmcnt(0)
	s_barrier
	ds_read_u16 v9, v3 offset:3072
	s_mov_b64 s[46:47], -1
	s_waitcnt lgkmcnt(0)
	s_barrier
	v_cmp_eq_u32_sdwa s[48:49], v9, v3 src0_sel:BYTE_0 src1_sel:DWORD
	s_and_b64 vcc, exec, s[48:49]
	s_mov_b64 s[48:49], -1
	s_cbranch_vccnz .LBB14_227
.LBB14_223:                             ;   in Loop: Header=BB14_224 Depth=2
	s_and_b64 s[46:47], exec, s[46:47]
	s_or_b64 s[36:37], s[46:47], s[36:37]
	s_andn2_b64 s[38:39], s[38:39], exec
	s_and_b64 s[46:47], s[48:49], exec
	s_or_b64 s[38:39], s[38:39], s[46:47]
	s_andn2_b64 exec, exec, s[36:37]
	s_cbranch_execz .LBB14_228
.LBB14_224:                             ;   Parent Loop BB14_34 Depth=1
                                        ; =>  This Inner Loop Header: Depth=2
	v_cmp_gt_u64_e32 vcc, s[50:51], v[6:7]
	s_and_saveexec_b64 s[46:47], vcc
	s_cbranch_execz .LBB14_222
; %bb.225:                              ;   in Loop: Header=BB14_224 Depth=2
	ds_read_u8 v9, v8
	s_waitcnt lgkmcnt(0)
	v_add_u32_sdwa v10, sext(v9), s13 dst_sel:DWORD dst_unused:UNUSED_PAD src0_sel:BYTE_0 src1_sel:DWORD
	v_and_b32_e32 v10, v10, v45
	v_cmp_eq_u32_e32 vcc, v10, v43
	s_and_b64 exec, exec, vcc
	s_cbranch_execz .LBB14_222
; %bb.226:                              ;   in Loop: Header=BB14_224 Depth=2
	v_lshlrev_b16_e32 v9, 8, v9
	v_or_b32_e32 v9, 1, v9
	ds_write_b16 v3, v9 offset:3072
	s_branch .LBB14_222
.LBB14_227:                             ;   in Loop: Header=BB14_224 Depth=2
	v_add_co_u32_e32 v6, vcc, s23, v6
	v_addc_co_u32_e32 v7, vcc, 0, v7, vcc
	v_cmp_le_i64_e32 vcc, s[34:35], v[6:7]
	v_add_u32_e32 v8, s23, v8
	s_mov_b64 s[48:49], 0
	s_orn2_b64 s[46:47], vcc, exec
	s_branch .LBB14_223
.LBB14_228:                             ;   in Loop: Header=BB14_34 Depth=1
	s_or_b64 exec, exec, s[36:37]
	s_andn2_b64 s[28:29], s[28:29], exec
	s_and_b64 s[34:35], s[38:39], exec
	v_lshrrev_b32_sdwa v46, v44, v9 dst_sel:DWORD dst_unused:UNUSED_PAD src0_sel:DWORD src1_sel:WORD_0
	s_or_b64 s[28:29], s[28:29], s[34:35]
.LBB14_229:                             ;   in Loop: Header=BB14_34 Depth=1
	s_or_b64 exec, exec, s[8:9]
	s_mov_b64 s[46:47], 0
	s_mov_b64 s[48:49], -1
.LBB14_230:                             ;   in Loop: Header=BB14_34 Depth=1
	s_orn2_b64 s[8:9], s[28:29], exec
.LBB14_231:                             ;   in Loop: Header=BB14_34 Depth=1
	s_or_b64 exec, exec, s[4:5]
	s_mov_b64 s[28:29], 0
	s_and_saveexec_b64 s[4:5], s[8:9]
	s_cbranch_execz .LBB14_289
; %bb.232:                              ;   in Loop: Header=BB14_34 Depth=1
	v_mov_b32_e32 v6, 1
	s_xor_b64 s[8:9], s[6:7], -1
	v_mov_b32_e32 v2, 1
	v_mov_b32_e32 v7, 0
	s_mov_b64 s[34:35], 0
	s_and_saveexec_b64 s[6:7], s[8:9]
	s_cbranch_execz .LBB14_241
; %bb.233:                              ;   in Loop: Header=BB14_34 Depth=1
	v_cmp_ge_i64_e32 vcc, s[60:61], v[4:5]
	s_and_saveexec_b64 s[8:9], vcc
	s_xor_b64 s[8:9], exec, s[8:9]
	s_cbranch_execz .LBB14_238
; %bb.234:                              ;   in Loop: Header=BB14_34 Depth=1
	ds_read_b64 v[6:7], v3 offset:5120
	v_and_b32_e32 v2, s40, v43
	v_lshl_or_b32 v43, 2, s12, v2
	v_or_b32_e32 v45, s43, v45
	s_waitcnt lgkmcnt(0)
	v_cmp_ne_u64_e32 vcc, 0, v[6:7]
	s_cbranch_vccnz .LBB14_238
; %bb.235:                              ;   in Loop: Header=BB14_34 Depth=1
	s_mov_b64 s[28:29], exec
	v_readlane_b32 s34, v57, 32
	v_readlane_b32 s35, v57, 33
	s_and_b64 s[34:35], s[28:29], s[34:35]
	s_mov_b64 exec, s[34:35]
; %bb.236:                              ;   in Loop: Header=BB14_34 Depth=1
	v_mov_b32_e32 v6, s60
	v_mov_b32_e32 v7, s61
	ds_write_b64 v3, v[6:7] offset:5128
; %bb.237:                              ;   in Loop: Header=BB14_34 Depth=1
	s_or_b64 exec, exec, s[28:29]
	s_waitcnt lgkmcnt(0)
	s_barrier
.LBB14_238:                             ;   in Loop: Header=BB14_34 Depth=1
	s_or_saveexec_b64 s[8:9], s[8:9]
	s_mov_b64 s[28:29], 0
	v_mov_b32_e32 v2, 8
	s_xor_b64 exec, exec, s[8:9]
; %bb.239:                              ;   in Loop: Header=BB14_34 Depth=1
	v_subrev_co_u32_e32 v4, vcc, s60, v4
	v_mov_b32_e32 v2, s61
	v_subb_co_u32_e32 v5, vcc, v5, v2, vcc
	v_mov_b32_e32 v2, 0
	s_mov_b64 s[28:29], exec
; %bb.240:                              ;   in Loop: Header=BB14_34 Depth=1
	s_or_b64 exec, exec, s[8:9]
	v_mov_b32_e32 v7, v5
	s_and_b64 s[34:35], s[28:29], exec
	v_mov_b32_e32 v6, v4
.LBB14_241:                             ;   in Loop: Header=BB14_34 Depth=1
	s_or_b64 exec, exec, s[6:7]
	s_mov_b64 s[8:9], -1
                                        ; implicit-def: $sgpr28_sgpr29
                                        ; implicit-def: $sgpr54_sgpr55
	s_and_saveexec_b64 s[6:7], s[34:35]
	s_cbranch_execz .LBB14_288
; %bb.242:                              ;   in Loop: Header=BB14_34 Depth=1
	s_cmp_eq_u64 s[16:17], 1
	v_cmp_eq_u64_e32 vcc, 1, v[6:7]
	s_cselect_b64 s[8:9], -1, 0
	s_and_b64 s[40:41], s[8:9], vcc
	s_mov_b64 s[8:9], -1
                                        ; implicit-def: $sgpr28_sgpr29
                                        ; implicit-def: $sgpr54_sgpr55
	s_and_saveexec_b64 s[60:61], s[40:41]
	s_cbranch_execz .LBB14_276
; %bb.243:                              ;   in Loop: Header=BB14_34 Depth=1
	ds_read_b64 v[4:5], v3 offset:5120
	s_waitcnt lgkmcnt(0)
	s_barrier
	v_readfirstlane_b32 s34, v4
	v_readfirstlane_b32 s35, v5
	s_mov_b64 s[8:9], exec
	v_readlane_b32 s28, v57, 54
	v_readlane_b32 s29, v57, 55
	s_and_b64 s[28:29], s[8:9], s[28:29]
	s_mov_b64 exec, s[28:29]
; %bb.244:                              ;   in Loop: Header=BB14_34 Depth=1
	ds_write_b8 v0, v3 offset:3072
; %bb.245:                              ;   in Loop: Header=BB14_34 Depth=1
	s_or_b64 exec, exec, s[8:9]
	v_cmp_gt_i64_e64 s[8:9], s[34:35], 0
	v_or_b32_e32 v43, s43, v43
	v_or_b32_e32 v45, s43, v45
	s_mov_b64 s[54:55], -1
	s_mov_b64 s[28:29], 0
	s_and_b64 vcc, exec, s[8:9]
	s_mov_b64 s[52:53], 0
	s_mov_b64 s[76:77], -1
	s_waitcnt lgkmcnt(0)
	s_barrier
                                        ; implicit-def: $vgpr46
	s_cbranch_vccnz .LBB14_261
; %bb.246:                              ;   in Loop: Header=BB14_34 Depth=1
	s_mov_b32 s72, s65
	v_writelane_b32 v57, s40, 58
	s_cmp_lg_u64 s[72:73], 0
	v_writelane_b32 v57, s41, 59
	s_cbranch_scc0 .LBB14_295
; %bb.247:                              ;   in Loop: Header=BB14_34 Depth=1
	s_add_u32 s8, s23, 0
	s_addc_u32 s9, 0, 0
	s_xor_b64 s[52:53], s[8:9], 0
	v_cvt_f32_u32_e32 v4, s52
	v_cvt_f32_u32_e32 v5, s53
	s_sub_u32 s36, 0, s52
	s_subb_u32 s37, 0, s53
	v_readlane_b32 vcc_lo, v57, 41
	v_mac_f32_e32 v4, 0x4f800000, v5
	v_rcp_f32_e32 v4, v4
	v_mul_f32_e32 v4, 0x5f7ffffc, v4
	v_mul_f32_e32 v5, 0x2f800000, v4
	v_trunc_f32_e32 v5, v5
	v_mac_f32_e32 v4, 0xcf800000, v5
	v_cvt_u32_f32_e32 v5, v5
	v_cvt_u32_f32_e32 v4, v4
	v_readfirstlane_b32 s38, v5
	v_readfirstlane_b32 s8, v4
	s_mul_i32 s9, s36, s38
	s_mul_hi_u32 s40, s36, s8
	s_mul_i32 s39, s37, s8
	s_add_i32 s9, s40, s9
	s_mul_i32 s41, s36, s8
	s_add_i32 s9, s9, s39
	s_mul_i32 s40, s8, s9
	s_mul_hi_u32 s50, s8, s41
	s_mul_hi_u32 s39, s8, s9
	s_add_u32 s40, s50, s40
	s_addc_u32 s39, 0, s39
	s_mul_hi_u32 s51, s38, s41
	s_mul_i32 s41, s38, s41
	s_add_u32 s40, s40, s41
	s_mul_hi_u32 s50, s38, s9
	s_addc_u32 s39, s39, s51
	s_addc_u32 s40, s50, 0
	s_mul_i32 s9, s38, s9
	s_add_u32 s9, s39, s9
	s_addc_u32 s39, 0, s40
	s_add_u32 s40, s8, s9
	s_cselect_b64 s[8:9], -1, 0
	s_cmp_lg_u64 s[8:9], 0
	s_addc_u32 s38, s38, s39
	s_mul_i32 s8, s36, s38
	s_mul_hi_u32 s9, s36, s40
	s_add_i32 s8, s9, s8
	s_mul_i32 s37, s37, s40
	s_add_i32 s8, s8, s37
	s_mul_i32 s36, s36, s40
	s_mul_hi_u32 s37, s38, s36
	s_mul_i32 s39, s38, s36
	s_mul_i32 s50, s40, s8
	s_mul_hi_u32 s36, s40, s36
	s_mul_hi_u32 s41, s40, s8
	s_add_u32 s36, s36, s50
	s_addc_u32 s41, 0, s41
	s_add_u32 s36, s36, s39
	s_mul_hi_u32 s9, s38, s8
	s_addc_u32 s36, s41, s37
	s_addc_u32 s9, s9, 0
	s_mul_i32 s8, s38, s8
	s_add_u32 s8, s36, s8
	s_addc_u32 s36, 0, s9
	s_add_u32 s39, s40, s8
	s_cselect_b64 s[8:9], -1, 0
	s_cmp_lg_u64 s[8:9], 0
	s_addc_u32 s38, s38, s36
	s_ashr_i32 s36, s73, 31
	s_add_u32 s8, vcc_lo, s36
	s_mov_b32 s37, s36
	s_addc_u32 s9, s73, s36
	s_xor_b64 s[8:9], s[8:9], s[36:37]
	s_mul_i32 s41, s8, s38
	s_mul_hi_u32 s50, s8, s39
	s_mul_hi_u32 s40, s8, s38
	s_add_u32 s41, s50, s41
	s_addc_u32 s40, 0, s40
	s_mul_hi_u32 s51, s9, s39
	s_mul_i32 s39, s9, s39
	s_add_u32 s39, s41, s39
	s_mul_hi_u32 s50, s9, s38
	s_addc_u32 s39, s40, s51
	s_addc_u32 s40, s50, 0
	s_mul_i32 s38, s9, s38
	s_add_u32 s38, s39, s38
	s_addc_u32 s39, 0, s40
	s_mul_i32 s39, s52, s39
	s_mul_hi_u32 s40, s52, s38
	s_add_i32 s39, s40, s39
	s_mul_i32 s40, s53, s38
	s_add_i32 s50, s39, s40
	s_sub_i32 s40, s9, s50
	s_mul_i32 s38, s52, s38
	s_sub_u32 s8, s8, s38
	s_cselect_b64 s[38:39], -1, 0
	s_cmp_lg_u64 s[38:39], 0
	s_subb_u32 s51, s40, s53
	s_sub_u32 s64, s8, s52
	s_cselect_b64 s[40:41], -1, 0
	s_cmp_lg_u64 s[40:41], 0
	s_subb_u32 s72, s51, 0
	s_cmp_ge_u32 s72, s53
	s_cselect_b32 s76, -1, 0
	s_cmp_ge_u32 s64, s52
	s_cselect_b32 s77, -1, 0
	s_cmp_eq_u32 s72, s53
	s_cselect_b32 s76, s77, s76
	s_cmp_lg_u64 s[40:41], 0
	s_subb_u32 s51, s51, s53
	s_sub_u32 s77, s64, s52
	s_cselect_b64 s[40:41], -1, 0
	s_cmp_lg_u64 s[40:41], 0
	s_subb_u32 s40, s51, 0
	s_cmp_lg_u32 s76, 0
	s_cselect_b32 s41, s77, s64
	s_cselect_b32 s40, s40, s72
	s_cmp_lg_u64 s[38:39], 0
	s_subb_u32 s9, s9, s50
	s_cmp_ge_u32 s9, s53
	s_cselect_b32 s38, -1, 0
	s_cmp_ge_u32 s8, s52
	s_cselect_b32 s39, -1, 0
	s_cmp_eq_u32 s9, s53
	s_cselect_b32 s38, s39, s38
	s_cmp_lg_u32 s38, 0
	s_cselect_b32 s9, s40, s9
	s_cselect_b32 s8, s41, s8
	s_xor_b64 s[8:9], s[8:9], s[36:37]
	s_sub_u32 s8, s8, s36
	s_mov_b32 s51, vcc_lo
	s_subb_u32 s9, s9, s36
	s_cbranch_execnz .LBB14_249
.LBB14_248:                             ;   in Loop: Header=BB14_34 Depth=1
	v_cvt_f32_u32_e32 v4, s23
	s_sub_i32 s8, 0, s23
	v_rcp_iflag_f32_e32 v4, v4
	v_mul_f32_e32 v4, 0x4f7ffffe, v4
	v_cvt_u32_f32_e32 v4, v4
	v_readfirstlane_b32 s9, v4
	s_mul_i32 s8, s8, s9
	s_mul_hi_u32 s8, s9, s8
	s_add_i32 s9, s9, s8
	s_mul_hi_u32 s8, s51, s9
	s_mul_i32 s8, s8, s23
	s_sub_i32 s8, s51, s8
	s_sub_i32 s9, s8, s23
	s_cmp_ge_u32 s8, s23
	s_cselect_b32 s8, s9, s8
	s_sub_i32 s9, s8, s23
	s_cmp_ge_u32 s8, s23
	s_cselect_b32 s64, s9, s8
	s_mov_b64 s[8:9], s[64:65]
.LBB14_249:                             ;   in Loop: Header=BB14_34 Depth=1
	s_sub_u32 s8, s51, s8
	s_subb_u32 s9, s73, s9
	v_cmp_gt_i64_e32 vcc, s[8:9], v[0:1]
	s_mov_b64 s[76:77], 0
	s_mov_b64 s[52:53], 0
                                        ; implicit-def: $vgpr46
	s_and_saveexec_b64 s[50:51], vcc
	s_cbranch_execz .LBB14_260
; %bb.250:                              ;   in Loop: Header=BB14_34 Depth=1
	v_mov_b32_e32 v4, v12
	v_mov_b32_e32 v9, v1
	;; [unrolled: 1-line block ×4, first 2 shown]
                                        ; implicit-def: $sgpr36_sgpr37
	s_branch .LBB14_253
.LBB14_251:                             ;   in Loop: Header=BB14_253 Depth=2
	s_or_b64 exec, exec, s[38:39]
	s_waitcnt lgkmcnt(0)
	s_barrier
	ds_read_u16 v10, v3 offset:3072
	s_mov_b64 s[38:39], -1
	s_waitcnt lgkmcnt(0)
	s_barrier
	v_cmp_ne_u32_sdwa s[40:41], v10, v3 src0_sel:BYTE_0 src1_sel:DWORD
	s_and_b64 vcc, exec, s[40:41]
	s_mov_b64 s[40:41], -1
	s_cbranch_vccz .LBB14_256
.LBB14_252:                             ;   in Loop: Header=BB14_253 Depth=2
	s_and_b64 s[38:39], exec, s[38:39]
	s_or_b64 s[52:53], s[38:39], s[52:53]
	s_andn2_b64 s[36:37], s[36:37], exec
	s_and_b64 s[38:39], s[40:41], exec
	s_or_b64 s[36:37], s[36:37], s[38:39]
	s_andn2_b64 exec, exec, s[52:53]
	s_cbranch_execz .LBB14_259
.LBB14_253:                             ;   Parent Loop BB14_34 Depth=1
                                        ; =>  This Inner Loop Header: Depth=2
	v_cmp_gt_i64_e32 vcc, s[24:25], v[8:9]
	s_and_saveexec_b64 s[38:39], vcc
	s_cbranch_execz .LBB14_251
; %bb.254:                              ;   in Loop: Header=BB14_253 Depth=2
	global_load_ubyte v10, v[4:5], off
	s_waitcnt vmcnt(0)
	v_add_u32_sdwa v11, sext(v10), s13 dst_sel:DWORD dst_unused:UNUSED_PAD src0_sel:BYTE_0 src1_sel:DWORD
	v_and_b32_e32 v11, v11, v45
	v_cmp_eq_u32_e32 vcc, v11, v43
	s_and_b64 exec, exec, vcc
	s_cbranch_execz .LBB14_251
; %bb.255:                              ;   in Loop: Header=BB14_253 Depth=2
	v_lshlrev_b16_e32 v10, 8, v10
	v_or_b32_e32 v10, 1, v10
	ds_write_b16 v3, v10 offset:3072
	s_branch .LBB14_251
.LBB14_256:                             ;   in Loop: Header=BB14_253 Depth=2
	v_add_co_u32_e32 v8, vcc, s23, v8
	v_addc_co_u32_e32 v9, vcc, 0, v9, vcc
	v_mov_b32_e32 v11, s33
	v_add_co_u32_e32 v4, vcc, s42, v4
	v_addc_co_u32_e32 v5, vcc, v5, v11, vcc
	v_cmp_le_i64_e32 vcc, s[8:9], v[8:9]
	s_mov_b64 s[40:41], 0
	s_orn2_b64 s[38:39], vcc, exec
	s_branch .LBB14_252
.LBB14_257:                             ;   in Loop: Header=BB14_34 Depth=1
	v_readlane_b32 s72, v57, 41
                                        ; implicit-def: $sgpr8_sgpr9
	s_branch .LBB14_203
.LBB14_258:                             ;   in Loop: Header=BB14_34 Depth=1
                                        ; implicit-def: $sgpr8_sgpr9
	s_branch .LBB14_219
.LBB14_259:                             ;   in Loop: Header=BB14_34 Depth=1
	s_or_b64 exec, exec, s[52:53]
	v_lshrrev_b32_sdwa v46, v44, v10 dst_sel:DWORD dst_unused:UNUSED_PAD src0_sel:DWORD src1_sel:WORD_0
	s_and_b64 s[52:53], s[36:37], exec
.LBB14_260:                             ;   in Loop: Header=BB14_34 Depth=1
	s_or_b64 exec, exec, s[50:51]
	v_readlane_b32 s40, v57, 58
	v_readlane_b32 s41, v57, 59
.LBB14_261:                             ;   in Loop: Header=BB14_34 Depth=1
	s_and_b64 vcc, exec, s[76:77]
	s_cbranch_vccz .LBB14_275
; %bb.262:                              ;   in Loop: Header=BB14_34 Depth=1
	v_readlane_b32 s8, v57, 40
	s_add_u32 s38, s34, s8
	v_readlane_b32 s8, v57, 42
	s_addc_u32 s29, s35, s8
	s_mov_b32 s28, s65
	s_cmp_lg_u64 s[28:29], 0
	s_cbranch_scc0 .LBB14_296
; %bb.263:                              ;   in Loop: Header=BB14_34 Depth=1
	s_add_u32 s8, s23, 0
	s_addc_u32 s9, 0, 0
	s_xor_b64 s[54:55], s[8:9], 0
	v_cvt_f32_u32_e32 v4, s54
	v_cvt_f32_u32_e32 v5, s55
	s_sub_u32 s28, 0, s54
	s_subb_u32 s36, 0, s55
	s_mov_b64 vcc, s[40:41]
	v_mac_f32_e32 v4, 0x4f800000, v5
	v_rcp_f32_e32 v4, v4
	v_mul_f32_e32 v4, 0x5f7ffffc, v4
	v_mul_f32_e32 v5, 0x2f800000, v4
	v_trunc_f32_e32 v5, v5
	v_mac_f32_e32 v4, 0xcf800000, v5
	v_cvt_u32_f32_e32 v5, v5
	v_cvt_u32_f32_e32 v4, v4
	v_readfirstlane_b32 s37, v5
	v_readfirstlane_b32 s8, v4
	s_mul_i32 s9, s28, s37
	s_mul_hi_u32 s40, s28, s8
	s_mul_i32 s39, s36, s8
	s_add_i32 s9, s40, s9
	s_mul_i32 s41, s28, s8
	s_add_i32 s9, s9, s39
	s_mul_i32 s40, s8, s9
	s_mul_hi_u32 s50, s8, s41
	s_mul_hi_u32 s39, s8, s9
	s_add_u32 s40, s50, s40
	s_addc_u32 s39, 0, s39
	s_mul_hi_u32 s51, s37, s41
	s_mul_i32 s41, s37, s41
	s_add_u32 s40, s40, s41
	s_mul_hi_u32 s50, s37, s9
	s_addc_u32 s39, s39, s51
	s_addc_u32 s40, s50, 0
	s_mul_i32 s9, s37, s9
	s_add_u32 s9, s39, s9
	s_addc_u32 s39, 0, s40
	s_add_u32 s40, s8, s9
	s_cselect_b64 s[8:9], -1, 0
	s_cmp_lg_u64 s[8:9], 0
	s_addc_u32 s37, s37, s39
	s_mul_i32 s8, s28, s37
	s_mul_hi_u32 s9, s28, s40
	s_add_i32 s8, s9, s8
	s_mul_i32 s36, s36, s40
	s_add_i32 s8, s8, s36
	s_mul_i32 s28, s28, s40
	s_mul_hi_u32 s36, s37, s28
	s_mul_i32 s39, s37, s28
	s_mul_i32 s50, s40, s8
	s_mul_hi_u32 s28, s40, s28
	s_mul_hi_u32 s41, s40, s8
	s_add_u32 s28, s28, s50
	s_addc_u32 s41, 0, s41
	s_add_u32 s28, s28, s39
	s_mul_hi_u32 s9, s37, s8
	s_addc_u32 s28, s41, s36
	s_addc_u32 s9, s9, 0
	s_mul_i32 s8, s37, s8
	s_add_u32 s8, s28, s8
	s_addc_u32 s28, 0, s9
	s_add_u32 s39, s40, s8
	s_cselect_b64 s[8:9], -1, 0
	s_cmp_lg_u64 s[8:9], 0
	s_addc_u32 s28, s37, s28
	s_ashr_i32 s36, s29, 31
	s_add_u32 s8, s38, s36
	s_mov_b32 s37, s36
	s_addc_u32 s9, s29, s36
	s_xor_b64 s[8:9], s[8:9], s[36:37]
	s_mul_i32 s41, s8, s28
	s_mul_hi_u32 s50, s8, s39
	s_mul_hi_u32 s40, s8, s28
	s_add_u32 s41, s50, s41
	s_addc_u32 s40, 0, s40
	s_mul_hi_u32 s51, s9, s39
	s_mul_i32 s39, s9, s39
	s_add_u32 s39, s41, s39
	s_mul_hi_u32 s50, s9, s28
	s_addc_u32 s39, s40, s51
	s_addc_u32 s40, s50, 0
	s_mul_i32 s28, s9, s28
	s_add_u32 s28, s39, s28
	s_addc_u32 s39, 0, s40
	s_mul_i32 s39, s54, s39
	s_mul_hi_u32 s40, s54, s28
	s_add_i32 s39, s40, s39
	s_mul_i32 s40, s55, s28
	s_add_i32 s39, s39, s40
	s_sub_i32 s50, s9, s39
	s_mul_i32 s28, s54, s28
	s_sub_u32 s8, s8, s28
	s_cselect_b64 s[40:41], -1, 0
	s_cmp_lg_u64 s[40:41], 0
	s_subb_u32 s28, s50, s55
	s_sub_u32 s64, s8, s54
	s_cselect_b64 s[50:51], -1, 0
	s_cmp_lg_u64 s[50:51], 0
	s_subb_u32 s72, s28, 0
	s_cmp_ge_u32 s72, s55
	s_cselect_b32 s76, -1, 0
	s_cmp_ge_u32 s64, s54
	s_cselect_b32 s77, -1, 0
	s_cmp_eq_u32 s72, s55
	s_cselect_b32 s76, s77, s76
	s_cmp_lg_u64 s[50:51], 0
	s_subb_u32 s28, s28, s55
	s_sub_u32 s77, s64, s54
	s_cselect_b64 s[50:51], -1, 0
	s_cmp_lg_u64 s[50:51], 0
	s_subb_u32 s28, s28, 0
	s_cmp_lg_u32 s76, 0
	s_cselect_b32 s50, s77, s64
	s_cselect_b32 s28, s28, s72
	s_cmp_lg_u64 s[40:41], 0
	s_subb_u32 s9, s9, s39
	s_cmp_ge_u32 s9, s55
	s_cselect_b32 s39, -1, 0
	s_cmp_ge_u32 s8, s54
	s_cselect_b32 s40, -1, 0
	s_cmp_eq_u32 s9, s55
	s_cselect_b32 s39, s40, s39
	s_cmp_lg_u32 s39, 0
	s_cselect_b32 s9, s28, s9
	s_cselect_b32 s8, s50, s8
	s_xor_b64 s[8:9], s[8:9], s[36:37]
	s_sub_u32 s8, s8, s36
	s_mov_b64 s[40:41], vcc
	s_subb_u32 s9, s9, s36
	s_cbranch_execnz .LBB14_265
.LBB14_264:                             ;   in Loop: Header=BB14_34 Depth=1
	v_cvt_f32_u32_e32 v4, s23
	s_sub_i32 s8, 0, s23
	v_rcp_iflag_f32_e32 v4, v4
	v_mul_f32_e32 v4, 0x4f7ffffe, v4
	v_cvt_u32_f32_e32 v4, v4
	v_readfirstlane_b32 s9, v4
	s_mul_i32 s8, s8, s9
	s_mul_hi_u32 s8, s9, s8
	s_add_i32 s9, s9, s8
	s_mul_hi_u32 s8, s38, s9
	s_mul_i32 s8, s8, s23
	s_sub_i32 s8, s38, s8
	s_sub_i32 s9, s8, s23
	s_cmp_ge_u32 s8, s23
	s_cselect_b32 s8, s9, s8
	s_sub_i32 s9, s8, s23
	s_cmp_ge_u32 s8, s23
	s_cselect_b32 s64, s9, s8
	s_mov_b64 s[8:9], s[64:65]
.LBB14_265:                             ;   in Loop: Header=BB14_34 Depth=1
	s_sub_u32 s28, s38, s8
	s_subb_u32 s29, s29, s9
	v_cmp_gt_i64_e32 vcc, s[28:29], v[0:1]
                                        ; implicit-def: $vgpr46
	s_and_saveexec_b64 s[8:9], vcc
	s_cbranch_execz .LBB14_274
; %bb.266:                              ;   in Loop: Header=BB14_34 Depth=1
	v_mov_b32_e32 v5, v1
	s_mov_b64 s[76:77], s[40:41]
	s_mov_b64 s[36:37], 0
	v_mov_b32_e32 v8, v0
	v_mov_b32_e32 v4, v0
                                        ; implicit-def: $sgpr38_sgpr39
	s_branch .LBB14_269
.LBB14_267:                             ;   in Loop: Header=BB14_269 Depth=2
	s_or_b64 exec, exec, s[54:55]
	s_waitcnt lgkmcnt(0)
	s_barrier
	ds_read_u16 v9, v3 offset:3072
	s_mov_b64 s[54:55], -1
	s_waitcnt lgkmcnt(0)
	s_barrier
	v_cmp_eq_u32_sdwa s[40:41], v9, v3 src0_sel:BYTE_0 src1_sel:DWORD
	s_and_b64 vcc, exec, s[40:41]
	s_mov_b64 s[40:41], -1
	s_cbranch_vccnz .LBB14_272
.LBB14_268:                             ;   in Loop: Header=BB14_269 Depth=2
	s_and_b64 s[50:51], exec, s[54:55]
	s_or_b64 s[36:37], s[50:51], s[36:37]
	s_andn2_b64 s[38:39], s[38:39], exec
	s_and_b64 s[40:41], s[40:41], exec
	s_or_b64 s[38:39], s[38:39], s[40:41]
	s_andn2_b64 exec, exec, s[36:37]
	s_cbranch_execz .LBB14_273
.LBB14_269:                             ;   Parent Loop BB14_34 Depth=1
                                        ; =>  This Inner Loop Header: Depth=2
	v_cmp_gt_u64_e32 vcc, s[34:35], v[4:5]
	s_and_saveexec_b64 s[54:55], vcc
	s_cbranch_execz .LBB14_267
; %bb.270:                              ;   in Loop: Header=BB14_269 Depth=2
	ds_read_u8 v9, v8
	s_waitcnt lgkmcnt(0)
	v_add_u32_sdwa v10, sext(v9), s13 dst_sel:DWORD dst_unused:UNUSED_PAD src0_sel:BYTE_0 src1_sel:DWORD
	v_and_b32_e32 v10, v10, v45
	v_cmp_eq_u32_e32 vcc, v10, v43
	s_and_b64 exec, exec, vcc
	s_cbranch_execz .LBB14_267
; %bb.271:                              ;   in Loop: Header=BB14_269 Depth=2
	v_lshlrev_b16_e32 v9, 8, v9
	v_or_b32_e32 v9, 1, v9
	ds_write_b16 v3, v9 offset:3072
	s_branch .LBB14_267
.LBB14_272:                             ;   in Loop: Header=BB14_269 Depth=2
	v_add_co_u32_e32 v4, vcc, s23, v4
	v_addc_co_u32_e32 v5, vcc, 0, v5, vcc
	v_cmp_le_i64_e32 vcc, s[28:29], v[4:5]
	v_add_u32_e32 v8, s23, v8
	s_mov_b64 s[40:41], 0
	s_orn2_b64 s[54:55], vcc, exec
	s_branch .LBB14_268
.LBB14_273:                             ;   in Loop: Header=BB14_34 Depth=1
	s_or_b64 exec, exec, s[36:37]
	s_andn2_b64 s[28:29], s[52:53], exec
	s_and_b64 s[34:35], s[38:39], exec
	v_lshrrev_b32_sdwa v46, v44, v9 dst_sel:DWORD dst_unused:UNUSED_PAD src0_sel:DWORD src1_sel:WORD_0
	s_or_b64 s[52:53], s[28:29], s[34:35]
	s_mov_b64 s[40:41], s[76:77]
.LBB14_274:                             ;   in Loop: Header=BB14_34 Depth=1
	s_or_b64 exec, exec, s[8:9]
	s_mov_b64 s[54:55], 0
	s_mov_b64 s[28:29], -1
.LBB14_275:                             ;   in Loop: Header=BB14_34 Depth=1
	s_orn2_b64 s[8:9], s[52:53], exec
.LBB14_276:                             ;   in Loop: Header=BB14_34 Depth=1
	s_or_b64 exec, exec, s[60:61]
	s_mov_b64 s[36:37], 0
	s_and_saveexec_b64 s[34:35], s[8:9]
	s_cbranch_execz .LBB14_287
; %bb.277:                              ;   in Loop: Header=BB14_34 Depth=1
	v_mov_b32_e32 v4, 1
	s_xor_b64 s[8:9], s[40:41], -1
	v_mov_b32_e32 v5, 0
	v_mov_b32_e32 v2, 1
	s_and_saveexec_b64 s[50:51], s[8:9]
	s_cbranch_execz .LBB14_286
; %bb.278:                              ;   in Loop: Header=BB14_34 Depth=1
	v_cmp_ge_i64_e32 vcc, s[16:17], v[6:7]
	s_and_saveexec_b64 s[8:9], vcc
	s_xor_b64 s[8:9], exec, s[8:9]
	s_cbranch_execz .LBB14_283
; %bb.279:                              ;   in Loop: Header=BB14_34 Depth=1
	ds_read_b64 v[4:5], v3 offset:5120
	v_or_b32_e32 v43, s43, v43
	v_or_b32_e32 v45, s43, v45
	s_waitcnt lgkmcnt(0)
	v_cmp_ne_u64_e32 vcc, 0, v[4:5]
	s_cbranch_vccnz .LBB14_283
; %bb.280:                              ;   in Loop: Header=BB14_34 Depth=1
	s_mov_b64 s[36:37], exec
	v_readlane_b32 s38, v57, 32
	v_readlane_b32 s39, v57, 33
	s_and_b64 s[38:39], s[36:37], s[38:39]
	s_mov_b64 exec, s[38:39]
; %bb.281:                              ;   in Loop: Header=BB14_34 Depth=1
	v_mov_b32_e32 v4, s16
	v_mov_b32_e32 v5, s17
	ds_write_b64 v3, v[4:5] offset:5128
; %bb.282:                              ;   in Loop: Header=BB14_34 Depth=1
	s_or_b64 exec, exec, s[36:37]
	s_waitcnt lgkmcnt(0)
	s_barrier
.LBB14_283:                             ;   in Loop: Header=BB14_34 Depth=1
	s_andn2_saveexec_b64 s[8:9], s[8:9]
; %bb.284:                              ;   in Loop: Header=BB14_34 Depth=1
	v_mov_b32_e32 v2, s17
	v_subrev_co_u32_e32 v6, vcc, s16, v6
	v_subb_co_u32_e32 v7, vcc, v7, v2, vcc
; %bb.285:                              ;   in Loop: Header=BB14_34 Depth=1
	s_or_b64 exec, exec, s[8:9]
	v_mov_b32_e32 v4, v6
	v_mov_b32_e32 v2, 8
	;; [unrolled: 1-line block ×3, first 2 shown]
.LBB14_286:                             ;   in Loop: Header=BB14_34 Depth=1
	s_or_b64 exec, exec, s[50:51]
	v_mov_b32_e32 v7, v5
	s_mov_b64 s[36:37], exec
	v_mov_b32_e32 v6, v4
.LBB14_287:                             ;   in Loop: Header=BB14_34 Depth=1
	s_or_b64 exec, exec, s[34:35]
	s_orn2_b64 s[8:9], s[36:37], exec
.LBB14_288:                             ;   in Loop: Header=BB14_34 Depth=1
	s_or_b64 exec, exec, s[6:7]
	s_andn2_b64 s[6:7], s[48:49], exec
	s_and_b64 s[16:17], s[28:29], exec
	s_or_b64 s[48:49], s[6:7], s[16:17]
	s_andn2_b64 s[6:7], s[46:47], exec
	s_and_b64 s[16:17], s[54:55], exec
	v_mov_b32_e32 v4, v6
	s_or_b64 s[46:47], s[6:7], s[16:17]
	s_and_b64 s[28:29], s[8:9], exec
	v_mov_b32_e32 v5, v7
.LBB14_289:                             ;   in Loop: Header=BB14_34 Depth=1
	s_or_b64 exec, exec, s[4:5]
	s_orn2_b64 s[4:5], s[28:29], exec
.LBB14_290:                             ;   in Loop: Header=BB14_34 Depth=1
	s_or_b64 exec, exec, s[44:45]
	s_andn2_b64 s[6:7], s[56:57], exec
	s_and_b64 s[8:9], s[48:49], exec
	s_or_b64 s[56:57], s[6:7], s[8:9]
	s_andn2_b64 s[6:7], s[14:15], exec
	s_and_b64 s[8:9], s[46:47], exec
	v_mov_b32_e32 v9, v5
	s_or_b64 s[14:15], s[6:7], s[8:9]
	s_and_b64 s[6:7], s[4:5], exec
	v_mov_b32_e32 v8, v4
.LBB14_291:                             ;   in Loop: Header=BB14_34 Depth=1
	s_or_b64 exec, exec, s[62:63]
	s_orn2_b64 s[4:5], s[6:7], exec
.LBB14_292:                             ;   in Loop: Header=BB14_34 Depth=1
	s_or_b64 exec, exec, s[26:27]
	s_mov_b64 s[6:7], 0
	s_and_saveexec_b64 s[8:9], s[4:5]
	s_xor_b64 s[4:5], exec, s[8:9]
	s_cbranch_execz .LBB14_32
; %bb.293:                              ;   in Loop: Header=BB14_34 Depth=1
	v_and_b32_e32 v2, 7, v2
	v_cmp_eq_u32_e32 vcc, 0, v2
	s_mov_b64 s[8:9], -1
	s_mov_b64 s[6:7], -1
	s_and_saveexec_b64 s[16:17], vcc
	s_cbranch_execz .LBB14_31
; %bb.294:                              ;   in Loop: Header=BB14_34 Depth=1
	s_xor_b32 s79, s79, 1
	s_add_i32 s20, s12, -2
	s_cmp_eq_u32 s12, 0
	s_cselect_b64 s[8:9], -1, 0
	s_xor_b64 s[6:7], exec, -1
	s_orn2_b64 s[8:9], s[8:9], exec
	s_mov_b32 s12, s20
	s_branch .LBB14_31
.LBB14_295:                             ;   in Loop: Header=BB14_34 Depth=1
	v_readlane_b32 s51, v57, 41
                                        ; implicit-def: $sgpr8_sgpr9
	s_branch .LBB14_248
.LBB14_296:                             ;   in Loop: Header=BB14_34 Depth=1
                                        ; implicit-def: $sgpr8_sgpr9
	s_branch .LBB14_264
.LBB14_297:
	s_or_b64 exec, exec, s[84:85]
	s_xor_b64 s[6:7], s[90:91], -1
	s_xor_b64 s[0:1], s[86:87], -1
	;; [unrolled: 1-line block ×3, first 2 shown]
	s_mov_b64 s[2:3], 0
	s_and_saveexec_b64 s[4:5], s[0:1]
	s_xor_b64 s[4:5], exec, s[4:5]
	s_cbranch_execnz .LBB14_302
; %bb.298:
	s_andn2_saveexec_b64 s[0:1], s[4:5]
	s_cbranch_execnz .LBB14_324
.LBB14_299:
	s_or_b64 exec, exec, s[0:1]
	s_and_saveexec_b64 s[0:1], s[2:3]
.LBB14_300:
	; divergent unreachable
.LBB14_301:
	s_endpgm
.LBB14_302:
	s_and_saveexec_b64 s[0:1], s[6:7]
	s_xor_b64 s[6:7], exec, s[0:1]
	s_cbranch_execz .LBB14_322
; %bb.303:
	s_and_saveexec_b64 s[0:1], s[8:9]
	s_xor_b64 s[2:3], exec, s[0:1]
; %bb.304:
	v_xor_b32_e32 v46, 0xffffff80, v43
; %bb.305:
	s_or_b64 exec, exec, s[2:3]
	s_mov_b64 s[2:3], exec
	v_readlane_b32 s0, v57, 32
	v_readlane_b32 s1, v57, 33
	;; [unrolled: 1-line block ×3, first 2 shown]
	s_and_b64 s[0:1], s[2:3], s[0:1]
	s_mov_b32 s22, s8
	v_readlane_b32 s9, v57, 35
	s_mov_b64 exec, s[0:1]
; %bb.306:
	v_mov_b32_e32 v2, 0
	v_mov_b32_e32 v3, s24
	ds_write_b32 v2, v3 offset:5140
; %bb.307:
	s_or_b64 exec, exec, s[2:3]
	s_waitcnt lgkmcnt(0)
	s_barrier
	s_mov_b64 s[10:11], exec
	v_readlane_b32 s0, v57, 56
	v_readlane_b32 s1, v57, 57
	s_and_b64 s[0:1], s[10:11], s[0:1]
	s_mov_b64 exec, s[0:1]
	s_cbranch_execz .LBB14_319
; %bb.308:
	v_mov_b32_e32 v2, 0
	ds_read_b32 v4, v2 offset:5140
	s_mov_b64 s[8:9], 0
                                        ; implicit-def: $sgpr12_sgpr13
                                        ; implicit-def: $sgpr14_sgpr15
                                        ; implicit-def: $sgpr16_sgpr17
	s_waitcnt lgkmcnt(0)
	v_ashrrev_i32_e32 v5, 31, v4
	s_branch .LBB14_311
.LBB14_309:                             ;   in Loop: Header=BB14_311 Depth=1
	s_or_b64 exec, exec, s[26:27]
	s_andn2_b64 s[0:1], s[16:17], exec
	s_and_b64 s[16:17], s[20:21], exec
	s_or_b64 s[16:17], s[0:1], s[16:17]
	s_andn2_b64 s[0:1], s[14:15], exec
	s_and_b64 s[2:3], s[2:3], exec
	s_or_b64 s[14:15], s[0:1], s[2:3]
.LBB14_310:                             ;   in Loop: Header=BB14_311 Depth=1
	s_or_b64 exec, exec, s[18:19]
	s_and_b64 s[0:1], exec, s[14:15]
	s_or_b64 s[8:9], s[0:1], s[8:9]
	s_andn2_b64 s[0:1], s[12:13], exec
	s_and_b64 s[2:3], s[16:17], exec
	s_or_b64 s[12:13], s[0:1], s[2:3]
	s_andn2_b64 exec, exec, s[8:9]
	s_cbranch_execz .LBB14_314
.LBB14_311:                             ; =>This Inner Loop Header: Depth=1
	v_mov_b32_e32 v3, v1
	v_mov_b32_e32 v2, v0
	v_cmp_lt_i64_e32 vcc, v[2:3], v[4:5]
	s_or_b64 s[16:17], s[16:17], exec
	s_or_b64 s[14:15], s[14:15], exec
                                        ; implicit-def: $vgpr0_vgpr1
	s_and_saveexec_b64 s[18:19], vcc
	s_cbranch_execz .LBB14_310
; %bb.312:                              ;   in Loop: Header=BB14_311 Depth=1
	global_load_ubyte v0, v[12:13], off
	s_mov_b64 s[2:3], -1
	s_mov_b64 s[20:21], 0
	s_waitcnt vmcnt(0)
	v_cmp_ne_u16_sdwa s[0:1], v0, v46 src0_sel:DWORD src1_sel:BYTE_0
                                        ; implicit-def: $vgpr0_vgpr1
	s_and_saveexec_b64 s[26:27], s[0:1]
	s_cbranch_execz .LBB14_309
; %bb.313:                              ;   in Loop: Header=BB14_311 Depth=1
	v_add_co_u32_e32 v0, vcc, s23, v2
	v_addc_co_u32_e32 v1, vcc, 0, v3, vcc
	v_mov_b32_e32 v3, s33
	v_cmp_le_i64_e32 vcc, s[24:25], v[0:1]
	v_add_co_u32_e64 v12, s[2:3], s42, v12
	v_addc_co_u32_e64 v13, s[2:3], v13, v3, s[2:3]
	s_mov_b64 s[20:21], exec
	s_orn2_b64 s[2:3], vcc, exec
	s_branch .LBB14_309
.LBB14_314:
	s_or_b64 exec, exec, s[8:9]
	s_xor_b64 s[0:1], s[12:13], -1
	s_and_saveexec_b64 s[2:3], s[0:1]
	s_xor_b64 s[2:3], exec, s[2:3]
	s_cbranch_execz .LBB14_319
; %bb.315:
	s_mov_b64 s[2:3], exec
	s_brev_b32 s0, -2
.LBB14_316:                             ; =>This Inner Loop Header: Depth=1
	s_ff1_i32_b64 s1, s[2:3]
	v_readlane_b32 s12, v2, s1
	s_lshl_b64 s[8:9], 1, s1
	s_min_i32 s0, s0, s12
	s_andn2_b64 s[2:3], s[2:3], s[8:9]
	s_cmp_lg_u64 s[2:3], 0
	s_cbranch_scc1 .LBB14_316
; %bb.317:
	v_mbcnt_lo_u32_b32 v0, exec_lo, 0
	v_mbcnt_hi_u32_b32 v0, exec_hi, v0
	v_cmp_eq_u32_e32 vcc, 0, v0
	s_and_saveexec_b64 s[2:3], vcc
	s_xor_b64 s[2:3], exec, s[2:3]
; %bb.318:
	v_mov_b32_e32 v0, 0
	v_mov_b32_e32 v1, s0
	ds_min_i32 v0, v1 offset:5140
.LBB14_319:
	s_or_b64 exec, exec, s[10:11]
	s_waitcnt lgkmcnt(0)
	s_barrier
	s_mov_b64 s[2:3], exec
	v_readlane_b32 s0, v57, 32
	v_readlane_b32 s1, v57, 33
	s_and_b64 s[0:1], s[2:3], s[0:1]
	s_mov_b64 exec, s[0:1]
	s_cbranch_execz .LBB14_321
; %bb.320:
	v_readlane_b32 s24, v57, 6
	v_readlane_b32 s26, v57, 8
	;; [unrolled: 1-line block ×5, first 2 shown]
	s_mul_i32 s0, s28, s27
	s_mul_hi_u32 s1, s28, s26
	s_add_i32 s0, s1, s0
	s_mul_i32 s1, s29, s26
	s_add_i32 s0, s0, s1
	s_mul_i32 s1, s28, s26
	v_readlane_b32 s10, v57, 14
	s_sub_u32 s8, s22, s1
	v_readlane_b32 s11, v57, 15
	s_subb_u32 s0, 0, s0
	s_mul_i32 s1, s8, s11
	s_mul_hi_u32 s9, s8, s10
	v_readlane_b32 s16, v57, 0
	s_add_i32 s1, s9, s1
	s_mul_i32 s0, s0, s10
	v_readlane_b32 s17, v57, 1
	v_readlane_b32 s20, v57, 10
	s_add_i32 s1, s1, s0
	s_mul_i32 s0, s8, s10
	v_readlane_b32 s21, v57, 11
	s_mul_i32 s8, s20, s17
	s_mul_hi_u32 s9, s20, s16
	s_add_i32 s8, s9, s8
	s_mul_i32 s9, s21, s16
	s_add_i32 s8, s8, s9
	s_mul_i32 s9, s20, s16
	v_readlane_b32 s16, v57, 4
	v_readlane_b32 s36, v57, 22
	;; [unrolled: 1-line block ×3, first 2 shown]
	s_sub_u32 s9, s16, s9
	v_readlane_b32 s38, v57, 24
	v_readlane_b32 s39, v57, 25
	s_subb_u32 s8, s17, s8
	s_mul_i32 s10, s9, s39
	s_mul_hi_u32 s11, s9, s38
	v_readlane_b32 s37, v57, 23
	s_add_i32 s10, s11, s10
	s_mul_i32 s8, s8, s38
	s_add_i32 s12, s10, s8
	s_mul_i32 s13, s9, s38
	s_mul_i32 s8, s20, s37
	s_mul_hi_u32 s9, s20, s36
	v_readlane_b32 s18, v57, 2
	v_readlane_b32 s19, v57, 3
	s_add_i32 s8, s9, s8
	s_mul_i32 s9, s21, s36
	s_add_i32 s14, s8, s9
	s_mul_i32 s8, s16, s19
	s_mul_hi_u32 s9, s16, s18
	s_add_i32 s8, s9, s8
	s_mul_i32 s9, s17, s18
	s_add_i32 s8, s8, s9
	s_mul_i32 s9, s16, s18
	v_readlane_b32 s18, v57, 20
	s_sub_u32 s9, s22, s9
	v_readlane_b32 s19, v57, 21
	s_subb_u32 s8, 0, s8
	s_mul_i32 s10, s9, s19
	s_mul_hi_u32 s11, s9, s18
	v_readlane_b32 s25, v57, 7
	s_add_i32 s10, s11, s10
	s_mul_i32 s8, s8, s18
	s_mul_i32 s17, s9, s18
	v_readlane_b32 s18, v57, 26
	s_add_i32 s16, s10, s8
	v_readlane_b32 s19, v57, 27
	s_mul_i32 s8, s18, s25
	s_mul_hi_u32 s9, s18, s24
	s_add_i32 s8, s9, s8
	s_mul_i32 s9, s19, s24
	s_mul_i32 s15, s20, s36
	s_add_i32 s8, s8, s9
	s_mul_i32 s9, s18, s24
	v_readlane_b32 s20, v57, 16
	s_sub_u32 s10, s28, s9
	v_readlane_b32 s22, v57, 18
	v_readlane_b32 s23, v57, 19
	s_subb_u32 s8, s29, s8
	s_mul_i32 s9, s10, s23
	s_mul_hi_u32 s11, s10, s22
	v_readlane_b32 s21, v57, 17
	s_add_i32 s9, s11, s9
	s_mul_i32 s8, s8, s22
	s_add_i32 s9, s9, s8
	s_mul_i32 s8, s10, s22
	s_mul_i32 s10, s18, s21
	s_mul_hi_u32 s11, s18, s20
	s_add_i32 s10, s11, s10
	s_mul_i32 s11, s19, s20
	s_add_i32 s11, s10, s11
	s_mul_i32 s10, s18, s20
	v_readlane_b32 s18, v57, 30
	v_readlane_b32 s19, v57, 31
	s_add_u32 s15, s18, s15
	s_addc_u32 s14, s19, s14
	s_add_u32 s13, s15, s13
	s_addc_u32 s14, s14, s12
	;; [unrolled: 2-line block ×3, first 2 shown]
	s_lshl_b64 s[10:11], s[10:11], 3
	v_readlane_b32 s14, v57, 28
	v_mov_b32_e32 v2, 0
	v_readlane_b32 s15, v57, 29
	s_add_u32 s10, s14, s10
	ds_read_b32 v0, v2 offset:5140
	s_addc_u32 s11, s15, s11
	s_lshl_b64 s[8:9], s[8:9], 3
	s_add_u32 s8, s10, s8
	s_addc_u32 s9, s11, s9
	s_lshl_b64 s[0:1], s[0:1], 3
	s_add_u32 s0, s8, s0
	s_addc_u32 s1, s9, s1
	s_waitcnt lgkmcnt(0)
	v_ashrrev_i32_e32 v1, 31, v0
	global_store_dwordx2 v2, v[0:1], s[0:1]
	global_store_byte v2, v46, s[12:13]
.LBB14_321:
	s_or_b64 exec, exec, s[2:3]
.LBB14_322:
	s_or_saveexec_b64 s[0:1], s[6:7]
	s_mov_b64 s[2:3], 0
	s_xor_b64 exec, exec, s[0:1]
	s_cbranch_execnz .LBB14_325
.LBB14_323:
	s_or_b64 exec, exec, s[0:1]
	s_and_b64 s[2:3], s[2:3], exec
	s_andn2_saveexec_b64 s[0:1], s[4:5]
	s_cbranch_execz .LBB14_299
.LBB14_324:
	s_or_b64 s[2:3], s[2:3], exec
	s_trap 2
	s_or_b64 exec, exec, s[0:1]
	s_and_saveexec_b64 s[0:1], s[2:3]
	s_cbranch_execnz .LBB14_300
	s_branch .LBB14_301
.LBB14_325:
	s_mov_b64 s[2:3], exec
	s_trap 2
	s_branch .LBB14_323
	.section	.rodata,"a",@progbits
	.p2align	6, 0x0
	.amdhsa_kernel _ZN2at6native12_GLOBAL__N_114gatherKthValueIalLi3EEEvNS_4cuda6detail10TensorInfoIKT_T0_EES8_S8_S8_S8_NS5_IS6_S8_EENS5_IlS8_EE
		.amdhsa_group_segment_fixed_size 5144
		.amdhsa_private_segment_fixed_size 0
		.amdhsa_kernarg_size 1536
		.amdhsa_user_sgpr_count 6
		.amdhsa_user_sgpr_private_segment_buffer 1
		.amdhsa_user_sgpr_dispatch_ptr 0
		.amdhsa_user_sgpr_queue_ptr 0
		.amdhsa_user_sgpr_kernarg_segment_ptr 1
		.amdhsa_user_sgpr_dispatch_id 0
		.amdhsa_user_sgpr_flat_scratch_init 0
		.amdhsa_user_sgpr_private_segment_size 0
		.amdhsa_uses_dynamic_stack 0
		.amdhsa_system_sgpr_private_segment_wavefront_offset 0
		.amdhsa_system_sgpr_workgroup_id_x 1
		.amdhsa_system_sgpr_workgroup_id_y 1
		.amdhsa_system_sgpr_workgroup_id_z 1
		.amdhsa_system_sgpr_workgroup_info 0
		.amdhsa_system_vgpr_workitem_id 0
		.amdhsa_next_free_vgpr 58
		.amdhsa_next_free_sgpr 96
		.amdhsa_reserve_vcc 1
		.amdhsa_reserve_flat_scratch 0
		.amdhsa_float_round_mode_32 0
		.amdhsa_float_round_mode_16_64 0
		.amdhsa_float_denorm_mode_32 3
		.amdhsa_float_denorm_mode_16_64 3
		.amdhsa_dx10_clamp 1
		.amdhsa_ieee_mode 1
		.amdhsa_fp16_overflow 0
		.amdhsa_exception_fp_ieee_invalid_op 0
		.amdhsa_exception_fp_denorm_src 0
		.amdhsa_exception_fp_ieee_div_zero 0
		.amdhsa_exception_fp_ieee_overflow 0
		.amdhsa_exception_fp_ieee_underflow 0
		.amdhsa_exception_fp_ieee_inexact 0
		.amdhsa_exception_int_div_zero 0
	.end_amdhsa_kernel
	.section	.text._ZN2at6native12_GLOBAL__N_114gatherKthValueIalLi3EEEvNS_4cuda6detail10TensorInfoIKT_T0_EES8_S8_S8_S8_NS5_IS6_S8_EENS5_IlS8_EE,"axG",@progbits,_ZN2at6native12_GLOBAL__N_114gatherKthValueIalLi3EEEvNS_4cuda6detail10TensorInfoIKT_T0_EES8_S8_S8_S8_NS5_IS6_S8_EENS5_IlS8_EE,comdat
.Lfunc_end14:
	.size	_ZN2at6native12_GLOBAL__N_114gatherKthValueIalLi3EEEvNS_4cuda6detail10TensorInfoIKT_T0_EES8_S8_S8_S8_NS5_IS6_S8_EENS5_IlS8_EE, .Lfunc_end14-_ZN2at6native12_GLOBAL__N_114gatherKthValueIalLi3EEEvNS_4cuda6detail10TensorInfoIKT_T0_EES8_S8_S8_S8_NS5_IS6_S8_EENS5_IlS8_EE
                                        ; -- End function
	.set _ZN2at6native12_GLOBAL__N_114gatherKthValueIalLi3EEEvNS_4cuda6detail10TensorInfoIKT_T0_EES8_S8_S8_S8_NS5_IS6_S8_EENS5_IlS8_EE.num_vgpr, 58
	.set _ZN2at6native12_GLOBAL__N_114gatherKthValueIalLi3EEEvNS_4cuda6detail10TensorInfoIKT_T0_EES8_S8_S8_S8_NS5_IS6_S8_EENS5_IlS8_EE.num_agpr, 0
	.set _ZN2at6native12_GLOBAL__N_114gatherKthValueIalLi3EEEvNS_4cuda6detail10TensorInfoIKT_T0_EES8_S8_S8_S8_NS5_IS6_S8_EENS5_IlS8_EE.numbered_sgpr, 96
	.set _ZN2at6native12_GLOBAL__N_114gatherKthValueIalLi3EEEvNS_4cuda6detail10TensorInfoIKT_T0_EES8_S8_S8_S8_NS5_IS6_S8_EENS5_IlS8_EE.num_named_barrier, 0
	.set _ZN2at6native12_GLOBAL__N_114gatherKthValueIalLi3EEEvNS_4cuda6detail10TensorInfoIKT_T0_EES8_S8_S8_S8_NS5_IS6_S8_EENS5_IlS8_EE.private_seg_size, 0
	.set _ZN2at6native12_GLOBAL__N_114gatherKthValueIalLi3EEEvNS_4cuda6detail10TensorInfoIKT_T0_EES8_S8_S8_S8_NS5_IS6_S8_EENS5_IlS8_EE.uses_vcc, 1
	.set _ZN2at6native12_GLOBAL__N_114gatherKthValueIalLi3EEEvNS_4cuda6detail10TensorInfoIKT_T0_EES8_S8_S8_S8_NS5_IS6_S8_EENS5_IlS8_EE.uses_flat_scratch, 0
	.set _ZN2at6native12_GLOBAL__N_114gatherKthValueIalLi3EEEvNS_4cuda6detail10TensorInfoIKT_T0_EES8_S8_S8_S8_NS5_IS6_S8_EENS5_IlS8_EE.has_dyn_sized_stack, 0
	.set _ZN2at6native12_GLOBAL__N_114gatherKthValueIalLi3EEEvNS_4cuda6detail10TensorInfoIKT_T0_EES8_S8_S8_S8_NS5_IS6_S8_EENS5_IlS8_EE.has_recursion, 0
	.set _ZN2at6native12_GLOBAL__N_114gatherKthValueIalLi3EEEvNS_4cuda6detail10TensorInfoIKT_T0_EES8_S8_S8_S8_NS5_IS6_S8_EENS5_IlS8_EE.has_indirect_call, 0
	.section	.AMDGPU.csdata,"",@progbits
; Kernel info:
; codeLenInByte = 21352
; TotalNumSgprs: 100
; NumVgprs: 58
; ScratchSize: 0
; MemoryBound: 0
; FloatMode: 240
; IeeeMode: 1
; LDSByteSize: 5144 bytes/workgroup (compile time only)
; SGPRBlocks: 12
; VGPRBlocks: 14
; NumSGPRsForWavesPerEU: 100
; NumVGPRsForWavesPerEU: 58
; Occupancy: 4
; WaveLimiterHint : 1
; COMPUTE_PGM_RSRC2:SCRATCH_EN: 0
; COMPUTE_PGM_RSRC2:USER_SGPR: 6
; COMPUTE_PGM_RSRC2:TRAP_HANDLER: 0
; COMPUTE_PGM_RSRC2:TGID_X_EN: 1
; COMPUTE_PGM_RSRC2:TGID_Y_EN: 1
; COMPUTE_PGM_RSRC2:TGID_Z_EN: 1
; COMPUTE_PGM_RSRC2:TIDIG_COMP_CNT: 0
	.section	.text._ZN2at6native12_GLOBAL__N_114gatherKthValueIalLin1EEEvNS_4cuda6detail10TensorInfoIKT_T0_EES8_S8_S8_S8_NS5_IS6_S8_EENS5_IlS8_EE,"axG",@progbits,_ZN2at6native12_GLOBAL__N_114gatherKthValueIalLin1EEEvNS_4cuda6detail10TensorInfoIKT_T0_EES8_S8_S8_S8_NS5_IS6_S8_EENS5_IlS8_EE,comdat
	.globl	_ZN2at6native12_GLOBAL__N_114gatherKthValueIalLin1EEEvNS_4cuda6detail10TensorInfoIKT_T0_EES8_S8_S8_S8_NS5_IS6_S8_EENS5_IlS8_EE ; -- Begin function _ZN2at6native12_GLOBAL__N_114gatherKthValueIalLin1EEEvNS_4cuda6detail10TensorInfoIKT_T0_EES8_S8_S8_S8_NS5_IS6_S8_EENS5_IlS8_EE
	.p2align	8
	.type	_ZN2at6native12_GLOBAL__N_114gatherKthValueIalLin1EEEvNS_4cuda6detail10TensorInfoIKT_T0_EES8_S8_S8_S8_NS5_IS6_S8_EENS5_IlS8_EE,@function
_ZN2at6native12_GLOBAL__N_114gatherKthValueIalLin1EEEvNS_4cuda6detail10TensorInfoIKT_T0_EES8_S8_S8_S8_NS5_IS6_S8_EENS5_IlS8_EE: ; @_ZN2at6native12_GLOBAL__N_114gatherKthValueIalLin1EEEvNS_4cuda6detail10TensorInfoIKT_T0_EES8_S8_S8_S8_NS5_IS6_S8_EENS5_IlS8_EE
; %bb.0:
	s_load_dwordx2 s[12:13], s[4:5], 0x500
	s_load_dwordx8 s[24:31], s[4:5], 0x1a0
	s_add_u32 s10, s4, 0x500
	s_addc_u32 s11, s5, 0
	s_mov_b32 s1, 0
	s_waitcnt lgkmcnt(0)
	s_mul_i32 s0, s13, s8
	s_add_i32 s0, s0, s7
	s_mul_i32 s0, s0, s12
	s_add_i32 s0, s0, s6
	v_mov_b32_e32 v2, s1
	v_mov_b32_e32 v1, s0
	v_cmp_le_i64_e32 vcc, s[28:29], v[1:2]
	s_cbranch_vccnz .LBB15_304
; %bb.1:
	s_load_dword s13, s[4:5], 0x198
	s_mov_b64 s[8:9], 0
	s_mov_b64 s[2:3], s[0:1]
	s_waitcnt lgkmcnt(0)
	s_cmp_lt_i32 s13, 2
	s_cbranch_scc1 .LBB15_9
; %bb.2:
	s_mov_b32 s14, 0
	s_add_i32 s2, s13, -1
	s_mov_b32 s3, s14
	s_add_i32 s7, s13, 1
	s_lshl_b64 s[2:3], s[2:3], 3
	s_add_u32 s2, s4, s2
	s_addc_u32 s3, s5, s3
	s_add_u32 s16, s2, 8
	s_addc_u32 s17, s3, 0
	s_mov_b64 s[18:19], s[0:1]
.LBB15_3:                               ; =>This Inner Loop Header: Depth=1
	s_load_dwordx2 s[20:21], s[16:17], 0x0
	s_waitcnt lgkmcnt(0)
	s_or_b64 s[2:3], s[18:19], s[20:21]
	s_mov_b32 s15, s3
	s_cmp_lg_u64 s[14:15], 0
	s_cbranch_scc0 .LBB15_8
; %bb.4:                                ;   in Loop: Header=BB15_3 Depth=1
	s_ashr_i32 s2, s21, 31
	s_add_u32 s22, s20, s2
	s_mov_b32 s3, s2
	s_addc_u32 s23, s21, s2
	s_xor_b64 s[22:23], s[22:23], s[2:3]
	v_cvt_f32_u32_e32 v1, s22
	v_cvt_f32_u32_e32 v2, s23
	s_sub_u32 s13, 0, s22
	s_subb_u32 s15, 0, s23
	v_mac_f32_e32 v1, 0x4f800000, v2
	v_rcp_f32_e32 v1, v1
	v_mul_f32_e32 v1, 0x5f7ffffc, v1
	v_mul_f32_e32 v2, 0x2f800000, v1
	v_trunc_f32_e32 v2, v2
	v_mac_f32_e32 v1, 0xcf800000, v2
	v_cvt_u32_f32_e32 v2, v2
	v_cvt_u32_f32_e32 v1, v1
	v_readfirstlane_b32 s33, v2
	v_readfirstlane_b32 s28, v1
	s_mul_i32 s29, s13, s33
	s_mul_hi_u32 s35, s13, s28
	s_mul_i32 s34, s15, s28
	s_add_i32 s29, s35, s29
	s_add_i32 s29, s29, s34
	s_mul_i32 s36, s13, s28
	s_mul_i32 s35, s28, s29
	s_mul_hi_u32 s37, s28, s36
	s_mul_hi_u32 s34, s28, s29
	s_add_u32 s35, s37, s35
	s_addc_u32 s34, 0, s34
	s_mul_hi_u32 s38, s33, s36
	s_mul_i32 s36, s33, s36
	s_add_u32 s35, s35, s36
	s_mul_hi_u32 s37, s33, s29
	s_addc_u32 s34, s34, s38
	s_addc_u32 s35, s37, 0
	s_mul_i32 s29, s33, s29
	s_add_u32 s29, s34, s29
	s_addc_u32 s34, 0, s35
	s_add_u32 s35, s28, s29
	s_cselect_b64 s[28:29], -1, 0
	s_cmp_lg_u64 s[28:29], 0
	s_addc_u32 s33, s33, s34
	s_mul_i32 s28, s13, s33
	s_mul_hi_u32 s29, s13, s35
	s_add_i32 s28, s29, s28
	s_mul_i32 s15, s15, s35
	s_add_i32 s28, s28, s15
	s_mul_i32 s13, s13, s35
	s_mul_hi_u32 s29, s33, s13
	s_mul_i32 s34, s33, s13
	s_mul_i32 s37, s35, s28
	s_mul_hi_u32 s13, s35, s13
	s_mul_hi_u32 s36, s35, s28
	s_add_u32 s13, s13, s37
	s_addc_u32 s36, 0, s36
	s_add_u32 s13, s13, s34
	s_mul_hi_u32 s15, s33, s28
	s_addc_u32 s13, s36, s29
	s_addc_u32 s15, s15, 0
	s_mul_i32 s28, s33, s28
	s_add_u32 s13, s13, s28
	s_addc_u32 s15, 0, s15
	s_add_u32 s13, s35, s13
	s_cselect_b64 s[28:29], -1, 0
	s_cmp_lg_u64 s[28:29], 0
	s_addc_u32 s15, s33, s15
	s_ashr_i32 s28, s19, 31
	s_add_u32 s34, s18, s28
	s_mov_b32 s29, s28
	s_addc_u32 s35, s19, s28
	s_xor_b64 s[34:35], s[34:35], s[28:29]
	s_mul_i32 s36, s34, s15
	s_mul_hi_u32 s37, s34, s13
	s_mul_hi_u32 s33, s34, s15
	s_add_u32 s36, s37, s36
	s_addc_u32 s33, 0, s33
	s_mul_hi_u32 s38, s35, s13
	s_mul_i32 s13, s35, s13
	s_add_u32 s13, s36, s13
	s_mul_hi_u32 s37, s35, s15
	s_addc_u32 s13, s33, s38
	s_addc_u32 s33, s37, 0
	s_mul_i32 s15, s35, s15
	s_add_u32 s13, s13, s15
	s_addc_u32 s15, 0, s33
	s_mul_i32 s33, s22, s15
	s_mul_hi_u32 s36, s22, s13
	s_add_i32 s33, s36, s33
	s_mul_i32 s36, s23, s13
	s_add_i32 s33, s33, s36
	s_sub_i32 s38, s35, s33
	s_mul_i32 s36, s22, s13
	s_sub_u32 s34, s34, s36
	s_cselect_b64 s[36:37], -1, 0
	s_cmp_lg_u64 s[36:37], 0
	s_subb_u32 s40, s38, s23
	s_sub_u32 s41, s34, s22
	s_cselect_b64 s[38:39], -1, 0
	s_cmp_lg_u64 s[38:39], 0
	s_subb_u32 s38, s40, 0
	s_cmp_ge_u32 s38, s23
	s_cselect_b32 s39, -1, 0
	s_cmp_ge_u32 s41, s22
	s_cselect_b32 s40, -1, 0
	s_cmp_eq_u32 s38, s23
	s_cselect_b32 s38, s40, s39
	s_add_u32 s39, s13, 1
	s_addc_u32 s40, s15, 0
	s_add_u32 s41, s13, 2
	s_addc_u32 s42, s15, 0
	s_cmp_lg_u32 s38, 0
	s_cselect_b32 s38, s41, s39
	s_cselect_b32 s39, s42, s40
	s_cmp_lg_u64 s[36:37], 0
	s_subb_u32 s33, s35, s33
	s_cmp_ge_u32 s33, s23
	s_cselect_b32 s35, -1, 0
	s_cmp_ge_u32 s34, s22
	s_cselect_b32 s22, -1, 0
	s_cmp_eq_u32 s33, s23
	s_cselect_b32 s22, s22, s35
	s_cmp_lg_u32 s22, 0
	s_cselect_b32 s23, s39, s15
	s_cselect_b32 s22, s38, s13
	s_xor_b64 s[2:3], s[28:29], s[2:3]
	s_xor_b64 s[22:23], s[22:23], s[2:3]
	s_sub_u32 s2, s22, s2
	s_subb_u32 s3, s23, s3
	s_cbranch_execnz .LBB15_6
.LBB15_5:                               ;   in Loop: Header=BB15_3 Depth=1
	v_cvt_f32_u32_e32 v1, s20
	s_sub_i32 s2, 0, s20
	v_rcp_iflag_f32_e32 v1, v1
	v_mul_f32_e32 v1, 0x4f7ffffe, v1
	v_cvt_u32_f32_e32 v1, v1
	v_readfirstlane_b32 s3, v1
	s_mul_i32 s2, s2, s3
	s_mul_hi_u32 s2, s3, s2
	s_add_i32 s3, s3, s2
	s_mul_hi_u32 s2, s18, s3
	s_mul_i32 s13, s2, s20
	s_sub_i32 s13, s18, s13
	s_add_i32 s3, s2, 1
	s_sub_i32 s15, s13, s20
	s_cmp_ge_u32 s13, s20
	s_cselect_b32 s2, s3, s2
	s_cselect_b32 s13, s15, s13
	s_add_i32 s3, s2, 1
	s_cmp_ge_u32 s13, s20
	s_cselect_b32 s2, s3, s2
	s_mov_b32 s3, s14
.LBB15_6:                               ;   in Loop: Header=BB15_3 Depth=1
	s_mul_i32 s13, s2, s21
	s_mul_hi_u32 s15, s2, s20
	s_load_dwordx2 s[22:23], s[16:17], 0xc8
	s_add_i32 s13, s15, s13
	s_mul_i32 s15, s3, s20
	s_add_i32 s13, s13, s15
	s_mul_i32 s15, s2, s20
	s_sub_u32 s15, s18, s15
	s_subb_u32 s13, s19, s13
	s_waitcnt lgkmcnt(0)
	s_mul_i32 s13, s22, s13
	s_mul_hi_u32 s18, s22, s15
	s_add_i32 s13, s18, s13
	s_mul_i32 s18, s23, s15
	s_add_i32 s13, s13, s18
	s_mul_i32 s15, s22, s15
	s_add_u32 s8, s15, s8
	s_addc_u32 s9, s13, s9
	s_add_i32 s7, s7, -1
	s_add_u32 s16, s16, -8
	s_addc_u32 s17, s17, -1
	s_cmp_gt_u32 s7, 2
	s_cbranch_scc0 .LBB15_9
; %bb.7:                                ;   in Loop: Header=BB15_3 Depth=1
	s_mov_b64 s[18:19], s[2:3]
	s_branch .LBB15_3
.LBB15_8:                               ;   in Loop: Header=BB15_3 Depth=1
                                        ; implicit-def: $sgpr2_sgpr3
	s_branch .LBB15_5
.LBB15_9:
	s_load_dword s13, s[4:5], 0x358
	s_load_dwordx2 s[14:15], s[4:5], 0xd0
	s_add_u32 s16, s4, 0x1c0
	s_addc_u32 s17, s5, 0
	s_mov_b64 s[22:23], 0
	s_waitcnt lgkmcnt(0)
	s_cmp_lt_i32 s13, 2
	s_mov_b64 s[28:29], s[0:1]
	s_cbranch_scc1 .LBB15_17
; %bb.10:
	s_mov_b32 s18, 0
	s_add_i32 s20, s13, -1
	s_mov_b32 s21, s18
	s_add_i32 s7, s13, 1
	s_lshl_b64 s[20:21], s[20:21], 3
	s_add_u32 s13, s16, s20
	s_addc_u32 s19, s17, s21
	s_add_u32 s20, s13, 8
	s_addc_u32 s21, s19, 0
	s_mov_b64 s[34:35], s[0:1]
.LBB15_11:                              ; =>This Inner Loop Header: Depth=1
	s_load_dwordx2 s[36:37], s[20:21], 0x0
	s_waitcnt lgkmcnt(0)
	s_or_b64 s[28:29], s[34:35], s[36:37]
	s_mov_b32 s19, s29
	s_cmp_lg_u64 s[18:19], 0
	s_cbranch_scc0 .LBB15_16
; %bb.12:                               ;   in Loop: Header=BB15_11 Depth=1
	s_ashr_i32 s28, s37, 31
	s_add_u32 s38, s36, s28
	s_mov_b32 s29, s28
	s_addc_u32 s39, s37, s28
	s_xor_b64 s[38:39], s[38:39], s[28:29]
	v_cvt_f32_u32_e32 v1, s38
	v_cvt_f32_u32_e32 v2, s39
	s_sub_u32 s13, 0, s38
	s_subb_u32 s19, 0, s39
	v_mac_f32_e32 v1, 0x4f800000, v2
	v_rcp_f32_e32 v1, v1
	v_mul_f32_e32 v1, 0x5f7ffffc, v1
	v_mul_f32_e32 v2, 0x2f800000, v1
	v_trunc_f32_e32 v2, v2
	v_mac_f32_e32 v1, 0xcf800000, v2
	v_cvt_u32_f32_e32 v2, v2
	v_cvt_u32_f32_e32 v1, v1
	v_readfirstlane_b32 s33, v2
	v_readfirstlane_b32 s40, v1
	s_mul_i32 s41, s13, s33
	s_mul_hi_u32 s43, s13, s40
	s_mul_i32 s42, s19, s40
	s_add_i32 s41, s43, s41
	s_add_i32 s41, s41, s42
	s_mul_i32 s44, s13, s40
	s_mul_i32 s43, s40, s41
	s_mul_hi_u32 s45, s40, s44
	s_mul_hi_u32 s42, s40, s41
	s_add_u32 s43, s45, s43
	s_addc_u32 s42, 0, s42
	s_mul_hi_u32 s46, s33, s44
	s_mul_i32 s44, s33, s44
	s_add_u32 s43, s43, s44
	s_mul_hi_u32 s45, s33, s41
	s_addc_u32 s42, s42, s46
	s_addc_u32 s43, s45, 0
	s_mul_i32 s41, s33, s41
	s_add_u32 s41, s42, s41
	s_addc_u32 s42, 0, s43
	s_add_u32 s43, s40, s41
	s_cselect_b64 s[40:41], -1, 0
	s_cmp_lg_u64 s[40:41], 0
	s_addc_u32 s33, s33, s42
	s_mul_i32 s40, s13, s33
	s_mul_hi_u32 s41, s13, s43
	s_add_i32 s40, s41, s40
	s_mul_i32 s19, s19, s43
	s_add_i32 s40, s40, s19
	s_mul_i32 s13, s13, s43
	s_mul_hi_u32 s41, s33, s13
	s_mul_i32 s42, s33, s13
	s_mul_i32 s45, s43, s40
	s_mul_hi_u32 s13, s43, s13
	s_mul_hi_u32 s44, s43, s40
	s_add_u32 s13, s13, s45
	s_addc_u32 s44, 0, s44
	s_add_u32 s13, s13, s42
	s_mul_hi_u32 s19, s33, s40
	s_addc_u32 s13, s44, s41
	s_addc_u32 s19, s19, 0
	s_mul_i32 s40, s33, s40
	s_add_u32 s13, s13, s40
	s_addc_u32 s19, 0, s19
	s_add_u32 s13, s43, s13
	s_cselect_b64 s[40:41], -1, 0
	s_cmp_lg_u64 s[40:41], 0
	s_addc_u32 s19, s33, s19
	s_ashr_i32 s40, s35, 31
	s_add_u32 s42, s34, s40
	s_mov_b32 s41, s40
	s_addc_u32 s43, s35, s40
	s_xor_b64 s[42:43], s[42:43], s[40:41]
	s_mul_i32 s44, s42, s19
	s_mul_hi_u32 s45, s42, s13
	s_mul_hi_u32 s33, s42, s19
	s_add_u32 s44, s45, s44
	s_addc_u32 s33, 0, s33
	s_mul_hi_u32 s46, s43, s13
	s_mul_i32 s13, s43, s13
	s_add_u32 s13, s44, s13
	s_mul_hi_u32 s45, s43, s19
	s_addc_u32 s13, s33, s46
	s_addc_u32 s33, s45, 0
	s_mul_i32 s19, s43, s19
	s_add_u32 s13, s13, s19
	s_addc_u32 s19, 0, s33
	s_mul_i32 s33, s38, s19
	s_mul_hi_u32 s44, s38, s13
	s_add_i32 s33, s44, s33
	s_mul_i32 s44, s39, s13
	s_add_i32 s33, s33, s44
	s_sub_i32 s46, s43, s33
	s_mul_i32 s44, s38, s13
	s_sub_u32 s42, s42, s44
	s_cselect_b64 s[44:45], -1, 0
	s_cmp_lg_u64 s[44:45], 0
	s_subb_u32 s48, s46, s39
	s_sub_u32 s49, s42, s38
	s_cselect_b64 s[46:47], -1, 0
	s_cmp_lg_u64 s[46:47], 0
	s_subb_u32 s46, s48, 0
	s_cmp_ge_u32 s46, s39
	s_cselect_b32 s47, -1, 0
	s_cmp_ge_u32 s49, s38
	s_cselect_b32 s48, -1, 0
	s_cmp_eq_u32 s46, s39
	s_cselect_b32 s46, s48, s47
	s_add_u32 s47, s13, 1
	s_addc_u32 s48, s19, 0
	s_add_u32 s49, s13, 2
	s_addc_u32 s50, s19, 0
	s_cmp_lg_u32 s46, 0
	s_cselect_b32 s46, s49, s47
	s_cselect_b32 s47, s50, s48
	s_cmp_lg_u64 s[44:45], 0
	s_subb_u32 s33, s43, s33
	s_cmp_ge_u32 s33, s39
	s_cselect_b32 s43, -1, 0
	s_cmp_ge_u32 s42, s38
	s_cselect_b32 s38, -1, 0
	s_cmp_eq_u32 s33, s39
	s_cselect_b32 s33, s38, s43
	s_cmp_lg_u32 s33, 0
	s_cselect_b32 s39, s47, s19
	s_cselect_b32 s38, s46, s13
	s_xor_b64 s[28:29], s[40:41], s[28:29]
	s_xor_b64 s[38:39], s[38:39], s[28:29]
	s_sub_u32 s28, s38, s28
	s_subb_u32 s29, s39, s29
	s_cbranch_execnz .LBB15_14
.LBB15_13:                              ;   in Loop: Header=BB15_11 Depth=1
	v_cvt_f32_u32_e32 v1, s36
	s_sub_i32 s13, 0, s36
	v_rcp_iflag_f32_e32 v1, v1
	v_mul_f32_e32 v1, 0x4f7ffffe, v1
	v_cvt_u32_f32_e32 v1, v1
	v_readfirstlane_b32 s19, v1
	s_mul_i32 s13, s13, s19
	s_mul_hi_u32 s13, s19, s13
	s_add_i32 s19, s19, s13
	s_mul_hi_u32 s13, s34, s19
	s_mul_i32 s28, s13, s36
	s_sub_i32 s28, s34, s28
	s_add_i32 s19, s13, 1
	s_sub_i32 s29, s28, s36
	s_cmp_ge_u32 s28, s36
	s_cselect_b32 s13, s19, s13
	s_cselect_b32 s28, s29, s28
	s_add_i32 s19, s13, 1
	s_cmp_ge_u32 s28, s36
	s_cselect_b32 s28, s19, s13
	s_mov_b32 s29, s18
.LBB15_14:                              ;   in Loop: Header=BB15_11 Depth=1
	s_mul_i32 s13, s28, s37
	s_mul_hi_u32 s19, s28, s36
	s_load_dwordx2 s[38:39], s[20:21], 0xc8
	s_add_i32 s13, s19, s13
	s_mul_i32 s19, s29, s36
	s_add_i32 s13, s13, s19
	s_mul_i32 s19, s28, s36
	s_sub_u32 s19, s34, s19
	s_subb_u32 s13, s35, s13
	s_waitcnt lgkmcnt(0)
	s_mul_i32 s13, s38, s13
	s_mul_hi_u32 s33, s38, s19
	s_add_i32 s13, s33, s13
	s_mul_i32 s33, s39, s19
	s_add_i32 s13, s13, s33
	s_mul_i32 s19, s38, s19
	s_add_u32 s22, s19, s22
	s_addc_u32 s23, s13, s23
	s_add_i32 s7, s7, -1
	s_add_u32 s20, s20, -8
	s_addc_u32 s21, s21, -1
	s_cmp_gt_u32 s7, 2
	s_cbranch_scc0 .LBB15_17
; %bb.15:                               ;   in Loop: Header=BB15_11 Depth=1
	s_mov_b64 s[34:35], s[28:29]
	s_branch .LBB15_11
.LBB15_16:                              ;   in Loop: Header=BB15_11 Depth=1
                                        ; implicit-def: $sgpr28_sgpr29
	s_branch .LBB15_13
.LBB15_17:
	s_load_dword s18, s[4:5], 0x4f8
	s_load_dwordx2 s[20:21], s[16:17], 0xd0
	s_add_u32 s13, s4, 0x360
                                        ; implicit-def: $vgpr57 : SGPR spill to VGPR lane
                                        ; kill: killed $sgpr16 killed $sgpr17
	s_addc_u32 s17, s5, 0
	s_mov_b64 s[34:35], 0
	s_waitcnt lgkmcnt(0)
	s_cmp_lt_i32 s18, 2
	v_writelane_b32 v57, s20, 0
	v_writelane_b32 v57, s21, 1
	s_cbranch_scc1 .LBB15_25
; %bb.18:
	s_mov_b32 s16, 0
	s_add_i32 s7, s18, 1
	s_add_i32 s18, s18, -1
	s_mov_b32 s19, s16
	s_lshl_b64 s[18:19], s[18:19], 3
	s_add_u32 s13, s13, s18
	s_addc_u32 s17, s17, s19
	s_add_u32 s18, s13, 8
	s_addc_u32 s19, s17, 0
.LBB15_19:                              ; =>This Inner Loop Header: Depth=1
	s_load_dwordx2 s[20:21], s[18:19], 0x0
	s_waitcnt lgkmcnt(0)
	s_or_b64 s[36:37], s[0:1], s[20:21]
	s_mov_b32 s17, s37
	s_cmp_lg_u64 s[16:17], 0
	s_cbranch_scc0 .LBB15_24
; %bb.20:                               ;   in Loop: Header=BB15_19 Depth=1
	s_ashr_i32 s36, s21, 31
	s_add_u32 s38, s20, s36
	s_mov_b32 s37, s36
	s_addc_u32 s39, s21, s36
	s_xor_b64 s[38:39], s[38:39], s[36:37]
	v_cvt_f32_u32_e32 v1, s38
	v_cvt_f32_u32_e32 v2, s39
	s_sub_u32 s13, 0, s38
	s_subb_u32 s17, 0, s39
	v_mac_f32_e32 v1, 0x4f800000, v2
	v_rcp_f32_e32 v1, v1
	v_mul_f32_e32 v1, 0x5f7ffffc, v1
	v_mul_f32_e32 v2, 0x2f800000, v1
	v_trunc_f32_e32 v2, v2
	v_mac_f32_e32 v1, 0xcf800000, v2
	v_cvt_u32_f32_e32 v2, v2
	v_cvt_u32_f32_e32 v1, v1
	v_readfirstlane_b32 s33, v2
	v_readfirstlane_b32 s40, v1
	s_mul_i32 s41, s13, s33
	s_mul_hi_u32 s43, s13, s40
	s_mul_i32 s42, s17, s40
	s_add_i32 s41, s43, s41
	s_add_i32 s41, s41, s42
	s_mul_i32 s44, s13, s40
	s_mul_i32 s43, s40, s41
	s_mul_hi_u32 s45, s40, s44
	s_mul_hi_u32 s42, s40, s41
	s_add_u32 s43, s45, s43
	s_addc_u32 s42, 0, s42
	s_mul_hi_u32 s46, s33, s44
	s_mul_i32 s44, s33, s44
	s_add_u32 s43, s43, s44
	s_mul_hi_u32 s45, s33, s41
	s_addc_u32 s42, s42, s46
	s_addc_u32 s43, s45, 0
	s_mul_i32 s41, s33, s41
	s_add_u32 s41, s42, s41
	s_addc_u32 s42, 0, s43
	s_add_u32 s43, s40, s41
	s_cselect_b64 s[40:41], -1, 0
	s_cmp_lg_u64 s[40:41], 0
	s_addc_u32 s33, s33, s42
	s_mul_i32 s40, s13, s33
	s_mul_hi_u32 s41, s13, s43
	s_add_i32 s40, s41, s40
	s_mul_i32 s17, s17, s43
	s_add_i32 s40, s40, s17
	s_mul_i32 s13, s13, s43
	s_mul_hi_u32 s41, s33, s13
	s_mul_i32 s42, s33, s13
	s_mul_i32 s45, s43, s40
	s_mul_hi_u32 s13, s43, s13
	s_mul_hi_u32 s44, s43, s40
	s_add_u32 s13, s13, s45
	s_addc_u32 s44, 0, s44
	s_add_u32 s13, s13, s42
	s_mul_hi_u32 s17, s33, s40
	s_addc_u32 s13, s44, s41
	s_addc_u32 s17, s17, 0
	s_mul_i32 s40, s33, s40
	s_add_u32 s13, s13, s40
	s_addc_u32 s17, 0, s17
	s_add_u32 s13, s43, s13
	s_cselect_b64 s[40:41], -1, 0
	s_cmp_lg_u64 s[40:41], 0
	s_addc_u32 s17, s33, s17
	s_ashr_i32 s40, s1, 31
	s_add_u32 s42, s0, s40
	s_mov_b32 s41, s40
	s_addc_u32 s43, s1, s40
	s_xor_b64 s[42:43], s[42:43], s[40:41]
	s_mul_i32 s44, s42, s17
	s_mul_hi_u32 s45, s42, s13
	s_mul_hi_u32 s33, s42, s17
	s_add_u32 s44, s45, s44
	s_addc_u32 s33, 0, s33
	s_mul_hi_u32 s46, s43, s13
	s_mul_i32 s13, s43, s13
	s_add_u32 s13, s44, s13
	s_mul_hi_u32 s45, s43, s17
	s_addc_u32 s13, s33, s46
	s_addc_u32 s33, s45, 0
	s_mul_i32 s17, s43, s17
	s_add_u32 s13, s13, s17
	s_addc_u32 s17, 0, s33
	s_mul_i32 s33, s38, s17
	s_mul_hi_u32 s44, s38, s13
	s_add_i32 s33, s44, s33
	s_mul_i32 s44, s39, s13
	s_add_i32 s33, s33, s44
	s_sub_i32 s46, s43, s33
	s_mul_i32 s44, s38, s13
	s_sub_u32 s42, s42, s44
	s_cselect_b64 s[44:45], -1, 0
	s_cmp_lg_u64 s[44:45], 0
	s_subb_u32 s48, s46, s39
	s_sub_u32 s49, s42, s38
	s_cselect_b64 s[46:47], -1, 0
	s_cmp_lg_u64 s[46:47], 0
	s_subb_u32 s46, s48, 0
	s_cmp_ge_u32 s46, s39
	s_cselect_b32 s47, -1, 0
	s_cmp_ge_u32 s49, s38
	s_cselect_b32 s48, -1, 0
	s_cmp_eq_u32 s46, s39
	s_cselect_b32 s46, s48, s47
	s_add_u32 s47, s13, 1
	s_addc_u32 s48, s17, 0
	s_add_u32 s49, s13, 2
	s_addc_u32 s50, s17, 0
	s_cmp_lg_u32 s46, 0
	s_cselect_b32 s46, s49, s47
	s_cselect_b32 s47, s50, s48
	s_cmp_lg_u64 s[44:45], 0
	s_subb_u32 s33, s43, s33
	s_cmp_ge_u32 s33, s39
	s_cselect_b32 s43, -1, 0
	s_cmp_ge_u32 s42, s38
	s_cselect_b32 s38, -1, 0
	s_cmp_eq_u32 s33, s39
	s_cselect_b32 s33, s38, s43
	s_cmp_lg_u32 s33, 0
	s_cselect_b32 s39, s47, s17
	s_cselect_b32 s38, s46, s13
	s_xor_b64 s[36:37], s[40:41], s[36:37]
	s_xor_b64 s[38:39], s[38:39], s[36:37]
	s_sub_u32 s38, s38, s36
	s_subb_u32 s39, s39, s37
	s_cbranch_execnz .LBB15_22
.LBB15_21:                              ;   in Loop: Header=BB15_19 Depth=1
	v_cvt_f32_u32_e32 v1, s20
	s_sub_i32 s13, 0, s20
	s_mov_b32 s39, s16
	v_rcp_iflag_f32_e32 v1, v1
	v_mul_f32_e32 v1, 0x4f7ffffe, v1
	v_cvt_u32_f32_e32 v1, v1
	v_readfirstlane_b32 s17, v1
	s_mul_i32 s13, s13, s17
	s_mul_hi_u32 s13, s17, s13
	s_add_i32 s17, s17, s13
	s_mul_hi_u32 s13, s0, s17
	s_mul_i32 s33, s13, s20
	s_sub_i32 s33, s0, s33
	s_add_i32 s17, s13, 1
	s_sub_i32 s36, s33, s20
	s_cmp_ge_u32 s33, s20
	s_cselect_b32 s13, s17, s13
	s_cselect_b32 s33, s36, s33
	s_add_i32 s17, s13, 1
	s_cmp_ge_u32 s33, s20
	s_cselect_b32 s38, s17, s13
.LBB15_22:                              ;   in Loop: Header=BB15_19 Depth=1
	s_mul_i32 s13, s38, s21
	s_mul_hi_u32 s17, s38, s20
	s_load_dwordx2 s[36:37], s[18:19], 0xc8
	s_add_i32 s13, s17, s13
	s_mul_i32 s17, s39, s20
	s_add_i32 s13, s13, s17
	s_mul_i32 s17, s38, s20
	s_sub_u32 s0, s0, s17
	s_subb_u32 s1, s1, s13
	s_waitcnt lgkmcnt(0)
	s_mul_i32 s1, s36, s1
	s_mul_hi_u32 s13, s36, s0
	s_add_i32 s1, s13, s1
	s_mul_i32 s13, s37, s0
	s_add_i32 s1, s1, s13
	s_mul_i32 s0, s36, s0
	s_add_u32 s34, s0, s34
	s_addc_u32 s35, s1, s35
	s_add_i32 s7, s7, -1
	s_add_u32 s18, s18, -8
	s_addc_u32 s19, s19, -1
	s_cmp_gt_u32 s7, 2
	s_cbranch_scc0 .LBB15_26
; %bb.23:                               ;   in Loop: Header=BB15_19 Depth=1
	s_mov_b64 s[0:1], s[38:39]
	s_branch .LBB15_19
.LBB15_24:                              ;   in Loop: Header=BB15_19 Depth=1
                                        ; implicit-def: $sgpr38_sgpr39
	s_branch .LBB15_21
.LBB15_25:
	s_mov_b64 s[38:39], s[0:1]
.LBB15_26:
	s_load_dwordx2 s[0:1], s[4:5], 0x430
	s_mov_b32 s47, 0
                                        ; kill: killed $sgpr4 killed $sgpr5
	s_waitcnt lgkmcnt(0)
	v_writelane_b32 v57, s0, 2
	v_writelane_b32 v57, s1, 3
	s_load_dwordx2 s[16:17], s[4:5], 0x0
	s_load_dwordx2 s[0:1], s[4:5], 0x1c0
	s_waitcnt lgkmcnt(0)
	v_writelane_b32 v57, s0, 4
	v_writelane_b32 v57, s1, 5
	s_load_dwordx2 s[0:1], s[4:5], 0x360
	v_cmp_eq_u32_e64 s[4:5], 0, v0
	s_waitcnt lgkmcnt(0)
	v_writelane_b32 v57, s0, 6
	v_writelane_b32 v57, s1, 7
	s_mov_b64 s[0:1], exec
	v_writelane_b32 v57, s4, 8
	v_writelane_b32 v57, s5, 9
	s_and_b64 s[4:5], s[0:1], s[4:5]
	s_mov_b64 exec, s[4:5]
	s_cbranch_execz .LBB15_28
; %bb.27:
	v_mov_b32_e32 v1, 0
	v_mov_b32_e32 v3, s24
	;; [unrolled: 1-line block ×4, first 2 shown]
	ds_write_b32 v1, v1 offset:5136
	ds_write_b128 v1, v[1:4] offset:5120
.LBB15_28:
	s_or_b64 exec, exec, s[0:1]
	s_mul_i32 s0, s14, s3
	s_mul_hi_u32 s1, s14, s2
	s_add_i32 s0, s1, s0
	s_mul_i32 s1, s15, s2
	s_add_i32 s4, s0, s1
	s_mul_i32 s5, s14, s2
	s_add_u32 s0, s16, s5
	s_addc_u32 s1, s17, s4
	s_add_u32 s48, s0, s8
	s_addc_u32 s49, s1, s9
	v_mbcnt_lo_u32_b32 v1, -1, 0
	v_mad_u64_u32 v[4:5], s[0:1], s30, v0, 0
	v_mbcnt_hi_u32_b32 v32, -1, v1
	v_cmp_gt_u32_e32 vcc, 64, v0
	v_cmp_gt_i32_e64 s[2:3], 4, v32
	s_and_b64 s[0:1], vcc, s[2:3]
	v_writelane_b32 v57, s0, 10
	v_mov_b32_e32 v1, v5
	v_mov_b32_e32 v5, 0xc00
	v_writelane_b32 v57, s1, 11
	v_mad_u64_u32 v[1:2], s[0:1], s31, v0, v[1:2]
	v_mov_b32_e32 v6, 0
	v_cmp_gt_i64_e64 s[0:1], s[24:25], v[5:6]
	s_waitcnt lgkmcnt(0)
	v_writelane_b32 v57, s0, 12
	s_barrier
	v_writelane_b32 v57, s1, 13
	s_load_dword s0, s[10:11], 0xc
	v_mov_b32_e32 v2, s49
	v_add_co_u32_e32 v14, vcc, s48, v4
	v_mov_b32_e32 v3, 0
	s_waitcnt lgkmcnt(0)
	s_and_b32 s33, s0, 0xffff
	s_bfe_u32 s0, s0, 0xa0006
	s_cmp_gt_u32 s33, 63
	s_cselect_b64 s[2:3], -1, 0
	v_writelane_b32 v57, s2, 14
	s_add_u32 s1, s33, -1
	v_writelane_b32 v57, s3, 15
	s_addc_u32 s2, 0, -1
	v_addc_co_u32_e32 v15, vcc, v2, v1, vcc
	v_writelane_b32 v57, s1, 16
	s_add_u32 s1, s1, s24
	v_add_u32_e32 v2, 2, v0
	s_addc_u32 s55, s2, s25
	v_cmp_gt_i64_e32 vcc, s[24:25], v[2:3]
	s_cmp_lt_u32 s6, s12
	v_mov_b32_e32 v6, s25
	v_writelane_b32 v57, s1, 17
	s_cselect_b32 s1, 12, 18
	v_cndmask_b32_e32 v7, 0, v6, vcc
	v_mov_b32_e32 v6, s24
	v_writelane_b32 v57, s2, 18
	s_add_u32 s2, s10, s1
	v_cndmask_b32_e32 v2, v2, v6, vcc
	v_not_b32_e32 v6, v0
	s_addc_u32 s3, s11, 0
	v_add_co_u32_e32 v6, vcc, v2, v6
	v_writelane_b32 v57, s2, 19
	v_addc_co_u32_e32 v7, vcc, -1, v7, vcc
	v_writelane_b32 v57, s3, 20
	v_cmp_lt_u64_e64 s[2:3], 3, v[6:7]
	v_and_b32_e32 v18, -4, v6
	v_writelane_b32 v57, s2, 21
	v_mov_b32_e32 v19, v7
	v_writelane_b32 v57, s3, 22
	v_cmp_ne_u64_e64 s[2:3], v[6:7], v[18:19]
	s_add_i32 s1, s0, -1
	v_writelane_b32 v57, s2, 23
	v_writelane_b32 v57, s3, 24
	s_bfe_u32 s2, s33, 0x30006
	s_and_b32 s1, s1, 0xffff
	s_cmp_gt_u32 s1, 6
	s_cselect_b64 s[6:7], -1, 0
	v_writelane_b32 v57, s6, 25
	s_and_b32 s3, s0, 0x3f8
	v_writelane_b32 v57, s7, 26
	s_cmp_lg_u32 s2, 0
	v_lshlrev_b32_e32 v16, 2, v0
	v_writelane_b32 v57, s2, 27
	s_cselect_b64 s[0:1], -1, 0
	v_writelane_b32 v57, s0, 28
	v_or_b32_e32 v6, 3, v16
	v_writelane_b32 v57, s1, 29
	v_mad_u64_u32 v[20:21], s[0:1], s30, v6, 0
	s_add_u32 s2, s8, s5
	s_addc_u32 s0, s9, s4
	s_add_u32 s4, s16, s2
	v_or_b32_e32 v11, 2, v16
	s_addc_u32 s5, s17, s0
	v_mov_b32_e32 v2, v21
	v_mad_u64_u32 v[21:22], s[0:1], s30, v11, 0
	v_mov_b32_e32 v9, s30
	v_mad_u64_u32 v[6:7], s[0:1], s31, v6, v[2:3]
	v_mov_b32_e32 v2, s5
	v_writelane_b32 v57, s4, 30
	v_add_co_u32_e32 v12, vcc, s4, v4
	v_mov_b32_e32 v10, s31
	v_mov_b32_e32 v5, v1
	v_addc_co_u32_e32 v13, vcc, v2, v1, vcc
	v_mov_b32_e32 v1, v22
	v_mad_u64_u32 v[22:23], s[0:1], s30, v16, v[9:10]
	v_lshlrev_b64 v[7:8], v32, -1
	v_mad_u64_u32 v[1:2], s[0:1], s31, v11, v[1:2]
	v_mov_b32_e32 v2, v23
	v_not_b32_e32 v33, v8
	v_mad_u64_u32 v[8:9], s[0:1], s31, v16, v[2:3]
	v_writelane_b32 v57, s5, 31
	v_cmp_gt_u32_e64 s[0:1], 2, v0
	v_mov_b32_e32 v36, v1
	v_writelane_b32 v57, s0, 32
	v_mov_b32_e32 v1, v3
	v_writelane_b32 v57, s1, 33
	v_cmp_gt_i64_e64 s[0:1], s[24:25], v[0:1]
	v_lshlrev_b32_e32 v2, 2, v32
	v_writelane_b32 v57, s0, 34
	v_and_b32_e32 v38, 0x100, v2
	v_lshrrev_b32_e32 v2, 1, v0
	v_writelane_b32 v57, s1, 35
	v_and_b32_e32 v2, 0x1e0, v2
	s_mov_b32 s0, s31
	v_or_b32_e32 v39, 0xc00, v2
	s_mov_b32 s54, s31
	v_writelane_b32 v57, s0, 36
	v_mov_b32_e32 v2, s25
	v_add_co_u32_e32 v40, vcc, s24, v0
	s_mov_b32 s89, s31
	v_lshlrev_b64 v[23:24], 2, v[4:5]
	v_addc_co_u32_e32 v41, vcc, 0, v2, vcc
	v_mov_b32_e32 v2, 0xc00
	s_mul_i32 s0, s31, s33
	s_mul_hi_u32 s1, s30, s33
	v_mov_b32_e32 v26, s26
	v_writelane_b32 v57, s54, 37
	v_not_b32_e32 v34, v7
	v_mov_b32_e32 v35, v6
	v_mov_b32_e32 v37, v8
	v_cmp_eq_u32_e64 s[10:11], 0, v32
	v_mov_b32_e32 v17, v3
	s_mov_b32 s62, s30
	s_mov_b32 s12, s30
	;; [unrolled: 1-line block ×6, first 2 shown]
	s_lshl_b64 s[64:65], s[30:31], 2
	v_lshl_or_b32 v42, v32, 3, v2
	s_add_i32 s52, s1, s0
	s_mul_i32 s53, s30, s33
	s_mov_b64 s[66:67], 0
	s_movk_i32 s50, 0x80
	s_mov_b32 s63, 0xc0c0004
	s_mov_b32 s56, 0
	v_mov_b32_e32 v44, 8
	v_mov_b32_e32 v46, 0
	;; [unrolled: 1-line block ×4, first 2 shown]
	v_add_co_u32_e32 v25, vcc, v18, v0
	v_mov_b32_e32 v27, s27
	v_writelane_b32 v57, s89, 38
                                        ; implicit-def: $sgpr68_sgpr69
                                        ; implicit-def: $sgpr72_sgpr73
                                        ; implicit-def: $sgpr70_sgpr71
                                        ; implicit-def: $sgpr76_sgpr77
                                        ; implicit-def: $sgpr78_sgpr79
                                        ; implicit-def: $sgpr74_sgpr75
	v_writelane_b32 v57, s46, 39
	s_branch .LBB15_32
.LBB15_29:                              ;   in Loop: Header=BB15_32 Depth=1
	s_or_b64 exec, exec, s[16:17]
	s_and_b64 s[6:7], s[6:7], exec
	s_andn2_b64 s[82:83], s[82:83], exec
	s_andn2_b64 s[14:15], s[14:15], exec
	s_orn2_b64 s[20:21], s[8:9], exec
.LBB15_30:                              ;   in Loop: Header=BB15_32 Depth=1
	s_or_b64 exec, exec, s[4:5]
	s_andn2_b64 s[0:1], s[74:75], exec
	s_and_b64 s[4:5], s[6:7], exec
	s_or_b64 s[74:75], s[0:1], s[4:5]
	s_andn2_b64 s[0:1], s[78:79], exec
	s_and_b64 s[4:5], s[82:83], exec
	s_or_b64 s[78:79], s[0:1], s[4:5]
	;; [unrolled: 3-line block ×3, first 2 shown]
	s_orn2_b64 s[14:15], s[20:21], exec
.LBB15_31:                              ;   in Loop: Header=BB15_32 Depth=1
	s_or_b64 exec, exec, s[18:19]
	s_and_b64 s[0:1], exec, s[14:15]
	s_or_b64 s[66:67], s[0:1], s[66:67]
	s_andn2_b64 s[0:1], s[70:71], exec
	s_and_b64 s[4:5], s[74:75], exec
	s_or_b64 s[70:71], s[0:1], s[4:5]
	s_andn2_b64 s[0:1], s[72:73], exec
	s_and_b64 s[4:5], s[78:79], exec
	;; [unrolled: 3-line block ×3, first 2 shown]
	v_mov_b32_e32 v27, v9
	s_or_b64 s[68:69], s[0:1], s[4:5]
	v_mov_b32_e32 v26, v8
	s_andn2_b64 exec, exec, s[66:67]
	s_cbranch_execz .LBB15_300
.LBB15_32:                              ; =>This Loop Header: Depth=1
                                        ;     Child Loop BB15_37 Depth 2
                                        ;     Child Loop BB15_51 Depth 2
	;; [unrolled: 1-line block ×17, first 2 shown]
	ds_read_b128 v[4:7], v3 offset:5120
	s_waitcnt lgkmcnt(0)
	v_readfirstlane_b32 s27, v5
	v_readfirstlane_b32 s26, v4
	v_cmp_gt_i64_e64 s[0:1], s[26:27], 0
	s_and_b64 vcc, exec, s[0:1]
	s_cbranch_vccnz .LBB15_64
; %bb.33:                               ;   in Loop: Header=BB15_32 Depth=1
	v_readlane_b32 s0, v57, 12
	v_readlane_b32 s1, v57, 13
	s_and_b64 vcc, exec, s[0:1]
	s_cbranch_vccz .LBB15_45
; %bb.34:                               ;   in Loop: Header=BB15_32 Depth=1
	s_mov_b64 s[0:1], 0xc01
	v_cmp_gt_i64_e32 vcc, s[0:1], v[6:7]
	s_mov_b64 s[6:7], 0
	s_mov_b64 s[4:5], 0
	s_cbranch_vccz .LBB15_46
; %bb.35:                               ;   in Loop: Header=BB15_32 Depth=1
	v_readlane_b32 s0, v57, 19
	v_readlane_b32 s1, v57, 20
	s_nop 4
	global_load_ushort v6, v3, s[0:1]
	global_load_ubyte v2, v[14:15], off
	v_readlane_b32 s0, v57, 30
	v_readlane_b32 s1, v57, 31
	v_mov_b32_e32 v5, s1
	v_mov_b32_e32 v4, s0
	s_waitcnt vmcnt(1)
	v_and_b32_e32 v8, 0xffff, v6
	v_readfirstlane_b32 s8, v6
	v_add_co_u32_e32 v6, vcc, v0, v8
	v_addc_co_u32_e64 v7, s[0:1], 0, 0, vcc
	v_mul_lo_u32 v7, s30, v7
	v_mul_lo_u32 v9, s31, v6
	v_mad_u64_u32 v[4:5], s[0:1], s30, v6, v[4:5]
	s_and_b32 s8, 0xffff, s8
	s_mul_i32 s0, s31, s8
	s_mul_hi_u32 s1, s30, s8
	v_add3_u32 v5, v9, v5, v7
	v_mov_b32_e32 v7, v1
	s_mul_i32 s20, s30, s8
	s_add_i32 s21, s1, s0
	v_mov_b32_e32 v6, v0
	s_branch .LBB15_37
.LBB15_36:                              ;   in Loop: Header=BB15_37 Depth=2
	s_or_b64 exec, exec, s[0:1]
	v_mov_b32_e32 v2, s21
	v_add_co_u32_e32 v4, vcc, s20, v4
	v_addc_co_u32_e32 v5, vcc, v5, v2, vcc
	v_mov_b32_e32 v2, v9
	s_andn2_b64 exec, exec, s[4:5]
	s_cbranch_execz .LBB15_98
.LBB15_37:                              ;   Parent Loop BB15_32 Depth=1
                                        ; =>  This Inner Loop Header: Depth=2
	v_add_co_u32_e32 v6, vcc, v6, v8
	v_addc_co_u32_e32 v7, vcc, 0, v7, vcc
	v_cmp_gt_i64_e64 s[14:15], s[24:25], v[6:7]
	v_cmp_le_i64_e32 vcc, s[24:25], v[6:7]
	s_waitcnt lgkmcnt(0)
	v_mov_b32_e32 v10, 0
	v_mov_b32_e32 v9, 0
	s_and_saveexec_b64 s[0:1], s[14:15]
	s_cbranch_execz .LBB15_39
; %bb.38:                               ;   in Loop: Header=BB15_37 Depth=2
	global_load_ubyte v9, v[4:5], off
.LBB15_39:                              ;   in Loop: Header=BB15_37 Depth=2
	s_or_b64 exec, exec, s[0:1]
	s_waitcnt vmcnt(0)
	v_add_u32_sdwa v11, sext(v2), s50 dst_sel:DWORD dst_unused:UNUSED_PAD src0_sel:BYTE_0 src1_sel:DWORD
	v_and_b32_e32 v11, v11, v45
	v_cmp_eq_u32_e64 s[14:15], v11, v43
	s_cmp_lg_u64 s[14:15], 0
	s_cselect_b64 s[0:1], -1, 0
	s_and_b64 s[0:1], s[10:11], s[0:1]
	s_and_saveexec_b64 s[8:9], s[0:1]
	s_cbranch_execz .LBB15_43
; %bb.40:                               ;   in Loop: Header=BB15_37 Depth=2
	s_mov_b64 s[18:19], exec
	v_mbcnt_lo_u32_b32 v10, s18, 0
	v_mbcnt_hi_u32_b32 v10, s19, v10
	s_bcnt1_i32_b64 s27, s[14:15]
	v_cmp_eq_u32_e64 s[16:17], 0, v10
                                        ; implicit-def: $vgpr11
	s_and_saveexec_b64 s[0:1], s[16:17]
; %bb.41:                               ;   in Loop: Header=BB15_37 Depth=2
	s_bcnt1_i32_b64 s16, s[18:19]
	s_mul_i32 s16, s27, s16
	v_mov_b32_e32 v11, s16
	ds_add_rtn_u32 v11, v3, v11 offset:5136
; %bb.42:                               ;   in Loop: Header=BB15_37 Depth=2
	s_or_b64 exec, exec, s[0:1]
	s_waitcnt lgkmcnt(0)
	v_readfirstlane_b32 s0, v11
	v_mov_b32_e32 v11, s0
	v_mad_u32_u24 v10, s27, v10, v11
.LBB15_43:                              ;   in Loop: Header=BB15_37 Depth=2
	s_or_b64 exec, exec, s[8:9]
	ds_bpermute_b32 v10, v38, v10
	s_and_b64 s[0:1], exec, vcc
	s_or_b64 s[4:5], s[0:1], s[4:5]
	s_and_saveexec_b64 s[0:1], s[14:15]
	s_cbranch_execz .LBB15_36
; %bb.44:                               ;   in Loop: Header=BB15_37 Depth=2
	v_and_b32_e32 v28, s14, v34
	v_and_b32_e32 v11, s15, v33
	v_bcnt_u32_b32 v28, v28, 0
	v_bcnt_u32_b32 v11, v11, v28
	s_waitcnt lgkmcnt(0)
	v_add_u32_e32 v10, v10, v11
	ds_write_b8 v10, v2
	s_branch .LBB15_36
.LBB15_45:                              ;   in Loop: Header=BB15_32 Depth=1
	s_mov_b64 s[6:7], -1
	s_mov_b64 s[4:5], 0
.LBB15_46:                              ;   in Loop: Header=BB15_32 Depth=1
	s_and_b64 vcc, exec, s[6:7]
	s_cbranch_vccz .LBB15_62
.LBB15_47:                              ;   in Loop: Header=BB15_32 Depth=1
	s_mov_b64 s[16:17], exec
	v_readlane_b32 s0, v57, 34
	v_readlane_b32 s1, v57, 35
	s_and_b64 s[0:1], s[16:17], s[0:1]
	s_mov_b64 exec, s[0:1]
	s_cbranch_execz .LBB15_59
; %bb.48:                               ;   in Loop: Header=BB15_32 Depth=1
	v_readlane_b32 s0, v57, 19
	v_readlane_b32 s1, v57, 20
	s_nop 4
	global_load_ushort v2, v3, s[0:1]
	global_load_ubyte v30, v[14:15], off
	v_mov_b32_e32 v8, v0
	s_waitcnt vmcnt(1)
	v_readfirstlane_b32 s0, v2
	v_add_u32_sdwa v2, v2, v0 dst_sel:DWORD dst_unused:UNUSED_PAD src0_sel:WORD_0 src1_sel:DWORD
	v_cmp_gt_i64_e32 vcc, s[24:25], v[2:3]
	s_and_saveexec_b64 s[18:19], vcc
	s_cbranch_execz .LBB15_58
; %bb.49:                               ;   in Loop: Header=BB15_32 Depth=1
	s_and_b32 s0, s0, 0xffff
	s_cmp_eq_u32 s0, 1
	v_readlane_b32 s6, v57, 21
                                        ; implicit-def: $vgpr8_vgpr9
	s_cselect_b64 s[4:5], -1, 0
	v_readlane_b32 s7, v57, 22
	v_mov_b32_e32 v10, v1
	v_mov_b32_e32 v5, v3
	s_and_b64 s[8:9], s[6:7], s[4:5]
	s_mov_b64 s[4:5], -1
	v_mov_b32_e32 v9, v0
	v_mov_b32_e32 v4, v2
	s_and_saveexec_b64 s[6:7], s[8:9]
	s_cbranch_execz .LBB15_53
; %bb.50:                               ;   in Loop: Header=BB15_32 Depth=1
	v_add_co_u32_e32 v8, vcc, 3, v2
	v_addc_co_u32_e64 v9, s[4:5], 0, 0, vcc
	v_add_co_u32_e32 v6, vcc, 2, v2
	v_addc_co_u32_e64 v7, s[4:5], 0, 0, vcc
	;; [unrolled: 2-line block ×3, first 2 shown]
	v_mov_b32_e32 v29, v19
	v_mov_b32_e32 v11, v9
	s_waitcnt vmcnt(0)
	v_lshlrev_b32_e32 v47, 24, v30
	s_mov_b64 s[14:15], 0
	v_mov_b32_e32 v28, v18
	v_mov_b32_e32 v31, v0
	v_mov_b32_e32 v10, v8
	v_mov_b32_e32 v9, v7
	v_mov_b32_e32 v8, v6
	v_mov_b32_e32 v7, v5
	v_mov_b32_e32 v6, v4
	v_mov_b32_e32 v5, v3
	v_mov_b32_e32 v4, v2
	v_readlane_b32 s8, v57, 36
.LBB15_51:                              ;   Parent Loop BB15_32 Depth=1
                                        ; =>  This Inner Loop Header: Depth=2
	v_mul_lo_u32 v30, v9, s2
	v_mul_lo_u32 v50, v8, s46
	v_mad_u64_u32 v[48:49], s[4:5], v8, s2, 0
	v_mul_lo_u32 v51, v7, s12
	v_mul_lo_u32 v52, v6, s89
	v_add3_u32 v30, v49, v50, v30
	v_mad_u64_u32 v[49:50], s[4:5], v6, s12, 0
	v_mul_lo_u32 v54, v4, s54
	v_mul_lo_u32 v56, v11, s51
	v_add3_u32 v53, v50, v52, v51
	v_mul_lo_u32 v52, v5, s62
	v_mad_u64_u32 v[50:51], s[4:5], v4, s62, 0
	s_mov_b32 s1, 0xc0c0007
	v_add3_u32 v51, v51, v54, v52
	v_add_co_u32_e32 v50, vcc, s48, v50
	v_mov_b32_e32 v54, s49
	v_addc_co_u32_e32 v51, vcc, v54, v51, vcc
	v_add_co_u32_e32 v52, vcc, s48, v49
	v_addc_co_u32_e32 v53, vcc, v54, v53, vcc
	v_add_co_u32_e32 v48, vcc, s48, v48
	v_addc_co_u32_e32 v49, vcc, v54, v30, vcc
	v_mov_b32_e32 v55, s49
	v_mov_b32_e32 v54, s48
	v_mad_u64_u32 v[54:55], s[4:5], v10, s51, v[54:55]
	v_mul_lo_u32 v30, v10, s8
	v_add_co_u32_e32 v10, vcc, 4, v10
	v_addc_co_u32_e32 v11, vcc, 0, v11, vcc
	v_add3_u32 v55, v56, v55, v30
	global_load_ubyte v30, v[54:55], off
	s_nop 0
	global_load_ubyte v52, v[52:53], off
	s_nop 0
	global_load_ubyte v50, v[50:51], off
	v_add_co_u32_e32 v8, vcc, 4, v8
	global_load_ubyte v48, v[48:49], off
	v_addc_co_u32_e32 v9, vcc, 0, v9, vcc
	v_add_co_u32_e32 v6, vcc, 4, v6
	v_addc_co_u32_e32 v7, vcc, 0, v7, vcc
	v_add_co_u32_e32 v4, vcc, 4, v4
	v_addc_co_u32_e32 v5, vcc, 0, v5, vcc
	v_add_co_u32_e32 v28, vcc, -4, v28
	v_addc_co_u32_e32 v29, vcc, -1, v29, vcc
	v_cmp_eq_u64_e32 vcc, 0, v[28:29]
	s_or_b64 s[14:15], vcc, s[14:15]
	s_waitcnt vmcnt(1)
	v_perm_b32 v51, v50, v52, s63
	v_perm_b32 v47, v47, v50, s1
	s_waitcnt vmcnt(0)
	v_perm_b32 v49, v48, v30, s63
	v_perm_b32 v48, v52, v48, s63
	v_lshl_or_b32 v49, v49, 16, v51
	v_lshl_or_b32 v47, v48, 16, v47
	ds_write_b32 v31, v47
	v_add_u32_e32 v31, 4, v31
	v_mov_b32_e32 v47, v49
	s_andn2_b64 exec, exec, s[14:15]
	s_cbranch_execnz .LBB15_51
; %bb.52:                               ;   in Loop: Header=BB15_32 Depth=1
	s_or_b64 exec, exec, s[14:15]
	v_readlane_b32 s4, v57, 23
	v_add_co_u32_e32 v4, vcc, v2, v18
	v_readlane_b32 s5, v57, 24
	v_addc_co_u32_e32 v5, vcc, 0, v19, vcc
	v_add_co_u32_e32 v8, vcc, -1, v4
	s_orn2_b64 s[4:5], s[4:5], exec
	v_mov_b32_e32 v9, v25
	v_mov_b32_e32 v10, v26
.LBB15_53:                              ;   in Loop: Header=BB15_32 Depth=1
	s_or_b64 exec, exec, s[6:7]
	s_and_saveexec_b64 s[6:7], s[4:5]
	s_cbranch_execz .LBB15_57
; %bb.54:                               ;   in Loop: Header=BB15_32 Depth=1
	v_readlane_b32 s4, v57, 30
	v_readlane_b32 s5, v57, 31
	v_mov_b32_e32 v7, s5
	v_mov_b32_e32 v6, s4
	v_mad_u64_u32 v[6:7], s[4:5], s30, v4, v[6:7]
	v_mul_lo_u32 v2, s30, v5
	v_mul_lo_u32 v8, s31, v4
	s_mul_i32 s8, s31, s0
	s_mul_hi_u32 s9, s30, s0
	s_mov_b64 s[4:5], 0
	s_sub_u32 s1, 0, s0
	v_add3_u32 v7, v8, v7, v2
	s_add_i32 s8, s9, s8
.LBB15_55:                              ;   Parent Loop BB15_32 Depth=1
                                        ; =>  This Inner Loop Header: Depth=2
	global_load_ubyte v2, v[6:7], off
	v_mov_b32_e32 v11, v5
	v_mov_b32_e32 v10, v4
	v_add_co_u32_e32 v4, vcc, s0, v10
	v_addc_co_u32_e32 v5, vcc, 0, v11, vcc
	s_mul_i32 s9, s30, s0
	v_add_co_u32_e32 v6, vcc, s9, v6
	v_mov_b32_e32 v8, s8
	v_addc_co_u32_e32 v7, vcc, v7, v8, vcc
	v_cmp_le_i64_e32 vcc, s[24:25], v[4:5]
	s_waitcnt vmcnt(1)
	ds_write_b8 v9, v30
	v_add_co_u32_e64 v8, s[14:15], s1, v4
	s_or_b64 s[4:5], vcc, s[4:5]
	v_mov_b32_e32 v9, v10
	v_mov_b32_e32 v10, v11
	s_waitcnt vmcnt(0)
	v_mov_b32_e32 v30, v2
	s_andn2_b64 exec, exec, s[4:5]
	s_cbranch_execnz .LBB15_55
; %bb.56:                               ;   in Loop: Header=BB15_32 Depth=1
	s_or_b64 exec, exec, s[4:5]
	v_mov_b32_e32 v30, v2
.LBB15_57:                              ;   in Loop: Header=BB15_32 Depth=1
	s_or_b64 exec, exec, s[6:7]
.LBB15_58:                              ;   in Loop: Header=BB15_32 Depth=1
	s_or_b64 exec, exec, s[18:19]
	s_waitcnt vmcnt(0)
	ds_write_b8 v8, v30
.LBB15_59:                              ;   in Loop: Header=BB15_32 Depth=1
	s_or_b64 exec, exec, s[16:17]
	s_waitcnt lgkmcnt(0)
	s_barrier
	s_mov_b64 s[0:1], exec
	v_readlane_b32 s4, v57, 8
	v_readlane_b32 s5, v57, 9
	s_and_b64 s[4:5], s[0:1], s[4:5]
	s_mov_b64 exec, s[4:5]
; %bb.60:                               ;   in Loop: Header=BB15_32 Depth=1
	v_mov_b32_e32 v4, s24
	v_mov_b32_e32 v5, s25
	ds_write_b64 v3, v[4:5] offset:5120
; %bb.61:                               ;   in Loop: Header=BB15_32 Depth=1
	s_or_b64 exec, exec, s[0:1]
	s_waitcnt lgkmcnt(0)
	s_barrier
	s_mov_b64 s[4:5], -1
.LBB15_62:                              ;   in Loop: Header=BB15_32 Depth=1
	s_and_b64 vcc, exec, s[4:5]
	s_cbranch_vccz .LBB15_64
; %bb.63:                               ;   in Loop: Header=BB15_32 Depth=1
	ds_read_b64 v[4:5], v3 offset:5120
	s_waitcnt lgkmcnt(0)
	v_readfirstlane_b32 s26, v4
.LBB15_64:                              ;   in Loop: Header=BB15_32 Depth=1
	s_cmp_lt_i32 s26, 1
	s_mov_b64 s[4:5], -1
                                        ; implicit-def: $vgpr10_vgpr11
                                        ; implicit-def: $vgpr6_vgpr7
	s_cbranch_scc1 .LBB15_74
; %bb.65:                               ;   in Loop: Header=BB15_32 Depth=1
	s_and_b64 vcc, exec, s[4:5]
	s_cbranch_vccnz .LBB15_88
.LBB15_66:                              ;   in Loop: Header=BB15_32 Depth=1
	s_lshl_b32 s0, s56, 6
	s_and_saveexec_b64 s[4:5], s[10:11]
	s_cbranch_execz .LBB15_68
.LBB15_67:                              ;   in Loop: Header=BB15_32 Depth=1
	v_lshl_add_u32 v2, s0, 3, v39
	ds_write_b128 v2, v[4:7]
	ds_write_b128 v2, v[8:11] offset:16
.LBB15_68:                              ;   in Loop: Header=BB15_32 Depth=1
	s_or_b64 exec, exec, s[4:5]
	s_waitcnt lgkmcnt(0)
	s_barrier
	s_mov_b64 s[6:7], exec
	v_readlane_b32 s4, v57, 10
	v_readlane_b32 s5, v57, 11
	s_and_b64 s[4:5], s[6:7], s[4:5]
	s_mov_b64 exec, s[4:5]
	s_cbranch_execz .LBB15_106
; %bb.69:                               ;   in Loop: Header=BB15_32 Depth=1
	v_readlane_b32 s4, v57, 14
	v_mov_b32_e32 v4, 0
	v_readlane_b32 s5, v57, 15
	v_mov_b32_e32 v5, 0
	s_andn2_b64 vcc, exec, s[4:5]
	s_cbranch_vccnz .LBB15_105
; %bb.70:                               ;   in Loop: Header=BB15_32 Depth=1
	v_readlane_b32 s4, v57, 25
	v_readlane_b32 s5, v57, 26
	s_andn2_b64 vcc, exec, s[4:5]
	s_cbranch_vccnz .LBB15_101
; %bb.71:                               ;   in Loop: Header=BB15_32 Depth=1
	v_mov_b32_e32 v4, 0
	v_lshl_add_u32 v2, s56, 9, v42
	v_mov_b32_e32 v5, 0
	s_mov_b32 s1, 0
.LBB15_72:                              ;   Parent Loop BB15_32 Depth=1
                                        ; =>  This Inner Loop Header: Depth=2
	ds_read2_b64 v[6:9], v2 offset1:4
	ds_read2_b64 v[28:31], v2 offset0:8 offset1:12
	ds_read2_b64 v[47:50], v2 offset0:16 offset1:20
	;; [unrolled: 1-line block ×3, first 2 shown]
	s_add_i32 s1, s1, 8
	s_waitcnt lgkmcnt(3)
	v_add_co_u32_e32 v4, vcc, v6, v4
	v_addc_co_u32_e32 v5, vcc, v7, v5, vcc
	v_add_co_u32_e32 v4, vcc, v8, v4
	v_addc_co_u32_e32 v5, vcc, v9, v5, vcc
	s_waitcnt lgkmcnt(2)
	v_add_co_u32_e32 v4, vcc, v28, v4
	v_addc_co_u32_e32 v5, vcc, v29, v5, vcc
	v_add_co_u32_e32 v4, vcc, v30, v4
	v_addc_co_u32_e32 v5, vcc, v31, v5, vcc
	;; [unrolled: 5-line block ×3, first 2 shown]
	s_waitcnt lgkmcnt(0)
	v_add_co_u32_e32 v4, vcc, v51, v4
	v_addc_co_u32_e32 v5, vcc, v52, v5, vcc
	v_add_co_u32_e32 v4, vcc, v53, v4
	v_add_u32_e32 v2, 0x100, v2
	s_cmp_eq_u32 s3, s1
	v_addc_co_u32_e32 v5, vcc, v54, v5, vcc
	s_cbranch_scc0 .LBB15_72
; %bb.73:                               ;   in Loop: Header=BB15_32 Depth=1
	s_mov_b32 s1, s3
	s_branch .LBB15_102
.LBB15_74:                              ;   in Loop: Header=BB15_32 Depth=1
	v_readlane_b32 s0, v57, 19
	v_readlane_b32 s1, v57, 20
	s_nop 4
	global_load_ushort v2, v3, s[0:1]
	s_mov_b32 s0, s47
	s_waitcnt vmcnt(0)
	v_readfirstlane_b32 s1, v2
	s_and_b32 s8, s1, 0xffff
	s_lshl_b32 s4, s8, 2
	s_mov_b32 s1, s25
	s_cmp_lg_u64 s[0:1], 0
	s_cbranch_scc0 .LBB15_97
; %bb.75:                               ;   in Loop: Header=BB15_32 Depth=1
	s_add_u32 s0, s4, 0
	s_addc_u32 s1, 0, 0
	s_xor_b64 s[6:7], s[0:1], 0
	v_cvt_f32_u32_e32 v2, s6
	v_cvt_f32_u32_e32 v4, s7
	s_sub_u32 s5, 0, s6
	s_subb_u32 s9, 0, s7
	v_mac_f32_e32 v2, 0x4f800000, v4
	v_rcp_f32_e32 v2, v2
	v_mul_f32_e32 v2, 0x5f7ffffc, v2
	v_mul_f32_e32 v4, 0x2f800000, v2
	v_trunc_f32_e32 v4, v4
	v_mac_f32_e32 v2, 0xcf800000, v4
	v_cvt_u32_f32_e32 v4, v4
	v_cvt_u32_f32_e32 v2, v2
	v_readfirstlane_b32 s14, v4
	v_readfirstlane_b32 s0, v2
	s_mul_i32 s1, s5, s14
	s_mul_hi_u32 s16, s5, s0
	s_mul_i32 s15, s9, s0
	s_add_i32 s1, s16, s1
	s_mul_i32 s17, s5, s0
	s_add_i32 s1, s1, s15
	s_mul_i32 s16, s0, s1
	s_mul_hi_u32 s18, s0, s17
	s_mul_hi_u32 s15, s0, s1
	s_add_u32 s16, s18, s16
	s_addc_u32 s15, 0, s15
	s_mul_hi_u32 s19, s14, s17
	s_mul_i32 s17, s14, s17
	s_add_u32 s16, s16, s17
	s_mul_hi_u32 s18, s14, s1
	s_addc_u32 s15, s15, s19
	s_addc_u32 s16, s18, 0
	s_mul_i32 s1, s14, s1
	s_add_u32 s1, s15, s1
	s_addc_u32 s15, 0, s16
	s_add_u32 s16, s0, s1
	s_cselect_b64 s[0:1], -1, 0
	s_cmp_lg_u64 s[0:1], 0
	s_addc_u32 s14, s14, s15
	s_mul_i32 s0, s5, s14
	s_mul_hi_u32 s1, s5, s16
	s_add_i32 s0, s1, s0
	s_mul_i32 s9, s9, s16
	s_add_i32 s0, s0, s9
	s_mul_i32 s5, s5, s16
	s_mul_hi_u32 s9, s14, s5
	s_mul_i32 s15, s14, s5
	s_mul_i32 s18, s16, s0
	s_mul_hi_u32 s5, s16, s5
	s_mul_hi_u32 s17, s16, s0
	s_add_u32 s5, s5, s18
	s_addc_u32 s17, 0, s17
	s_add_u32 s5, s5, s15
	s_mul_hi_u32 s1, s14, s0
	s_addc_u32 s5, s17, s9
	s_addc_u32 s1, s1, 0
	s_mul_i32 s0, s14, s0
	s_add_u32 s0, s5, s0
	s_addc_u32 s5, 0, s1
	s_add_u32 s9, s16, s0
	s_cselect_b64 s[0:1], -1, 0
	s_cmp_lg_u64 s[0:1], 0
	s_addc_u32 s5, s14, s5
	s_ashr_i32 s0, s25, 31
	s_add_u32 s14, s24, s0
	s_mov_b32 s1, s0
	s_addc_u32 s15, s25, s0
	s_xor_b64 s[14:15], s[14:15], s[0:1]
	s_mul_i32 s17, s14, s5
	s_mul_hi_u32 s18, s14, s9
	s_mul_hi_u32 s16, s14, s5
	s_add_u32 s17, s18, s17
	s_addc_u32 s16, 0, s16
	s_mul_hi_u32 s19, s15, s9
	s_mul_i32 s9, s15, s9
	s_add_u32 s9, s17, s9
	s_mul_hi_u32 s18, s15, s5
	s_addc_u32 s9, s16, s19
	s_addc_u32 s16, s18, 0
	s_mul_i32 s5, s15, s5
	s_add_u32 s5, s9, s5
	s_addc_u32 s9, 0, s16
	s_mul_i32 s9, s6, s9
	s_mul_hi_u32 s16, s6, s5
	s_add_i32 s9, s16, s9
	s_mul_i32 s16, s7, s5
	s_add_i32 s9, s9, s16
	s_sub_i32 s18, s15, s9
	s_mul_i32 s5, s6, s5
	s_sub_u32 s5, s14, s5
	s_cselect_b64 s[16:17], -1, 0
	s_cmp_lg_u64 s[16:17], 0
	s_subb_u32 s14, s18, s7
	s_sub_u32 s20, s5, s6
	s_cselect_b64 s[18:19], -1, 0
	s_cmp_lg_u64 s[18:19], 0
	s_subb_u32 s21, s14, 0
	s_cmp_ge_u32 s21, s7
	s_cselect_b32 s27, -1, 0
	s_cmp_ge_u32 s20, s6
	s_cselect_b32 s36, -1, 0
	s_cmp_eq_u32 s21, s7
	s_cselect_b32 s27, s36, s27
	s_cmp_lg_u64 s[18:19], 0
	s_subb_u32 s14, s14, s7
	s_sub_u32 s36, s20, s6
	s_cselect_b64 s[18:19], -1, 0
	s_cmp_lg_u64 s[18:19], 0
	s_subb_u32 s14, s14, 0
	s_cmp_lg_u32 s27, 0
	s_cselect_b32 s18, s36, s20
	s_cselect_b32 s14, s14, s21
	s_cmp_lg_u64 s[16:17], 0
	s_subb_u32 s9, s15, s9
	s_cmp_ge_u32 s9, s7
	s_cselect_b32 s15, -1, 0
	s_cmp_ge_u32 s5, s6
	s_cselect_b32 s6, -1, 0
	s_cmp_eq_u32 s9, s7
	s_cselect_b32 s6, s6, s15
	s_cmp_lg_u32 s6, 0
	s_cselect_b32 s7, s14, s9
	s_cselect_b32 s6, s18, s5
	s_xor_b64 s[6:7], s[6:7], s[0:1]
	s_sub_u32 s80, s6, s0
	s_subb_u32 s81, s7, s0
	s_cbranch_execnz .LBB15_77
.LBB15_76:                              ;   in Loop: Header=BB15_32 Depth=1
	v_cvt_f32_u32_e32 v2, s4
	s_sub_i32 s0, 0, s4
	v_rcp_iflag_f32_e32 v2, v2
	v_mul_f32_e32 v2, 0x4f7ffffe, v2
	v_cvt_u32_f32_e32 v2, v2
	v_readfirstlane_b32 s1, v2
	s_mul_i32 s0, s0, s1
	s_mul_hi_u32 s0, s1, s0
	s_add_i32 s1, s1, s0
	s_mul_hi_u32 s0, s24, s1
	s_mul_i32 s0, s0, s4
	s_sub_i32 s0, s24, s0
	s_sub_i32 s1, s0, s4
	s_cmp_ge_u32 s0, s4
	s_cselect_b32 s0, s1, s0
	s_sub_i32 s1, s0, s4
	s_cmp_ge_u32 s0, s4
	s_cselect_b32 s46, s1, s0
	s_mov_b64 s[80:81], s[46:47]
	v_readlane_b32 s46, v57, 39
.LBB15_77:                              ;   in Loop: Header=BB15_32 Depth=1
	s_sub_u32 s82, s24, s80
	s_subb_u32 s83, s25, s81
	v_cmp_gt_i64_e32 vcc, s[82:83], v[16:17]
	v_mov_b32_e32 v4, 0
	v_mov_b32_e32 v6, 0
	;; [unrolled: 1-line block ×8, first 2 shown]
	s_and_saveexec_b64 s[84:85], vcc
	s_cbranch_execz .LBB15_81
; %bb.78:                               ;   in Loop: Header=BB15_32 Depth=1
	s_mul_i32 s0, s65, s8
	s_mul_hi_u32 s1, s64, s8
	v_mov_b32_e32 v29, v17
	s_add_i32 s0, s1, s0
	s_mov_b64 s[86:87], 0
	s_mov_b64 s[88:89], s[48:49]
	s_mov_b64 s[90:91], 0
	s_mov_b64 s[92:93], 0
	s_mov_b64 s[94:95], 0
	s_mov_b64 s[40:41], 0
	v_mov_b32_e32 v28, v16
.LBB15_79:                              ;   Parent Loop BB15_32 Depth=1
                                        ; =>  This Inner Loop Header: Depth=2
	v_add_co_u32_e32 v4, vcc, s88, v23
	v_mov_b32_e32 v2, s89
	v_addc_co_u32_e32 v5, vcc, v2, v24, vcc
	global_load_sbyte v6, v[4:5], off
	v_add_co_u32_e32 v4, vcc, s88, v22
	v_addc_co_u32_e32 v5, vcc, v2, v37, vcc
	global_load_sbyte v7, v[4:5], off
	v_add_co_u32_e32 v4, vcc, s88, v21
	;; [unrolled: 3-line block ×3, first 2 shown]
	v_addc_co_u32_e32 v5, vcc, v2, v35, vcc
	global_load_sbyte v2, v[4:5], off
	s_waitcnt vmcnt(3)
	v_add_u32_e32 v4, 0x80, v6
	s_waitcnt vmcnt(2)
	v_add_u32_e32 v5, 0x80, v7
	v_and_b32_e32 v7, v4, v45
	v_bfe_u32 v4, v4, s13, 2
	v_cmp_eq_u32_e32 vcc, v7, v43
	v_and_b32_e32 v7, v5, v45
	s_waitcnt vmcnt(1)
	v_add_u32_e32 v6, 0x80, v8
	v_bfe_u32 v5, v5, s13, 2
	v_cmp_eq_u32_e64 s[20:21], 0, v4
	v_cmp_eq_u32_e64 s[14:15], v7, v43
	v_and_b32_e32 v7, v6, v45
	s_waitcnt vmcnt(0)
	v_add_u32_e32 v2, 0x80, v2
	v_bfe_u32 v6, v6, s13, 2
	s_and_b64 s[6:7], vcc, s[20:21]
	v_cmp_eq_u32_e64 s[20:21], 0, v5
	v_cmp_eq_u32_e64 s[16:17], v7, v43
	v_and_b32_e32 v7, v2, v45
	v_bfe_u32 v2, v2, s13, 2
	s_and_b64 s[36:37], s[14:15], s[20:21]
	v_cmp_eq_u32_e64 s[20:21], 0, v6
	v_cmp_eq_u32_e64 s[18:19], v7, v43
	s_and_b64 s[42:43], s[16:17], s[20:21]
	v_cmp_eq_u32_e64 s[20:21], 0, v2
	v_cndmask_b32_e64 v7, 0, 1, s[6:7]
	s_and_b64 s[44:45], s[18:19], s[20:21]
	v_cmp_ne_u32_e64 s[20:21], 0, v7
	v_cndmask_b32_e64 v7, 0, 1, s[36:37]
	s_bcnt1_i32_b64 s1, s[20:21]
	v_cmp_ne_u32_e64 s[20:21], 0, v7
	v_cndmask_b32_e64 v7, 0, 1, s[42:43]
	s_bcnt1_i32_b64 s5, s[20:21]
	;; [unrolled: 3-line block ×3, first 2 shown]
	v_cmp_ne_u32_e64 s[20:21], 0, v7
	s_bcnt1_i32_b64 s7, s[20:21]
	s_add_u32 s1, s1, s40
	s_addc_u32 s9, 0, s41
	s_add_u32 s1, s1, s5
	s_addc_u32 s5, s9, 0
	;; [unrolled: 2-line block ×3, first 2 shown]
	s_add_u32 s40, s1, s7
	v_cmp_eq_u32_e64 s[20:21], 1, v4
	s_addc_u32 s41, s5, 0
	s_and_b64 s[6:7], vcc, s[20:21]
	v_cmp_eq_u32_e64 s[20:21], 1, v5
	s_and_b64 s[36:37], s[14:15], s[20:21]
	v_cmp_eq_u32_e64 s[20:21], 1, v6
	s_and_b64 s[42:43], s[16:17], s[20:21]
	v_cmp_eq_u32_e64 s[20:21], 1, v2
	v_cndmask_b32_e64 v7, 0, 1, s[6:7]
	s_and_b64 s[44:45], s[18:19], s[20:21]
	v_cmp_ne_u32_e64 s[20:21], 0, v7
	v_cndmask_b32_e64 v7, 0, 1, s[36:37]
	s_bcnt1_i32_b64 s1, s[20:21]
	v_cmp_ne_u32_e64 s[20:21], 0, v7
	v_cndmask_b32_e64 v7, 0, 1, s[42:43]
	s_bcnt1_i32_b64 s5, s[20:21]
	;; [unrolled: 3-line block ×3, first 2 shown]
	v_cmp_ne_u32_e64 s[20:21], 0, v7
	s_bcnt1_i32_b64 s7, s[20:21]
	s_add_u32 s1, s1, s94
	s_addc_u32 s9, 0, s95
	s_add_u32 s1, s1, s5
	s_addc_u32 s5, s9, 0
	;; [unrolled: 2-line block ×3, first 2 shown]
	s_add_u32 s94, s1, s7
	v_cmp_eq_u32_e64 s[20:21], 2, v4
	s_addc_u32 s95, s5, 0
	s_and_b64 s[6:7], vcc, s[20:21]
	v_cmp_eq_u32_e64 s[20:21], 2, v5
	s_and_b64 s[36:37], s[14:15], s[20:21]
	v_cmp_eq_u32_e64 s[20:21], 2, v6
	s_and_b64 s[42:43], s[16:17], s[20:21]
	v_cmp_eq_u32_e64 s[20:21], 2, v2
	v_cndmask_b32_e64 v7, 0, 1, s[6:7]
	s_and_b64 s[44:45], s[18:19], s[20:21]
	v_cmp_ne_u32_e64 s[20:21], 0, v7
	v_cndmask_b32_e64 v7, 0, 1, s[36:37]
	s_bcnt1_i32_b64 s1, s[20:21]
	v_cmp_ne_u32_e64 s[20:21], 0, v7
	v_cndmask_b32_e64 v7, 0, 1, s[42:43]
	s_bcnt1_i32_b64 s5, s[20:21]
	;; [unrolled: 3-line block ×3, first 2 shown]
	v_cmp_ne_u32_e64 s[20:21], 0, v7
	s_bcnt1_i32_b64 s7, s[20:21]
	s_add_u32 s1, s1, s92
	s_addc_u32 s9, 0, s93
	s_add_u32 s1, s1, s5
	s_addc_u32 s5, s9, 0
	s_add_u32 s1, s1, s6
	s_addc_u32 s5, s5, 0
	s_add_u32 s92, s1, s7
	v_cmp_eq_u32_e64 s[20:21], 3, v4
	s_addc_u32 s93, s5, 0
	s_and_b64 s[6:7], vcc, s[20:21]
	v_cmp_eq_u32_e32 vcc, 3, v5
	s_and_b64 s[14:15], s[14:15], vcc
	v_cmp_eq_u32_e32 vcc, 3, v6
	s_and_b64 s[16:17], s[16:17], vcc
	v_cmp_eq_u32_e32 vcc, 3, v2
	v_cndmask_b32_e64 v2, 0, 1, s[6:7]
	s_and_b64 s[18:19], s[18:19], vcc
	v_cmp_ne_u32_e32 vcc, 0, v2
	v_cndmask_b32_e64 v2, 0, 1, s[14:15]
	s_bcnt1_i32_b64 s1, vcc
	v_cmp_ne_u32_e32 vcc, 0, v2
	v_cndmask_b32_e64 v2, 0, 1, s[16:17]
	s_bcnt1_i32_b64 s5, vcc
	;; [unrolled: 3-line block ×3, first 2 shown]
	v_cmp_ne_u32_e32 vcc, 0, v2
	s_bcnt1_i32_b64 s7, vcc
	s_add_u32 s1, s1, s90
	s_addc_u32 s9, 0, s91
	s_add_u32 s1, s1, s5
	s_addc_u32 s5, s9, 0
	;; [unrolled: 2-line block ×3, first 2 shown]
	s_add_u32 s90, s1, s7
	v_add_co_u32_e32 v28, vcc, s4, v28
	s_addc_u32 s91, s5, 0
	v_addc_co_u32_e32 v29, vcc, 0, v29, vcc
	s_mul_i32 s1, s64, s8
	s_add_u32 s88, s88, s1
	v_cmp_le_i64_e32 vcc, s[82:83], v[28:29]
	s_addc_u32 s89, s89, s0
	v_mov_b32_e32 v4, s40
	v_mov_b32_e32 v6, s94
	;; [unrolled: 1-line block ×4, first 2 shown]
	s_or_b64 s[86:87], vcc, s[86:87]
	v_mov_b32_e32 v5, s41
	v_mov_b32_e32 v7, s95
	;; [unrolled: 1-line block ×4, first 2 shown]
	s_andn2_b64 exec, exec, s[86:87]
	s_cbranch_execnz .LBB15_79
; %bb.80:                               ;   in Loop: Header=BB15_32 Depth=1
	s_or_b64 exec, exec, s[86:87]
	v_readlane_b32 s89, v57, 38
.LBB15_81:                              ;   in Loop: Header=BB15_32 Depth=1
	s_or_b64 exec, exec, s[84:85]
	v_mov_b32_e32 v2, s83
	v_add_co_u32_e32 v28, vcc, s82, v0
	v_addc_co_u32_e32 v29, vcc, 0, v2, vcc
	v_cmp_gt_i64_e32 vcc, s[24:25], v[28:29]
	s_and_saveexec_b64 s[6:7], vcc
	s_cbranch_execz .LBB15_87
; %bb.82:                               ;   in Loop: Header=BB15_32 Depth=1
	v_mov_b32_e32 v30, s48
	v_mov_b32_e32 v31, s49
	v_mad_u64_u32 v[30:31], s[0:1], v28, s30, v[30:31]
	v_mul_lo_u32 v2, v28, s31
	v_mul_lo_u32 v47, v29, s30
	v_readlane_b32 s0, v57, 30
	v_readlane_b32 s1, v57, 31
	s_mul_i32 s16, s30, s8
	v_add3_u32 v31, v47, v31, v2
	global_load_ubyte v2, v[30:31], off
	v_add_co_u32_e32 v30, vcc, s8, v40
	v_addc_co_u32_e32 v31, vcc, 0, v41, vcc
	v_mov_b32_e32 v47, s81
	v_subrev_co_u32_e32 v48, vcc, s80, v30
	v_subb_co_u32_e32 v30, vcc, v31, v47, vcc
	v_mul_lo_u32 v47, s30, v30
	v_mov_b32_e32 v31, s1
	v_mov_b32_e32 v30, s0
	v_mul_lo_u32 v49, s31, v48
	v_mad_u64_u32 v[30:31], s[0:1], s30, v48, v[30:31]
	s_mul_i32 s0, s31, s8
	s_mul_hi_u32 s1, s30, s8
	v_add3_u32 v31, v49, v31, v47
	s_add_i32 s9, s1, s0
	s_mov_b64 s[4:5], 0
	s_branch .LBB15_84
.LBB15_83:                              ;   in Loop: Header=BB15_84 Depth=2
	s_or_b64 exec, exec, s[0:1]
	s_waitcnt vmcnt(0)
	v_add_u32_sdwa v2, sext(v2), s50 dst_sel:DWORD dst_unused:UNUSED_PAD src0_sel:BYTE_0 src1_sel:DWORD
	s_and_b64 s[0:1], exec, vcc
	v_and_b32_e32 v48, v2, v45
	v_bfe_u32 v2, v2, s13, 2
	s_or_b64 s[4:5], s[0:1], s[4:5]
	v_cmp_eq_u32_e32 vcc, v48, v43
	v_cmp_eq_u32_e64 s[14:15], 0, v2
	s_and_b64 s[0:1], vcc, s[14:15]
	v_cndmask_b32_e64 v48, 0, 1, s[0:1]
	v_cmp_ne_u32_e64 s[14:15], 0, v48
	s_bcnt1_i32_b64 s0, s[14:15]
	v_add_co_u32_e64 v4, s[14:15], s0, v4
	v_addc_co_u32_e64 v5, s[14:15], 0, v5, s[14:15]
	v_cmp_eq_u32_e64 s[14:15], 1, v2
	s_and_b64 s[0:1], vcc, s[14:15]
	v_cndmask_b32_e64 v48, 0, 1, s[0:1]
	v_cmp_ne_u32_e64 s[14:15], 0, v48
	s_bcnt1_i32_b64 s0, s[14:15]
	v_add_co_u32_e64 v6, s[14:15], s0, v6
	v_addc_co_u32_e64 v7, s[14:15], 0, v7, s[14:15]
	;; [unrolled: 7-line block ×3, first 2 shown]
	v_cmp_eq_u32_e64 s[14:15], 3, v2
	s_and_b64 s[0:1], vcc, s[14:15]
	v_cndmask_b32_e64 v2, 0, 1, s[0:1]
	v_cmp_ne_u32_e32 vcc, 0, v2
	s_bcnt1_i32_b64 s0, vcc
	v_add_co_u32_e32 v10, vcc, s0, v10
	v_addc_co_u32_e32 v11, vcc, 0, v11, vcc
	v_mov_b32_e32 v2, s9
	v_add_co_u32_e32 v30, vcc, s16, v30
	v_addc_co_u32_e32 v31, vcc, v31, v2, vcc
	v_mov_b32_e32 v2, v47
	s_andn2_b64 exec, exec, s[4:5]
	s_cbranch_execz .LBB15_86
.LBB15_84:                              ;   Parent Loop BB15_32 Depth=1
                                        ; =>  This Inner Loop Header: Depth=2
	v_add_co_u32_e32 v28, vcc, s8, v28
	v_addc_co_u32_e32 v29, vcc, 0, v29, vcc
	v_cmp_gt_i64_e64 s[14:15], s[24:25], v[28:29]
	v_cmp_le_i64_e32 vcc, s[24:25], v[28:29]
	v_mov_b32_e32 v47, 0
	s_and_saveexec_b64 s[0:1], s[14:15]
	s_cbranch_execz .LBB15_83
; %bb.85:                               ;   in Loop: Header=BB15_84 Depth=2
	global_load_ubyte v47, v[30:31], off
	s_branch .LBB15_83
.LBB15_86:                              ;   in Loop: Header=BB15_32 Depth=1
	s_or_b64 exec, exec, s[4:5]
.LBB15_87:                              ;   in Loop: Header=BB15_32 Depth=1
	s_or_b64 exec, exec, s[6:7]
	s_branch .LBB15_66
.LBB15_88:                              ;   in Loop: Header=BB15_32 Depth=1
	v_readlane_b32 s0, v57, 19
	v_readlane_b32 s1, v57, 20
	v_mov_b32_e32 v8, 0
	v_mov_b32_e32 v9, 0
	s_nop 2
	global_load_ushort v2, v3, s[0:1]
	s_waitcnt vmcnt(0)
	v_readfirstlane_b32 s0, v2
	s_and_b32 s0, 0xffff, s0
	s_lshl_b32 s1, s0, 2
	v_cvt_f32_u32_e32 v4, s1
	s_sub_i32 s4, 0, s1
	v_rcp_iflag_f32_e32 v6, v4
	v_mov_b32_e32 v4, 0
	v_mov_b32_e32 v5, 0
	v_mul_f32_e32 v6, 0x4f7ffffe, v6
	v_cvt_u32_f32_e32 v10, v6
	v_mov_b32_e32 v6, 0
	v_mov_b32_e32 v7, 0
	v_readfirstlane_b32 s5, v10
	s_mul_i32 s4, s4, s5
	s_mul_hi_u32 s4, s5, s4
	s_add_i32 s5, s5, s4
	s_mul_hi_u32 s4, s26, s5
	s_mul_i32 s5, s4, s1
	s_sub_i32 s5, s26, s5
	s_add_i32 s6, s4, 1
	s_sub_i32 s7, s5, s1
	s_cmp_ge_u32 s5, s1
	s_cselect_b32 s4, s6, s4
	s_cselect_b32 s5, s7, s5
	s_add_i32 s6, s4, 1
	s_cmp_ge_u32 s5, s1
	s_cselect_b32 s4, s6, s4
	s_mul_hi_u32 s41, s0, s4
	s_mul_i32 s40, s0, s4
	s_lshl_b64 s[80:81], s[40:41], 2
	v_cmp_gt_u64_e32 vcc, s[80:81], v[16:17]
	v_mov_b32_e32 v10, 0
	v_mov_b32_e32 v11, 0
	s_and_saveexec_b64 s[82:83], vcc
	s_cbranch_execz .LBB15_92
; %bb.89:                               ;   in Loop: Header=BB15_32 Depth=1
	v_mov_b32_e32 v29, v17
	s_mov_b64 s[84:85], 0
	v_mov_b32_e32 v30, v16
	s_mov_b64 s[86:87], 0
	s_mov_b64 s[88:89], 0
	;; [unrolled: 1-line block ×4, first 2 shown]
	v_mov_b32_e32 v28, v16
.LBB15_90:                              ;   Parent Loop BB15_32 Depth=1
                                        ; =>  This Inner Loop Header: Depth=2
	ds_read_b32 v4, v30
	v_add_u32_e32 v30, s1, v30
	s_waitcnt lgkmcnt(0)
	v_add_u32_sdwa v5, sext(v4), s50 dst_sel:DWORD dst_unused:UNUSED_PAD src0_sel:BYTE_0 src1_sel:DWORD
	v_add_u32_sdwa v6, sext(v4), s50 dst_sel:DWORD dst_unused:UNUSED_PAD src0_sel:BYTE_1 src1_sel:DWORD
	v_and_b32_e32 v8, v5, v45
	v_bfe_u32 v5, v5, s13, 2
	v_add_u32_sdwa v7, sext(v4), s50 dst_sel:DWORD dst_unused:UNUSED_PAD src0_sel:BYTE_2 src1_sel:DWORD
	v_cmp_eq_u32_e32 vcc, v8, v43
	v_and_b32_e32 v8, v6, v45
	v_bfe_u32 v6, v6, s13, 2
	v_cmp_eq_u32_e64 s[20:21], 0, v5
	v_add_u32_sdwa v4, sext(v4), s50 dst_sel:DWORD dst_unused:UNUSED_PAD src0_sel:BYTE_3 src1_sel:DWORD
	v_cmp_eq_u32_e64 s[14:15], v8, v43
	v_and_b32_e32 v8, v7, v45
	v_bfe_u32 v7, v7, s13, 2
	s_and_b64 s[4:5], vcc, s[20:21]
	v_cmp_eq_u32_e64 s[20:21], 0, v6
	v_cmp_eq_u32_e64 s[16:17], v8, v43
	v_and_b32_e32 v8, v4, v45
	v_bfe_u32 v4, v4, s13, 2
	s_and_b64 s[6:7], s[14:15], s[20:21]
	v_cmp_eq_u32_e64 s[20:21], 0, v7
	v_cmp_eq_u32_e64 s[18:19], v8, v43
	s_and_b64 s[8:9], s[16:17], s[20:21]
	v_cmp_eq_u32_e64 s[20:21], 0, v4
	v_cndmask_b32_e64 v8, 0, 1, s[4:5]
	s_and_b64 s[36:37], s[18:19], s[20:21]
	v_cmp_ne_u32_e64 s[20:21], 0, v8
	v_cndmask_b32_e64 v8, 0, 1, s[6:7]
	s_bcnt1_i32_b64 s4, s[20:21]
	v_cmp_ne_u32_e64 s[20:21], 0, v8
	v_cndmask_b32_e64 v8, 0, 1, s[8:9]
	s_bcnt1_i32_b64 s5, s[20:21]
	;; [unrolled: 3-line block ×3, first 2 shown]
	v_cmp_ne_u32_e64 s[20:21], 0, v8
	s_bcnt1_i32_b64 s7, s[20:21]
	s_add_u32 s4, s4, s92
	s_addc_u32 s8, 0, s93
	s_add_u32 s4, s4, s5
	s_addc_u32 s5, s8, 0
	;; [unrolled: 2-line block ×3, first 2 shown]
	s_add_u32 s92, s4, s7
	v_cmp_eq_u32_e64 s[20:21], 1, v5
	s_addc_u32 s93, s5, 0
	s_and_b64 s[4:5], vcc, s[20:21]
	v_cmp_eq_u32_e64 s[20:21], 1, v6
	s_and_b64 s[6:7], s[14:15], s[20:21]
	v_cmp_eq_u32_e64 s[20:21], 1, v7
	s_and_b64 s[8:9], s[16:17], s[20:21]
	v_cmp_eq_u32_e64 s[20:21], 1, v4
	v_cndmask_b32_e64 v8, 0, 1, s[4:5]
	s_and_b64 s[36:37], s[18:19], s[20:21]
	v_cmp_ne_u32_e64 s[20:21], 0, v8
	v_cndmask_b32_e64 v8, 0, 1, s[6:7]
	s_bcnt1_i32_b64 s4, s[20:21]
	v_cmp_ne_u32_e64 s[20:21], 0, v8
	v_cndmask_b32_e64 v8, 0, 1, s[8:9]
	s_bcnt1_i32_b64 s5, s[20:21]
	;; [unrolled: 3-line block ×3, first 2 shown]
	v_cmp_ne_u32_e64 s[20:21], 0, v8
	s_bcnt1_i32_b64 s7, s[20:21]
	s_add_u32 s4, s4, s90
	s_addc_u32 s8, 0, s91
	s_add_u32 s4, s4, s5
	s_addc_u32 s5, s8, 0
	;; [unrolled: 2-line block ×3, first 2 shown]
	s_add_u32 s90, s4, s7
	v_cmp_eq_u32_e64 s[20:21], 2, v5
	s_addc_u32 s91, s5, 0
	s_and_b64 s[4:5], vcc, s[20:21]
	v_cmp_eq_u32_e64 s[20:21], 2, v6
	s_and_b64 s[6:7], s[14:15], s[20:21]
	v_cmp_eq_u32_e64 s[20:21], 2, v7
	s_and_b64 s[8:9], s[16:17], s[20:21]
	v_cmp_eq_u32_e64 s[20:21], 2, v4
	v_cndmask_b32_e64 v8, 0, 1, s[4:5]
	s_and_b64 s[36:37], s[18:19], s[20:21]
	v_cmp_ne_u32_e64 s[20:21], 0, v8
	v_cndmask_b32_e64 v8, 0, 1, s[6:7]
	s_bcnt1_i32_b64 s4, s[20:21]
	v_cmp_ne_u32_e64 s[20:21], 0, v8
	v_cndmask_b32_e64 v8, 0, 1, s[8:9]
	s_bcnt1_i32_b64 s5, s[20:21]
	;; [unrolled: 3-line block ×3, first 2 shown]
	v_cmp_ne_u32_e64 s[20:21], 0, v8
	s_bcnt1_i32_b64 s7, s[20:21]
	s_add_u32 s4, s4, s88
	s_addc_u32 s8, 0, s89
	s_add_u32 s4, s4, s5
	s_addc_u32 s5, s8, 0
	s_add_u32 s4, s4, s6
	s_addc_u32 s5, s5, 0
	s_add_u32 s88, s4, s7
	v_cmp_eq_u32_e64 s[20:21], 3, v5
	s_addc_u32 s89, s5, 0
	s_and_b64 s[4:5], vcc, s[20:21]
	v_cmp_eq_u32_e32 vcc, 3, v6
	s_and_b64 s[6:7], s[14:15], vcc
	v_cmp_eq_u32_e32 vcc, 3, v7
	s_and_b64 s[8:9], s[16:17], vcc
	v_cmp_eq_u32_e32 vcc, 3, v4
	v_cndmask_b32_e64 v4, 0, 1, s[4:5]
	s_and_b64 s[14:15], s[18:19], vcc
	v_cmp_ne_u32_e32 vcc, 0, v4
	v_cndmask_b32_e64 v4, 0, 1, s[6:7]
	s_bcnt1_i32_b64 s4, vcc
	v_cmp_ne_u32_e32 vcc, 0, v4
	v_cndmask_b32_e64 v4, 0, 1, s[8:9]
	s_bcnt1_i32_b64 s5, vcc
	;; [unrolled: 3-line block ×3, first 2 shown]
	v_cmp_ne_u32_e32 vcc, 0, v4
	s_bcnt1_i32_b64 s7, vcc
	s_add_u32 s4, s4, s86
	s_addc_u32 s8, 0, s87
	s_add_u32 s4, s4, s5
	s_addc_u32 s5, s8, 0
	s_add_u32 s4, s4, s6
	v_add_co_u32_e32 v28, vcc, s1, v28
	s_addc_u32 s5, s5, 0
	v_addc_co_u32_e32 v29, vcc, 0, v29, vcc
	s_add_u32 s86, s4, s7
	v_cmp_le_u64_e32 vcc, s[80:81], v[28:29]
	s_addc_u32 s87, s5, 0
	v_mov_b32_e32 v4, s92
	v_mov_b32_e32 v6, s90
	;; [unrolled: 1-line block ×4, first 2 shown]
	s_or_b64 s[84:85], vcc, s[84:85]
	v_mov_b32_e32 v5, s93
	v_mov_b32_e32 v7, s91
	;; [unrolled: 1-line block ×4, first 2 shown]
	s_andn2_b64 exec, exec, s[84:85]
	s_cbranch_execnz .LBB15_90
; %bb.91:                               ;   in Loop: Header=BB15_32 Depth=1
	s_or_b64 exec, exec, s[84:85]
	v_readlane_b32 s89, v57, 38
.LBB15_92:                              ;   in Loop: Header=BB15_32 Depth=1
	s_or_b64 exec, exec, s[82:83]
	v_mov_b32_e32 v29, s81
	v_add_co_u32_e32 v28, vcc, s80, v0
	s_and_b32 s46, s26, 0x7fffffff
	v_addc_co_u32_e32 v29, vcc, 0, v29, vcc
	v_cmp_gt_u64_e32 vcc, s[46:47], v[28:29]
	s_and_saveexec_b64 s[6:7], vcc
	s_cbranch_execz .LBB15_96
; %bb.93:                               ;   in Loop: Header=BB15_32 Depth=1
	v_lshl_add_u32 v30, s40, 2, v0
	s_mov_b64 s[16:17], 0
.LBB15_94:                              ;   Parent Loop BB15_32 Depth=1
                                        ; =>  This Inner Loop Header: Depth=2
	ds_read_i8 v31, v30
	v_add_u32_e32 v30, s0, v30
	s_waitcnt lgkmcnt(0)
	v_add_u32_e32 v31, 0x80, v31
	v_and_b32_e32 v47, v31, v45
	v_bfe_u32 v31, v31, s13, 2
	v_cmp_eq_u32_e32 vcc, v47, v43
	v_cmp_eq_u32_e64 s[14:15], 0, v31
	s_and_b64 s[4:5], vcc, s[14:15]
	v_cndmask_b32_e64 v47, 0, 1, s[4:5]
	v_cmp_ne_u32_e64 s[14:15], 0, v47
	s_bcnt1_i32_b64 s1, s[14:15]
	v_add_co_u32_e64 v4, s[14:15], s1, v4
	v_addc_co_u32_e64 v5, s[14:15], 0, v5, s[14:15]
	v_cmp_eq_u32_e64 s[14:15], 1, v31
	s_and_b64 s[4:5], vcc, s[14:15]
	v_cndmask_b32_e64 v47, 0, 1, s[4:5]
	v_cmp_ne_u32_e64 s[14:15], 0, v47
	s_bcnt1_i32_b64 s1, s[14:15]
	v_add_co_u32_e64 v6, s[14:15], s1, v6
	v_addc_co_u32_e64 v7, s[14:15], 0, v7, s[14:15]
	;; [unrolled: 7-line block ×3, first 2 shown]
	v_cmp_eq_u32_e64 s[14:15], 3, v31
	s_and_b64 s[4:5], vcc, s[14:15]
	v_cndmask_b32_e64 v31, 0, 1, s[4:5]
	v_cmp_ne_u32_e32 vcc, 0, v31
	s_bcnt1_i32_b64 s1, vcc
	v_add_co_u32_e32 v10, vcc, s1, v10
	v_addc_co_u32_e32 v11, vcc, 0, v11, vcc
	v_add_co_u32_sdwa v28, vcc, v28, v2 dst_sel:DWORD dst_unused:UNUSED_PAD src0_sel:DWORD src1_sel:WORD_0
	v_addc_co_u32_e32 v29, vcc, 0, v29, vcc
	v_cmp_le_u64_e32 vcc, s[46:47], v[28:29]
	s_or_b64 s[16:17], vcc, s[16:17]
	s_andn2_b64 exec, exec, s[16:17]
	s_cbranch_execnz .LBB15_94
; %bb.95:                               ;   in Loop: Header=BB15_32 Depth=1
	s_or_b64 exec, exec, s[16:17]
.LBB15_96:                              ;   in Loop: Header=BB15_32 Depth=1
	s_or_b64 exec, exec, s[6:7]
	v_readlane_b32 s46, v57, 39
	s_lshl_b32 s0, s56, 6
	s_and_saveexec_b64 s[4:5], s[10:11]
	s_cbranch_execnz .LBB15_67
	s_branch .LBB15_68
.LBB15_97:                              ;   in Loop: Header=BB15_32 Depth=1
                                        ; implicit-def: $sgpr80_sgpr81
	s_branch .LBB15_76
.LBB15_98:                              ;   in Loop: Header=BB15_32 Depth=1
	s_or_b64 exec, exec, s[4:5]
	s_waitcnt lgkmcnt(0)
	s_barrier
	s_mov_b64 s[0:1], exec
	v_readlane_b32 s4, v57, 8
	v_readlane_b32 s5, v57, 9
	s_and_b64 s[4:5], s[0:1], s[4:5]
	s_mov_b64 exec, s[4:5]
	s_cbranch_execz .LBB15_100
; %bb.99:                               ;   in Loop: Header=BB15_32 Depth=1
	ds_read_b32 v4, v3 offset:5136
	s_waitcnt lgkmcnt(0)
	v_ashrrev_i32_e32 v5, 31, v4
	ds_write_b64 v3, v[4:5] offset:5120
.LBB15_100:                             ;   in Loop: Header=BB15_32 Depth=1
	s_or_b64 exec, exec, s[0:1]
	s_waitcnt lgkmcnt(0)
	s_barrier
	s_mov_b64 s[4:5], -1
	s_and_b64 vcc, exec, s[6:7]
	s_cbranch_vccnz .LBB15_47
	s_branch .LBB15_62
.LBB15_101:                             ;   in Loop: Header=BB15_32 Depth=1
	v_mov_b32_e32 v4, 0
	v_mov_b32_e32 v5, 0
	s_mov_b32 s1, 0
.LBB15_102:                             ;   in Loop: Header=BB15_32 Depth=1
	v_readlane_b32 s4, v57, 28
	v_readlane_b32 s5, v57, 29
	s_andn2_b64 vcc, exec, s[4:5]
	s_cbranch_vccnz .LBB15_105
; %bb.103:                              ;   in Loop: Header=BB15_32 Depth=1
	s_lshl_b32 s4, s56, 9
	s_lshl_b32 s1, s1, 5
	s_add_i32 s4, s4, s1
	v_add_u32_e32 v2, s4, v42
	v_readlane_b32 s1, v57, 27
.LBB15_104:                             ;   Parent Loop BB15_32 Depth=1
                                        ; =>  This Inner Loop Header: Depth=2
	ds_read_b64 v[6:7], v2
	s_add_i32 s1, s1, -1
	v_add_u32_e32 v2, 32, v2
	s_cmp_lg_u32 s1, 0
	s_waitcnt lgkmcnt(0)
	v_add_co_u32_e32 v4, vcc, v6, v4
	v_addc_co_u32_e32 v5, vcc, v7, v5, vcc
	s_cbranch_scc1 .LBB15_104
.LBB15_105:                             ;   in Loop: Header=BB15_32 Depth=1
	v_add_lshl_u32 v2, s0, v32, 3
	ds_write_b64 v2, v[4:5] offset:3072
.LBB15_106:                             ;   in Loop: Header=BB15_32 Depth=1
	s_or_b64 exec, exec, s[6:7]
	s_lshl_b32 s0, s0, 3
	v_mov_b32_e32 v2, s0
	s_waitcnt lgkmcnt(0)
	s_barrier
	ds_read_b128 v[8:11], v2 offset:3088
	ds_read_b128 v[4:7], v2 offset:3072
	v_cmp_eq_u64_e64 s[14:15], 1, v[26:27]
	s_lshl_b32 s57, 3, s13
	s_not_b32 s88, s57
	s_waitcnt lgkmcnt(1)
	v_readfirstlane_b32 s80, v8
	s_waitcnt lgkmcnt(0)
	v_cmp_eq_u64_e32 vcc, 1, v[4:5]
	v_readfirstlane_b32 s81, v9
	v_readfirstlane_b32 s16, v10
	v_readfirstlane_b32 s17, v11
	s_and_b64 s[20:21], vcc, s[14:15]
	s_mov_b64 s[14:15], -1
	s_mov_b64 s[4:5], -1
                                        ; implicit-def: $sgpr40_sgpr41
                                        ; implicit-def: $sgpr36_sgpr37
	s_and_saveexec_b64 s[18:19], s[20:21]
	s_cbranch_execz .LBB15_140
; %bb.107:                              ;   in Loop: Header=BB15_32 Depth=1
	ds_read_b64 v[8:9], v3 offset:5120
	s_waitcnt lgkmcnt(0)
	s_barrier
	v_readfirstlane_b32 s26, v8
	v_readfirstlane_b32 s27, v9
	s_mov_b64 s[0:1], exec
	v_readlane_b32 s4, v57, 32
	v_readlane_b32 s5, v57, 33
	s_and_b64 s[4:5], s[0:1], s[4:5]
	s_mov_b64 exec, s[4:5]
; %bb.108:                              ;   in Loop: Header=BB15_32 Depth=1
	ds_write_b8 v0, v3 offset:3072
; %bb.109:                              ;   in Loop: Header=BB15_32 Depth=1
	s_or_b64 exec, exec, s[0:1]
	v_cmp_lt_i64_e64 s[0:1], s[26:27], 1
	v_and_b32_e32 v43, s88, v43
	v_or_b32_e32 v45, s57, v45
	s_mov_b64 s[36:37], -1
	s_mov_b64 s[40:41], 0
	s_and_b64 vcc, exec, s[0:1]
	s_mov_b64 s[6:7], 0
	s_mov_b64 s[4:5], -1
	s_waitcnt lgkmcnt(0)
	s_barrier
                                        ; implicit-def: $vgpr46
	s_cbranch_vccz .LBB15_125
; %bb.110:                              ;   in Loop: Header=BB15_32 Depth=1
	s_mov_b32 s54, s47
	s_cmp_lg_u64 s[54:55], 0
	s_cbranch_scc0 .LBB15_112
; %bb.111:                              ;   in Loop: Header=BB15_32 Depth=1
	s_add_u32 s0, s33, 0
	s_addc_u32 s1, 0, 0
	s_xor_b64 s[6:7], s[0:1], 0
	v_cvt_f32_u32_e32 v2, s6
	v_cvt_f32_u32_e32 v8, s7
	s_sub_u32 s4, 0, s6
	s_subb_u32 s5, 0, s7
	v_mac_f32_e32 v2, 0x4f800000, v8
	v_rcp_f32_e32 v2, v2
	v_mul_f32_e32 v2, 0x5f7ffffc, v2
	v_mul_f32_e32 v8, 0x2f800000, v2
	v_trunc_f32_e32 v8, v8
	v_mac_f32_e32 v2, 0xcf800000, v8
	v_cvt_u32_f32_e32 v8, v8
	v_cvt_u32_f32_e32 v2, v2
	v_readfirstlane_b32 s8, v8
	v_readfirstlane_b32 s0, v2
	s_mul_i32 s1, s4, s8
	s_mul_hi_u32 s42, s4, s0
	s_mul_i32 s9, s5, s0
	s_add_i32 s1, s42, s1
	s_mul_i32 s43, s4, s0
	s_add_i32 s1, s1, s9
	s_mul_i32 s42, s0, s1
	s_mul_hi_u32 s44, s0, s43
	s_mul_hi_u32 s9, s0, s1
	s_add_u32 s42, s44, s42
	s_addc_u32 s9, 0, s9
	s_mul_hi_u32 s45, s8, s43
	s_mul_i32 s43, s8, s43
	s_add_u32 s42, s42, s43
	s_mul_hi_u32 s44, s8, s1
	s_addc_u32 s9, s9, s45
	s_addc_u32 s42, s44, 0
	s_mul_i32 s1, s8, s1
	s_add_u32 s1, s9, s1
	s_addc_u32 s9, 0, s42
	s_add_u32 s42, s0, s1
	s_cselect_b64 s[0:1], -1, 0
	s_cmp_lg_u64 s[0:1], 0
	s_addc_u32 s8, s8, s9
	s_mul_i32 s0, s4, s8
	s_mul_hi_u32 s1, s4, s42
	s_add_i32 s0, s1, s0
	s_mul_i32 s5, s5, s42
	s_add_i32 s0, s0, s5
	s_mul_i32 s4, s4, s42
	s_mul_hi_u32 s5, s8, s4
	s_mul_i32 s9, s8, s4
	s_mul_i32 s44, s42, s0
	s_mul_hi_u32 s4, s42, s4
	s_mul_hi_u32 s43, s42, s0
	s_add_u32 s4, s4, s44
	s_addc_u32 s43, 0, s43
	s_add_u32 s4, s4, s9
	s_mul_hi_u32 s1, s8, s0
	s_addc_u32 s4, s43, s5
	s_addc_u32 s1, s1, 0
	s_mul_i32 s0, s8, s0
	s_add_u32 s0, s4, s0
	s_addc_u32 s4, 0, s1
	s_add_u32 s9, s42, s0
	s_cselect_b64 s[0:1], -1, 0
	s_cmp_lg_u64 s[0:1], 0
	s_addc_u32 s8, s8, s4
	s_ashr_i32 s0, s55, 31
	v_readlane_b32 s4, v57, 17
	s_add_u32 s4, s4, s0
	s_mov_b32 s1, s0
	s_addc_u32 s5, s55, s0
	s_xor_b64 s[4:5], s[4:5], s[0:1]
	s_mul_i32 s43, s4, s8
	s_mul_hi_u32 s44, s4, s9
	s_mul_hi_u32 s42, s4, s8
	s_add_u32 s43, s44, s43
	s_addc_u32 s42, 0, s42
	s_mul_hi_u32 s45, s5, s9
	s_mul_i32 s9, s5, s9
	s_add_u32 s9, s43, s9
	s_mul_hi_u32 s44, s5, s8
	s_addc_u32 s9, s42, s45
	s_addc_u32 s42, s44, 0
	s_mul_i32 s8, s5, s8
	s_add_u32 s8, s9, s8
	s_addc_u32 s9, 0, s42
	s_mul_i32 s9, s6, s9
	s_mul_hi_u32 s42, s6, s8
	s_add_i32 s9, s42, s9
	s_mul_i32 s42, s7, s8
	s_add_i32 s44, s9, s42
	s_sub_i32 s42, s5, s44
	s_mul_i32 s8, s6, s8
	s_sub_u32 s4, s4, s8
	s_cselect_b64 s[8:9], -1, 0
	s_cmp_lg_u64 s[8:9], 0
	s_subb_u32 s45, s42, s7
	s_sub_u32 s46, s4, s6
	s_cselect_b64 s[42:43], -1, 0
	s_cmp_lg_u64 s[42:43], 0
	s_subb_u32 s54, s45, 0
	s_cmp_ge_u32 s54, s7
	s_cselect_b32 s58, -1, 0
	s_cmp_ge_u32 s46, s6
	s_cselect_b32 s59, -1, 0
	s_cmp_eq_u32 s54, s7
	s_cselect_b32 s58, s59, s58
	s_cmp_lg_u64 s[42:43], 0
	s_subb_u32 s45, s45, s7
	s_sub_u32 s59, s46, s6
	s_cselect_b64 s[42:43], -1, 0
	s_cmp_lg_u64 s[42:43], 0
	s_subb_u32 s42, s45, 0
	s_cmp_lg_u32 s58, 0
	s_cselect_b32 s43, s59, s46
	s_cselect_b32 s42, s42, s54
	s_cmp_lg_u64 s[8:9], 0
	s_subb_u32 s5, s5, s44
	s_cmp_ge_u32 s5, s7
	s_cselect_b32 s8, -1, 0
	s_cmp_ge_u32 s4, s6
	s_cselect_b32 s6, -1, 0
	s_cmp_eq_u32 s5, s7
	s_cselect_b32 s6, s6, s8
	s_cmp_lg_u32 s6, 0
	s_cselect_b32 s5, s42, s5
	s_cselect_b32 s4, s43, s4
	s_xor_b64 s[4:5], s[4:5], s[0:1]
	s_sub_u32 s4, s4, s0
	v_readlane_b32 s46, v57, 39
	s_subb_u32 s5, s5, s0
	s_mov_b64 s[0:1], 0
	s_branch .LBB15_113
.LBB15_112:                             ;   in Loop: Header=BB15_32 Depth=1
	s_mov_b64 s[0:1], -1
                                        ; implicit-def: $sgpr4_sgpr5
.LBB15_113:                             ;   in Loop: Header=BB15_32 Depth=1
	s_andn2_b64 vcc, exec, s[0:1]
	v_readlane_b32 s54, v57, 37
	s_cbranch_vccnz .LBB15_115
; %bb.114:                              ;   in Loop: Header=BB15_32 Depth=1
	v_cvt_f32_u32_e32 v2, s33
	s_sub_i32 s0, 0, s33
	v_readlane_b32 s4, v57, 17
	v_rcp_iflag_f32_e32 v2, v2
	v_mul_f32_e32 v2, 0x4f7ffffe, v2
	v_cvt_u32_f32_e32 v2, v2
	v_readfirstlane_b32 s1, v2
	s_mul_i32 s0, s0, s1
	s_mul_hi_u32 s0, s1, s0
	s_add_i32 s1, s1, s0
	s_mul_hi_u32 s0, s4, s1
	s_mul_i32 s0, s0, s33
	s_sub_i32 s0, s4, s0
	s_sub_i32 s1, s0, s33
	s_cmp_ge_u32 s0, s33
	s_cselect_b32 s0, s1, s0
	s_sub_i32 s1, s0, s33
	s_cmp_ge_u32 s0, s33
	s_cselect_b32 s46, s1, s0
	s_mov_b64 s[4:5], s[46:47]
	v_readlane_b32 s46, v57, 39
.LBB15_115:                             ;   in Loop: Header=BB15_32 Depth=1
	v_readlane_b32 s0, v57, 17
	s_sub_u32 s44, s0, s4
	s_subb_u32 s45, s55, s5
	v_cmp_gt_i64_e32 vcc, s[44:45], v[0:1]
	s_mov_b64 s[4:5], 0
	s_mov_b64 s[6:7], 0
                                        ; implicit-def: $vgpr46
	s_and_saveexec_b64 s[42:43], vcc
	s_cbranch_execz .LBB15_124
; %bb.116:                              ;   in Loop: Header=BB15_32 Depth=1
	v_mov_b32_e32 v8, v12
	v_mov_b32_e32 v11, v1
	;; [unrolled: 1-line block ×4, first 2 shown]
                                        ; implicit-def: $sgpr8_sgpr9
	s_branch .LBB15_119
.LBB15_117:                             ;   in Loop: Header=BB15_119 Depth=2
	s_or_b64 exec, exec, s[58:59]
	s_waitcnt lgkmcnt(0)
	s_barrier
	ds_read_u16 v2, v3 offset:3072
	s_mov_b64 s[58:59], -1
	s_mov_b64 s[60:61], -1
	s_waitcnt lgkmcnt(0)
	s_barrier
	v_cmp_ne_u32_sdwa s[0:1], v2, v3 src0_sel:BYTE_0 src1_sel:DWORD
	s_and_b64 vcc, exec, s[0:1]
	s_cbranch_vccz .LBB15_122
.LBB15_118:                             ;   in Loop: Header=BB15_119 Depth=2
	s_and_b64 s[0:1], exec, s[58:59]
	s_or_b64 s[6:7], s[0:1], s[6:7]
	s_andn2_b64 s[0:1], s[8:9], exec
	s_and_b64 s[8:9], s[60:61], exec
	s_or_b64 s[8:9], s[0:1], s[8:9]
	s_andn2_b64 exec, exec, s[6:7]
	s_cbranch_execz .LBB15_123
.LBB15_119:                             ;   Parent Loop BB15_32 Depth=1
                                        ; =>  This Inner Loop Header: Depth=2
	v_cmp_gt_i64_e32 vcc, s[24:25], v[10:11]
	s_and_saveexec_b64 s[58:59], vcc
	s_cbranch_execz .LBB15_117
; %bb.120:                              ;   in Loop: Header=BB15_119 Depth=2
	global_load_ubyte v2, v[8:9], off
	s_waitcnt vmcnt(0)
	v_add_u32_sdwa v28, sext(v2), s50 dst_sel:DWORD dst_unused:UNUSED_PAD src0_sel:BYTE_0 src1_sel:DWORD
	v_and_b32_e32 v28, v28, v45
	v_cmp_eq_u32_e32 vcc, v28, v43
	s_and_b64 exec, exec, vcc
	s_cbranch_execz .LBB15_117
; %bb.121:                              ;   in Loop: Header=BB15_119 Depth=2
	v_lshlrev_b16_e32 v2, 8, v2
	v_or_b32_e32 v2, 1, v2
	ds_write_b16 v3, v2 offset:3072
	s_branch .LBB15_117
.LBB15_122:                             ;   in Loop: Header=BB15_119 Depth=2
	v_add_co_u32_e32 v10, vcc, s33, v10
	v_addc_co_u32_e32 v11, vcc, 0, v11, vcc
	v_mov_b32_e32 v28, s52
	v_add_co_u32_e32 v8, vcc, s53, v8
	v_addc_co_u32_e32 v9, vcc, v9, v28, vcc
	v_cmp_le_i64_e32 vcc, s[44:45], v[10:11]
	s_mov_b64 s[60:61], 0
	s_orn2_b64 s[58:59], vcc, exec
	s_branch .LBB15_118
.LBB15_123:                             ;   in Loop: Header=BB15_32 Depth=1
	s_or_b64 exec, exec, s[6:7]
	v_lshrrev_b32_sdwa v46, v44, v2 dst_sel:DWORD dst_unused:UNUSED_PAD src0_sel:DWORD src1_sel:WORD_0
	s_and_b64 s[6:7], s[8:9], exec
.LBB15_124:                             ;   in Loop: Header=BB15_32 Depth=1
	s_or_b64 exec, exec, s[42:43]
.LBB15_125:                             ;   in Loop: Header=BB15_32 Depth=1
	s_and_b64 vcc, exec, s[4:5]
	s_cbranch_vccz .LBB15_139
; %bb.126:                              ;   in Loop: Header=BB15_32 Depth=1
	v_readlane_b32 s0, v57, 16
	s_add_u32 s8, s26, s0
	v_readlane_b32 s0, v57, 18
	s_addc_u32 s37, s27, s0
	s_mov_b32 s36, s47
	s_cmp_lg_u64 s[36:37], 0
	s_cbranch_scc0 .LBB15_157
; %bb.127:                              ;   in Loop: Header=BB15_32 Depth=1
	s_add_u32 s0, s33, 0
	s_addc_u32 s1, 0, 0
	s_xor_b64 s[40:41], s[0:1], 0
	v_cvt_f32_u32_e32 v2, s40
	v_cvt_f32_u32_e32 v8, s41
	s_sub_u32 s4, 0, s40
	s_subb_u32 s5, 0, s41
	v_mac_f32_e32 v2, 0x4f800000, v8
	v_rcp_f32_e32 v2, v2
	v_mul_f32_e32 v2, 0x5f7ffffc, v2
	v_mul_f32_e32 v8, 0x2f800000, v2
	v_trunc_f32_e32 v8, v8
	v_mac_f32_e32 v2, 0xcf800000, v8
	v_cvt_u32_f32_e32 v8, v8
	v_cvt_u32_f32_e32 v2, v2
	v_readfirstlane_b32 s9, v8
	v_readfirstlane_b32 s0, v2
	s_mul_i32 s1, s4, s9
	s_mul_hi_u32 s42, s4, s0
	s_mul_i32 s36, s5, s0
	s_add_i32 s1, s42, s1
	s_mul_i32 s43, s4, s0
	s_add_i32 s1, s1, s36
	s_mul_i32 s42, s0, s1
	s_mul_hi_u32 s44, s0, s43
	s_mul_hi_u32 s36, s0, s1
	s_add_u32 s42, s44, s42
	s_addc_u32 s36, 0, s36
	s_mul_hi_u32 s45, s9, s43
	s_mul_i32 s43, s9, s43
	s_add_u32 s42, s42, s43
	s_mul_hi_u32 s44, s9, s1
	s_addc_u32 s36, s36, s45
	s_addc_u32 s42, s44, 0
	s_mul_i32 s1, s9, s1
	s_add_u32 s1, s36, s1
	s_addc_u32 s36, 0, s42
	s_add_u32 s42, s0, s1
	s_cselect_b64 s[0:1], -1, 0
	s_cmp_lg_u64 s[0:1], 0
	s_addc_u32 s9, s9, s36
	s_mul_i32 s0, s4, s9
	s_mul_hi_u32 s1, s4, s42
	s_add_i32 s0, s1, s0
	s_mul_i32 s5, s5, s42
	s_add_i32 s0, s0, s5
	s_mul_i32 s4, s4, s42
	s_mul_hi_u32 s5, s9, s4
	s_mul_i32 s36, s9, s4
	s_mul_i32 s44, s42, s0
	s_mul_hi_u32 s4, s42, s4
	s_mul_hi_u32 s43, s42, s0
	s_add_u32 s4, s4, s44
	s_addc_u32 s43, 0, s43
	s_add_u32 s4, s4, s36
	s_mul_hi_u32 s1, s9, s0
	s_addc_u32 s4, s43, s5
	s_addc_u32 s1, s1, 0
	s_mul_i32 s0, s9, s0
	s_add_u32 s0, s4, s0
	s_addc_u32 s4, 0, s1
	s_add_u32 s36, s42, s0
	s_cselect_b64 s[0:1], -1, 0
	s_cmp_lg_u64 s[0:1], 0
	s_addc_u32 s9, s9, s4
	s_ashr_i32 s0, s37, 31
	s_add_u32 s4, s8, s0
	s_mov_b32 s1, s0
	s_addc_u32 s5, s37, s0
	s_xor_b64 s[4:5], s[4:5], s[0:1]
	s_mul_i32 s43, s4, s9
	s_mul_hi_u32 s44, s4, s36
	s_mul_hi_u32 s42, s4, s9
	s_add_u32 s43, s44, s43
	s_addc_u32 s42, 0, s42
	s_mul_hi_u32 s45, s5, s36
	s_mul_i32 s36, s5, s36
	s_add_u32 s36, s43, s36
	s_mul_hi_u32 s44, s5, s9
	s_addc_u32 s36, s42, s45
	s_addc_u32 s42, s44, 0
	s_mul_i32 s9, s5, s9
	s_add_u32 s9, s36, s9
	s_addc_u32 s36, 0, s42
	s_mul_i32 s36, s40, s36
	s_mul_hi_u32 s42, s40, s9
	s_add_i32 s36, s42, s36
	s_mul_i32 s42, s41, s9
	s_add_i32 s36, s36, s42
	s_sub_i32 s44, s5, s36
	s_mul_i32 s9, s40, s9
	s_sub_u32 s4, s4, s9
	s_cselect_b64 s[42:43], -1, 0
	s_cmp_lg_u64 s[42:43], 0
	s_subb_u32 s9, s44, s41
	s_sub_u32 s46, s4, s40
	s_cselect_b64 s[44:45], -1, 0
	s_cmp_lg_u64 s[44:45], 0
	s_subb_u32 s54, s9, 0
	s_cmp_ge_u32 s54, s41
	s_cselect_b32 s58, -1, 0
	s_cmp_ge_u32 s46, s40
	s_cselect_b32 s59, -1, 0
	s_cmp_eq_u32 s54, s41
	s_cselect_b32 s58, s59, s58
	s_cmp_lg_u64 s[44:45], 0
	s_subb_u32 s9, s9, s41
	s_sub_u32 s59, s46, s40
	s_cselect_b64 s[44:45], -1, 0
	s_cmp_lg_u64 s[44:45], 0
	s_subb_u32 s9, s9, 0
	s_cmp_lg_u32 s58, 0
	s_cselect_b32 s44, s59, s46
	s_cselect_b32 s9, s9, s54
	s_cmp_lg_u64 s[42:43], 0
	s_subb_u32 s5, s5, s36
	s_cmp_ge_u32 s5, s41
	s_cselect_b32 s36, -1, 0
	s_cmp_ge_u32 s4, s40
	s_cselect_b32 s40, -1, 0
	s_cmp_eq_u32 s5, s41
	s_cselect_b32 s36, s40, s36
	s_cmp_lg_u32 s36, 0
	s_cselect_b32 s5, s9, s5
	s_cselect_b32 s4, s44, s4
	s_xor_b64 s[4:5], s[4:5], s[0:1]
	s_sub_u32 s4, s4, s0
	v_readlane_b32 s54, v57, 37
	s_subb_u32 s5, s5, s0
	s_cbranch_execnz .LBB15_129
.LBB15_128:                             ;   in Loop: Header=BB15_32 Depth=1
	v_cvt_f32_u32_e32 v2, s33
	s_sub_i32 s0, 0, s33
	v_rcp_iflag_f32_e32 v2, v2
	v_mul_f32_e32 v2, 0x4f7ffffe, v2
	v_cvt_u32_f32_e32 v2, v2
	v_readfirstlane_b32 s1, v2
	s_mul_i32 s0, s0, s1
	s_mul_hi_u32 s0, s1, s0
	s_add_i32 s1, s1, s0
	s_mul_hi_u32 s0, s8, s1
	s_mul_i32 s0, s0, s33
	s_sub_i32 s0, s8, s0
	s_sub_i32 s1, s0, s33
	s_cmp_ge_u32 s0, s33
	s_cselect_b32 s0, s1, s0
	s_sub_i32 s1, s0, s33
	s_cmp_ge_u32 s0, s33
	s_cselect_b32 s46, s1, s0
	s_mov_b64 s[4:5], s[46:47]
.LBB15_129:                             ;   in Loop: Header=BB15_32 Depth=1
	s_sub_u32 s36, s8, s4
	s_subb_u32 s37, s37, s5
	v_cmp_gt_i64_e32 vcc, s[36:37], v[0:1]
                                        ; implicit-def: $vgpr46
	s_and_saveexec_b64 s[4:5], vcc
	v_readlane_b32 s46, v57, 39
	s_cbranch_execz .LBB15_138
; %bb.130:                              ;   in Loop: Header=BB15_32 Depth=1
	v_mov_b32_e32 v9, v1
	s_mov_b64 s[8:9], 0
	v_mov_b32_e32 v2, v0
	v_mov_b32_e32 v8, v0
                                        ; implicit-def: $sgpr40_sgpr41
	s_branch .LBB15_133
.LBB15_131:                             ;   in Loop: Header=BB15_133 Depth=2
	s_or_b64 exec, exec, s[42:43]
	s_waitcnt lgkmcnt(0)
	s_barrier
	ds_read_u16 v10, v3 offset:3072
	s_mov_b64 s[42:43], -1
	s_mov_b64 s[44:45], -1
	s_waitcnt lgkmcnt(0)
	s_barrier
	v_cmp_ne_u32_sdwa s[0:1], v10, v3 src0_sel:BYTE_0 src1_sel:DWORD
	s_and_b64 vcc, exec, s[0:1]
	s_cbranch_vccz .LBB15_136
.LBB15_132:                             ;   in Loop: Header=BB15_133 Depth=2
	s_and_b64 s[0:1], exec, s[42:43]
	s_or_b64 s[8:9], s[0:1], s[8:9]
	s_andn2_b64 s[0:1], s[40:41], exec
	s_and_b64 s[40:41], s[44:45], exec
	s_or_b64 s[40:41], s[0:1], s[40:41]
	s_andn2_b64 exec, exec, s[8:9]
	s_cbranch_execz .LBB15_137
.LBB15_133:                             ;   Parent Loop BB15_32 Depth=1
                                        ; =>  This Inner Loop Header: Depth=2
	v_cmp_gt_u64_e32 vcc, s[26:27], v[8:9]
	s_and_saveexec_b64 s[42:43], vcc
	s_cbranch_execz .LBB15_131
; %bb.134:                              ;   in Loop: Header=BB15_133 Depth=2
	ds_read_u8 v10, v2
	s_waitcnt lgkmcnt(0)
	v_add_u32_sdwa v11, sext(v10), s50 dst_sel:DWORD dst_unused:UNUSED_PAD src0_sel:BYTE_0 src1_sel:DWORD
	v_and_b32_e32 v11, v11, v45
	v_cmp_eq_u32_e32 vcc, v11, v43
	s_and_b64 exec, exec, vcc
	s_cbranch_execz .LBB15_131
; %bb.135:                              ;   in Loop: Header=BB15_133 Depth=2
	v_lshlrev_b16_e32 v10, 8, v10
	v_or_b32_e32 v10, 1, v10
	ds_write_b16 v3, v10 offset:3072
	s_branch .LBB15_131
.LBB15_136:                             ;   in Loop: Header=BB15_133 Depth=2
	v_add_co_u32_e32 v8, vcc, s33, v8
	v_addc_co_u32_e32 v9, vcc, 0, v9, vcc
	v_cmp_le_i64_e32 vcc, s[36:37], v[8:9]
	v_add_u32_e32 v2, s33, v2
	s_mov_b64 s[44:45], 0
	s_orn2_b64 s[42:43], vcc, exec
	s_branch .LBB15_132
.LBB15_137:                             ;   in Loop: Header=BB15_32 Depth=1
	s_or_b64 exec, exec, s[8:9]
	s_andn2_b64 s[0:1], s[6:7], exec
	s_and_b64 s[6:7], s[40:41], exec
	v_lshrrev_b32_sdwa v46, v44, v10 dst_sel:DWORD dst_unused:UNUSED_PAD src0_sel:DWORD src1_sel:WORD_0
	s_or_b64 s[6:7], s[0:1], s[6:7]
.LBB15_138:                             ;   in Loop: Header=BB15_32 Depth=1
	s_or_b64 exec, exec, s[4:5]
	s_mov_b64 s[36:37], 0
	s_mov_b64 s[40:41], -1
.LBB15_139:                             ;   in Loop: Header=BB15_32 Depth=1
	s_orn2_b64 s[4:5], s[6:7], exec
.LBB15_140:                             ;   in Loop: Header=BB15_32 Depth=1
	s_or_b64 exec, exec, s[18:19]
	s_andn2_b64 s[0:1], s[78:79], exec
	s_and_b64 s[6:7], s[40:41], exec
	s_or_b64 s[78:79], s[0:1], s[6:7]
	s_andn2_b64 s[0:1], s[76:77], exec
	s_and_b64 s[6:7], s[36:37], exec
	s_andn2_b64 s[74:75], s[74:75], exec
	s_or_b64 s[76:77], s[0:1], s[6:7]
                                        ; implicit-def: $vgpr8_vgpr9
	s_and_saveexec_b64 s[18:19], s[4:5]
	s_cbranch_execz .LBB15_31
; %bb.141:                              ;   in Loop: Header=BB15_32 Depth=1
	v_mov_b32_e32 v8, 1
	s_xor_b64 s[0:1], s[20:21], -1
	v_mov_b32_e32 v2, 1
	v_mov_b32_e32 v9, 0
	s_mov_b64 s[6:7], 0
	s_and_saveexec_b64 s[4:5], s[0:1]
	s_cbranch_execz .LBB15_150
; %bb.142:                              ;   in Loop: Header=BB15_32 Depth=1
	v_cmp_le_i64_e32 vcc, v[26:27], v[4:5]
	s_and_saveexec_b64 s[0:1], vcc
	s_xor_b64 s[6:7], exec, s[0:1]
	s_cbranch_execz .LBB15_147
; %bb.143:                              ;   in Loop: Header=BB15_32 Depth=1
	ds_read_b64 v[8:9], v3 offset:5120
	v_and_b32_e32 v43, s88, v43
	v_or_b32_e32 v45, s57, v45
	s_waitcnt lgkmcnt(0)
	v_cmp_ne_u64_e32 vcc, 0, v[8:9]
	s_cbranch_vccnz .LBB15_147
; %bb.144:                              ;   in Loop: Header=BB15_32 Depth=1
	s_mov_b64 s[0:1], exec
	v_readlane_b32 s8, v57, 8
	v_readlane_b32 s9, v57, 9
	s_and_b64 s[8:9], s[0:1], s[8:9]
	s_mov_b64 exec, s[8:9]
; %bb.145:                              ;   in Loop: Header=BB15_32 Depth=1
	ds_write_b64 v3, v[4:5] offset:5128
; %bb.146:                              ;   in Loop: Header=BB15_32 Depth=1
	s_or_b64 exec, exec, s[0:1]
	s_waitcnt lgkmcnt(0)
	s_barrier
.LBB15_147:                             ;   in Loop: Header=BB15_32 Depth=1
	s_or_saveexec_b64 s[6:7], s[6:7]
	s_mov_b64 s[8:9], 0
	v_mov_b32_e32 v2, 8
	s_xor_b64 exec, exec, s[6:7]
; %bb.148:                              ;   in Loop: Header=BB15_32 Depth=1
	v_sub_co_u32_e32 v26, vcc, v26, v4
	v_subb_co_u32_e32 v27, vcc, v27, v5, vcc
	v_mov_b32_e32 v2, 0
	s_mov_b64 s[8:9], exec
; %bb.149:                              ;   in Loop: Header=BB15_32 Depth=1
	s_or_b64 exec, exec, s[6:7]
	v_mov_b32_e32 v8, v26
	s_and_b64 s[6:7], s[8:9], exec
	v_mov_b32_e32 v9, v27
.LBB15_150:                             ;   in Loop: Header=BB15_32 Depth=1
	s_or_b64 exec, exec, s[4:5]
	s_mov_b64 s[20:21], -1
	s_mov_b64 s[4:5], -1
                                        ; implicit-def: $sgpr14_sgpr15
                                        ; implicit-def: $sgpr82_sgpr83
	s_and_saveexec_b64 s[0:1], s[6:7]
	s_xor_b64 s[26:27], exec, s[0:1]
	s_cbranch_execz .LBB15_296
; %bb.151:                              ;   in Loop: Header=BB15_32 Depth=1
	v_cmp_eq_u64_e32 vcc, 1, v[6:7]
	v_cmp_eq_u64_e64 s[14:15], 1, v[8:9]
                                        ; implicit-def: $sgpr82_sgpr83
	s_and_b64 s[40:41], vcc, s[14:15]
                                        ; implicit-def: $sgpr14_sgpr15
	s_and_saveexec_b64 s[84:85], s[40:41]
	s_cbranch_execz .LBB15_186
; %bb.152:                              ;   in Loop: Header=BB15_32 Depth=1
	ds_read_b64 v[4:5], v3 offset:5120
	s_waitcnt lgkmcnt(0)
	s_barrier
	v_readfirstlane_b32 s86, v4
	v_readfirstlane_b32 s87, v5
	s_mov_b64 s[0:1], exec
	v_readlane_b32 s4, v57, 32
	v_readlane_b32 s5, v57, 33
	s_and_b64 s[4:5], s[0:1], s[4:5]
	s_mov_b64 exec, s[4:5]
; %bb.153:                              ;   in Loop: Header=BB15_32 Depth=1
	ds_write_b8 v0, v3 offset:3072
; %bb.154:                              ;   in Loop: Header=BB15_32 Depth=1
	s_or_b64 exec, exec, s[0:1]
	v_cmp_gt_i64_e64 s[0:1], s[86:87], 0
	v_and_b32_e32 v4, s88, v43
	v_lshl_or_b32 v43, 1, s13, v4
	v_or_b32_e32 v45, s57, v45
	s_mov_b64 s[14:15], -1
	s_mov_b64 s[82:83], 0
	s_and_b64 vcc, exec, s[0:1]
	s_mov_b64 s[36:37], 0
	s_mov_b64 s[6:7], -1
	s_waitcnt lgkmcnt(0)
	s_barrier
                                        ; implicit-def: $vgpr46
	s_cbranch_vccnz .LBB15_171
; %bb.155:                              ;   in Loop: Header=BB15_32 Depth=1
	s_mov_b32 s54, s47
	s_cmp_lg_u64 s[54:55], 0
	s_cbranch_scc0 .LBB15_158
; %bb.156:                              ;   in Loop: Header=BB15_32 Depth=1
	s_add_u32 s0, s33, 0
	s_addc_u32 s1, 0, 0
	s_xor_b64 s[6:7], s[0:1], 0
	v_cvt_f32_u32_e32 v4, s6
	v_cvt_f32_u32_e32 v5, s7
	s_sub_u32 s4, 0, s6
	s_subb_u32 s5, 0, s7
	v_mac_f32_e32 v4, 0x4f800000, v5
	v_rcp_f32_e32 v4, v4
	v_mul_f32_e32 v4, 0x5f7ffffc, v4
	v_mul_f32_e32 v5, 0x2f800000, v4
	v_trunc_f32_e32 v5, v5
	v_mac_f32_e32 v4, 0xcf800000, v5
	v_cvt_u32_f32_e32 v5, v5
	v_cvt_u32_f32_e32 v4, v4
	v_readfirstlane_b32 s8, v5
	v_readfirstlane_b32 s0, v4
	s_mul_i32 s1, s4, s8
	s_mul_hi_u32 s36, s4, s0
	s_mul_i32 s9, s5, s0
	s_add_i32 s1, s36, s1
	s_mul_i32 s37, s4, s0
	s_add_i32 s1, s1, s9
	s_mul_i32 s36, s0, s1
	s_mul_hi_u32 s42, s0, s37
	s_mul_hi_u32 s9, s0, s1
	s_add_u32 s36, s42, s36
	s_addc_u32 s9, 0, s9
	s_mul_hi_u32 s43, s8, s37
	s_mul_i32 s37, s8, s37
	s_add_u32 s36, s36, s37
	s_mul_hi_u32 s42, s8, s1
	s_addc_u32 s9, s9, s43
	s_addc_u32 s36, s42, 0
	s_mul_i32 s1, s8, s1
	s_add_u32 s1, s9, s1
	s_addc_u32 s9, 0, s36
	s_add_u32 s36, s0, s1
	s_cselect_b64 s[0:1], -1, 0
	s_cmp_lg_u64 s[0:1], 0
	s_addc_u32 s8, s8, s9
	s_mul_i32 s0, s4, s8
	s_mul_hi_u32 s1, s4, s36
	s_add_i32 s0, s1, s0
	s_mul_i32 s5, s5, s36
	s_add_i32 s0, s0, s5
	s_mul_i32 s4, s4, s36
	s_mul_hi_u32 s5, s8, s4
	s_mul_i32 s9, s8, s4
	s_mul_i32 s42, s36, s0
	s_mul_hi_u32 s4, s36, s4
	s_mul_hi_u32 s37, s36, s0
	s_add_u32 s4, s4, s42
	s_addc_u32 s37, 0, s37
	s_add_u32 s4, s4, s9
	s_mul_hi_u32 s1, s8, s0
	s_addc_u32 s4, s37, s5
	s_addc_u32 s1, s1, 0
	s_mul_i32 s0, s8, s0
	s_add_u32 s0, s4, s0
	s_addc_u32 s4, 0, s1
	s_add_u32 s9, s36, s0
	s_cselect_b64 s[0:1], -1, 0
	s_cmp_lg_u64 s[0:1], 0
	s_addc_u32 s8, s8, s4
	s_ashr_i32 s0, s55, 31
	v_readlane_b32 s4, v57, 17
	s_add_u32 s4, s4, s0
	s_mov_b32 s1, s0
	s_addc_u32 s5, s55, s0
	s_xor_b64 s[4:5], s[4:5], s[0:1]
	s_mul_i32 s37, s4, s8
	s_mul_hi_u32 s42, s4, s9
	s_mul_hi_u32 s36, s4, s8
	s_add_u32 s37, s42, s37
	s_addc_u32 s36, 0, s36
	s_mul_hi_u32 s43, s5, s9
	s_mul_i32 s9, s5, s9
	s_add_u32 s9, s37, s9
	s_mul_hi_u32 s42, s5, s8
	s_addc_u32 s9, s36, s43
	s_addc_u32 s36, s42, 0
	s_mul_i32 s8, s5, s8
	s_add_u32 s8, s9, s8
	s_addc_u32 s9, 0, s36
	s_mul_i32 s9, s6, s9
	s_mul_hi_u32 s36, s6, s8
	s_add_i32 s9, s36, s9
	s_mul_i32 s36, s7, s8
	s_add_i32 s42, s9, s36
	s_sub_i32 s36, s5, s42
	s_mul_i32 s8, s6, s8
	s_sub_u32 s4, s4, s8
	s_cselect_b64 s[8:9], -1, 0
	s_cmp_lg_u64 s[8:9], 0
	s_subb_u32 s43, s36, s7
	s_sub_u32 s44, s4, s6
	s_cselect_b64 s[36:37], -1, 0
	s_cmp_lg_u64 s[36:37], 0
	s_subb_u32 s45, s43, 0
	s_cmp_ge_u32 s45, s7
	s_cselect_b32 s46, -1, 0
	s_cmp_ge_u32 s44, s6
	s_cselect_b32 s54, -1, 0
	s_cmp_eq_u32 s45, s7
	s_cselect_b32 s46, s54, s46
	s_cmp_lg_u64 s[36:37], 0
	s_subb_u32 s43, s43, s7
	s_sub_u32 s54, s44, s6
	s_cselect_b64 s[36:37], -1, 0
	s_cmp_lg_u64 s[36:37], 0
	s_subb_u32 s36, s43, 0
	s_cmp_lg_u32 s46, 0
	s_cselect_b32 s37, s54, s44
	s_cselect_b32 s36, s36, s45
	s_cmp_lg_u64 s[8:9], 0
	s_subb_u32 s5, s5, s42
	s_cmp_ge_u32 s5, s7
	s_cselect_b32 s8, -1, 0
	s_cmp_ge_u32 s4, s6
	s_cselect_b32 s6, -1, 0
	s_cmp_eq_u32 s5, s7
	s_cselect_b32 s6, s6, s8
	s_cmp_lg_u32 s6, 0
	s_cselect_b32 s5, s36, s5
	s_cselect_b32 s4, s37, s4
	s_xor_b64 s[4:5], s[4:5], s[0:1]
	s_sub_u32 s4, s4, s0
	s_subb_u32 s5, s5, s0
	s_mov_b64 s[0:1], 0
	s_branch .LBB15_159
.LBB15_157:                             ;   in Loop: Header=BB15_32 Depth=1
                                        ; implicit-def: $sgpr4_sgpr5
	s_branch .LBB15_128
.LBB15_158:                             ;   in Loop: Header=BB15_32 Depth=1
	s_mov_b64 s[0:1], -1
                                        ; implicit-def: $sgpr4_sgpr5
.LBB15_159:                             ;   in Loop: Header=BB15_32 Depth=1
	s_andn2_b64 vcc, exec, s[0:1]
	v_readlane_b32 s54, v57, 37
	s_cbranch_vccnz .LBB15_161
; %bb.160:                              ;   in Loop: Header=BB15_32 Depth=1
	v_cvt_f32_u32_e32 v4, s33
	s_sub_i32 s0, 0, s33
	v_readlane_b32 s4, v57, 17
	v_rcp_iflag_f32_e32 v4, v4
	v_mul_f32_e32 v4, 0x4f7ffffe, v4
	v_cvt_u32_f32_e32 v4, v4
	v_readfirstlane_b32 s1, v4
	s_mul_i32 s0, s0, s1
	s_mul_hi_u32 s0, s1, s0
	s_add_i32 s1, s1, s0
	s_mul_hi_u32 s0, s4, s1
	s_mul_i32 s0, s0, s33
	s_sub_i32 s0, s4, s0
	s_sub_i32 s1, s0, s33
	s_cmp_ge_u32 s0, s33
	s_cselect_b32 s0, s1, s0
	s_sub_i32 s1, s0, s33
	s_cmp_ge_u32 s0, s33
	s_cselect_b32 s46, s1, s0
	s_mov_b64 s[4:5], s[46:47]
.LBB15_161:                             ;   in Loop: Header=BB15_32 Depth=1
	v_readlane_b32 s0, v57, 17
	s_sub_u32 s42, s0, s4
	s_subb_u32 s43, s55, s5
	v_cmp_gt_i64_e32 vcc, s[42:43], v[0:1]
	s_mov_b64 s[6:7], 0
	s_mov_b64 s[36:37], 0
                                        ; implicit-def: $vgpr46
	s_and_saveexec_b64 s[4:5], vcc
	v_readlane_b32 s46, v57, 39
	s_cbranch_execz .LBB15_170
; %bb.162:                              ;   in Loop: Header=BB15_32 Depth=1
	v_mov_b32_e32 v4, v12
	v_mov_b32_e32 v11, v1
	;; [unrolled: 1-line block ×4, first 2 shown]
                                        ; implicit-def: $sgpr44_sgpr45
	s_branch .LBB15_165
.LBB15_163:                             ;   in Loop: Header=BB15_165 Depth=2
	s_or_b64 exec, exec, s[8:9]
	s_waitcnt lgkmcnt(0)
	s_barrier
	ds_read_u16 v26, v3 offset:3072
	s_mov_b64 s[8:9], -1
	s_mov_b64 s[58:59], -1
	s_waitcnt lgkmcnt(0)
	s_barrier
	v_cmp_ne_u32_sdwa s[0:1], v26, v3 src0_sel:BYTE_0 src1_sel:DWORD
	s_and_b64 vcc, exec, s[0:1]
	s_cbranch_vccz .LBB15_168
.LBB15_164:                             ;   in Loop: Header=BB15_165 Depth=2
	s_and_b64 s[0:1], exec, s[8:9]
	s_or_b64 s[36:37], s[0:1], s[36:37]
	s_andn2_b64 s[0:1], s[44:45], exec
	s_and_b64 s[8:9], s[58:59], exec
	s_or_b64 s[44:45], s[0:1], s[8:9]
	s_andn2_b64 exec, exec, s[36:37]
	s_cbranch_execz .LBB15_169
.LBB15_165:                             ;   Parent Loop BB15_32 Depth=1
                                        ; =>  This Inner Loop Header: Depth=2
	v_cmp_gt_i64_e32 vcc, s[24:25], v[10:11]
	s_and_saveexec_b64 s[8:9], vcc
	s_cbranch_execz .LBB15_163
; %bb.166:                              ;   in Loop: Header=BB15_165 Depth=2
	global_load_ubyte v26, v[4:5], off
	s_waitcnt vmcnt(0)
	v_add_u32_sdwa v27, sext(v26), s50 dst_sel:DWORD dst_unused:UNUSED_PAD src0_sel:BYTE_0 src1_sel:DWORD
	v_and_b32_e32 v27, v27, v45
	v_cmp_eq_u32_e32 vcc, v27, v43
	s_and_b64 exec, exec, vcc
	s_cbranch_execz .LBB15_163
; %bb.167:                              ;   in Loop: Header=BB15_165 Depth=2
	v_lshlrev_b16_e32 v26, 8, v26
	v_or_b32_e32 v26, 1, v26
	ds_write_b16 v3, v26 offset:3072
	s_branch .LBB15_163
.LBB15_168:                             ;   in Loop: Header=BB15_165 Depth=2
	v_add_co_u32_e32 v10, vcc, s33, v10
	v_addc_co_u32_e32 v11, vcc, 0, v11, vcc
	v_mov_b32_e32 v27, s52
	v_add_co_u32_e32 v4, vcc, s53, v4
	v_addc_co_u32_e32 v5, vcc, v5, v27, vcc
	v_cmp_le_i64_e32 vcc, s[42:43], v[10:11]
	s_mov_b64 s[58:59], 0
	s_orn2_b64 s[8:9], vcc, exec
	s_branch .LBB15_164
.LBB15_169:                             ;   in Loop: Header=BB15_32 Depth=1
	s_or_b64 exec, exec, s[36:37]
	v_lshrrev_b32_sdwa v46, v44, v26 dst_sel:DWORD dst_unused:UNUSED_PAD src0_sel:DWORD src1_sel:WORD_0
	s_and_b64 s[36:37], s[44:45], exec
.LBB15_170:                             ;   in Loop: Header=BB15_32 Depth=1
	s_or_b64 exec, exec, s[4:5]
.LBB15_171:                             ;   in Loop: Header=BB15_32 Depth=1
	s_and_b64 vcc, exec, s[6:7]
	s_cbranch_vccz .LBB15_185
; %bb.172:                              ;   in Loop: Header=BB15_32 Depth=1
	v_readlane_b32 s0, v57, 16
	s_add_u32 s8, s86, s0
	v_readlane_b32 s0, v57, 18
	s_addc_u32 s7, s87, s0
	s_mov_b32 s6, s47
	s_cmp_lg_u64 s[6:7], 0
	s_cbranch_scc0 .LBB15_204
; %bb.173:                              ;   in Loop: Header=BB15_32 Depth=1
	s_add_u32 s0, s33, 0
	s_addc_u32 s1, 0, 0
	s_xor_b64 s[14:15], s[0:1], 0
	v_cvt_f32_u32_e32 v4, s14
	v_cvt_f32_u32_e32 v5, s15
	s_sub_u32 s4, 0, s14
	s_subb_u32 s5, 0, s15
	v_mac_f32_e32 v4, 0x4f800000, v5
	v_rcp_f32_e32 v4, v4
	v_mul_f32_e32 v4, 0x5f7ffffc, v4
	v_mul_f32_e32 v5, 0x2f800000, v4
	v_trunc_f32_e32 v5, v5
	v_mac_f32_e32 v4, 0xcf800000, v5
	v_cvt_u32_f32_e32 v5, v5
	v_cvt_u32_f32_e32 v4, v4
	v_readfirstlane_b32 s6, v5
	v_readfirstlane_b32 s0, v4
	s_mul_i32 s1, s4, s6
	s_mul_hi_u32 s42, s4, s0
	s_mul_i32 s9, s5, s0
	s_add_i32 s1, s42, s1
	s_mul_i32 s43, s4, s0
	s_add_i32 s1, s1, s9
	s_mul_i32 s42, s0, s1
	s_mul_hi_u32 s44, s0, s43
	s_mul_hi_u32 s9, s0, s1
	s_add_u32 s42, s44, s42
	s_addc_u32 s9, 0, s9
	s_mul_hi_u32 s45, s6, s43
	s_mul_i32 s43, s6, s43
	s_add_u32 s42, s42, s43
	s_mul_hi_u32 s44, s6, s1
	s_addc_u32 s9, s9, s45
	s_addc_u32 s42, s44, 0
	s_mul_i32 s1, s6, s1
	s_add_u32 s1, s9, s1
	s_addc_u32 s9, 0, s42
	s_add_u32 s42, s0, s1
	s_cselect_b64 s[0:1], -1, 0
	s_cmp_lg_u64 s[0:1], 0
	s_addc_u32 s6, s6, s9
	s_mul_i32 s0, s4, s6
	s_mul_hi_u32 s1, s4, s42
	s_add_i32 s0, s1, s0
	s_mul_i32 s5, s5, s42
	s_add_i32 s0, s0, s5
	s_mul_i32 s4, s4, s42
	s_mul_hi_u32 s5, s6, s4
	s_mul_i32 s9, s6, s4
	s_mul_i32 s44, s42, s0
	s_mul_hi_u32 s4, s42, s4
	s_mul_hi_u32 s43, s42, s0
	s_add_u32 s4, s4, s44
	s_addc_u32 s43, 0, s43
	s_add_u32 s4, s4, s9
	s_mul_hi_u32 s1, s6, s0
	s_addc_u32 s4, s43, s5
	s_addc_u32 s1, s1, 0
	s_mul_i32 s0, s6, s0
	s_add_u32 s0, s4, s0
	s_addc_u32 s4, 0, s1
	s_add_u32 s9, s42, s0
	s_cselect_b64 s[0:1], -1, 0
	s_cmp_lg_u64 s[0:1], 0
	s_addc_u32 s6, s6, s4
	s_ashr_i32 s0, s7, 31
	s_add_u32 s4, s8, s0
	s_mov_b32 s1, s0
	s_addc_u32 s5, s7, s0
	s_xor_b64 s[4:5], s[4:5], s[0:1]
	s_mul_i32 s43, s4, s6
	s_mul_hi_u32 s44, s4, s9
	s_mul_hi_u32 s42, s4, s6
	s_add_u32 s43, s44, s43
	s_addc_u32 s42, 0, s42
	s_mul_hi_u32 s45, s5, s9
	s_mul_i32 s9, s5, s9
	s_add_u32 s9, s43, s9
	s_mul_hi_u32 s44, s5, s6
	s_addc_u32 s9, s42, s45
	s_addc_u32 s42, s44, 0
	s_mul_i32 s6, s5, s6
	s_add_u32 s6, s9, s6
	s_addc_u32 s9, 0, s42
	s_mul_i32 s9, s14, s9
	s_mul_hi_u32 s42, s14, s6
	s_add_i32 s9, s42, s9
	s_mul_i32 s42, s15, s6
	s_add_i32 s9, s9, s42
	s_sub_i32 s44, s5, s9
	s_mul_i32 s6, s14, s6
	s_sub_u32 s4, s4, s6
	s_cselect_b64 s[42:43], -1, 0
	s_cmp_lg_u64 s[42:43], 0
	s_subb_u32 s6, s44, s15
	s_sub_u32 s46, s4, s14
	s_cselect_b64 s[44:45], -1, 0
	s_cmp_lg_u64 s[44:45], 0
	s_subb_u32 s54, s6, 0
	s_cmp_ge_u32 s54, s15
	s_cselect_b32 s58, -1, 0
	s_cmp_ge_u32 s46, s14
	s_cselect_b32 s59, -1, 0
	s_cmp_eq_u32 s54, s15
	s_cselect_b32 s58, s59, s58
	s_cmp_lg_u64 s[44:45], 0
	s_subb_u32 s6, s6, s15
	s_sub_u32 s59, s46, s14
	s_cselect_b64 s[44:45], -1, 0
	s_cmp_lg_u64 s[44:45], 0
	s_subb_u32 s6, s6, 0
	s_cmp_lg_u32 s58, 0
	s_cselect_b32 s44, s59, s46
	s_cselect_b32 s6, s6, s54
	s_cmp_lg_u64 s[42:43], 0
	s_subb_u32 s5, s5, s9
	s_cmp_ge_u32 s5, s15
	s_cselect_b32 s9, -1, 0
	s_cmp_ge_u32 s4, s14
	s_cselect_b32 s14, -1, 0
	s_cmp_eq_u32 s5, s15
	s_cselect_b32 s9, s14, s9
	s_cmp_lg_u32 s9, 0
	s_cselect_b32 s5, s6, s5
	s_cselect_b32 s4, s44, s4
	s_xor_b64 s[4:5], s[4:5], s[0:1]
	s_sub_u32 s4, s4, s0
	v_readlane_b32 s54, v57, 37
	s_subb_u32 s5, s5, s0
	s_cbranch_execnz .LBB15_175
.LBB15_174:                             ;   in Loop: Header=BB15_32 Depth=1
	v_cvt_f32_u32_e32 v4, s33
	s_sub_i32 s0, 0, s33
	v_rcp_iflag_f32_e32 v4, v4
	v_mul_f32_e32 v4, 0x4f7ffffe, v4
	v_cvt_u32_f32_e32 v4, v4
	v_readfirstlane_b32 s1, v4
	s_mul_i32 s0, s0, s1
	s_mul_hi_u32 s0, s1, s0
	s_add_i32 s1, s1, s0
	s_mul_hi_u32 s0, s8, s1
	s_mul_i32 s0, s0, s33
	s_sub_i32 s0, s8, s0
	s_sub_i32 s1, s0, s33
	s_cmp_ge_u32 s0, s33
	s_cselect_b32 s0, s1, s0
	s_sub_i32 s1, s0, s33
	s_cmp_ge_u32 s0, s33
	s_cselect_b32 s46, s1, s0
	s_mov_b64 s[4:5], s[46:47]
.LBB15_175:                             ;   in Loop: Header=BB15_32 Depth=1
	s_sub_u32 s6, s8, s4
	s_subb_u32 s7, s7, s5
	v_cmp_gt_i64_e32 vcc, s[6:7], v[0:1]
                                        ; implicit-def: $vgpr46
	s_and_saveexec_b64 s[4:5], vcc
	v_readlane_b32 s46, v57, 39
	s_cbranch_execz .LBB15_184
; %bb.176:                              ;   in Loop: Header=BB15_32 Depth=1
	v_mov_b32_e32 v5, v1
	s_mov_b64 s[8:9], 0
	v_mov_b32_e32 v10, v0
	v_mov_b32_e32 v4, v0
                                        ; implicit-def: $sgpr14_sgpr15
	s_branch .LBB15_179
.LBB15_177:                             ;   in Loop: Header=BB15_179 Depth=2
	s_or_b64 exec, exec, s[42:43]
	s_waitcnt lgkmcnt(0)
	s_barrier
	ds_read_u16 v11, v3 offset:3072
	s_mov_b64 s[42:43], -1
	s_mov_b64 s[44:45], -1
	s_waitcnt lgkmcnt(0)
	s_barrier
	v_cmp_eq_u32_sdwa s[0:1], v11, v3 src0_sel:BYTE_0 src1_sel:DWORD
	s_and_b64 vcc, exec, s[0:1]
	s_cbranch_vccnz .LBB15_182
.LBB15_178:                             ;   in Loop: Header=BB15_179 Depth=2
	s_and_b64 s[0:1], exec, s[42:43]
	s_or_b64 s[8:9], s[0:1], s[8:9]
	s_andn2_b64 s[0:1], s[14:15], exec
	s_and_b64 s[14:15], s[44:45], exec
	s_or_b64 s[14:15], s[0:1], s[14:15]
	s_andn2_b64 exec, exec, s[8:9]
	s_cbranch_execz .LBB15_183
.LBB15_179:                             ;   Parent Loop BB15_32 Depth=1
                                        ; =>  This Inner Loop Header: Depth=2
	v_cmp_gt_u64_e32 vcc, s[86:87], v[4:5]
	s_and_saveexec_b64 s[42:43], vcc
	s_cbranch_execz .LBB15_177
; %bb.180:                              ;   in Loop: Header=BB15_179 Depth=2
	ds_read_u8 v11, v10
	s_waitcnt lgkmcnt(0)
	v_add_u32_sdwa v26, sext(v11), s50 dst_sel:DWORD dst_unused:UNUSED_PAD src0_sel:BYTE_0 src1_sel:DWORD
	v_and_b32_e32 v26, v26, v45
	v_cmp_eq_u32_e32 vcc, v26, v43
	s_and_b64 exec, exec, vcc
	s_cbranch_execz .LBB15_177
; %bb.181:                              ;   in Loop: Header=BB15_179 Depth=2
	v_lshlrev_b16_e32 v11, 8, v11
	v_or_b32_e32 v11, 1, v11
	ds_write_b16 v3, v11 offset:3072
	s_branch .LBB15_177
.LBB15_182:                             ;   in Loop: Header=BB15_179 Depth=2
	v_add_co_u32_e32 v4, vcc, s33, v4
	v_addc_co_u32_e32 v5, vcc, 0, v5, vcc
	v_cmp_le_i64_e32 vcc, s[6:7], v[4:5]
	v_add_u32_e32 v10, s33, v10
	s_mov_b64 s[44:45], 0
	s_orn2_b64 s[42:43], vcc, exec
	s_branch .LBB15_178
.LBB15_183:                             ;   in Loop: Header=BB15_32 Depth=1
	s_or_b64 exec, exec, s[8:9]
	s_andn2_b64 s[0:1], s[36:37], exec
	s_and_b64 s[6:7], s[14:15], exec
	v_lshrrev_b32_sdwa v46, v44, v11 dst_sel:DWORD dst_unused:UNUSED_PAD src0_sel:DWORD src1_sel:WORD_0
	s_or_b64 s[36:37], s[0:1], s[6:7]
.LBB15_184:                             ;   in Loop: Header=BB15_32 Depth=1
	s_or_b64 exec, exec, s[4:5]
	s_mov_b64 s[14:15], 0
	s_mov_b64 s[82:83], -1
.LBB15_185:                             ;   in Loop: Header=BB15_32 Depth=1
	s_orn2_b64 s[4:5], s[36:37], exec
.LBB15_186:                             ;   in Loop: Header=BB15_32 Depth=1
	s_or_b64 exec, exec, s[84:85]
	s_mov_b64 s[6:7], 0
	s_and_saveexec_b64 s[84:85], s[4:5]
	s_cbranch_execz .LBB15_295
; %bb.187:                              ;   in Loop: Header=BB15_32 Depth=1
	v_mov_b32_e32 v4, 1
	s_xor_b64 s[0:1], s[40:41], -1
	v_mov_b32_e32 v2, 1
	v_mov_b32_e32 v5, 0
	s_mov_b64 s[8:9], 0
	s_and_saveexec_b64 s[6:7], s[0:1]
	s_cbranch_execz .LBB15_197
; %bb.188:                              ;   in Loop: Header=BB15_32 Depth=1
	v_cmp_le_i64_e32 vcc, v[8:9], v[6:7]
	s_and_saveexec_b64 s[0:1], vcc
	s_xor_b64 s[4:5], exec, s[0:1]
	s_cbranch_execz .LBB15_194
; %bb.189:                              ;   in Loop: Header=BB15_32 Depth=1
	ds_read_b64 v[4:5], v3 offset:5120
	v_and_b32_e32 v2, s88, v43
	v_lshl_or_b32 v43, 1, s13, v2
	v_or_b32_e32 v45, s57, v45
	s_waitcnt lgkmcnt(0)
	v_cmp_ne_u64_e32 vcc, 0, v[4:5]
	s_cbranch_vccnz .LBB15_193
; %bb.190:                              ;   in Loop: Header=BB15_32 Depth=1
	s_mov_b64 s[0:1], exec
	v_readlane_b32 s8, v57, 8
	v_readlane_b32 s9, v57, 9
	s_and_b64 s[8:9], s[0:1], s[8:9]
	s_mov_b64 exec, s[8:9]
; %bb.191:                              ;   in Loop: Header=BB15_32 Depth=1
	ds_write_b64 v3, v[6:7] offset:5128
; %bb.192:                              ;   in Loop: Header=BB15_32 Depth=1
	s_or_b64 exec, exec, s[0:1]
	s_waitcnt lgkmcnt(0)
	s_barrier
.LBB15_193:                             ;   in Loop: Header=BB15_32 Depth=1
                                        ; implicit-def: $vgpr4_vgpr5_vgpr6_vgpr7
.LBB15_194:                             ;   in Loop: Header=BB15_32 Depth=1
	s_or_saveexec_b64 s[4:5], s[4:5]
	s_mov_b64 s[8:9], 0
	v_mov_b32_e32 v2, 8
	s_xor_b64 exec, exec, s[4:5]
; %bb.195:                              ;   in Loop: Header=BB15_32 Depth=1
	v_sub_co_u32_e32 v8, vcc, v8, v6
	v_subb_co_u32_e32 v9, vcc, v9, v7, vcc
	v_mov_b32_e32 v2, 0
	s_mov_b64 s[8:9], exec
; %bb.196:                              ;   in Loop: Header=BB15_32 Depth=1
	s_or_b64 exec, exec, s[4:5]
	v_mov_b32_e32 v4, v8
	s_and_b64 s[8:9], s[8:9], exec
	v_mov_b32_e32 v5, v9
.LBB15_197:                             ;   in Loop: Header=BB15_32 Depth=1
	s_or_b64 exec, exec, s[6:7]
	s_mov_b64 s[4:5], -1
                                        ; implicit-def: $sgpr42_sgpr43
                                        ; implicit-def: $sgpr90_sgpr91
	s_and_saveexec_b64 s[86:87], s[8:9]
	s_cbranch_execz .LBB15_294
; %bb.198:                              ;   in Loop: Header=BB15_32 Depth=1
	s_cmp_eq_u64 s[80:81], 1
	v_cmp_eq_u64_e32 vcc, 1, v[4:5]
	s_cselect_b64 s[0:1], -1, 0
	s_and_b64 s[92:93], s[0:1], vcc
                                        ; implicit-def: $sgpr90_sgpr91
                                        ; implicit-def: $sgpr42_sgpr43
	s_and_saveexec_b64 s[40:41], s[92:93]
	s_cbranch_execz .LBB15_234
; %bb.199:                              ;   in Loop: Header=BB15_32 Depth=1
	ds_read_b64 v[6:7], v3 offset:5120
	s_waitcnt lgkmcnt(0)
	s_barrier
	v_readfirstlane_b32 s94, v6
	v_readfirstlane_b32 s95, v7
	s_mov_b64 s[0:1], exec
	v_readlane_b32 s4, v57, 32
	v_readlane_b32 s5, v57, 33
	s_and_b64 s[4:5], s[0:1], s[4:5]
	s_mov_b64 exec, s[4:5]
; %bb.200:                              ;   in Loop: Header=BB15_32 Depth=1
	ds_write_b8 v0, v3 offset:3072
; %bb.201:                              ;   in Loop: Header=BB15_32 Depth=1
	s_or_b64 exec, exec, s[0:1]
	v_cmp_gt_i64_e64 s[0:1], s[94:95], 0
	v_and_b32_e32 v6, s88, v43
	v_lshl_or_b32 v43, 2, s13, v6
	v_or_b32_e32 v45, s57, v45
	s_mov_b64 s[90:91], 0
	s_and_b64 vcc, exec, s[0:1]
	s_mov_b64 s[36:37], 0
	s_mov_b64 s[6:7], -1
	s_waitcnt lgkmcnt(0)
	s_barrier
                                        ; implicit-def: $vgpr46
	s_cbranch_vccnz .LBB15_218
; %bb.202:                              ;   in Loop: Header=BB15_32 Depth=1
	s_mov_b32 s54, s47
	s_cmp_lg_u64 s[54:55], 0
	s_cbranch_scc0 .LBB15_205
; %bb.203:                              ;   in Loop: Header=BB15_32 Depth=1
	s_add_u32 s0, s33, 0
	s_addc_u32 s1, 0, 0
	s_xor_b64 s[6:7], s[0:1], 0
	v_cvt_f32_u32_e32 v6, s6
	v_cvt_f32_u32_e32 v7, s7
	s_sub_u32 s4, 0, s6
	s_subb_u32 s5, 0, s7
	v_mac_f32_e32 v6, 0x4f800000, v7
	v_rcp_f32_e32 v6, v6
	v_mul_f32_e32 v6, 0x5f7ffffc, v6
	v_mul_f32_e32 v7, 0x2f800000, v6
	v_trunc_f32_e32 v7, v7
	v_mac_f32_e32 v6, 0xcf800000, v7
	v_cvt_u32_f32_e32 v7, v7
	v_cvt_u32_f32_e32 v6, v6
	v_readfirstlane_b32 s8, v7
	v_readfirstlane_b32 s0, v6
	s_mul_i32 s1, s4, s8
	s_mul_hi_u32 s36, s4, s0
	s_mul_i32 s9, s5, s0
	s_add_i32 s1, s36, s1
	s_mul_i32 s37, s4, s0
	s_add_i32 s1, s1, s9
	s_mul_i32 s36, s0, s1
	s_mul_hi_u32 s42, s0, s37
	s_mul_hi_u32 s9, s0, s1
	s_add_u32 s36, s42, s36
	s_addc_u32 s9, 0, s9
	s_mul_hi_u32 s43, s8, s37
	s_mul_i32 s37, s8, s37
	s_add_u32 s36, s36, s37
	s_mul_hi_u32 s42, s8, s1
	s_addc_u32 s9, s9, s43
	s_addc_u32 s36, s42, 0
	s_mul_i32 s1, s8, s1
	s_add_u32 s1, s9, s1
	s_addc_u32 s9, 0, s36
	s_add_u32 s36, s0, s1
	s_cselect_b64 s[0:1], -1, 0
	s_cmp_lg_u64 s[0:1], 0
	s_addc_u32 s8, s8, s9
	s_mul_i32 s0, s4, s8
	s_mul_hi_u32 s1, s4, s36
	s_add_i32 s0, s1, s0
	s_mul_i32 s5, s5, s36
	s_add_i32 s0, s0, s5
	s_mul_i32 s4, s4, s36
	s_mul_hi_u32 s5, s8, s4
	s_mul_i32 s9, s8, s4
	s_mul_i32 s42, s36, s0
	s_mul_hi_u32 s4, s36, s4
	s_mul_hi_u32 s37, s36, s0
	s_add_u32 s4, s4, s42
	s_addc_u32 s37, 0, s37
	s_add_u32 s4, s4, s9
	s_mul_hi_u32 s1, s8, s0
	s_addc_u32 s4, s37, s5
	s_addc_u32 s1, s1, 0
	s_mul_i32 s0, s8, s0
	s_add_u32 s0, s4, s0
	s_addc_u32 s4, 0, s1
	s_add_u32 s9, s36, s0
	s_cselect_b64 s[0:1], -1, 0
	s_cmp_lg_u64 s[0:1], 0
	s_addc_u32 s8, s8, s4
	s_ashr_i32 s0, s55, 31
	v_readlane_b32 s4, v57, 17
	s_add_u32 s4, s4, s0
	s_mov_b32 s1, s0
	s_addc_u32 s5, s55, s0
	s_xor_b64 s[4:5], s[4:5], s[0:1]
	s_mul_i32 s37, s4, s8
	s_mul_hi_u32 s42, s4, s9
	s_mul_hi_u32 s36, s4, s8
	s_add_u32 s37, s42, s37
	s_addc_u32 s36, 0, s36
	s_mul_hi_u32 s43, s5, s9
	s_mul_i32 s9, s5, s9
	s_add_u32 s9, s37, s9
	s_mul_hi_u32 s42, s5, s8
	s_addc_u32 s9, s36, s43
	s_addc_u32 s36, s42, 0
	s_mul_i32 s8, s5, s8
	s_add_u32 s8, s9, s8
	s_addc_u32 s9, 0, s36
	s_mul_i32 s9, s6, s9
	s_mul_hi_u32 s36, s6, s8
	s_add_i32 s9, s36, s9
	s_mul_i32 s36, s7, s8
	s_add_i32 s42, s9, s36
	s_sub_i32 s36, s5, s42
	s_mul_i32 s8, s6, s8
	s_sub_u32 s4, s4, s8
	s_cselect_b64 s[8:9], -1, 0
	s_cmp_lg_u64 s[8:9], 0
	s_subb_u32 s43, s36, s7
	s_sub_u32 s44, s4, s6
	s_cselect_b64 s[36:37], -1, 0
	s_cmp_lg_u64 s[36:37], 0
	s_subb_u32 s45, s43, 0
	s_cmp_ge_u32 s45, s7
	s_cselect_b32 s46, -1, 0
	s_cmp_ge_u32 s44, s6
	s_cselect_b32 s54, -1, 0
	s_cmp_eq_u32 s45, s7
	s_cselect_b32 s46, s54, s46
	s_cmp_lg_u64 s[36:37], 0
	s_subb_u32 s43, s43, s7
	s_sub_u32 s54, s44, s6
	s_cselect_b64 s[36:37], -1, 0
	s_cmp_lg_u64 s[36:37], 0
	s_subb_u32 s36, s43, 0
	s_cmp_lg_u32 s46, 0
	s_cselect_b32 s37, s54, s44
	s_cselect_b32 s36, s36, s45
	s_cmp_lg_u64 s[8:9], 0
	s_subb_u32 s5, s5, s42
	s_cmp_ge_u32 s5, s7
	s_cselect_b32 s8, -1, 0
	s_cmp_ge_u32 s4, s6
	s_cselect_b32 s6, -1, 0
	s_cmp_eq_u32 s5, s7
	s_cselect_b32 s6, s6, s8
	s_cmp_lg_u32 s6, 0
	s_cselect_b32 s5, s36, s5
	s_cselect_b32 s4, s37, s4
	s_xor_b64 s[4:5], s[4:5], s[0:1]
	s_sub_u32 s4, s4, s0
	s_subb_u32 s5, s5, s0
	s_mov_b64 s[0:1], 0
	s_branch .LBB15_206
.LBB15_204:                             ;   in Loop: Header=BB15_32 Depth=1
                                        ; implicit-def: $sgpr4_sgpr5
	s_branch .LBB15_174
.LBB15_205:                             ;   in Loop: Header=BB15_32 Depth=1
	s_mov_b64 s[0:1], -1
                                        ; implicit-def: $sgpr4_sgpr5
.LBB15_206:                             ;   in Loop: Header=BB15_32 Depth=1
	s_andn2_b64 vcc, exec, s[0:1]
	v_readlane_b32 s54, v57, 37
	s_cbranch_vccnz .LBB15_208
; %bb.207:                              ;   in Loop: Header=BB15_32 Depth=1
	v_cvt_f32_u32_e32 v6, s33
	s_sub_i32 s0, 0, s33
	v_readlane_b32 s4, v57, 17
	v_rcp_iflag_f32_e32 v6, v6
	v_mul_f32_e32 v6, 0x4f7ffffe, v6
	v_cvt_u32_f32_e32 v6, v6
	v_readfirstlane_b32 s1, v6
	s_mul_i32 s0, s0, s1
	s_mul_hi_u32 s0, s1, s0
	s_add_i32 s1, s1, s0
	s_mul_hi_u32 s0, s4, s1
	s_mul_i32 s0, s0, s33
	s_sub_i32 s0, s4, s0
	s_sub_i32 s1, s0, s33
	s_cmp_ge_u32 s0, s33
	s_cselect_b32 s0, s1, s0
	s_sub_i32 s1, s0, s33
	s_cmp_ge_u32 s0, s33
	s_cselect_b32 s46, s1, s0
	s_mov_b64 s[4:5], s[46:47]
.LBB15_208:                             ;   in Loop: Header=BB15_32 Depth=1
	v_readlane_b32 s0, v57, 17
	s_sub_u32 s42, s0, s4
	s_subb_u32 s43, s55, s5
	v_cmp_gt_i64_e32 vcc, s[42:43], v[0:1]
	s_mov_b64 s[6:7], 0
	s_mov_b64 s[36:37], 0
                                        ; implicit-def: $vgpr46
	s_and_saveexec_b64 s[4:5], vcc
	v_readlane_b32 s46, v57, 39
	s_cbranch_execz .LBB15_217
; %bb.209:                              ;   in Loop: Header=BB15_32 Depth=1
	v_mov_b32_e32 v6, v12
	v_mov_b32_e32 v9, v1
	;; [unrolled: 1-line block ×4, first 2 shown]
                                        ; implicit-def: $sgpr44_sgpr45
	s_branch .LBB15_212
.LBB15_210:                             ;   in Loop: Header=BB15_212 Depth=2
	s_or_b64 exec, exec, s[8:9]
	s_waitcnt lgkmcnt(0)
	s_barrier
	ds_read_u16 v10, v3 offset:3072
	s_mov_b64 s[8:9], -1
	s_mov_b64 s[58:59], -1
	s_waitcnt lgkmcnt(0)
	s_barrier
	v_cmp_ne_u32_sdwa s[0:1], v10, v3 src0_sel:BYTE_0 src1_sel:DWORD
	s_and_b64 vcc, exec, s[0:1]
	s_cbranch_vccz .LBB15_215
.LBB15_211:                             ;   in Loop: Header=BB15_212 Depth=2
	s_and_b64 s[0:1], exec, s[8:9]
	s_or_b64 s[36:37], s[0:1], s[36:37]
	s_andn2_b64 s[0:1], s[44:45], exec
	s_and_b64 s[8:9], s[58:59], exec
	s_or_b64 s[44:45], s[0:1], s[8:9]
	s_andn2_b64 exec, exec, s[36:37]
	s_cbranch_execz .LBB15_216
.LBB15_212:                             ;   Parent Loop BB15_32 Depth=1
                                        ; =>  This Inner Loop Header: Depth=2
	v_cmp_gt_i64_e32 vcc, s[24:25], v[8:9]
	s_and_saveexec_b64 s[8:9], vcc
	s_cbranch_execz .LBB15_210
; %bb.213:                              ;   in Loop: Header=BB15_212 Depth=2
	global_load_ubyte v10, v[6:7], off
	s_waitcnt vmcnt(0)
	v_add_u32_sdwa v11, sext(v10), s50 dst_sel:DWORD dst_unused:UNUSED_PAD src0_sel:BYTE_0 src1_sel:DWORD
	v_and_b32_e32 v11, v11, v45
	v_cmp_eq_u32_e32 vcc, v11, v43
	s_and_b64 exec, exec, vcc
	s_cbranch_execz .LBB15_210
; %bb.214:                              ;   in Loop: Header=BB15_212 Depth=2
	v_lshlrev_b16_e32 v10, 8, v10
	v_or_b32_e32 v10, 1, v10
	ds_write_b16 v3, v10 offset:3072
	s_branch .LBB15_210
.LBB15_215:                             ;   in Loop: Header=BB15_212 Depth=2
	v_add_co_u32_e32 v8, vcc, s33, v8
	v_addc_co_u32_e32 v9, vcc, 0, v9, vcc
	v_mov_b32_e32 v11, s52
	v_add_co_u32_e32 v6, vcc, s53, v6
	v_addc_co_u32_e32 v7, vcc, v7, v11, vcc
	v_cmp_le_i64_e32 vcc, s[42:43], v[8:9]
	s_mov_b64 s[58:59], 0
	s_orn2_b64 s[8:9], vcc, exec
	s_branch .LBB15_211
.LBB15_216:                             ;   in Loop: Header=BB15_32 Depth=1
	s_or_b64 exec, exec, s[36:37]
	v_lshrrev_b32_sdwa v46, v44, v10 dst_sel:DWORD dst_unused:UNUSED_PAD src0_sel:DWORD src1_sel:WORD_0
	s_and_b64 s[36:37], s[44:45], exec
.LBB15_217:                             ;   in Loop: Header=BB15_32 Depth=1
	s_or_b64 exec, exec, s[4:5]
.LBB15_218:                             ;   in Loop: Header=BB15_32 Depth=1
	s_and_b64 vcc, exec, s[6:7]
	s_cbranch_vccz .LBB15_230
; %bb.219:                              ;   in Loop: Header=BB15_32 Depth=1
	v_readlane_b32 s0, v57, 16
	s_add_u32 s8, s94, s0
	v_readlane_b32 s0, v57, 18
	s_addc_u32 s7, s95, s0
	s_mov_b32 s6, s47
	s_cmp_lg_u64 s[6:7], 0
	s_cbranch_scc0 .LBB15_251
; %bb.220:                              ;   in Loop: Header=BB15_32 Depth=1
	s_add_u32 s0, s33, 0
	s_addc_u32 s1, 0, 0
	s_xor_b64 s[42:43], s[0:1], 0
	v_cvt_f32_u32_e32 v6, s42
	v_cvt_f32_u32_e32 v7, s43
	s_sub_u32 s4, 0, s42
	s_subb_u32 s5, 0, s43
	v_mac_f32_e32 v6, 0x4f800000, v7
	v_rcp_f32_e32 v6, v6
	v_mul_f32_e32 v6, 0x5f7ffffc, v6
	v_mul_f32_e32 v7, 0x2f800000, v6
	v_trunc_f32_e32 v7, v7
	v_mac_f32_e32 v6, 0xcf800000, v7
	v_cvt_u32_f32_e32 v7, v7
	v_cvt_u32_f32_e32 v6, v6
	v_readfirstlane_b32 s6, v7
	v_readfirstlane_b32 s0, v6
	s_mul_i32 s1, s4, s6
	s_mul_hi_u32 s44, s4, s0
	s_mul_i32 s9, s5, s0
	s_add_i32 s1, s44, s1
	s_mul_i32 s45, s4, s0
	s_add_i32 s1, s1, s9
	s_mul_i32 s44, s0, s1
	s_mul_hi_u32 s46, s0, s45
	s_mul_hi_u32 s9, s0, s1
	s_add_u32 s44, s46, s44
	s_addc_u32 s9, 0, s9
	s_mul_hi_u32 s54, s6, s45
	s_mul_i32 s45, s6, s45
	s_add_u32 s44, s44, s45
	s_mul_hi_u32 s46, s6, s1
	s_addc_u32 s9, s9, s54
	s_addc_u32 s44, s46, 0
	s_mul_i32 s1, s6, s1
	s_add_u32 s1, s9, s1
	s_addc_u32 s9, 0, s44
	s_add_u32 s44, s0, s1
	s_cselect_b64 s[0:1], -1, 0
	s_cmp_lg_u64 s[0:1], 0
	s_addc_u32 s6, s6, s9
	s_mul_i32 s0, s4, s6
	s_mul_hi_u32 s1, s4, s44
	s_add_i32 s0, s1, s0
	s_mul_i32 s5, s5, s44
	s_add_i32 s0, s0, s5
	s_mul_i32 s4, s4, s44
	s_mul_hi_u32 s5, s6, s4
	s_mul_i32 s9, s6, s4
	s_mul_i32 s46, s44, s0
	s_mul_hi_u32 s4, s44, s4
	s_mul_hi_u32 s45, s44, s0
	s_add_u32 s4, s4, s46
	s_addc_u32 s45, 0, s45
	s_add_u32 s4, s4, s9
	s_mul_hi_u32 s1, s6, s0
	s_addc_u32 s4, s45, s5
	s_addc_u32 s1, s1, 0
	s_mul_i32 s0, s6, s0
	s_add_u32 s0, s4, s0
	s_addc_u32 s4, 0, s1
	s_add_u32 s9, s44, s0
	s_cselect_b64 s[0:1], -1, 0
	s_cmp_lg_u64 s[0:1], 0
	s_addc_u32 s6, s6, s4
	s_ashr_i32 s0, s7, 31
	s_add_u32 s4, s8, s0
	s_mov_b32 s1, s0
	s_addc_u32 s5, s7, s0
	s_xor_b64 s[4:5], s[4:5], s[0:1]
	s_mul_i32 s45, s4, s6
	s_mul_hi_u32 s46, s4, s9
	s_mul_hi_u32 s44, s4, s6
	s_add_u32 s45, s46, s45
	s_addc_u32 s44, 0, s44
	s_mul_hi_u32 s54, s5, s9
	s_mul_i32 s9, s5, s9
	s_add_u32 s9, s45, s9
	s_mul_hi_u32 s46, s5, s6
	s_addc_u32 s9, s44, s54
	s_addc_u32 s44, s46, 0
	s_mul_i32 s6, s5, s6
	s_add_u32 s6, s9, s6
	s_addc_u32 s9, 0, s44
	s_mul_i32 s9, s42, s9
	s_mul_hi_u32 s44, s42, s6
	s_add_i32 s9, s44, s9
	s_mul_i32 s44, s43, s6
	s_add_i32 s9, s9, s44
	s_sub_i32 s46, s5, s9
	s_mul_i32 s6, s42, s6
	s_sub_u32 s4, s4, s6
	s_cselect_b64 s[44:45], -1, 0
	s_cmp_lg_u64 s[44:45], 0
	s_subb_u32 s6, s46, s43
	s_sub_u32 s46, s4, s42
	s_cselect_b64 s[58:59], -1, 0
	s_cmp_lg_u64 s[58:59], 0
	s_subb_u32 s54, s6, 0
	s_cmp_ge_u32 s54, s43
	s_cselect_b32 s60, -1, 0
	s_cmp_ge_u32 s46, s42
	s_cselect_b32 s61, -1, 0
	s_cmp_eq_u32 s54, s43
	s_cselect_b32 s60, s61, s60
	s_cmp_lg_u64 s[58:59], 0
	s_subb_u32 s6, s6, s43
	s_sub_u32 s61, s46, s42
	s_cselect_b64 s[58:59], -1, 0
	s_cmp_lg_u64 s[58:59], 0
	s_subb_u32 s6, s6, 0
	s_cmp_lg_u32 s60, 0
	s_cselect_b32 s46, s61, s46
	s_cselect_b32 s6, s6, s54
	s_cmp_lg_u64 s[44:45], 0
	s_subb_u32 s5, s5, s9
	s_cmp_ge_u32 s5, s43
	s_cselect_b32 s9, -1, 0
	s_cmp_ge_u32 s4, s42
	s_cselect_b32 s42, -1, 0
	s_cmp_eq_u32 s5, s43
	s_cselect_b32 s9, s42, s9
	s_cmp_lg_u32 s9, 0
	s_cselect_b32 s5, s6, s5
	s_cselect_b32 s4, s46, s4
	s_xor_b64 s[4:5], s[4:5], s[0:1]
	s_sub_u32 s4, s4, s0
	v_readlane_b32 s54, v57, 37
	s_subb_u32 s5, s5, s0
	s_cbranch_execnz .LBB15_222
.LBB15_221:                             ;   in Loop: Header=BB15_32 Depth=1
	v_cvt_f32_u32_e32 v6, s33
	s_sub_i32 s0, 0, s33
	v_rcp_iflag_f32_e32 v6, v6
	v_mul_f32_e32 v6, 0x4f7ffffe, v6
	v_cvt_u32_f32_e32 v6, v6
	v_readfirstlane_b32 s1, v6
	s_mul_i32 s0, s0, s1
	s_mul_hi_u32 s0, s1, s0
	s_add_i32 s1, s1, s0
	s_mul_hi_u32 s0, s8, s1
	s_mul_i32 s0, s0, s33
	s_sub_i32 s0, s8, s0
	s_sub_i32 s1, s0, s33
	s_cmp_ge_u32 s0, s33
	s_cselect_b32 s0, s1, s0
	s_sub_i32 s1, s0, s33
	s_cmp_ge_u32 s0, s33
	s_cselect_b32 s46, s1, s0
	s_mov_b64 s[4:5], s[46:47]
.LBB15_222:                             ;   in Loop: Header=BB15_32 Depth=1
	s_sub_u32 s6, s8, s4
	s_subb_u32 s7, s7, s5
	v_cmp_gt_i64_e32 vcc, s[6:7], v[0:1]
                                        ; implicit-def: $vgpr46
	s_and_saveexec_b64 s[4:5], vcc
	v_readlane_b32 s46, v57, 39
	s_cbranch_execz .LBB15_232
; %bb.223:                              ;   in Loop: Header=BB15_32 Depth=1
	v_mov_b32_e32 v7, v1
	s_mov_b64 s[8:9], 0
	v_mov_b32_e32 v8, v0
	v_mov_b32_e32 v6, v0
                                        ; implicit-def: $sgpr42_sgpr43
	s_branch .LBB15_226
.LBB15_224:                             ;   in Loop: Header=BB15_226 Depth=2
	s_or_b64 exec, exec, s[44:45]
	s_waitcnt lgkmcnt(0)
	s_barrier
	ds_read_u16 v9, v3 offset:3072
	s_mov_b64 s[44:45], -1
	s_mov_b64 s[58:59], -1
	s_waitcnt lgkmcnt(0)
	s_barrier
	v_cmp_eq_u32_sdwa s[0:1], v9, v3 src0_sel:BYTE_0 src1_sel:DWORD
	s_and_b64 vcc, exec, s[0:1]
	s_cbranch_vccnz .LBB15_229
.LBB15_225:                             ;   in Loop: Header=BB15_226 Depth=2
	s_and_b64 s[0:1], exec, s[44:45]
	s_or_b64 s[8:9], s[0:1], s[8:9]
	s_andn2_b64 s[0:1], s[42:43], exec
	s_and_b64 s[42:43], s[58:59], exec
	s_or_b64 s[42:43], s[0:1], s[42:43]
	s_andn2_b64 exec, exec, s[8:9]
	s_cbranch_execz .LBB15_231
.LBB15_226:                             ;   Parent Loop BB15_32 Depth=1
                                        ; =>  This Inner Loop Header: Depth=2
	v_cmp_gt_u64_e32 vcc, s[94:95], v[6:7]
	s_and_saveexec_b64 s[44:45], vcc
	s_cbranch_execz .LBB15_224
; %bb.227:                              ;   in Loop: Header=BB15_226 Depth=2
	ds_read_u8 v9, v8
	s_waitcnt lgkmcnt(0)
	v_add_u32_sdwa v10, sext(v9), s50 dst_sel:DWORD dst_unused:UNUSED_PAD src0_sel:BYTE_0 src1_sel:DWORD
	v_and_b32_e32 v10, v10, v45
	v_cmp_eq_u32_e32 vcc, v10, v43
	s_and_b64 exec, exec, vcc
	s_cbranch_execz .LBB15_224
; %bb.228:                              ;   in Loop: Header=BB15_226 Depth=2
	v_lshlrev_b16_e32 v9, 8, v9
	v_or_b32_e32 v9, 1, v9
	ds_write_b16 v3, v9 offset:3072
	s_branch .LBB15_224
.LBB15_229:                             ;   in Loop: Header=BB15_226 Depth=2
	v_add_co_u32_e32 v6, vcc, s33, v6
	v_addc_co_u32_e32 v7, vcc, 0, v7, vcc
	v_cmp_le_i64_e32 vcc, s[6:7], v[6:7]
	v_add_u32_e32 v8, s33, v8
	s_mov_b64 s[58:59], 0
	s_orn2_b64 s[44:45], vcc, exec
	s_branch .LBB15_225
.LBB15_230:                             ;   in Loop: Header=BB15_32 Depth=1
	s_mov_b64 s[42:43], -1
	s_branch .LBB15_233
.LBB15_231:                             ;   in Loop: Header=BB15_32 Depth=1
	s_or_b64 exec, exec, s[8:9]
	s_andn2_b64 s[0:1], s[36:37], exec
	s_and_b64 s[6:7], s[42:43], exec
	v_lshrrev_b32_sdwa v46, v44, v9 dst_sel:DWORD dst_unused:UNUSED_PAD src0_sel:DWORD src1_sel:WORD_0
	s_or_b64 s[36:37], s[0:1], s[6:7]
.LBB15_232:                             ;   in Loop: Header=BB15_32 Depth=1
	s_or_b64 exec, exec, s[4:5]
	s_mov_b64 s[42:43], 0
	s_mov_b64 s[90:91], -1
.LBB15_233:                             ;   in Loop: Header=BB15_32 Depth=1
	s_orn2_b64 s[4:5], s[36:37], exec
.LBB15_234:                             ;   in Loop: Header=BB15_32 Depth=1
	s_or_b64 exec, exec, s[40:41]
	s_mov_b64 s[6:7], 0
	s_and_saveexec_b64 s[40:41], s[4:5]
	s_cbranch_execz .LBB15_293
; %bb.235:                              ;   in Loop: Header=BB15_32 Depth=1
	v_mov_b32_e32 v6, 1
	s_xor_b64 s[0:1], s[92:93], -1
	v_mov_b32_e32 v2, 1
	v_mov_b32_e32 v7, 0
	s_mov_b64 s[8:9], 0
	s_and_saveexec_b64 s[6:7], s[0:1]
	s_cbranch_execz .LBB15_244
; %bb.236:                              ;   in Loop: Header=BB15_32 Depth=1
	v_cmp_ge_i64_e32 vcc, s[80:81], v[4:5]
	s_and_saveexec_b64 s[0:1], vcc
	s_xor_b64 s[4:5], exec, s[0:1]
	s_cbranch_execz .LBB15_241
; %bb.237:                              ;   in Loop: Header=BB15_32 Depth=1
	ds_read_b64 v[6:7], v3 offset:5120
	v_and_b32_e32 v2, s88, v43
	v_lshl_or_b32 v43, 2, s13, v2
	v_or_b32_e32 v45, s57, v45
	s_waitcnt lgkmcnt(0)
	v_cmp_ne_u64_e32 vcc, 0, v[6:7]
	s_cbranch_vccnz .LBB15_241
; %bb.238:                              ;   in Loop: Header=BB15_32 Depth=1
	s_mov_b64 s[0:1], exec
	v_readlane_b32 s8, v57, 8
	v_readlane_b32 s9, v57, 9
	s_and_b64 s[8:9], s[0:1], s[8:9]
	s_mov_b64 exec, s[8:9]
; %bb.239:                              ;   in Loop: Header=BB15_32 Depth=1
	v_mov_b32_e32 v6, s80
	v_mov_b32_e32 v7, s81
	ds_write_b64 v3, v[6:7] offset:5128
; %bb.240:                              ;   in Loop: Header=BB15_32 Depth=1
	s_or_b64 exec, exec, s[0:1]
	s_waitcnt lgkmcnt(0)
	s_barrier
.LBB15_241:                             ;   in Loop: Header=BB15_32 Depth=1
	s_or_saveexec_b64 s[4:5], s[4:5]
	s_mov_b64 s[8:9], 0
	v_mov_b32_e32 v2, 8
	s_xor_b64 exec, exec, s[4:5]
; %bb.242:                              ;   in Loop: Header=BB15_32 Depth=1
	v_subrev_co_u32_e32 v4, vcc, s80, v4
	v_mov_b32_e32 v2, s81
	v_subb_co_u32_e32 v5, vcc, v5, v2, vcc
	v_mov_b32_e32 v2, 0
	s_mov_b64 s[8:9], exec
; %bb.243:                              ;   in Loop: Header=BB15_32 Depth=1
	s_or_b64 exec, exec, s[4:5]
	v_mov_b32_e32 v7, v5
	s_and_b64 s[8:9], s[8:9], exec
	v_mov_b32_e32 v6, v4
.LBB15_244:                             ;   in Loop: Header=BB15_32 Depth=1
	s_or_b64 exec, exec, s[6:7]
	s_mov_b64 s[4:5], -1
                                        ; implicit-def: $sgpr44_sgpr45
                                        ; implicit-def: $sgpr36_sgpr37
	s_and_saveexec_b64 s[80:81], s[8:9]
	s_cbranch_execz .LBB15_292
; %bb.245:                              ;   in Loop: Header=BB15_32 Depth=1
	s_cmp_eq_u64 s[16:17], 1
	v_cmp_eq_u64_e32 vcc, 1, v[6:7]
	s_cselect_b64 s[0:1], -1, 0
	v_writelane_b32 v57, s42, 40
	s_and_b64 s[92:93], s[0:1], vcc
	v_writelane_b32 v57, s43, 41
                                        ; implicit-def: $sgpr44_sgpr45
                                        ; implicit-def: $sgpr36_sgpr37
	s_and_saveexec_b64 s[94:95], s[92:93]
	s_cbranch_execz .LBB15_280
; %bb.246:                              ;   in Loop: Header=BB15_32 Depth=1
	ds_read_b64 v[4:5], v3 offset:5120
	s_waitcnt lgkmcnt(0)
	s_barrier
	v_readfirstlane_b32 s42, v4
	v_readfirstlane_b32 s43, v5
	s_mov_b64 s[0:1], exec
	v_readlane_b32 s4, v57, 32
	v_readlane_b32 s5, v57, 33
	s_and_b64 s[4:5], s[0:1], s[4:5]
	s_mov_b64 exec, s[4:5]
; %bb.247:                              ;   in Loop: Header=BB15_32 Depth=1
	ds_write_b8 v0, v3 offset:3072
; %bb.248:                              ;   in Loop: Header=BB15_32 Depth=1
	s_or_b64 exec, exec, s[0:1]
	v_cmp_gt_i64_e64 s[0:1], s[42:43], 0
	v_or_b32_e32 v43, s57, v43
	v_or_b32_e32 v45, s57, v45
	s_mov_b64 s[36:37], -1
	s_mov_b64 s[44:45], 0
	s_and_b64 vcc, exec, s[0:1]
	s_mov_b64 s[6:7], 0
	s_mov_b64 s[4:5], -1
	s_waitcnt lgkmcnt(0)
	s_barrier
                                        ; implicit-def: $vgpr46
	s_cbranch_vccnz .LBB15_265
; %bb.249:                              ;   in Loop: Header=BB15_32 Depth=1
	s_mov_b32 s54, s47
	s_cmp_lg_u64 s[54:55], 0
	s_cbranch_scc0 .LBB15_252
; %bb.250:                              ;   in Loop: Header=BB15_32 Depth=1
	s_add_u32 s0, s33, 0
	s_addc_u32 s1, 0, 0
	s_xor_b64 s[6:7], s[0:1], 0
	v_cvt_f32_u32_e32 v4, s6
	v_cvt_f32_u32_e32 v5, s7
	s_sub_u32 s4, 0, s6
	s_subb_u32 s5, 0, s7
	v_mac_f32_e32 v4, 0x4f800000, v5
	v_rcp_f32_e32 v4, v4
	v_mul_f32_e32 v4, 0x5f7ffffc, v4
	v_mul_f32_e32 v5, 0x2f800000, v4
	v_trunc_f32_e32 v5, v5
	v_mac_f32_e32 v4, 0xcf800000, v5
	v_cvt_u32_f32_e32 v5, v5
	v_cvt_u32_f32_e32 v4, v4
	v_readfirstlane_b32 s8, v5
	v_readfirstlane_b32 s0, v4
	s_mul_i32 s1, s4, s8
	s_mul_hi_u32 s46, s4, s0
	s_mul_i32 s9, s5, s0
	s_add_i32 s1, s46, s1
	s_mul_i32 s54, s4, s0
	s_add_i32 s1, s1, s9
	s_mul_i32 s46, s0, s1
	s_mul_hi_u32 s58, s0, s54
	s_mul_hi_u32 s9, s0, s1
	s_add_u32 s46, s58, s46
	s_addc_u32 s9, 0, s9
	s_mul_hi_u32 s59, s8, s54
	s_mul_i32 s54, s8, s54
	s_add_u32 s46, s46, s54
	s_mul_hi_u32 s58, s8, s1
	s_addc_u32 s9, s9, s59
	s_addc_u32 s46, s58, 0
	s_mul_i32 s1, s8, s1
	s_add_u32 s1, s9, s1
	s_addc_u32 s9, 0, s46
	s_add_u32 s46, s0, s1
	s_cselect_b64 s[0:1], -1, 0
	s_cmp_lg_u64 s[0:1], 0
	s_addc_u32 s8, s8, s9
	s_mul_i32 s0, s4, s8
	s_mul_hi_u32 s1, s4, s46
	s_add_i32 s0, s1, s0
	s_mul_i32 s5, s5, s46
	s_add_i32 s0, s0, s5
	s_mul_i32 s4, s4, s46
	s_mul_hi_u32 s5, s8, s4
	s_mul_i32 s9, s8, s4
	s_mul_i32 s58, s46, s0
	s_mul_hi_u32 s4, s46, s4
	s_mul_hi_u32 s54, s46, s0
	s_add_u32 s4, s4, s58
	s_addc_u32 s54, 0, s54
	s_add_u32 s4, s4, s9
	s_mul_hi_u32 s1, s8, s0
	s_addc_u32 s4, s54, s5
	s_addc_u32 s1, s1, 0
	s_mul_i32 s0, s8, s0
	s_add_u32 s0, s4, s0
	s_addc_u32 s4, 0, s1
	s_add_u32 s9, s46, s0
	s_cselect_b64 s[0:1], -1, 0
	s_cmp_lg_u64 s[0:1], 0
	s_addc_u32 s8, s8, s4
	s_ashr_i32 s0, s55, 31
	v_readlane_b32 s4, v57, 17
	s_add_u32 s4, s4, s0
	s_mov_b32 s1, s0
	s_addc_u32 s5, s55, s0
	s_xor_b64 s[4:5], s[4:5], s[0:1]
	s_mul_i32 s54, s4, s8
	s_mul_hi_u32 s58, s4, s9
	s_mul_hi_u32 s46, s4, s8
	s_add_u32 s54, s58, s54
	s_addc_u32 s46, 0, s46
	s_mul_hi_u32 s59, s5, s9
	s_mul_i32 s9, s5, s9
	s_add_u32 s9, s54, s9
	s_mul_hi_u32 s58, s5, s8
	s_addc_u32 s9, s46, s59
	s_addc_u32 s46, s58, 0
	s_mul_i32 s8, s5, s8
	s_add_u32 s8, s9, s8
	s_addc_u32 s9, 0, s46
	s_mul_i32 s9, s6, s9
	s_mul_hi_u32 s46, s6, s8
	s_add_i32 s9, s46, s9
	s_mul_i32 s46, s7, s8
	s_add_i32 s46, s9, s46
	s_sub_i32 s54, s5, s46
	s_mul_i32 s8, s6, s8
	s_sub_u32 s4, s4, s8
	s_cselect_b64 s[8:9], -1, 0
	s_cmp_lg_u64 s[8:9], 0
	s_subb_u32 s54, s54, s7
	s_sub_u32 s60, s4, s6
	s_cselect_b64 s[58:59], -1, 0
	s_cmp_lg_u64 s[58:59], 0
	s_subb_u32 s61, s54, 0
	s_cmp_ge_u32 s61, s7
	s_cselect_b32 s88, -1, 0
	s_cmp_ge_u32 s60, s6
	s_cselect_b32 s89, -1, 0
	s_cmp_eq_u32 s61, s7
	s_cselect_b32 s88, s89, s88
	s_cmp_lg_u64 s[58:59], 0
	s_subb_u32 s54, s54, s7
	s_sub_u32 s89, s60, s6
	s_cselect_b64 s[58:59], -1, 0
	s_cmp_lg_u64 s[58:59], 0
	s_subb_u32 s54, s54, 0
	s_cmp_lg_u32 s88, 0
	s_cselect_b32 s58, s89, s60
	s_cselect_b32 s54, s54, s61
	s_cmp_lg_u64 s[8:9], 0
	s_subb_u32 s5, s5, s46
	s_cmp_ge_u32 s5, s7
	s_cselect_b32 s8, -1, 0
	s_cmp_ge_u32 s4, s6
	s_cselect_b32 s6, -1, 0
	s_cmp_eq_u32 s5, s7
	s_cselect_b32 s6, s6, s8
	s_cmp_lg_u32 s6, 0
	s_cselect_b32 s5, s54, s5
	s_cselect_b32 s4, s58, s4
	s_xor_b64 s[4:5], s[4:5], s[0:1]
	s_sub_u32 s4, s4, s0
	v_readlane_b32 s46, v57, 39
	s_subb_u32 s5, s5, s0
	s_mov_b64 s[0:1], 0
	s_branch .LBB15_253
.LBB15_251:                             ;   in Loop: Header=BB15_32 Depth=1
                                        ; implicit-def: $sgpr4_sgpr5
	s_branch .LBB15_221
.LBB15_252:                             ;   in Loop: Header=BB15_32 Depth=1
	s_mov_b64 s[0:1], -1
                                        ; implicit-def: $sgpr4_sgpr5
.LBB15_253:                             ;   in Loop: Header=BB15_32 Depth=1
	s_andn2_b64 vcc, exec, s[0:1]
	v_readlane_b32 s54, v57, 37
	s_cbranch_vccnz .LBB15_255
; %bb.254:                              ;   in Loop: Header=BB15_32 Depth=1
	v_cvt_f32_u32_e32 v4, s33
	s_sub_i32 s0, 0, s33
	v_readlane_b32 s4, v57, 17
	v_rcp_iflag_f32_e32 v4, v4
	v_mul_f32_e32 v4, 0x4f7ffffe, v4
	v_cvt_u32_f32_e32 v4, v4
	v_readfirstlane_b32 s1, v4
	s_mul_i32 s0, s0, s1
	s_mul_hi_u32 s0, s1, s0
	s_add_i32 s1, s1, s0
	s_mul_hi_u32 s0, s4, s1
	s_mul_i32 s0, s0, s33
	s_sub_i32 s0, s4, s0
	s_sub_i32 s1, s0, s33
	s_cmp_ge_u32 s0, s33
	s_cselect_b32 s0, s1, s0
	s_sub_i32 s1, s0, s33
	s_cmp_ge_u32 s0, s33
	s_cselect_b32 s46, s1, s0
	s_mov_b64 s[4:5], s[46:47]
	v_readlane_b32 s46, v57, 39
.LBB15_255:                             ;   in Loop: Header=BB15_32 Depth=1
	v_readlane_b32 s0, v57, 17
	s_sub_u32 s60, s0, s4
	s_subb_u32 s61, s55, s5
	v_cmp_gt_i64_e32 vcc, s[60:61], v[0:1]
	s_mov_b64 s[4:5], 0
	s_mov_b64 s[6:7], 0
                                        ; implicit-def: $vgpr46
	s_and_saveexec_b64 s[58:59], vcc
	v_readlane_b32 s89, v57, 38
	s_cbranch_execz .LBB15_264
; %bb.256:                              ;   in Loop: Header=BB15_32 Depth=1
	v_mov_b32_e32 v4, v12
	v_mov_b32_e32 v9, v1
	v_writelane_b32 v57, s92, 42
	v_mov_b32_e32 v5, v13
	v_mov_b32_e32 v8, v0
	v_writelane_b32 v57, s93, 43
                                        ; implicit-def: $sgpr8_sgpr9
	s_branch .LBB15_259
.LBB15_257:                             ;   in Loop: Header=BB15_259 Depth=2
	s_or_b64 exec, exec, s[92:93]
	s_waitcnt lgkmcnt(0)
	s_barrier
	ds_read_u16 v10, v3 offset:3072
	s_mov_b64 s[92:93], -1
	s_waitcnt lgkmcnt(0)
	s_barrier
	v_cmp_ne_u32_sdwa s[0:1], v10, v3 src0_sel:BYTE_0 src1_sel:DWORD
	s_and_b64 vcc, exec, s[0:1]
	s_mov_b64 s[0:1], -1
	s_cbranch_vccz .LBB15_262
.LBB15_258:                             ;   in Loop: Header=BB15_259 Depth=2
	s_and_b64 s[88:89], exec, s[92:93]
	s_or_b64 s[6:7], s[88:89], s[6:7]
	s_andn2_b64 s[8:9], s[8:9], exec
	s_and_b64 s[0:1], s[0:1], exec
	s_or_b64 s[8:9], s[8:9], s[0:1]
	v_readlane_b32 s89, v57, 38
	s_andn2_b64 exec, exec, s[6:7]
	s_cbranch_execz .LBB15_263
.LBB15_259:                             ;   Parent Loop BB15_32 Depth=1
                                        ; =>  This Inner Loop Header: Depth=2
	v_cmp_gt_i64_e32 vcc, s[24:25], v[8:9]
	s_and_saveexec_b64 s[92:93], vcc
	s_cbranch_execz .LBB15_257
; %bb.260:                              ;   in Loop: Header=BB15_259 Depth=2
	global_load_ubyte v10, v[4:5], off
	s_waitcnt vmcnt(0)
	v_add_u32_sdwa v11, sext(v10), s50 dst_sel:DWORD dst_unused:UNUSED_PAD src0_sel:BYTE_0 src1_sel:DWORD
	v_and_b32_e32 v11, v11, v45
	v_cmp_eq_u32_e32 vcc, v11, v43
	s_and_b64 exec, exec, vcc
	s_cbranch_execz .LBB15_257
; %bb.261:                              ;   in Loop: Header=BB15_259 Depth=2
	v_lshlrev_b16_e32 v10, 8, v10
	v_or_b32_e32 v10, 1, v10
	ds_write_b16 v3, v10 offset:3072
	s_branch .LBB15_257
.LBB15_262:                             ;   in Loop: Header=BB15_259 Depth=2
	v_add_co_u32_e32 v8, vcc, s33, v8
	v_addc_co_u32_e32 v9, vcc, 0, v9, vcc
	v_mov_b32_e32 v11, s52
	v_add_co_u32_e32 v4, vcc, s53, v4
	v_addc_co_u32_e32 v5, vcc, v5, v11, vcc
	v_cmp_le_i64_e32 vcc, s[60:61], v[8:9]
	s_mov_b64 s[0:1], 0
	s_orn2_b64 s[92:93], vcc, exec
	s_branch .LBB15_258
.LBB15_263:                             ;   in Loop: Header=BB15_32 Depth=1
	s_or_b64 exec, exec, s[6:7]
	v_readlane_b32 s92, v57, 42
	v_lshrrev_b32_sdwa v46, v44, v10 dst_sel:DWORD dst_unused:UNUSED_PAD src0_sel:DWORD src1_sel:WORD_0
	s_and_b64 s[6:7], s[8:9], exec
	v_readlane_b32 s93, v57, 43
.LBB15_264:                             ;   in Loop: Header=BB15_32 Depth=1
	s_or_b64 exec, exec, s[58:59]
.LBB15_265:                             ;   in Loop: Header=BB15_32 Depth=1
	s_and_b64 vcc, exec, s[4:5]
	s_cbranch_vccz .LBB15_279
; %bb.266:                              ;   in Loop: Header=BB15_32 Depth=1
	v_readlane_b32 s0, v57, 16
	s_add_u32 s8, s42, s0
	v_readlane_b32 s0, v57, 18
	s_addc_u32 s37, s43, s0
	s_mov_b32 s36, s47
	s_cmp_lg_u64 s[36:37], 0
	s_cbranch_scc0 .LBB15_299
; %bb.267:                              ;   in Loop: Header=BB15_32 Depth=1
	s_add_u32 s0, s33, 0
	s_addc_u32 s1, 0, 0
	s_xor_b64 s[44:45], s[0:1], 0
	v_cvt_f32_u32_e32 v4, s44
	v_cvt_f32_u32_e32 v5, s45
	s_sub_u32 s4, 0, s44
	s_subb_u32 s5, 0, s45
	v_mac_f32_e32 v4, 0x4f800000, v5
	v_rcp_f32_e32 v4, v4
	v_mul_f32_e32 v4, 0x5f7ffffc, v4
	v_mul_f32_e32 v5, 0x2f800000, v4
	v_trunc_f32_e32 v5, v5
	v_mac_f32_e32 v4, 0xcf800000, v5
	v_cvt_u32_f32_e32 v5, v5
	v_cvt_u32_f32_e32 v4, v4
	v_readfirstlane_b32 s9, v5
	v_readfirstlane_b32 s0, v4
	s_mul_i32 s1, s4, s9
	s_mul_hi_u32 s46, s4, s0
	s_mul_i32 s36, s5, s0
	s_add_i32 s1, s46, s1
	s_mul_i32 s54, s4, s0
	s_add_i32 s1, s1, s36
	s_mul_i32 s46, s0, s1
	s_mul_hi_u32 s58, s0, s54
	s_mul_hi_u32 s36, s0, s1
	s_add_u32 s46, s58, s46
	s_addc_u32 s36, 0, s36
	s_mul_hi_u32 s59, s9, s54
	s_mul_i32 s54, s9, s54
	s_add_u32 s46, s46, s54
	s_mul_hi_u32 s58, s9, s1
	s_addc_u32 s36, s36, s59
	s_addc_u32 s46, s58, 0
	s_mul_i32 s1, s9, s1
	s_add_u32 s1, s36, s1
	s_addc_u32 s36, 0, s46
	s_add_u32 s46, s0, s1
	s_cselect_b64 s[0:1], -1, 0
	s_cmp_lg_u64 s[0:1], 0
	s_addc_u32 s9, s9, s36
	s_mul_i32 s0, s4, s9
	s_mul_hi_u32 s1, s4, s46
	s_add_i32 s0, s1, s0
	s_mul_i32 s5, s5, s46
	s_add_i32 s0, s0, s5
	s_mul_i32 s4, s4, s46
	s_mul_hi_u32 s5, s9, s4
	s_mul_i32 s36, s9, s4
	s_mul_i32 s58, s46, s0
	s_mul_hi_u32 s4, s46, s4
	s_mul_hi_u32 s54, s46, s0
	s_add_u32 s4, s4, s58
	s_addc_u32 s54, 0, s54
	s_add_u32 s4, s4, s36
	s_mul_hi_u32 s1, s9, s0
	s_addc_u32 s4, s54, s5
	s_addc_u32 s1, s1, 0
	s_mul_i32 s0, s9, s0
	s_add_u32 s0, s4, s0
	s_addc_u32 s4, 0, s1
	s_add_u32 s36, s46, s0
	s_cselect_b64 s[0:1], -1, 0
	s_cmp_lg_u64 s[0:1], 0
	s_addc_u32 s9, s9, s4
	s_ashr_i32 s0, s37, 31
	s_add_u32 s4, s8, s0
	s_mov_b32 s1, s0
	s_addc_u32 s5, s37, s0
	s_xor_b64 s[4:5], s[4:5], s[0:1]
	s_mul_i32 s54, s4, s9
	s_mul_hi_u32 s58, s4, s36
	s_mul_hi_u32 s46, s4, s9
	s_add_u32 s54, s58, s54
	s_addc_u32 s46, 0, s46
	s_mul_hi_u32 s59, s5, s36
	s_mul_i32 s36, s5, s36
	s_add_u32 s36, s54, s36
	s_mul_hi_u32 s58, s5, s9
	s_addc_u32 s36, s46, s59
	s_addc_u32 s46, s58, 0
	s_mul_i32 s9, s5, s9
	s_add_u32 s9, s36, s9
	s_addc_u32 s36, 0, s46
	s_mul_i32 s36, s44, s36
	s_mul_hi_u32 s46, s44, s9
	s_add_i32 s36, s46, s36
	s_mul_i32 s46, s45, s9
	s_add_i32 s36, s36, s46
	s_sub_i32 s46, s5, s36
	s_mul_i32 s9, s44, s9
	s_sub_u32 s4, s4, s9
	s_cselect_b64 s[58:59], -1, 0
	s_cmp_lg_u64 s[58:59], 0
	s_subb_u32 s9, s46, s45
	s_sub_u32 s46, s4, s44
	s_cselect_b64 s[60:61], -1, 0
	s_cmp_lg_u64 s[60:61], 0
	s_subb_u32 s54, s9, 0
	s_cmp_ge_u32 s54, s45
	s_cselect_b32 s88, -1, 0
	s_cmp_ge_u32 s46, s44
	s_cselect_b32 s89, -1, 0
	s_cmp_eq_u32 s54, s45
	s_cselect_b32 s88, s89, s88
	s_cmp_lg_u64 s[60:61], 0
	s_subb_u32 s9, s9, s45
	s_sub_u32 s89, s46, s44
	s_cselect_b64 s[60:61], -1, 0
	s_cmp_lg_u64 s[60:61], 0
	s_subb_u32 s9, s9, 0
	s_cmp_lg_u32 s88, 0
	s_cselect_b32 s46, s89, s46
	s_cselect_b32 s9, s9, s54
	s_cmp_lg_u64 s[58:59], 0
	s_subb_u32 s5, s5, s36
	s_cmp_ge_u32 s5, s45
	s_cselect_b32 s36, -1, 0
	s_cmp_ge_u32 s4, s44
	s_cselect_b32 s44, -1, 0
	s_cmp_eq_u32 s5, s45
	s_cselect_b32 s36, s44, s36
	s_cmp_lg_u32 s36, 0
	s_cselect_b32 s5, s9, s5
	s_cselect_b32 s4, s46, s4
	s_xor_b64 s[4:5], s[4:5], s[0:1]
	s_sub_u32 s4, s4, s0
	v_readlane_b32 s89, v57, 38
	v_readlane_b32 s54, v57, 37
	s_subb_u32 s5, s5, s0
	s_cbranch_execnz .LBB15_269
.LBB15_268:                             ;   in Loop: Header=BB15_32 Depth=1
	v_cvt_f32_u32_e32 v4, s33
	s_sub_i32 s0, 0, s33
	v_rcp_iflag_f32_e32 v4, v4
	v_mul_f32_e32 v4, 0x4f7ffffe, v4
	v_cvt_u32_f32_e32 v4, v4
	v_readfirstlane_b32 s1, v4
	s_mul_i32 s0, s0, s1
	s_mul_hi_u32 s0, s1, s0
	s_add_i32 s1, s1, s0
	s_mul_hi_u32 s0, s8, s1
	s_mul_i32 s0, s0, s33
	s_sub_i32 s0, s8, s0
	s_sub_i32 s1, s0, s33
	s_cmp_ge_u32 s0, s33
	s_cselect_b32 s0, s1, s0
	s_sub_i32 s1, s0, s33
	s_cmp_ge_u32 s0, s33
	s_cselect_b32 s46, s1, s0
	s_mov_b64 s[4:5], s[46:47]
.LBB15_269:                             ;   in Loop: Header=BB15_32 Depth=1
	s_sub_u32 s36, s8, s4
	s_subb_u32 s37, s37, s5
	v_cmp_gt_i64_e32 vcc, s[36:37], v[0:1]
                                        ; implicit-def: $vgpr46
	s_and_saveexec_b64 s[4:5], vcc
	v_readlane_b32 s46, v57, 39
	s_cbranch_execz .LBB15_278
; %bb.270:                              ;   in Loop: Header=BB15_32 Depth=1
	v_mov_b32_e32 v5, v1
	s_mov_b64 s[8:9], 0
	v_mov_b32_e32 v8, v0
	v_mov_b32_e32 v4, v0
                                        ; implicit-def: $sgpr44_sgpr45
	s_branch .LBB15_273
.LBB15_271:                             ;   in Loop: Header=BB15_273 Depth=2
	s_or_b64 exec, exec, s[58:59]
	s_waitcnt lgkmcnt(0)
	s_barrier
	ds_read_u16 v9, v3 offset:3072
	s_mov_b64 s[58:59], -1
	s_waitcnt lgkmcnt(0)
	s_barrier
	v_cmp_eq_u32_sdwa s[0:1], v9, v3 src0_sel:BYTE_0 src1_sel:DWORD
	s_and_b64 vcc, exec, s[0:1]
	s_mov_b64 s[0:1], -1
	s_cbranch_vccnz .LBB15_276
.LBB15_272:                             ;   in Loop: Header=BB15_273 Depth=2
	s_and_b64 s[58:59], exec, s[58:59]
	s_or_b64 s[8:9], s[58:59], s[8:9]
	s_andn2_b64 s[44:45], s[44:45], exec
	s_and_b64 s[0:1], s[0:1], exec
	s_or_b64 s[44:45], s[44:45], s[0:1]
	s_andn2_b64 exec, exec, s[8:9]
	s_cbranch_execz .LBB15_277
.LBB15_273:                             ;   Parent Loop BB15_32 Depth=1
                                        ; =>  This Inner Loop Header: Depth=2
	v_cmp_gt_u64_e32 vcc, s[42:43], v[4:5]
	s_and_saveexec_b64 s[58:59], vcc
	s_cbranch_execz .LBB15_271
; %bb.274:                              ;   in Loop: Header=BB15_273 Depth=2
	ds_read_u8 v9, v8
	s_waitcnt lgkmcnt(0)
	v_add_u32_sdwa v10, sext(v9), s50 dst_sel:DWORD dst_unused:UNUSED_PAD src0_sel:BYTE_0 src1_sel:DWORD
	v_and_b32_e32 v10, v10, v45
	v_cmp_eq_u32_e32 vcc, v10, v43
	s_and_b64 exec, exec, vcc
	s_cbranch_execz .LBB15_271
; %bb.275:                              ;   in Loop: Header=BB15_273 Depth=2
	v_lshlrev_b16_e32 v9, 8, v9
	v_or_b32_e32 v9, 1, v9
	ds_write_b16 v3, v9 offset:3072
	s_branch .LBB15_271
.LBB15_276:                             ;   in Loop: Header=BB15_273 Depth=2
	v_add_co_u32_e32 v4, vcc, s33, v4
	v_addc_co_u32_e32 v5, vcc, 0, v5, vcc
	v_cmp_le_i64_e32 vcc, s[36:37], v[4:5]
	v_add_u32_e32 v8, s33, v8
	s_mov_b64 s[0:1], 0
	s_orn2_b64 s[58:59], vcc, exec
	s_branch .LBB15_272
.LBB15_277:                             ;   in Loop: Header=BB15_32 Depth=1
	s_or_b64 exec, exec, s[8:9]
	s_andn2_b64 s[0:1], s[6:7], exec
	s_and_b64 s[6:7], s[44:45], exec
	v_lshrrev_b32_sdwa v46, v44, v9 dst_sel:DWORD dst_unused:UNUSED_PAD src0_sel:DWORD src1_sel:WORD_0
	s_or_b64 s[6:7], s[0:1], s[6:7]
.LBB15_278:                             ;   in Loop: Header=BB15_32 Depth=1
	s_or_b64 exec, exec, s[4:5]
	s_mov_b64 s[36:37], 0
	s_mov_b64 s[44:45], -1
.LBB15_279:                             ;   in Loop: Header=BB15_32 Depth=1
	s_orn2_b64 s[4:5], s[6:7], exec
.LBB15_280:                             ;   in Loop: Header=BB15_32 Depth=1
	s_or_b64 exec, exec, s[94:95]
	s_mov_b64 s[8:9], 0
	s_and_saveexec_b64 s[6:7], s[4:5]
	v_readlane_b32 s42, v57, 40
	v_readlane_b32 s43, v57, 41
	s_cbranch_execz .LBB15_291
; %bb.281:                              ;   in Loop: Header=BB15_32 Depth=1
	v_mov_b32_e32 v4, 1
	s_xor_b64 s[0:1], s[92:93], -1
	v_mov_b32_e32 v5, 0
	v_mov_b32_e32 v2, 1
	s_and_saveexec_b64 s[4:5], s[0:1]
	s_cbranch_execz .LBB15_290
; %bb.282:                              ;   in Loop: Header=BB15_32 Depth=1
	v_cmp_ge_i64_e32 vcc, s[16:17], v[6:7]
	s_and_saveexec_b64 s[0:1], vcc
	s_xor_b64 s[8:9], exec, s[0:1]
	s_cbranch_execz .LBB15_287
; %bb.283:                              ;   in Loop: Header=BB15_32 Depth=1
	ds_read_b64 v[4:5], v3 offset:5120
	v_or_b32_e32 v43, s57, v43
	v_or_b32_e32 v45, s57, v45
	s_waitcnt lgkmcnt(0)
	v_cmp_ne_u64_e32 vcc, 0, v[4:5]
	s_cbranch_vccnz .LBB15_287
; %bb.284:                              ;   in Loop: Header=BB15_32 Depth=1
	s_mov_b64 s[0:1], exec
	v_readlane_b32 s42, v57, 8
	v_readlane_b32 s43, v57, 9
	s_and_b64 s[42:43], s[0:1], s[42:43]
	s_mov_b64 exec, s[42:43]
; %bb.285:                              ;   in Loop: Header=BB15_32 Depth=1
	v_mov_b32_e32 v4, s16
	v_mov_b32_e32 v5, s17
	ds_write_b64 v3, v[4:5] offset:5128
; %bb.286:                              ;   in Loop: Header=BB15_32 Depth=1
	s_or_b64 exec, exec, s[0:1]
	s_waitcnt lgkmcnt(0)
	s_barrier
.LBB15_287:                             ;   in Loop: Header=BB15_32 Depth=1
	s_andn2_saveexec_b64 s[8:9], s[8:9]
; %bb.288:                              ;   in Loop: Header=BB15_32 Depth=1
	v_mov_b32_e32 v2, s17
	v_subrev_co_u32_e32 v6, vcc, s16, v6
	v_subb_co_u32_e32 v7, vcc, v7, v2, vcc
; %bb.289:                              ;   in Loop: Header=BB15_32 Depth=1
	s_or_b64 exec, exec, s[8:9]
	v_mov_b32_e32 v4, v6
	v_readlane_b32 s42, v57, 40
	v_mov_b32_e32 v2, 8
	v_mov_b32_e32 v5, v7
	v_readlane_b32 s43, v57, 41
.LBB15_290:                             ;   in Loop: Header=BB15_32 Depth=1
	s_or_b64 exec, exec, s[4:5]
	v_mov_b32_e32 v7, v5
	s_mov_b64 s[8:9], exec
	v_mov_b32_e32 v6, v4
.LBB15_291:                             ;   in Loop: Header=BB15_32 Depth=1
	s_or_b64 exec, exec, s[6:7]
	s_orn2_b64 s[4:5], s[8:9], exec
.LBB15_292:                             ;   in Loop: Header=BB15_32 Depth=1
	s_or_b64 exec, exec, s[80:81]
	s_andn2_b64 s[0:1], s[90:91], exec
	s_and_b64 s[6:7], s[44:45], exec
	s_or_b64 s[90:91], s[0:1], s[6:7]
	s_andn2_b64 s[0:1], s[42:43], exec
	s_and_b64 s[6:7], s[36:37], exec
	v_mov_b32_e32 v4, v6
	s_or_b64 s[42:43], s[0:1], s[6:7]
	s_and_b64 s[6:7], s[4:5], exec
	v_mov_b32_e32 v5, v7
.LBB15_293:                             ;   in Loop: Header=BB15_32 Depth=1
	s_or_b64 exec, exec, s[40:41]
	s_orn2_b64 s[4:5], s[6:7], exec
.LBB15_294:                             ;   in Loop: Header=BB15_32 Depth=1
	s_or_b64 exec, exec, s[86:87]
	s_andn2_b64 s[0:1], s[82:83], exec
	s_and_b64 s[6:7], s[90:91], exec
	s_or_b64 s[82:83], s[0:1], s[6:7]
	s_andn2_b64 s[0:1], s[14:15], exec
	s_and_b64 s[6:7], s[42:43], exec
	v_mov_b32_e32 v9, v5
	s_or_b64 s[14:15], s[0:1], s[6:7]
	s_and_b64 s[6:7], s[4:5], exec
	v_mov_b32_e32 v8, v4
.LBB15_295:                             ;   in Loop: Header=BB15_32 Depth=1
	s_or_b64 exec, exec, s[84:85]
	s_orn2_b64 s[4:5], s[6:7], exec
.LBB15_296:                             ;   in Loop: Header=BB15_32 Depth=1
	s_or_b64 exec, exec, s[26:27]
	s_mov_b64 s[6:7], 0
	s_and_saveexec_b64 s[0:1], s[4:5]
	s_xor_b64 s[4:5], exec, s[0:1]
	s_cbranch_execz .LBB15_30
; %bb.297:                              ;   in Loop: Header=BB15_32 Depth=1
	v_and_b32_e32 v2, 7, v2
	v_cmp_eq_u32_e32 vcc, 0, v2
	s_mov_b64 s[8:9], -1
	s_mov_b64 s[6:7], -1
	s_and_saveexec_b64 s[16:17], vcc
	s_cbranch_execz .LBB15_29
; %bb.298:                              ;   in Loop: Header=BB15_32 Depth=1
	s_xor_b32 s56, s56, 1
	s_add_i32 s20, s13, -2
	s_cmp_eq_u32 s13, 0
	s_cselect_b64 s[0:1], -1, 0
	s_xor_b64 s[6:7], exec, -1
	s_orn2_b64 s[8:9], s[0:1], exec
	s_mov_b32 s13, s20
	s_branch .LBB15_29
.LBB15_299:                             ;   in Loop: Header=BB15_32 Depth=1
                                        ; implicit-def: $sgpr4_sgpr5
	s_branch .LBB15_268
.LBB15_300:
	s_or_b64 exec, exec, s[66:67]
	s_xor_b64 s[0:1], s[72:73], -1
	s_xor_b64 s[4:5], s[68:69], -1
	;; [unrolled: 1-line block ×3, first 2 shown]
	s_mov_b64 s[2:3], 0
	s_and_saveexec_b64 s[6:7], s[4:5]
	s_xor_b64 s[4:5], exec, s[6:7]
	s_cbranch_execnz .LBB15_305
; %bb.301:
	s_andn2_saveexec_b64 s[0:1], s[4:5]
	s_cbranch_execnz .LBB15_327
.LBB15_302:
	s_or_b64 exec, exec, s[0:1]
	s_and_saveexec_b64 s[0:1], s[2:3]
.LBB15_303:
	; divergent unreachable
.LBB15_304:
	s_endpgm
.LBB15_305:
	s_and_saveexec_b64 s[2:3], s[0:1]
	s_xor_b64 s[6:7], exec, s[2:3]
	s_cbranch_execz .LBB15_325
; %bb.306:
	s_and_saveexec_b64 s[0:1], s[8:9]
	s_xor_b64 s[0:1], exec, s[0:1]
; %bb.307:
	v_xor_b32_e32 v46, 0xffffff80, v43
; %bb.308:
	s_or_b64 exec, exec, s[0:1]
	s_mov_b64 s[0:1], exec
	v_readlane_b32 s2, v57, 8
	v_readlane_b32 s3, v57, 9
	s_and_b64 s[2:3], s[0:1], s[2:3]
	s_mov_b64 exec, s[2:3]
; %bb.309:
	v_mov_b32_e32 v2, 0
	v_mov_b32_e32 v3, s24
	ds_write_b32 v2, v3 offset:5140
; %bb.310:
	s_or_b64 exec, exec, s[0:1]
	s_waitcnt lgkmcnt(0)
	s_barrier
	s_mov_b64 s[10:11], exec
	v_readlane_b32 s0, v57, 34
	v_readlane_b32 s1, v57, 35
	s_and_b64 s[0:1], s[10:11], s[0:1]
	s_mov_b64 exec, s[0:1]
	s_cbranch_execz .LBB15_322
; %bb.311:
	v_mov_b32_e32 v2, 0
	ds_read_b32 v4, v2 offset:5140
	s_mov_b64 s[8:9], 0
                                        ; implicit-def: $sgpr12_sgpr13
                                        ; implicit-def: $sgpr14_sgpr15
                                        ; implicit-def: $sgpr16_sgpr17
	s_waitcnt lgkmcnt(0)
	v_ashrrev_i32_e32 v5, 31, v4
	s_branch .LBB15_314
.LBB15_312:                             ;   in Loop: Header=BB15_314 Depth=1
	s_or_b64 exec, exec, s[26:27]
	s_andn2_b64 s[0:1], s[16:17], exec
	s_and_b64 s[16:17], s[20:21], exec
	s_or_b64 s[16:17], s[0:1], s[16:17]
	s_andn2_b64 s[0:1], s[14:15], exec
	s_and_b64 s[2:3], s[2:3], exec
	s_or_b64 s[14:15], s[0:1], s[2:3]
.LBB15_313:                             ;   in Loop: Header=BB15_314 Depth=1
	s_or_b64 exec, exec, s[18:19]
	s_and_b64 s[0:1], exec, s[14:15]
	s_or_b64 s[8:9], s[0:1], s[8:9]
	s_andn2_b64 s[0:1], s[12:13], exec
	s_and_b64 s[2:3], s[16:17], exec
	s_or_b64 s[12:13], s[0:1], s[2:3]
	s_andn2_b64 exec, exec, s[8:9]
	s_cbranch_execz .LBB15_317
.LBB15_314:                             ; =>This Inner Loop Header: Depth=1
	v_mov_b32_e32 v3, v1
	v_mov_b32_e32 v2, v0
	v_cmp_lt_i64_e32 vcc, v[2:3], v[4:5]
	s_or_b64 s[16:17], s[16:17], exec
	s_or_b64 s[14:15], s[14:15], exec
                                        ; implicit-def: $vgpr0_vgpr1
	s_and_saveexec_b64 s[18:19], vcc
	s_cbranch_execz .LBB15_313
; %bb.315:                              ;   in Loop: Header=BB15_314 Depth=1
	global_load_ubyte v0, v[12:13], off
	s_mov_b64 s[2:3], -1
	s_mov_b64 s[20:21], 0
	s_waitcnt vmcnt(0)
	v_cmp_ne_u16_sdwa s[0:1], v0, v46 src0_sel:DWORD src1_sel:BYTE_0
                                        ; implicit-def: $vgpr0_vgpr1
	s_and_saveexec_b64 s[26:27], s[0:1]
	s_cbranch_execz .LBB15_312
; %bb.316:                              ;   in Loop: Header=BB15_314 Depth=1
	v_add_co_u32_e32 v0, vcc, s33, v2
	v_addc_co_u32_e32 v1, vcc, 0, v3, vcc
	v_mov_b32_e32 v3, s52
	v_cmp_le_i64_e32 vcc, s[24:25], v[0:1]
	v_add_co_u32_e64 v12, s[2:3], s53, v12
	v_addc_co_u32_e64 v13, s[2:3], v13, v3, s[2:3]
	s_mov_b64 s[20:21], exec
	s_orn2_b64 s[2:3], vcc, exec
	s_branch .LBB15_312
.LBB15_317:
	s_or_b64 exec, exec, s[8:9]
	s_xor_b64 s[0:1], s[12:13], -1
	s_and_saveexec_b64 s[2:3], s[0:1]
	s_xor_b64 s[2:3], exec, s[2:3]
	s_cbranch_execz .LBB15_322
; %bb.318:
	s_mov_b64 s[2:3], exec
	s_brev_b32 s0, -2
.LBB15_319:                             ; =>This Inner Loop Header: Depth=1
	s_ff1_i32_b64 s1, s[2:3]
	v_readlane_b32 s12, v2, s1
	s_lshl_b64 s[8:9], 1, s1
	s_min_i32 s0, s0, s12
	s_andn2_b64 s[2:3], s[2:3], s[8:9]
	s_cmp_lg_u64 s[2:3], 0
	s_cbranch_scc1 .LBB15_319
; %bb.320:
	v_mbcnt_lo_u32_b32 v0, exec_lo, 0
	v_mbcnt_hi_u32_b32 v0, exec_hi, v0
	v_cmp_eq_u32_e32 vcc, 0, v0
	s_and_saveexec_b64 s[2:3], vcc
	s_xor_b64 s[2:3], exec, s[2:3]
; %bb.321:
	v_mov_b32_e32 v0, 0
	v_mov_b32_e32 v1, s0
	ds_min_i32 v0, v1 offset:5140
.LBB15_322:
	s_or_b64 exec, exec, s[10:11]
	s_waitcnt lgkmcnt(0)
	s_barrier
	s_mov_b64 s[2:3], exec
	v_readlane_b32 s0, v57, 8
	v_readlane_b32 s1, v57, 9
	s_and_b64 s[0:1], s[2:3], s[0:1]
	s_mov_b64 exec, s[0:1]
	s_cbranch_execz .LBB15_324
; %bb.323:
	v_readlane_b32 s10, v57, 0
	v_readlane_b32 s11, v57, 1
	s_mul_i32 s0, s10, s29
	s_mul_hi_u32 s1, s10, s28
	s_add_i32 s0, s1, s0
	s_mul_i32 s1, s11, s28
	s_mul_i32 s9, s10, s28
	v_readlane_b32 s10, v57, 2
	s_add_i32 s8, s0, s1
	v_readlane_b32 s11, v57, 3
	s_mul_i32 s0, s10, s39
	s_mul_hi_u32 s1, s10, s38
	s_add_i32 s0, s1, s0
	s_mul_i32 s1, s11, s38
	s_add_i32 s1, s0, s1
	s_mul_i32 s0, s10, s38
	v_readlane_b32 s10, v57, 4
	v_readlane_b32 s11, v57, 5
	s_add_u32 s9, s10, s9
	s_addc_u32 s10, s11, s8
	v_mov_b32_e32 v2, 0
	s_add_u32 s8, s9, s22
	ds_read_b32 v0, v2 offset:5140
	s_addc_u32 s9, s10, s23
	s_lshl_b64 s[0:1], s[0:1], 3
	v_readlane_b32 s10, v57, 6
	v_readlane_b32 s11, v57, 7
	s_add_u32 s10, s10, s0
	s_addc_u32 s11, s11, s1
	s_lshl_b64 s[0:1], s[34:35], 3
	s_add_u32 s0, s10, s0
	s_addc_u32 s1, s11, s1
	s_waitcnt lgkmcnt(0)
	v_ashrrev_i32_e32 v1, 31, v0
	global_store_dwordx2 v2, v[0:1], s[0:1]
	global_store_byte v2, v46, s[8:9]
.LBB15_324:
	s_or_b64 exec, exec, s[2:3]
.LBB15_325:
	s_or_saveexec_b64 s[0:1], s[6:7]
	s_mov_b64 s[2:3], 0
	s_xor_b64 exec, exec, s[0:1]
	s_cbranch_execnz .LBB15_328
.LBB15_326:
	s_or_b64 exec, exec, s[0:1]
	s_and_b64 s[2:3], s[2:3], exec
	s_andn2_saveexec_b64 s[0:1], s[4:5]
	s_cbranch_execz .LBB15_302
.LBB15_327:
	s_or_b64 s[2:3], s[2:3], exec
	s_trap 2
	s_or_b64 exec, exec, s[0:1]
	s_and_saveexec_b64 s[0:1], s[2:3]
	s_cbranch_execnz .LBB15_303
	s_branch .LBB15_304
.LBB15_328:
	s_mov_b64 s[2:3], exec
	s_trap 2
	s_branch .LBB15_326
	.section	.rodata,"a",@progbits
	.p2align	6, 0x0
	.amdhsa_kernel _ZN2at6native12_GLOBAL__N_114gatherKthValueIalLin1EEEvNS_4cuda6detail10TensorInfoIKT_T0_EES8_S8_S8_S8_NS5_IS6_S8_EENS5_IlS8_EE
		.amdhsa_group_segment_fixed_size 5144
		.amdhsa_private_segment_fixed_size 0
		.amdhsa_kernarg_size 1536
		.amdhsa_user_sgpr_count 6
		.amdhsa_user_sgpr_private_segment_buffer 1
		.amdhsa_user_sgpr_dispatch_ptr 0
		.amdhsa_user_sgpr_queue_ptr 0
		.amdhsa_user_sgpr_kernarg_segment_ptr 1
		.amdhsa_user_sgpr_dispatch_id 0
		.amdhsa_user_sgpr_flat_scratch_init 0
		.amdhsa_user_sgpr_private_segment_size 0
		.amdhsa_uses_dynamic_stack 0
		.amdhsa_system_sgpr_private_segment_wavefront_offset 0
		.amdhsa_system_sgpr_workgroup_id_x 1
		.amdhsa_system_sgpr_workgroup_id_y 1
		.amdhsa_system_sgpr_workgroup_id_z 1
		.amdhsa_system_sgpr_workgroup_info 0
		.amdhsa_system_vgpr_workitem_id 0
		.amdhsa_next_free_vgpr 58
		.amdhsa_next_free_sgpr 96
		.amdhsa_reserve_vcc 1
		.amdhsa_reserve_flat_scratch 0
		.amdhsa_float_round_mode_32 0
		.amdhsa_float_round_mode_16_64 0
		.amdhsa_float_denorm_mode_32 3
		.amdhsa_float_denorm_mode_16_64 3
		.amdhsa_dx10_clamp 1
		.amdhsa_ieee_mode 1
		.amdhsa_fp16_overflow 0
		.amdhsa_exception_fp_ieee_invalid_op 0
		.amdhsa_exception_fp_denorm_src 0
		.amdhsa_exception_fp_ieee_div_zero 0
		.amdhsa_exception_fp_ieee_overflow 0
		.amdhsa_exception_fp_ieee_underflow 0
		.amdhsa_exception_fp_ieee_inexact 0
		.amdhsa_exception_int_div_zero 0
	.end_amdhsa_kernel
	.section	.text._ZN2at6native12_GLOBAL__N_114gatherKthValueIalLin1EEEvNS_4cuda6detail10TensorInfoIKT_T0_EES8_S8_S8_S8_NS5_IS6_S8_EENS5_IlS8_EE,"axG",@progbits,_ZN2at6native12_GLOBAL__N_114gatherKthValueIalLin1EEEvNS_4cuda6detail10TensorInfoIKT_T0_EES8_S8_S8_S8_NS5_IS6_S8_EENS5_IlS8_EE,comdat
.Lfunc_end15:
	.size	_ZN2at6native12_GLOBAL__N_114gatherKthValueIalLin1EEEvNS_4cuda6detail10TensorInfoIKT_T0_EES8_S8_S8_S8_NS5_IS6_S8_EENS5_IlS8_EE, .Lfunc_end15-_ZN2at6native12_GLOBAL__N_114gatherKthValueIalLin1EEEvNS_4cuda6detail10TensorInfoIKT_T0_EES8_S8_S8_S8_NS5_IS6_S8_EENS5_IlS8_EE
                                        ; -- End function
	.set _ZN2at6native12_GLOBAL__N_114gatherKthValueIalLin1EEEvNS_4cuda6detail10TensorInfoIKT_T0_EES8_S8_S8_S8_NS5_IS6_S8_EENS5_IlS8_EE.num_vgpr, 58
	.set _ZN2at6native12_GLOBAL__N_114gatherKthValueIalLin1EEEvNS_4cuda6detail10TensorInfoIKT_T0_EES8_S8_S8_S8_NS5_IS6_S8_EENS5_IlS8_EE.num_agpr, 0
	.set _ZN2at6native12_GLOBAL__N_114gatherKthValueIalLin1EEEvNS_4cuda6detail10TensorInfoIKT_T0_EES8_S8_S8_S8_NS5_IS6_S8_EENS5_IlS8_EE.numbered_sgpr, 96
	.set _ZN2at6native12_GLOBAL__N_114gatherKthValueIalLin1EEEvNS_4cuda6detail10TensorInfoIKT_T0_EES8_S8_S8_S8_NS5_IS6_S8_EENS5_IlS8_EE.num_named_barrier, 0
	.set _ZN2at6native12_GLOBAL__N_114gatherKthValueIalLin1EEEvNS_4cuda6detail10TensorInfoIKT_T0_EES8_S8_S8_S8_NS5_IS6_S8_EENS5_IlS8_EE.private_seg_size, 0
	.set _ZN2at6native12_GLOBAL__N_114gatherKthValueIalLin1EEEvNS_4cuda6detail10TensorInfoIKT_T0_EES8_S8_S8_S8_NS5_IS6_S8_EENS5_IlS8_EE.uses_vcc, 1
	.set _ZN2at6native12_GLOBAL__N_114gatherKthValueIalLin1EEEvNS_4cuda6detail10TensorInfoIKT_T0_EES8_S8_S8_S8_NS5_IS6_S8_EENS5_IlS8_EE.uses_flat_scratch, 0
	.set _ZN2at6native12_GLOBAL__N_114gatherKthValueIalLin1EEEvNS_4cuda6detail10TensorInfoIKT_T0_EES8_S8_S8_S8_NS5_IS6_S8_EENS5_IlS8_EE.has_dyn_sized_stack, 0
	.set _ZN2at6native12_GLOBAL__N_114gatherKthValueIalLin1EEEvNS_4cuda6detail10TensorInfoIKT_T0_EES8_S8_S8_S8_NS5_IS6_S8_EENS5_IlS8_EE.has_recursion, 0
	.set _ZN2at6native12_GLOBAL__N_114gatherKthValueIalLin1EEEvNS_4cuda6detail10TensorInfoIKT_T0_EES8_S8_S8_S8_NS5_IS6_S8_EENS5_IlS8_EE.has_indirect_call, 0
	.section	.AMDGPU.csdata,"",@progbits
; Kernel info:
; codeLenInByte = 19324
; TotalNumSgprs: 100
; NumVgprs: 58
; ScratchSize: 0
; MemoryBound: 0
; FloatMode: 240
; IeeeMode: 1
; LDSByteSize: 5144 bytes/workgroup (compile time only)
; SGPRBlocks: 12
; VGPRBlocks: 14
; NumSGPRsForWavesPerEU: 100
; NumVGPRsForWavesPerEU: 58
; Occupancy: 4
; WaveLimiterHint : 1
; COMPUTE_PGM_RSRC2:SCRATCH_EN: 0
; COMPUTE_PGM_RSRC2:USER_SGPR: 6
; COMPUTE_PGM_RSRC2:TRAP_HANDLER: 0
; COMPUTE_PGM_RSRC2:TGID_X_EN: 1
; COMPUTE_PGM_RSRC2:TGID_Y_EN: 1
; COMPUTE_PGM_RSRC2:TGID_Z_EN: 1
; COMPUTE_PGM_RSRC2:TIDIG_COMP_CNT: 0
	.section	.text._ZN2at6native12_GLOBAL__N_114gatherKthValueIiiLi1EEEvNS_4cuda6detail10TensorInfoIKT_T0_EES8_S8_S8_S8_NS5_IS6_S8_EENS5_IlS8_EE,"axG",@progbits,_ZN2at6native12_GLOBAL__N_114gatherKthValueIiiLi1EEEvNS_4cuda6detail10TensorInfoIKT_T0_EES8_S8_S8_S8_NS5_IS6_S8_EENS5_IlS8_EE,comdat
	.globl	_ZN2at6native12_GLOBAL__N_114gatherKthValueIiiLi1EEEvNS_4cuda6detail10TensorInfoIKT_T0_EES8_S8_S8_S8_NS5_IS6_S8_EENS5_IlS8_EE ; -- Begin function _ZN2at6native12_GLOBAL__N_114gatherKthValueIiiLi1EEEvNS_4cuda6detail10TensorInfoIKT_T0_EES8_S8_S8_S8_NS5_IS6_S8_EENS5_IlS8_EE
	.p2align	8
	.type	_ZN2at6native12_GLOBAL__N_114gatherKthValueIiiLi1EEEvNS_4cuda6detail10TensorInfoIKT_T0_EES8_S8_S8_S8_NS5_IS6_S8_EENS5_IlS8_EE,@function
_ZN2at6native12_GLOBAL__N_114gatherKthValueIiiLi1EEEvNS_4cuda6detail10TensorInfoIKT_T0_EES8_S8_S8_S8_NS5_IS6_S8_EENS5_IlS8_EE: ; @_ZN2at6native12_GLOBAL__N_114gatherKthValueIiiLi1EEEvNS_4cuda6detail10TensorInfoIKT_T0_EES8_S8_S8_S8_NS5_IS6_S8_EENS5_IlS8_EE
; %bb.0:
	s_load_dwordx2 s[12:13], s[4:5], 0x298
	s_load_dwordx4 s[60:63], s[4:5], 0xd8
	s_add_u32 s10, s4, 0x298
	s_addc_u32 s11, s5, 0
	s_waitcnt lgkmcnt(0)
	s_mul_i32 s0, s13, s8
	s_add_i32 s0, s0, s7
	s_mul_i32 s0, s0, s12
	s_add_i32 s13, s0, s6
	s_cmp_ge_i32 s13, s62
	s_cbranch_scc1 .LBB16_235
; %bb.1:
	s_load_dwordx2 s[0:1], s[4:5], 0x1c0
                                        ; implicit-def: $vgpr48 : SGPR spill to VGPR lane
	s_load_dword s7, s[4:5], 0x6c
	s_load_dwordx2 s[2:3], s[4:5], 0x0
	s_waitcnt lgkmcnt(0)
	v_writelane_b32 v48, s0, 0
	v_writelane_b32 v48, s1, 1
	s_load_dwordx2 s[0:1], s[4:5], 0xe8
	s_waitcnt lgkmcnt(0)
	v_writelane_b32 v48, s0, 2
	v_writelane_b32 v48, s1, 3
	v_cmp_eq_u32_e64 s[0:1], 0, v0
	s_and_saveexec_b64 s[8:9], s[0:1]
; %bb.2:
	v_mov_b32_e32 v1, 0
	v_mov_b32_e32 v2, s60
	;; [unrolled: 1-line block ×3, first 2 shown]
	ds_write_b96 v1, v[1:3] offset:4096
; %bb.3:
	s_or_b64 exec, exec, s[8:9]
	s_load_dword s8, s[4:5], 0x22c
	v_mul_lo_u32 v5, s63, v0
                                        ; kill: killed $sgpr4 killed $sgpr5
	s_waitcnt lgkmcnt(0)
	s_barrier
	v_writelane_b32 v48, s8, 4
	s_load_dword s8, s[4:5], 0x154
	s_mul_i32 s4, s7, s13
	s_load_dword s7, s[10:11], 0xc
	s_ashr_i32 s5, s4, 31
	v_mov_b32_e32 v7, 0
	s_lshl_b64 s[4:5], s[4:5], 2
	v_mbcnt_lo_u32_b32 v1, -1, 0
	v_mov_b32_e32 v6, v7
	s_add_u32 s62, s2, s4
	v_mbcnt_hi_u32_b32 v20, -1, v1
	v_lshlrev_b64 v[1:2], 2, v[5:6]
	s_addc_u32 s67, s3, s5
	v_cmp_gt_u32_e32 vcc, 64, v0
	v_cmp_gt_i32_e64 s[4:5], 4, v20
	s_and_b64 s[68:69], vcc, s[4:5]
	v_mov_b32_e32 v22, s67
	v_add_co_u32_e32 v8, vcc, s62, v1
	s_waitcnt lgkmcnt(0)
	s_and_b32 s66, s7, 0xffff
	v_addc_co_u32_e32 v9, vcc, v22, v2, vcc
	v_lshlrev_b64 v[2:3], v20, -1
	v_writelane_b32 v48, s8, 5
	s_add_i32 s8, s66, -1
	v_writelane_b32 v48, s13, 6
	s_lshl_b32 s33, s66, 2
	s_bfe_u32 s7, s7, 0xa0006
	s_add_i32 s78, s8, s60
	v_not_b32_e32 v25, v2
	v_lshrrev_b32_e32 v2, 2, v0
	v_writelane_b32 v48, s8, 7
	s_cmpk_gt_i32 s60, 0x300
	v_cmp_gt_u32_e64 s[8:9], s60, v0
	v_and_b32_e32 v2, 0xf0, v2
	s_cselect_b64 s[70:71], -1, 0
	v_writelane_b32 v48, s8, 8
	s_cmp_gt_u32 s66, 63
	v_or_b32_e32 v26, 0xc00, v2
	v_cvt_f32_u32_e32 v2, s33
	v_writelane_b32 v48, s9, 9
	v_cmp_gt_i32_e64 s[8:9], s60, v0
	s_cselect_b64 s[72:73], -1, 0
	s_cmp_lt_u32 s6, s12
	v_writelane_b32 v48, s8, 10
	s_cselect_b32 s6, 12, 18
	v_writelane_b32 v48, s9, 11
	s_add_u32 s8, s10, s6
	s_addc_u32 s9, s11, 0
	v_rcp_iflag_f32_e32 v2, v2
	v_writelane_b32 v48, s8, 12
	s_add_i32 s6, s7, -1
	v_writelane_b32 v48, s9, 13
	s_bfe_u32 s9, s66, 0x30006
	s_and_b32 s6, s6, 0xffff
	s_cmp_gt_u32 s6, 6
	s_cselect_b64 s[10:11], -1, 0
	v_mul_f32_e32 v2, 0x4f7ffffe, v2
	v_writelane_b32 v48, s10, 14
	s_and_b32 s8, s7, 0x3f8
	v_cvt_u32_f32_e32 v2, v2
	v_writelane_b32 v48, s11, 15
	s_cmp_lg_u32 s9, 0
	v_writelane_b32 v48, s9, 16
	s_cselect_b64 s[6:7], -1, 0
	v_writelane_b32 v48, s6, 17
	v_writelane_b32 v48, s7, 18
	s_sub_i32 s6, 0, s33
	v_readfirstlane_b32 s7, v2
	s_mul_i32 s6, s6, s7
	s_mul_hi_u32 s6, s7, s6
	s_add_i32 s9, s7, s6
	s_mul_hi_u32 s6, s60, s9
	s_mul_i32 s6, s6, s33
	s_sub_i32 s6, s60, s6
	s_sub_i32 s7, s6, s33
	s_cmp_ge_u32 s6, s33
	s_cselect_b32 s6, s7, s6
	s_sub_i32 s7, s6, s33
	s_cmp_ge_u32 s6, s33
	s_cselect_b32 s6, s7, s6
	s_sub_i32 s76, s60, s6
	v_add_u32_e32 v27, s76, v0
	v_cvt_f32_u32_e32 v4, s66
	v_mul_lo_u32 v2, v27, s63
	v_not_b32_e32 v24, v3
	s_sub_i32 s17, 0, s66
	v_rcp_iflag_f32_e32 v4, v4
	v_ashrrev_i32_e32 v3, 31, v2
	v_lshlrev_b64 v[2:3], 2, v[2:3]
	s_abs_i32 s16, s78
	v_add_co_u32_e32 v10, vcc, s62, v2
	v_mul_f32_e32 v2, 0x4f7ffffe, v4
	v_cvt_u32_f32_e32 v2, v2
	s_ashr_i32 s7, s78, 31
	v_lshlrev_b32_e32 v19, 2, v0
	v_lshlrev_b32_e32 v1, 2, v20
	v_readfirstlane_b32 s18, v2
	s_mul_i32 s17, s17, s18
	s_mul_hi_u32 s17, s18, s17
	s_add_i32 s17, s18, s17
	v_writelane_b32 v48, s17, 19
	s_mul_hi_u32 s17, s16, s17
	s_mul_i32 s17, s17, s66
	s_sub_i32 s16, s16, s17
	s_sub_i32 s17, s16, s66
	s_cmp_ge_u32 s16, s66
	s_cselect_b32 s16, s17, s16
	s_sub_i32 s17, s16, s66
	v_mul_lo_u32 v2, s63, v19
	s_cmp_ge_u32 s16, s66
	s_cselect_b32 s16, s17, s16
	s_xor_b32 s16, s16, s7
	s_sub_i32 s7, s7, s16
	v_add_u32_e32 v28, s63, v2
	v_or_b32_e32 v2, 2, v19
	s_add_i32 s78, s78, s7
	v_mul_lo_u32 v29, s63, v2
	v_or_b32_e32 v2, 3, v19
	s_add_i32 s7, s66, s60
	v_mul_lo_u32 v31, s63, v2
	v_add_u32_e32 v2, s7, v0
	v_subrev_u32_e32 v2, s6, v2
	v_mul_lo_u32 v33, s63, v2
	v_cmp_gt_i32_e64 s[16:17], s78, v0
	v_mov_b32_e32 v6, s67
	v_writelane_b32 v48, s16, 20
	s_mul_i32 s74, s63, s66
	v_cmp_eq_u32_e64 s[2:3], 0, v20
	v_cmp_gt_u32_e64 s[4:5], 2, v0
	v_add_u32_e32 v21, 0xc00, v19
	v_and_b32_e32 v23, 0x100, v1
	v_cmp_gt_i32_e64 s[10:11], s76, v19
	v_cmp_gt_u32_e64 s[12:13], s60, v27
	v_addc_co_u32_e32 v11, vcc, v6, v3, vcc
	v_cmp_gt_i32_e64 s[14:15], s60, v27
	v_writelane_b32 v48, s17, 21
	s_lshl_b32 s79, s74, 2
	v_lshlrev_b32_e32 v32, 2, v5
	v_lshlrev_b32_e32 v34, 4, v0
	s_lshl_b32 s16, s66, 4
	v_or_b32_e32 v35, 0xc00, v1
	s_mov_b64 s[80:81], 0
	v_mov_b32_e32 v36, 30
	v_mov_b32_e32 v39, s61
	;; [unrolled: 1-line block ×7, first 2 shown]
                                        ; implicit-def: $sgpr82_sgpr83
                                        ; implicit-def: $sgpr86_sgpr87
                                        ; implicit-def: $sgpr84_sgpr85
                                        ; implicit-def: $sgpr90_sgpr91
                                        ; implicit-def: $sgpr92_sgpr93
                                        ; implicit-def: $sgpr88_sgpr89
	s_branch .LBB16_7
.LBB16_4:                               ;   in Loop: Header=BB16_7 Depth=1
	s_or_b64 exec, exec, s[30:31]
	s_and_b64 s[30:31], s[28:29], exec
	s_andn2_b64 s[26:27], s[26:27], exec
	s_andn2_b64 s[24:25], s[24:25], exec
	s_orn2_b64 s[20:21], s[20:21], exec
.LBB16_5:                               ;   in Loop: Header=BB16_7 Depth=1
	s_or_b64 exec, exec, s[22:23]
	s_andn2_b64 s[18:19], s[88:89], exec
	s_and_b64 s[22:23], s[30:31], exec
	s_or_b64 s[88:89], s[18:19], s[22:23]
	s_andn2_b64 s[18:19], s[92:93], exec
	s_and_b64 s[22:23], s[26:27], exec
	s_or_b64 s[92:93], s[18:19], s[22:23]
	s_andn2_b64 s[18:19], s[90:91], exec
	s_and_b64 s[22:23], s[24:25], exec
	s_or_b64 s[90:91], s[18:19], s[22:23]
	s_orn2_b64 s[20:21], s[20:21], exec
.LBB16_6:                               ;   in Loop: Header=BB16_7 Depth=1
	s_or_b64 exec, exec, s[6:7]
	s_and_b64 s[6:7], exec, s[20:21]
	s_or_b64 s[80:81], s[6:7], s[80:81]
	s_andn2_b64 s[6:7], s[84:85], exec
	s_and_b64 s[18:19], s[88:89], exec
	s_or_b64 s[84:85], s[6:7], s[18:19]
	s_andn2_b64 s[6:7], s[86:87], exec
	s_and_b64 s[18:19], s[92:93], exec
	;; [unrolled: 3-line block ×3, first 2 shown]
	s_or_b64 s[82:83], s[6:7], s[18:19]
	v_mov_b32_e32 v39, v15
	s_andn2_b64 exec, exec, s[80:81]
	s_cbranch_execz .LBB16_231
.LBB16_7:                               ; =>This Loop Header: Depth=1
                                        ;     Child Loop BB16_13 Depth 2
                                        ;     Child Loop BB16_28 Depth 2
	;; [unrolled: 1-line block ×16, first 2 shown]
	ds_read_b64 v[1:2], v7 offset:4096
	s_waitcnt lgkmcnt(0)
	v_readfirstlane_b32 s17, v1
	s_cmp_gt_i32 s17, 0
	s_cbranch_scc1 .LBB16_35
; %bb.8:                                ;   in Loop: Header=BB16_7 Depth=1
	s_and_b64 vcc, exec, s[70:71]
	s_cbranch_vccz .LBB16_21
; %bb.9:                                ;   in Loop: Header=BB16_7 Depth=1
	s_movk_i32 s6, 0x301
	v_cmp_gt_i32_e32 vcc, s6, v2
	s_mov_b64 s[20:21], 0
	s_mov_b64 s[6:7], 0
	s_cbranch_vccz .LBB16_22
; %bb.10:                               ;   in Loop: Header=BB16_7 Depth=1
	s_mov_b64 s[22:23], exec
	v_readlane_b32 s6, v48, 8
	v_readlane_b32 s7, v48, 9
	s_and_b64 s[6:7], s[22:23], s[6:7]
	s_mov_b64 exec, s[6:7]
	s_cbranch_execz .LBB16_67
; %bb.11:                               ;   in Loop: Header=BB16_7 Depth=1
	v_readlane_b32 s6, v48, 12
	v_readlane_b32 s7, v48, 13
	s_nop 4
	global_load_ushort v1, v7, s[6:7]
	global_load_dword v3, v[8:9], off
	s_mov_b64 s[24:25], 0
	v_mov_b32_e32 v4, v0
	s_waitcnt vmcnt(1)
	v_add_u32_e32 v2, v0, v1
	v_mul_lo_u32 v6, s63, v2
	v_mul_lo_u32 v2, s63, v1
	s_branch .LBB16_13
.LBB16_12:                              ;   in Loop: Header=BB16_13 Depth=2
	s_or_b64 exec, exec, s[6:7]
	v_cmp_le_i32_e32 vcc, s60, v4
	v_add_u32_e32 v6, v6, v2
	s_or_b64 s[24:25], vcc, s[24:25]
	v_mov_b32_e32 v3, v13
	s_andn2_b64 exec, exec, s[24:25]
	s_cbranch_execz .LBB16_67
.LBB16_13:                              ;   Parent Loop BB16_7 Depth=1
                                        ; =>  This Inner Loop Header: Depth=2
	v_add_u32_e32 v4, v4, v1
	v_cmp_gt_u32_e32 vcc, s60, v4
	s_waitcnt lgkmcnt(0)
	v_mov_b32_e32 v15, 0
	v_mov_b32_e32 v13, 0
	s_and_saveexec_b64 s[6:7], vcc
	s_cbranch_execz .LBB16_15
; %bb.14:                               ;   in Loop: Header=BB16_13 Depth=2
	v_lshlrev_b64 v[16:17], 2, v[6:7]
	v_add_co_u32_e32 v16, vcc, s62, v16
	v_addc_co_u32_e32 v17, vcc, v22, v17, vcc
	global_load_dword v13, v[16:17], off
.LBB16_15:                              ;   in Loop: Header=BB16_13 Depth=2
	s_or_b64 exec, exec, s[6:7]
	s_waitcnt vmcnt(0)
	v_xor_b32_e32 v16, 0x80000000, v3
	v_and_b32_e32 v16, v16, v38
	v_cmp_eq_u32_e32 vcc, v16, v30
	s_cmp_lg_u64 vcc, 0
	s_cselect_b64 s[6:7], -1, 0
	s_and_b64 s[6:7], s[2:3], s[6:7]
	s_and_saveexec_b64 s[26:27], s[6:7]
	s_cbranch_execz .LBB16_19
; %bb.16:                               ;   in Loop: Header=BB16_13 Depth=2
	s_mov_b64 s[30:31], exec
	v_mbcnt_lo_u32_b32 v15, s30, 0
	v_mbcnt_hi_u32_b32 v15, s31, v15
	s_bcnt1_i32_b64 s18, vcc
	v_cmp_eq_u32_e64 s[6:7], 0, v15
                                        ; implicit-def: $vgpr16
	s_and_saveexec_b64 s[28:29], s[6:7]
; %bb.17:                               ;   in Loop: Header=BB16_13 Depth=2
	s_bcnt1_i32_b64 s6, s[30:31]
	s_mul_i32 s6, s18, s6
	v_mov_b32_e32 v16, s6
	ds_add_rtn_u32 v16, v7, v16 offset:4104
; %bb.18:                               ;   in Loop: Header=BB16_13 Depth=2
	s_or_b64 exec, exec, s[28:29]
	s_waitcnt lgkmcnt(0)
	v_readfirstlane_b32 s6, v16
	v_mov_b32_e32 v16, s6
	v_mad_u32_u24 v15, s18, v15, v16
.LBB16_19:                              ;   in Loop: Header=BB16_13 Depth=2
	s_or_b64 exec, exec, s[26:27]
	ds_bpermute_b32 v15, v23, v15
	s_and_saveexec_b64 s[6:7], vcc
	s_cbranch_execz .LBB16_12
; %bb.20:                               ;   in Loop: Header=BB16_13 Depth=2
	v_and_b32_e32 v17, vcc_lo, v25
	v_and_b32_e32 v16, vcc_hi, v24
	v_bcnt_u32_b32 v17, v17, 0
	v_bcnt_u32_b32 v16, v16, v17
	v_lshlrev_b32_e32 v16, 2, v16
	s_waitcnt lgkmcnt(0)
	v_lshl_add_u32 v15, v15, 2, v16
	ds_write_b32 v15, v3
	s_branch .LBB16_12
.LBB16_21:                              ;   in Loop: Header=BB16_7 Depth=1
	s_mov_b64 s[20:21], -1
	s_mov_b64 s[6:7], 0
.LBB16_22:                              ;   in Loop: Header=BB16_7 Depth=1
	s_and_b64 vcc, exec, s[20:21]
	s_cbranch_vccz .LBB16_33
.LBB16_23:                              ;   in Loop: Header=BB16_7 Depth=1
	v_mov_b32_e32 v1, 0
	s_mov_b64 s[6:7], exec
	v_readlane_b32 s18, v48, 8
	v_readlane_b32 s19, v48, 9
	s_and_b64 s[18:19], s[6:7], s[18:19]
	s_mov_b64 exec, s[18:19]
	s_cbranch_execz .LBB16_25
; %bb.24:                               ;   in Loop: Header=BB16_7 Depth=1
	global_load_dword v1, v[8:9], off
.LBB16_25:                              ;   in Loop: Header=BB16_7 Depth=1
	s_or_b64 exec, exec, s[6:7]
	s_mov_b64 s[6:7], exec
	v_readlane_b32 s18, v48, 10
	v_readlane_b32 s19, v48, 11
	s_and_b64 s[18:19], s[6:7], s[18:19]
	s_mov_b64 exec, s[18:19]
	s_cbranch_execz .LBB16_30
; %bb.26:                               ;   in Loop: Header=BB16_7 Depth=1
	v_readlane_b32 s18, v48, 12
	v_readlane_b32 s19, v48, 13
	s_mov_b64 s[20:21], 0
	v_mov_b32_e32 v13, v19
	v_mov_b32_e32 v15, v0
	s_nop 1
	global_load_ushort v2, v7, s[18:19]
	s_waitcnt vmcnt(0)
	v_add_u32_e32 v4, v0, v2
	v_mul_lo_u32 v6, s63, v4
	v_mul_lo_u32 v4, s63, v2
	v_lshlrev_b32_e32 v3, 2, v2
	s_branch .LBB16_28
.LBB16_27:                              ;   in Loop: Header=BB16_28 Depth=2
	s_or_b64 exec, exec, s[22:23]
	v_cmp_le_i32_e32 vcc, s60, v15
	ds_write_b32 v13, v1
	v_add_u32_e32 v13, v13, v3
	v_add_u32_e32 v6, v6, v4
	s_or_b64 s[20:21], vcc, s[20:21]
	s_waitcnt vmcnt(0)
	v_mov_b32_e32 v1, v16
	s_andn2_b64 exec, exec, s[20:21]
	s_cbranch_execz .LBB16_30
.LBB16_28:                              ;   Parent Loop BB16_7 Depth=1
                                        ; =>  This Inner Loop Header: Depth=2
	v_add_u32_e32 v15, v15, v2
	v_cmp_gt_u32_e32 vcc, s60, v15
	v_mov_b32_e32 v16, 0
	s_and_saveexec_b64 s[22:23], vcc
	s_cbranch_execz .LBB16_27
; %bb.29:                               ;   in Loop: Header=BB16_28 Depth=2
	v_lshlrev_b64 v[16:17], 2, v[6:7]
	v_mov_b32_e32 v18, s67
	v_add_co_u32_e32 v16, vcc, s62, v16
	v_addc_co_u32_e32 v17, vcc, v18, v17, vcc
	global_load_dword v16, v[16:17], off
	s_branch .LBB16_27
.LBB16_30:                              ;   in Loop: Header=BB16_7 Depth=1
	s_or_b64 exec, exec, s[6:7]
	s_waitcnt vmcnt(0) lgkmcnt(0)
	s_barrier
	s_and_saveexec_b64 s[6:7], s[0:1]
; %bb.31:                               ;   in Loop: Header=BB16_7 Depth=1
	v_mov_b32_e32 v1, s60
	ds_write_b32 v7, v1 offset:4096
; %bb.32:                               ;   in Loop: Header=BB16_7 Depth=1
	s_or_b64 exec, exec, s[6:7]
	s_mov_b64 s[6:7], -1
	s_waitcnt lgkmcnt(0)
	s_barrier
.LBB16_33:                              ;   in Loop: Header=BB16_7 Depth=1
	s_and_b64 vcc, exec, s[6:7]
	s_cbranch_vccz .LBB16_35
; %bb.34:                               ;   in Loop: Header=BB16_7 Depth=1
	ds_read_b32 v1, v7 offset:4096
	s_waitcnt lgkmcnt(0)
	v_readfirstlane_b32 s17, v1
.LBB16_35:                              ;   in Loop: Header=BB16_7 Depth=1
	s_cmp_lt_i32 s17, 1
	s_mov_b64 s[6:7], -1
                                        ; implicit-def: $vgpr4
	s_cbranch_scc1 .LBB16_45
; %bb.36:                               ;   in Loop: Header=BB16_7 Depth=1
	s_and_b64 vcc, exec, s[6:7]
	s_cbranch_vccnz .LBB16_58
.LBB16_37:                              ;   in Loop: Header=BB16_7 Depth=1
	v_lshlrev_b32_e32 v6, 6, v37
	s_and_saveexec_b64 s[6:7], s[2:3]
	s_cbranch_execz .LBB16_39
.LBB16_38:                              ;   in Loop: Header=BB16_7 Depth=1
	s_waitcnt vmcnt(0)
	v_lshl_add_u32 v13, v6, 2, v26
	ds_write_b128 v13, v[1:4]
.LBB16_39:                              ;   in Loop: Header=BB16_7 Depth=1
	s_or_b64 exec, exec, s[6:7]
	s_waitcnt vmcnt(0) lgkmcnt(0)
	s_barrier
	s_and_saveexec_b64 s[6:7], s[68:69]
	s_cbranch_execz .LBB16_75
; %bb.40:                               ;   in Loop: Header=BB16_7 Depth=1
	s_andn2_b64 vcc, exec, s[72:73]
	v_mov_b32_e32 v1, 0
	s_cbranch_vccnz .LBB16_74
; %bb.41:                               ;   in Loop: Header=BB16_7 Depth=1
	v_readlane_b32 s18, v48, 14
	v_readlane_b32 s19, v48, 15
	s_andn2_b64 vcc, exec, s[18:19]
	s_cbranch_vccnz .LBB16_70
; %bb.42:                               ;   in Loop: Header=BB16_7 Depth=1
	v_lshl_add_u32 v2, v37, 8, v35
	s_mov_b32 s17, 0
	v_mov_b32_e32 v1, 0
.LBB16_43:                              ;   Parent Loop BB16_7 Depth=1
                                        ; =>  This Inner Loop Header: Depth=2
	ds_read2_b32 v[3:4], v2 offset1:4
	ds_read2_b32 v[15:16], v2 offset0:8 offset1:12
	ds_read2_b32 v[17:18], v2 offset0:16 offset1:20
	;; [unrolled: 1-line block ×3, first 2 shown]
	s_add_i32 s17, s17, 8
	s_waitcnt lgkmcnt(3)
	v_add3_u32 v1, v3, v1, v4
	s_waitcnt lgkmcnt(2)
	v_add3_u32 v1, v15, v1, v16
	;; [unrolled: 2-line block ×3, first 2 shown]
	v_add_u32_e32 v2, 0x80, v2
	s_cmp_eq_u32 s8, s17
	s_waitcnt lgkmcnt(0)
	v_add3_u32 v1, v40, v1, v41
	s_cbranch_scc0 .LBB16_43
; %bb.44:                               ;   in Loop: Header=BB16_7 Depth=1
	s_mov_b32 s17, s8
	s_branch .LBB16_71
.LBB16_45:                              ;   in Loop: Header=BB16_7 Depth=1
	v_mov_b32_e32 v1, 0
	v_mov_b32_e32 v2, 0
	;; [unrolled: 1-line block ×4, first 2 shown]
	s_and_saveexec_b64 s[94:95], s[10:11]
	s_cbranch_execnz .LBB16_48
; %bb.46:                               ;   in Loop: Header=BB16_7 Depth=1
	s_or_b64 exec, exec, s[94:95]
	v_mov_b32_e32 v13, 0
	s_and_saveexec_b64 s[6:7], s[12:13]
	s_cbranch_execnz .LBB16_51
.LBB16_47:                              ;   in Loop: Header=BB16_7 Depth=1
	s_or_b64 exec, exec, s[6:7]
	s_and_saveexec_b64 s[20:21], s[14:15]
	s_cbranch_execnz .LBB16_52
	s_branch .LBB16_57
.LBB16_48:                              ;   in Loop: Header=BB16_7 Depth=1
	s_mov_b32 s61, 0
	s_mov_b64 s[64:65], 0
	s_mov_b32 s75, 0
	s_mov_b32 s77, 0
	;; [unrolled: 1-line block ×4, first 2 shown]
	v_mov_b32_e32 v6, v19
.LBB16_49:                              ;   Parent Loop BB16_7 Depth=1
                                        ; =>  This Inner Loop Header: Depth=2
	v_add_u32_e32 v1, s61, v32
	v_ashrrev_i32_e32 v2, 31, v1
	v_add_u32_e32 v3, s61, v28
	v_lshlrev_b64 v[1:2], 2, v[1:2]
	v_ashrrev_i32_e32 v4, 31, v3
	v_mov_b32_e32 v13, s67
	v_add_u32_e32 v15, s61, v29
	v_lshlrev_b64 v[3:4], 2, v[3:4]
	v_add_co_u32_e64 v1, s[6:7], s62, v1
	v_ashrrev_i32_e32 v16, 31, v15
	v_addc_co_u32_e64 v2, s[6:7], v13, v2, s[6:7]
	v_add_u32_e32 v17, s61, v31
	v_lshlrev_b64 v[15:16], 2, v[15:16]
	v_add_co_u32_e64 v3, s[6:7], s62, v3
	v_ashrrev_i32_e32 v18, 31, v17
	v_addc_co_u32_e64 v4, s[6:7], v13, v4, s[6:7]
	v_lshlrev_b64 v[17:18], 2, v[17:18]
	v_add_co_u32_e64 v15, s[6:7], s62, v15
	v_addc_co_u32_e64 v16, s[6:7], v13, v16, s[6:7]
	v_add_co_u32_e64 v17, s[6:7], s62, v17
	v_addc_co_u32_e64 v18, s[6:7], v13, v18, s[6:7]
	global_load_dword v1, v[1:2], off
	s_nop 0
	global_load_dword v2, v[3:4], off
	s_nop 0
	global_load_dword v3, v[15:16], off
	global_load_dword v4, v[17:18], off
	v_add_u32_e32 v6, s33, v6
	s_add_i32 s61, s61, s79
	v_cmp_le_i32_e32 vcc, s76, v6
	s_waitcnt vmcnt(3)
	v_xor_b32_e32 v1, 0x80000000, v1
	s_waitcnt vmcnt(2)
	v_xor_b32_e32 v2, 0x80000000, v2
	v_and_b32_e32 v13, v1, v38
	v_bfe_u32 v1, v1, v36, 2
	s_waitcnt vmcnt(1)
	v_xor_b32_e32 v3, 0x80000000, v3
	v_and_b32_e32 v15, v2, v38
	v_bfe_u32 v2, v2, v36, 2
	v_cmp_eq_u32_e64 s[6:7], v13, v30
	v_cmp_eq_u32_e64 s[26:27], 0, v1
	s_waitcnt vmcnt(0)
	v_xor_b32_e32 v4, 0x80000000, v4
	v_and_b32_e32 v16, v3, v38
	v_bfe_u32 v3, v3, v36, 2
	v_cmp_eq_u32_e64 s[20:21], v15, v30
	v_cmp_eq_u32_e64 s[28:29], 0, v2
	s_and_b64 s[26:27], s[6:7], s[26:27]
	v_and_b32_e32 v17, v4, v38
	v_bfe_u32 v4, v4, v36, 2
	v_cmp_eq_u32_e64 s[22:23], v16, v30
	v_cmp_eq_u32_e64 s[30:31], 0, v3
	;; [unrolled: 1-line block ×5, first 2 shown]
	v_cndmask_b32_e64 v1, 0, 1, s[26:27]
	s_and_b64 s[26:27], s[20:21], s[28:29]
	v_cmp_eq_u32_e64 s[24:25], v17, v30
	v_cmp_eq_u32_e64 s[34:35], 0, v4
	;; [unrolled: 1-line block ×5, first 2 shown]
	v_cndmask_b32_e64 v2, 0, 1, s[26:27]
	s_and_b64 s[26:27], s[22:23], s[30:31]
	v_cmp_eq_u32_e64 s[40:41], 1, v3
	v_cmp_eq_u32_e64 s[48:49], 2, v3
	;; [unrolled: 1-line block ×3, first 2 shown]
	v_cndmask_b32_e64 v3, 0, 1, s[26:27]
	s_and_b64 s[26:27], s[24:25], s[34:35]
	v_cmp_eq_u32_e64 s[42:43], 1, v4
	v_cmp_eq_u32_e64 s[50:51], 2, v4
	;; [unrolled: 1-line block ×3, first 2 shown]
	v_cndmask_b32_e64 v4, 0, 1, s[26:27]
	s_and_b64 s[26:27], s[6:7], s[36:37]
	v_cndmask_b32_e64 v13, 0, 1, s[26:27]
	s_and_b64 s[26:27], s[20:21], s[38:39]
	v_cndmask_b32_e64 v15, 0, 1, s[26:27]
	s_and_b64 s[26:27], s[22:23], s[40:41]
	v_cndmask_b32_e64 v16, 0, 1, s[26:27]
	s_and_b64 s[26:27], s[24:25], s[42:43]
	v_cndmask_b32_e64 v17, 0, 1, s[26:27]
	s_and_b64 s[26:27], s[6:7], s[44:45]
	s_and_b64 s[6:7], s[6:7], s[52:53]
	v_cndmask_b32_e64 v18, 0, 1, s[26:27]
	s_and_b64 s[26:27], s[20:21], s[46:47]
	v_cndmask_b32_e64 v43, 0, 1, s[6:7]
	;; [unrolled: 2-line block ×7, first 2 shown]
	v_cndmask_b32_e64 v46, 0, 1, s[6:7]
	v_cmp_ne_u32_e64 s[6:7], 0, v1
	v_cmp_ne_u32_e64 s[20:21], 0, v2
	;; [unrolled: 1-line block ×11, first 2 shown]
	s_bcnt1_i32_b64 s6, s[6:7]
	s_bcnt1_i32_b64 s7, s[20:21]
	;; [unrolled: 1-line block ×8, first 2 shown]
	v_cmp_ne_u32_e64 s[34:35], 0, v17
	v_cmp_ne_u32_e64 s[40:41], 0, v41
	;; [unrolled: 1-line block ×3, first 2 shown]
	s_bcnt1_i32_b64 s23, s[28:29]
	s_bcnt1_i32_b64 s27, s[38:39]
	;; [unrolled: 1-line block ×3, first 2 shown]
	s_add_i32 s6, s19, s6
	s_add_i32 s18, s18, s22
	;; [unrolled: 1-line block ×4, first 2 shown]
	v_cmp_ne_u32_e64 s[42:43], 0, v42
	v_cmp_ne_u32_e64 s[50:51], 0, v46
	s_bcnt1_i32_b64 s25, s[34:35]
	s_bcnt1_i32_b64 s28, s[40:41]
	;; [unrolled: 1-line block ×3, first 2 shown]
	s_add_i32 s6, s6, s7
	s_add_i32 s7, s18, s23
	;; [unrolled: 1-line block ×4, first 2 shown]
	s_bcnt1_i32_b64 s29, s[42:43]
	s_bcnt1_i32_b64 s35, s[50:51]
	s_add_i32 s6, s6, s20
	s_add_i32 s7, s7, s24
	;; [unrolled: 1-line block ×8, first 2 shown]
	s_or_b64 s[64:65], vcc, s[64:65]
	v_mov_b32_e32 v1, s19
	v_mov_b32_e32 v2, s18
	;; [unrolled: 1-line block ×4, first 2 shown]
	s_andn2_b64 exec, exec, s[64:65]
	s_cbranch_execnz .LBB16_49
; %bb.50:                               ;   in Loop: Header=BB16_7 Depth=1
	s_or_b64 exec, exec, s[64:65]
	s_or_b64 exec, exec, s[94:95]
	v_mov_b32_e32 v13, 0
	s_and_saveexec_b64 s[6:7], s[12:13]
	s_cbranch_execz .LBB16_47
.LBB16_51:                              ;   in Loop: Header=BB16_7 Depth=1
	global_load_dword v13, v[10:11], off
	s_or_b64 exec, exec, s[6:7]
	s_and_saveexec_b64 s[20:21], s[14:15]
	s_cbranch_execz .LBB16_57
.LBB16_52:                              ;   in Loop: Header=BB16_7 Depth=1
	s_mov_b64 s[22:23], 0
	v_mov_b32_e32 v15, v33
	v_mov_b32_e32 v6, v27
	s_branch .LBB16_54
.LBB16_53:                              ;   in Loop: Header=BB16_54 Depth=2
	s_or_b64 exec, exec, s[6:7]
	s_waitcnt vmcnt(0)
	v_xor_b32_e32 v13, 0x80000000, v13
	v_and_b32_e32 v17, v13, v38
	v_bfe_u32 v13, v13, v36, 2
	v_cmp_eq_u32_e32 vcc, v17, v30
	v_cmp_eq_u32_e64 s[6:7], 0, v13
	s_and_b64 s[6:7], vcc, s[6:7]
	v_cndmask_b32_e64 v17, 0, 1, s[6:7]
	v_cmp_ne_u32_e64 s[6:7], 0, v17
	s_bcnt1_i32_b64 s6, s[6:7]
	v_add_u32_e32 v1, s6, v1
	v_cmp_eq_u32_e64 s[6:7], 1, v13
	s_and_b64 s[6:7], vcc, s[6:7]
	v_cndmask_b32_e64 v17, 0, 1, s[6:7]
	v_cmp_ne_u32_e64 s[6:7], 0, v17
	s_bcnt1_i32_b64 s6, s[6:7]
	v_add_u32_e32 v2, s6, v2
	;; [unrolled: 6-line block ×3, first 2 shown]
	v_cmp_eq_u32_e64 s[6:7], 3, v13
	s_and_b64 s[6:7], vcc, s[6:7]
	v_cndmask_b32_e64 v13, 0, 1, s[6:7]
	v_cmp_ne_u32_e32 vcc, 0, v13
	s_bcnt1_i32_b64 s6, vcc
	v_cmp_le_i32_e32 vcc, s60, v6
	v_add_u32_e32 v4, s6, v4
	v_add_u32_e32 v15, s74, v15
	s_or_b64 s[22:23], vcc, s[22:23]
	v_mov_b32_e32 v13, v16
	s_andn2_b64 exec, exec, s[22:23]
	s_cbranch_execz .LBB16_56
.LBB16_54:                              ;   Parent Loop BB16_7 Depth=1
                                        ; =>  This Inner Loop Header: Depth=2
	v_add_u32_e32 v6, s66, v6
	v_cmp_gt_u32_e32 vcc, s60, v6
	v_mov_b32_e32 v16, 0
	s_and_saveexec_b64 s[6:7], vcc
	s_cbranch_execz .LBB16_53
; %bb.55:                               ;   in Loop: Header=BB16_54 Depth=2
	v_ashrrev_i32_e32 v16, 31, v15
	v_lshlrev_b64 v[16:17], 2, v[15:16]
	v_mov_b32_e32 v18, s67
	v_add_co_u32_e32 v16, vcc, s62, v16
	v_addc_co_u32_e32 v17, vcc, v18, v17, vcc
	global_load_dword v16, v[16:17], off
	s_branch .LBB16_53
.LBB16_56:                              ;   in Loop: Header=BB16_7 Depth=1
	s_or_b64 exec, exec, s[22:23]
.LBB16_57:                              ;   in Loop: Header=BB16_7 Depth=1
	s_or_b64 exec, exec, s[20:21]
	s_branch .LBB16_37
.LBB16_58:                              ;   in Loop: Header=BB16_7 Depth=1
	s_mul_hi_u32 s6, s17, s9
	s_mul_i32 s6, s6, s33
	s_sub_i32 s6, s17, s6
	s_sub_i32 s7, s6, s33
	s_cmp_ge_u32 s6, s33
	s_cselect_b32 s6, s7, s6
	s_sub_i32 s7, s6, s33
	s_cmp_ge_u32 s6, s33
	s_cselect_b32 s6, s7, s6
	s_sub_i32 s18, s17, s6
	v_cmp_gt_u32_e32 vcc, s18, v19
	v_mov_b32_e32 v1, 0
	v_mov_b32_e32 v2, 0
	;; [unrolled: 1-line block ×4, first 2 shown]
	s_and_saveexec_b64 s[64:65], vcc
	s_cbranch_execz .LBB16_62
; %bb.59:                               ;   in Loop: Header=BB16_7 Depth=1
	s_mov_b32 s19, 0
	s_mov_b64 s[94:95], 0
	v_mov_b32_e32 v6, v34
	s_mov_b32 s61, 0
	s_mov_b32 s75, 0
	;; [unrolled: 1-line block ×3, first 2 shown]
	s_waitcnt vmcnt(0)
	v_mov_b32_e32 v13, v19
.LBB16_60:                              ;   Parent Loop BB16_7 Depth=1
                                        ; =>  This Inner Loop Header: Depth=2
	ds_read_b128 v[1:4], v6
	v_add_u32_e32 v13, s33, v13
	v_cmp_le_i32_e32 vcc, s18, v13
	v_add_u32_e32 v6, s16, v6
	s_waitcnt lgkmcnt(0)
	v_xor_b32_e32 v1, 0x80000000, v1
	v_xor_b32_e32 v2, 0x80000000, v2
	v_and_b32_e32 v15, v1, v38
	v_bfe_u32 v1, v1, v36, 2
	v_xor_b32_e32 v3, 0x80000000, v3
	v_and_b32_e32 v16, v2, v38
	v_bfe_u32 v2, v2, v36, 2
	v_cmp_eq_u32_e64 s[6:7], v15, v30
	v_cmp_eq_u32_e64 s[26:27], 0, v1
	v_xor_b32_e32 v4, 0x80000000, v4
	v_and_b32_e32 v17, v3, v38
	v_bfe_u32 v3, v3, v36, 2
	v_cmp_eq_u32_e64 s[20:21], v16, v30
	v_cmp_eq_u32_e64 s[28:29], 0, v2
	s_and_b64 s[26:27], s[6:7], s[26:27]
	v_and_b32_e32 v18, v4, v38
	v_bfe_u32 v4, v4, v36, 2
	v_cmp_eq_u32_e64 s[22:23], v17, v30
	v_cmp_eq_u32_e64 s[30:31], 0, v3
	;; [unrolled: 1-line block ×5, first 2 shown]
	v_cndmask_b32_e64 v1, 0, 1, s[26:27]
	s_and_b64 s[26:27], s[20:21], s[28:29]
	v_cmp_eq_u32_e64 s[24:25], v18, v30
	v_cmp_eq_u32_e64 s[34:35], 0, v4
	;; [unrolled: 1-line block ×5, first 2 shown]
	v_cndmask_b32_e64 v2, 0, 1, s[26:27]
	s_and_b64 s[26:27], s[22:23], s[30:31]
	v_cmp_eq_u32_e64 s[40:41], 1, v3
	v_cmp_eq_u32_e64 s[48:49], 2, v3
	;; [unrolled: 1-line block ×3, first 2 shown]
	v_cndmask_b32_e64 v3, 0, 1, s[26:27]
	s_and_b64 s[26:27], s[24:25], s[34:35]
	v_cmp_eq_u32_e64 s[42:43], 1, v4
	v_cmp_eq_u32_e64 s[50:51], 2, v4
	;; [unrolled: 1-line block ×3, first 2 shown]
	v_cndmask_b32_e64 v4, 0, 1, s[26:27]
	s_and_b64 s[26:27], s[6:7], s[36:37]
	v_cndmask_b32_e64 v15, 0, 1, s[26:27]
	s_and_b64 s[26:27], s[20:21], s[38:39]
	v_cndmask_b32_e64 v16, 0, 1, s[26:27]
	s_and_b64 s[26:27], s[22:23], s[40:41]
	v_cndmask_b32_e64 v17, 0, 1, s[26:27]
	s_and_b64 s[26:27], s[24:25], s[42:43]
	v_cndmask_b32_e64 v18, 0, 1, s[26:27]
	s_and_b64 s[26:27], s[6:7], s[44:45]
	s_and_b64 s[6:7], s[6:7], s[52:53]
	v_cndmask_b32_e64 v40, 0, 1, s[26:27]
	s_and_b64 s[26:27], s[20:21], s[46:47]
	v_cndmask_b32_e64 v44, 0, 1, s[6:7]
	;; [unrolled: 2-line block ×7, first 2 shown]
	v_cndmask_b32_e64 v47, 0, 1, s[6:7]
	v_cmp_ne_u32_e64 s[6:7], 0, v1
	v_cmp_ne_u32_e64 s[20:21], 0, v2
	;; [unrolled: 1-line block ×11, first 2 shown]
	s_bcnt1_i32_b64 s6, s[6:7]
	s_bcnt1_i32_b64 s7, s[20:21]
	;; [unrolled: 1-line block ×8, first 2 shown]
	v_cmp_ne_u32_e64 s[34:35], 0, v18
	v_cmp_ne_u32_e64 s[40:41], 0, v42
	;; [unrolled: 1-line block ×3, first 2 shown]
	s_bcnt1_i32_b64 s23, s[28:29]
	s_bcnt1_i32_b64 s27, s[38:39]
	;; [unrolled: 1-line block ×3, first 2 shown]
	s_add_i32 s6, s77, s6
	s_add_i32 s22, s75, s22
	s_add_i32 s26, s61, s26
	s_add_i32 s19, s19, s30
	v_cmp_ne_u32_e64 s[42:43], 0, v43
	v_cmp_ne_u32_e64 s[50:51], 0, v47
	s_bcnt1_i32_b64 s25, s[34:35]
	s_bcnt1_i32_b64 s28, s[40:41]
	;; [unrolled: 1-line block ×3, first 2 shown]
	s_add_i32 s6, s6, s7
	s_add_i32 s7, s22, s23
	;; [unrolled: 1-line block ×4, first 2 shown]
	s_bcnt1_i32_b64 s29, s[42:43]
	s_bcnt1_i32_b64 s35, s[50:51]
	s_add_i32 s6, s6, s20
	s_add_i32 s7, s7, s24
	s_add_i32 s20, s22, s28
	s_add_i32 s19, s19, s34
	s_add_i32 s77, s6, s21
	s_add_i32 s75, s7, s25
	s_add_i32 s61, s20, s29
	s_add_i32 s19, s19, s35
	s_or_b64 s[94:95], vcc, s[94:95]
	v_mov_b32_e32 v1, s77
	v_mov_b32_e32 v2, s75
	;; [unrolled: 1-line block ×4, first 2 shown]
	s_andn2_b64 exec, exec, s[94:95]
	s_cbranch_execnz .LBB16_60
; %bb.61:                               ;   in Loop: Header=BB16_7 Depth=1
	s_or_b64 exec, exec, s[94:95]
.LBB16_62:                              ;   in Loop: Header=BB16_7 Depth=1
	s_or_b64 exec, exec, s[64:65]
	v_add_u32_e32 v6, s18, v0
	v_cmp_gt_i32_e32 vcc, s17, v6
	s_and_saveexec_b64 s[28:29], vcc
	s_cbranch_execz .LBB16_66
; %bb.63:                               ;   in Loop: Header=BB16_7 Depth=1
	s_waitcnt vmcnt(0)
	v_lshlrev_b32_e32 v13, 2, v6
	s_mov_b64 s[30:31], 0
.LBB16_64:                              ;   Parent Loop BB16_7 Depth=1
                                        ; =>  This Inner Loop Header: Depth=2
	ds_read_b32 v15, v13
	v_add_u32_e32 v6, s66, v6
	v_cmp_le_i32_e32 vcc, s17, v6
	v_add_u32_e32 v13, s33, v13
	s_waitcnt lgkmcnt(0)
	v_xor_b32_e32 v15, 0x80000000, v15
	v_and_b32_e32 v16, v15, v38
	v_bfe_u32 v15, v15, v36, 2
	v_cmp_eq_u32_e64 s[6:7], v16, v30
	v_cmp_eq_u32_e64 s[20:21], 0, v15
	v_cmp_eq_u32_e64 s[22:23], 1, v15
	s_and_b64 s[18:19], s[6:7], s[20:21]
	v_cmp_eq_u32_e64 s[24:25], 2, v15
	v_cmp_eq_u32_e64 s[26:27], 3, v15
	v_cndmask_b32_e64 v15, 0, 1, s[18:19]
	s_and_b64 s[18:19], s[6:7], s[22:23]
	v_cndmask_b32_e64 v16, 0, 1, s[18:19]
	s_and_b64 s[18:19], s[6:7], s[24:25]
	s_and_b64 s[6:7], s[6:7], s[26:27]
	v_cndmask_b32_e64 v17, 0, 1, s[18:19]
	v_cndmask_b32_e64 v18, 0, 1, s[6:7]
	v_cmp_ne_u32_e64 s[6:7], 0, v15
	v_cmp_ne_u32_e64 s[20:21], 0, v16
	;; [unrolled: 1-line block ×4, first 2 shown]
	s_bcnt1_i32_b64 s6, s[6:7]
	s_bcnt1_i32_b64 s7, s[20:21]
	;; [unrolled: 1-line block ×4, first 2 shown]
	v_add_u32_e32 v1, s6, v1
	v_add_u32_e32 v2, s7, v2
	;; [unrolled: 1-line block ×3, first 2 shown]
	s_or_b64 s[30:31], vcc, s[30:31]
	v_add_u32_e32 v4, s19, v4
	s_andn2_b64 exec, exec, s[30:31]
	s_cbranch_execnz .LBB16_64
; %bb.65:                               ;   in Loop: Header=BB16_7 Depth=1
	s_or_b64 exec, exec, s[30:31]
.LBB16_66:                              ;   in Loop: Header=BB16_7 Depth=1
	s_or_b64 exec, exec, s[28:29]
	v_lshlrev_b32_e32 v6, 6, v37
	s_and_saveexec_b64 s[6:7], s[2:3]
	s_cbranch_execnz .LBB16_38
	s_branch .LBB16_39
.LBB16_67:                              ;   in Loop: Header=BB16_7 Depth=1
	s_or_b64 exec, exec, s[22:23]
	s_waitcnt lgkmcnt(0)
	s_barrier
	s_and_saveexec_b64 s[6:7], s[0:1]
	s_cbranch_execz .LBB16_69
; %bb.68:                               ;   in Loop: Header=BB16_7 Depth=1
	ds_read_b32 v1, v7 offset:4104
	s_waitcnt lgkmcnt(0)
	ds_write_b32 v7, v1 offset:4096
.LBB16_69:                              ;   in Loop: Header=BB16_7 Depth=1
	s_or_b64 exec, exec, s[6:7]
	s_waitcnt lgkmcnt(0)
	s_barrier
	s_mov_b64 s[6:7], -1
	s_and_b64 vcc, exec, s[20:21]
	s_cbranch_vccnz .LBB16_23
	s_branch .LBB16_33
.LBB16_70:                              ;   in Loop: Header=BB16_7 Depth=1
	v_mov_b32_e32 v1, 0
	s_mov_b32 s17, 0
.LBB16_71:                              ;   in Loop: Header=BB16_7 Depth=1
	v_readlane_b32 s18, v48, 17
	v_readlane_b32 s19, v48, 18
	s_andn2_b64 vcc, exec, s[18:19]
	s_cbranch_vccnz .LBB16_74
; %bb.72:                               ;   in Loop: Header=BB16_7 Depth=1
	v_lshlrev_b32_e32 v2, 8, v37
	s_lshl_b32 s17, s17, 4
	v_add_u32_e32 v2, s17, v2
	v_add_u32_e32 v2, v35, v2
	v_readlane_b32 s17, v48, 16
.LBB16_73:                              ;   Parent Loop BB16_7 Depth=1
                                        ; =>  This Inner Loop Header: Depth=2
	ds_read_b32 v3, v2
	s_add_i32 s17, s17, -1
	v_add_u32_e32 v2, 16, v2
	s_cmp_lg_u32 s17, 0
	s_waitcnt lgkmcnt(0)
	v_add_u32_e32 v1, v3, v1
	s_cbranch_scc1 .LBB16_73
.LBB16_74:                              ;   in Loop: Header=BB16_7 Depth=1
	v_add_lshl_u32 v2, v6, v20, 2
	ds_write_b32 v2, v1 offset:3072
.LBB16_75:                              ;   in Loop: Header=BB16_7 Depth=1
	s_or_b64 exec, exec, s[6:7]
	v_lshlrev_b32_e32 v1, 2, v6
	s_waitcnt lgkmcnt(0)
	s_barrier
	ds_read_b128 v[1:4], v1 offset:3072
	v_cmp_eq_u32_e32 vcc, 1, v39
	s_mov_b64 s[20:21], -1
	s_mov_b64 s[28:29], -1
                                        ; implicit-def: $sgpr26_sgpr27
                                        ; implicit-def: $sgpr24_sgpr25
	s_waitcnt lgkmcnt(0)
	v_readfirstlane_b32 s42, v1
	s_cmp_eq_u32 s42, 1
	v_readfirstlane_b32 s54, v3
	v_lshlrev_b32_e64 v3, v36, 3
	s_cselect_b64 s[6:7], -1, 0
	v_readfirstlane_b32 s46, v2
	v_readfirstlane_b32 s17, v4
	v_not_b32_e32 v6, v3
	s_and_b64 s[22:23], s[6:7], vcc
	s_and_saveexec_b64 s[6:7], s[22:23]
	s_cbranch_execz .LBB16_101
; %bb.76:                               ;   in Loop: Header=BB16_7 Depth=1
	ds_read_b32 v1, v7 offset:4096
	s_waitcnt lgkmcnt(0)
	s_barrier
	v_readfirstlane_b32 s18, v1
	s_and_saveexec_b64 s[24:25], s[4:5]
; %bb.77:                               ;   in Loop: Header=BB16_7 Depth=1
	ds_write_b32 v21, v7
; %bb.78:                               ;   in Loop: Header=BB16_7 Depth=1
	s_or_b64 exec, exec, s[24:25]
	v_and_b32_e32 v30, v30, v6
	v_or_b32_e32 v38, v38, v3
	s_mov_b64 s[24:25], -1
	s_mov_b64 s[26:27], 0
	s_cmp_lt_i32 s18, 1
	s_mov_b64 s[28:29], 0
	s_mov_b64 s[30:31], -1
	s_waitcnt lgkmcnt(0)
	s_barrier
                                        ; implicit-def: $vgpr14
	s_cbranch_scc0 .LBB16_89
; %bb.79:                               ;   in Loop: Header=BB16_7 Depth=1
	s_mov_b64 s[30:31], 0
                                        ; implicit-def: $vgpr14
	s_mov_b64 s[34:35], exec
	v_readlane_b32 s36, v48, 20
	v_readlane_b32 s37, v48, 21
	s_and_b64 s[36:37], s[34:35], s[36:37]
	s_mov_b64 exec, s[36:37]
	s_cbranch_execz .LBB16_88
; %bb.80:                               ;   in Loop: Header=BB16_7 Depth=1
	v_mov_b32_e32 v1, v5
	v_mov_b32_e32 v4, v0
                                        ; implicit-def: $sgpr36_sgpr37
	s_branch .LBB16_83
.LBB16_81:                              ;   in Loop: Header=BB16_83 Depth=2
	s_or_b64 exec, exec, s[38:39]
	s_waitcnt lgkmcnt(0)
	s_barrier
	ds_read_b64 v[13:14], v7 offset:3072
	s_mov_b64 s[38:39], -1
	s_mov_b64 s[40:41], -1
	s_waitcnt lgkmcnt(0)
	s_barrier
	v_cmp_ne_u32_e32 vcc, 0, v13
	s_cbranch_vccz .LBB16_86
.LBB16_82:                              ;   in Loop: Header=BB16_83 Depth=2
	s_and_b64 s[38:39], exec, s[38:39]
	s_or_b64 s[28:29], s[38:39], s[28:29]
	s_andn2_b64 s[36:37], s[36:37], exec
	s_and_b64 s[38:39], s[40:41], exec
	s_or_b64 s[36:37], s[36:37], s[38:39]
	s_andn2_b64 exec, exec, s[28:29]
	s_cbranch_execz .LBB16_87
.LBB16_83:                              ;   Parent Loop BB16_7 Depth=1
                                        ; =>  This Inner Loop Header: Depth=2
	v_cmp_gt_i32_e32 vcc, s60, v4
	s_and_saveexec_b64 s[38:39], vcc
	s_cbranch_execz .LBB16_81
; %bb.84:                               ;   in Loop: Header=BB16_83 Depth=2
	v_ashrrev_i32_e32 v2, 31, v1
	v_lshlrev_b64 v[13:14], 2, v[1:2]
	v_mov_b32_e32 v2, s67
	v_add_co_u32_e32 v13, vcc, s62, v13
	v_addc_co_u32_e32 v14, vcc, v2, v14, vcc
	global_load_dword v13, v[13:14], off
	s_waitcnt vmcnt(0)
	v_xor_b32_e32 v2, 0x80000000, v13
	v_and_b32_e32 v2, v2, v38
	v_cmp_eq_u32_e32 vcc, v2, v30
	s_and_b64 exec, exec, vcc
	s_cbranch_execz .LBB16_81
; %bb.85:                               ;   in Loop: Header=BB16_83 Depth=2
	ds_write_b64 v7, v[12:13] offset:3072
	s_branch .LBB16_81
.LBB16_86:                              ;   in Loop: Header=BB16_83 Depth=2
	v_add_u32_e32 v4, s66, v4
	v_cmp_le_i32_e32 vcc, s78, v4
	v_add_u32_e32 v1, s74, v1
	s_mov_b64 s[40:41], 0
	s_orn2_b64 s[38:39], vcc, exec
	s_branch .LBB16_82
.LBB16_87:                              ;   in Loop: Header=BB16_7 Depth=1
	s_or_b64 exec, exec, s[28:29]
	s_and_b64 s[28:29], s[36:37], exec
.LBB16_88:                              ;   in Loop: Header=BB16_7 Depth=1
	s_or_b64 exec, exec, s[34:35]
.LBB16_89:                              ;   in Loop: Header=BB16_7 Depth=1
	s_and_b64 vcc, exec, s[30:31]
	s_cbranch_vccz .LBB16_100
; %bb.90:                               ;   in Loop: Header=BB16_7 Depth=1
	v_readlane_b32 s19, v48, 7
	s_add_i32 s19, s18, s19
	s_abs_i32 s25, s19
	v_readlane_b32 s26, v48, 19
	s_mul_hi_u32 s26, s25, s26
	s_mul_i32 s26, s26, s66
	s_sub_i32 s25, s25, s26
	s_ashr_i32 s24, s19, 31
	s_sub_i32 s26, s25, s66
	s_cmp_ge_u32 s25, s66
	s_cselect_b32 s25, s26, s25
	s_sub_i32 s26, s25, s66
	s_cmp_ge_u32 s25, s66
	s_cselect_b32 s25, s26, s25
	s_xor_b32 s25, s25, s24
	s_sub_i32 s24, s24, s25
	s_add_i32 s19, s19, s24
	v_cmp_gt_i32_e32 vcc, s19, v0
                                        ; implicit-def: $vgpr14
	s_and_saveexec_b64 s[24:25], vcc
	s_cbranch_execz .LBB16_99
; %bb.91:                               ;   in Loop: Header=BB16_7 Depth=1
	s_mov_b64 s[26:27], 0
	v_mov_b32_e32 v1, v19
	v_mov_b32_e32 v2, v0
                                        ; implicit-def: $sgpr30_sgpr31
	s_branch .LBB16_94
.LBB16_92:                              ;   in Loop: Header=BB16_94 Depth=2
	s_or_b64 exec, exec, s[34:35]
	s_waitcnt lgkmcnt(0)
	s_barrier
	ds_read_b64 v[13:14], v7 offset:3072
	s_mov_b64 s[34:35], -1
	s_mov_b64 s[36:37], -1
	s_waitcnt lgkmcnt(0)
	s_barrier
	v_cmp_ne_u32_e32 vcc, 0, v13
	s_cbranch_vccz .LBB16_97
.LBB16_93:                              ;   in Loop: Header=BB16_94 Depth=2
	s_and_b64 s[34:35], exec, s[34:35]
	s_or_b64 s[26:27], s[34:35], s[26:27]
	s_andn2_b64 s[30:31], s[30:31], exec
	s_and_b64 s[34:35], s[36:37], exec
	s_or_b64 s[30:31], s[30:31], s[34:35]
	s_andn2_b64 exec, exec, s[26:27]
	s_cbranch_execz .LBB16_98
.LBB16_94:                              ;   Parent Loop BB16_7 Depth=1
                                        ; =>  This Inner Loop Header: Depth=2
	v_cmp_gt_i32_e32 vcc, s18, v2
	s_and_saveexec_b64 s[34:35], vcc
	s_cbranch_execz .LBB16_92
; %bb.95:                               ;   in Loop: Header=BB16_94 Depth=2
	ds_read_b32 v13, v1
	s_waitcnt lgkmcnt(0)
	v_xor_b32_e32 v4, 0x80000000, v13
	v_and_b32_e32 v4, v4, v38
	v_cmp_eq_u32_e32 vcc, v4, v30
	s_and_b64 exec, exec, vcc
	s_cbranch_execz .LBB16_92
; %bb.96:                               ;   in Loop: Header=BB16_94 Depth=2
	ds_write_b64 v7, v[12:13] offset:3072
	s_branch .LBB16_92
.LBB16_97:                              ;   in Loop: Header=BB16_94 Depth=2
	v_add_u32_e32 v2, s66, v2
	v_cmp_le_i32_e32 vcc, s19, v2
	v_add_u32_e32 v1, s33, v1
	s_mov_b64 s[36:37], 0
	s_orn2_b64 s[34:35], vcc, exec
	s_branch .LBB16_93
.LBB16_98:                              ;   in Loop: Header=BB16_7 Depth=1
	s_or_b64 exec, exec, s[26:27]
	s_andn2_b64 s[18:19], s[28:29], exec
	s_and_b64 s[26:27], s[30:31], exec
	s_or_b64 s[28:29], s[18:19], s[26:27]
.LBB16_99:                              ;   in Loop: Header=BB16_7 Depth=1
	s_or_b64 exec, exec, s[24:25]
	s_mov_b64 s[24:25], 0
	s_mov_b64 s[26:27], -1
.LBB16_100:                             ;   in Loop: Header=BB16_7 Depth=1
	s_orn2_b64 s[28:29], s[28:29], exec
.LBB16_101:                             ;   in Loop: Header=BB16_7 Depth=1
	s_or_b64 exec, exec, s[6:7]
	s_andn2_b64 s[6:7], s[92:93], exec
	s_and_b64 s[18:19], s[26:27], exec
	s_or_b64 s[92:93], s[6:7], s[18:19]
	s_andn2_b64 s[6:7], s[90:91], exec
	s_and_b64 s[18:19], s[24:25], exec
	s_andn2_b64 s[88:89], s[88:89], exec
	s_or_b64 s[90:91], s[6:7], s[18:19]
                                        ; implicit-def: $vgpr15
	s_and_saveexec_b64 s[6:7], s[28:29]
	s_cbranch_execz .LBB16_6
; %bb.102:                              ;   in Loop: Header=BB16_7 Depth=1
	s_xor_b64 s[18:19], s[22:23], -1
	s_mov_b64 s[22:23], 0
	v_mov_b32_e32 v15, 1
	v_mov_b32_e32 v4, 1
	s_and_saveexec_b64 s[20:21], s[18:19]
	s_cbranch_execz .LBB16_111
; %bb.103:                              ;   in Loop: Header=BB16_7 Depth=1
	v_cmp_ge_i32_e32 vcc, s42, v39
	s_and_saveexec_b64 s[18:19], vcc
	s_xor_b64 s[22:23], exec, s[18:19]
	s_cbranch_execz .LBB16_108
; %bb.104:                              ;   in Loop: Header=BB16_7 Depth=1
	ds_read_b32 v1, v7 offset:4096
	v_and_b32_e32 v30, v30, v6
	v_or_b32_e32 v38, v38, v3
	s_waitcnt lgkmcnt(0)
	v_cmp_ne_u32_e32 vcc, 0, v1
	s_cbranch_vccnz .LBB16_108
; %bb.105:                              ;   in Loop: Header=BB16_7 Depth=1
	s_and_saveexec_b64 s[24:25], s[0:1]
; %bb.106:                              ;   in Loop: Header=BB16_7 Depth=1
	v_mov_b32_e32 v1, s42
	ds_write_b32 v7, v1 offset:4100
; %bb.107:                              ;   in Loop: Header=BB16_7 Depth=1
	s_or_b64 exec, exec, s[24:25]
	s_waitcnt lgkmcnt(0)
	s_barrier
.LBB16_108:                             ;   in Loop: Header=BB16_7 Depth=1
	s_or_saveexec_b64 s[22:23], s[22:23]
	s_mov_b64 s[24:25], 0
	v_mov_b32_e32 v4, 8
	s_xor_b64 exec, exec, s[22:23]
; %bb.109:                              ;   in Loop: Header=BB16_7 Depth=1
	s_mov_b64 s[24:25], exec
	v_subrev_u32_e32 v39, s42, v39
	v_mov_b32_e32 v4, 0
; %bb.110:                              ;   in Loop: Header=BB16_7 Depth=1
	s_or_b64 exec, exec, s[22:23]
	s_and_b64 s[22:23], s[24:25], exec
	v_mov_b32_e32 v15, v39
.LBB16_111:                             ;   in Loop: Header=BB16_7 Depth=1
	s_or_b64 exec, exec, s[20:21]
	s_mov_b64 s[20:21], -1
	s_mov_b64 s[28:29], -1
                                        ; implicit-def: $sgpr24_sgpr25
                                        ; implicit-def: $sgpr26_sgpr27
	s_and_saveexec_b64 s[18:19], s[22:23]
	s_xor_b64 s[22:23], exec, s[18:19]
	s_cbranch_execz .LBB16_228
; %bb.112:                              ;   in Loop: Header=BB16_7 Depth=1
	s_cmp_eq_u32 s46, 1
	s_cselect_b64 s[18:19], -1, 0
	v_cmp_eq_u32_e32 vcc, 1, v15
	s_and_b64 s[30:31], s[18:19], vcc
	s_mov_b64 s[34:35], -1
                                        ; implicit-def: $sgpr26_sgpr27
                                        ; implicit-def: $sgpr24_sgpr25
	s_and_saveexec_b64 s[28:29], s[30:31]
	s_cbranch_execz .LBB16_138
; %bb.113:                              ;   in Loop: Header=BB16_7 Depth=1
	ds_read_b32 v1, v7 offset:4096
	s_waitcnt lgkmcnt(0)
	s_barrier
	v_readfirstlane_b32 s18, v1
	s_and_saveexec_b64 s[24:25], s[4:5]
; %bb.114:                              ;   in Loop: Header=BB16_7 Depth=1
	ds_write_b32 v21, v7
; %bb.115:                              ;   in Loop: Header=BB16_7 Depth=1
	s_or_b64 exec, exec, s[24:25]
	v_and_b32_e32 v1, v30, v6
	v_lshl_or_b32 v30, 1, v36, v1
	v_or_b32_e32 v38, v38, v3
	s_mov_b64 s[24:25], -1
	s_mov_b64 s[26:27], 0
	s_cmp_gt_i32 s18, 0
	s_mov_b64 s[34:35], 0
	s_mov_b64 s[36:37], -1
	s_waitcnt lgkmcnt(0)
	s_barrier
                                        ; implicit-def: $vgpr14
	s_cbranch_scc1 .LBB16_126
; %bb.116:                              ;   in Loop: Header=BB16_7 Depth=1
	s_mov_b64 s[36:37], 0
                                        ; implicit-def: $vgpr14
	s_mov_b64 s[38:39], exec
	v_readlane_b32 s40, v48, 20
	v_readlane_b32 s41, v48, 21
	s_and_b64 s[40:41], s[38:39], s[40:41]
	s_mov_b64 exec, s[40:41]
	s_cbranch_execz .LBB16_125
; %bb.117:                              ;   in Loop: Header=BB16_7 Depth=1
	v_mov_b32_e32 v1, v5
	v_mov_b32_e32 v16, v0
                                        ; implicit-def: $sgpr40_sgpr41
	s_branch .LBB16_120
.LBB16_118:                             ;   in Loop: Header=BB16_120 Depth=2
	s_or_b64 exec, exec, s[42:43]
	s_waitcnt lgkmcnt(0)
	s_barrier
	ds_read_b64 v[13:14], v7 offset:3072
	s_mov_b64 s[42:43], -1
	s_mov_b64 s[44:45], -1
	s_waitcnt lgkmcnt(0)
	s_barrier
	v_cmp_ne_u32_e32 vcc, 0, v13
	s_cbranch_vccz .LBB16_123
.LBB16_119:                             ;   in Loop: Header=BB16_120 Depth=2
	s_and_b64 s[42:43], exec, s[42:43]
	s_or_b64 s[34:35], s[42:43], s[34:35]
	s_andn2_b64 s[40:41], s[40:41], exec
	s_and_b64 s[42:43], s[44:45], exec
	s_or_b64 s[40:41], s[40:41], s[42:43]
	s_andn2_b64 exec, exec, s[34:35]
	s_cbranch_execz .LBB16_124
.LBB16_120:                             ;   Parent Loop BB16_7 Depth=1
                                        ; =>  This Inner Loop Header: Depth=2
	v_cmp_gt_i32_e32 vcc, s60, v16
	s_and_saveexec_b64 s[42:43], vcc
	s_cbranch_execz .LBB16_118
; %bb.121:                              ;   in Loop: Header=BB16_120 Depth=2
	v_ashrrev_i32_e32 v2, 31, v1
	v_lshlrev_b64 v[13:14], 2, v[1:2]
	v_mov_b32_e32 v2, s67
	v_add_co_u32_e32 v13, vcc, s62, v13
	v_addc_co_u32_e32 v14, vcc, v2, v14, vcc
	global_load_dword v13, v[13:14], off
	s_waitcnt vmcnt(0)
	v_xor_b32_e32 v2, 0x80000000, v13
	v_and_b32_e32 v2, v2, v38
	v_cmp_eq_u32_e32 vcc, v2, v30
	s_and_b64 exec, exec, vcc
	s_cbranch_execz .LBB16_118
; %bb.122:                              ;   in Loop: Header=BB16_120 Depth=2
	ds_write_b64 v7, v[12:13] offset:3072
	s_branch .LBB16_118
.LBB16_123:                             ;   in Loop: Header=BB16_120 Depth=2
	v_add_u32_e32 v16, s66, v16
	v_cmp_le_i32_e32 vcc, s78, v16
	v_add_u32_e32 v1, s74, v1
	s_mov_b64 s[44:45], 0
	s_orn2_b64 s[42:43], vcc, exec
	s_branch .LBB16_119
.LBB16_124:                             ;   in Loop: Header=BB16_7 Depth=1
	s_or_b64 exec, exec, s[34:35]
	s_and_b64 s[34:35], s[40:41], exec
.LBB16_125:                             ;   in Loop: Header=BB16_7 Depth=1
	s_or_b64 exec, exec, s[38:39]
.LBB16_126:                             ;   in Loop: Header=BB16_7 Depth=1
	s_and_b64 vcc, exec, s[36:37]
	s_cbranch_vccz .LBB16_137
; %bb.127:                              ;   in Loop: Header=BB16_7 Depth=1
	v_readlane_b32 s19, v48, 7
	s_add_i32 s19, s18, s19
	s_abs_i32 s25, s19
	v_readlane_b32 s26, v48, 19
	s_mul_hi_u32 s26, s25, s26
	s_mul_i32 s26, s26, s66
	s_sub_i32 s25, s25, s26
	s_ashr_i32 s24, s19, 31
	s_sub_i32 s26, s25, s66
	s_cmp_ge_u32 s25, s66
	s_cselect_b32 s25, s26, s25
	s_sub_i32 s26, s25, s66
	s_cmp_ge_u32 s25, s66
	s_cselect_b32 s25, s26, s25
	s_xor_b32 s25, s25, s24
	s_sub_i32 s24, s24, s25
	s_add_i32 s19, s19, s24
	v_cmp_gt_i32_e32 vcc, s19, v0
                                        ; implicit-def: $vgpr14
	s_and_saveexec_b64 s[24:25], vcc
	s_cbranch_execz .LBB16_136
; %bb.128:                              ;   in Loop: Header=BB16_7 Depth=1
	s_mov_b64 s[26:27], 0
	v_mov_b32_e32 v1, v19
	v_mov_b32_e32 v2, v0
                                        ; implicit-def: $sgpr36_sgpr37
	s_branch .LBB16_131
.LBB16_129:                             ;   in Loop: Header=BB16_131 Depth=2
	s_or_b64 exec, exec, s[38:39]
	s_waitcnt lgkmcnt(0)
	s_barrier
	ds_read_b64 v[13:14], v7 offset:3072
	s_mov_b64 s[38:39], -1
	s_mov_b64 s[40:41], -1
	s_waitcnt lgkmcnt(0)
	s_barrier
	v_cmp_eq_u32_e32 vcc, 0, v13
	s_cbranch_vccnz .LBB16_134
.LBB16_130:                             ;   in Loop: Header=BB16_131 Depth=2
	s_and_b64 s[38:39], exec, s[38:39]
	s_or_b64 s[26:27], s[38:39], s[26:27]
	s_andn2_b64 s[36:37], s[36:37], exec
	s_and_b64 s[38:39], s[40:41], exec
	s_or_b64 s[36:37], s[36:37], s[38:39]
	s_andn2_b64 exec, exec, s[26:27]
	s_cbranch_execz .LBB16_135
.LBB16_131:                             ;   Parent Loop BB16_7 Depth=1
                                        ; =>  This Inner Loop Header: Depth=2
	v_cmp_gt_i32_e32 vcc, s18, v2
	s_and_saveexec_b64 s[38:39], vcc
	s_cbranch_execz .LBB16_129
; %bb.132:                              ;   in Loop: Header=BB16_131 Depth=2
	ds_read_b32 v13, v1
	s_waitcnt lgkmcnt(0)
	v_xor_b32_e32 v14, 0x80000000, v13
	v_and_b32_e32 v14, v14, v38
	v_cmp_eq_u32_e32 vcc, v14, v30
	s_and_b64 exec, exec, vcc
	s_cbranch_execz .LBB16_129
; %bb.133:                              ;   in Loop: Header=BB16_131 Depth=2
	ds_write_b64 v7, v[12:13] offset:3072
	s_branch .LBB16_129
.LBB16_134:                             ;   in Loop: Header=BB16_131 Depth=2
	v_add_u32_e32 v2, s66, v2
	v_cmp_le_i32_e32 vcc, s19, v2
	v_add_u32_e32 v1, s33, v1
	s_mov_b64 s[40:41], 0
	s_orn2_b64 s[38:39], vcc, exec
	s_branch .LBB16_130
.LBB16_135:                             ;   in Loop: Header=BB16_7 Depth=1
	s_or_b64 exec, exec, s[26:27]
	s_andn2_b64 s[18:19], s[34:35], exec
	s_and_b64 s[26:27], s[36:37], exec
	s_or_b64 s[34:35], s[18:19], s[26:27]
.LBB16_136:                             ;   in Loop: Header=BB16_7 Depth=1
	s_or_b64 exec, exec, s[24:25]
	s_mov_b64 s[24:25], 0
	s_mov_b64 s[26:27], -1
.LBB16_137:                             ;   in Loop: Header=BB16_7 Depth=1
	s_orn2_b64 s[34:35], s[34:35], exec
.LBB16_138:                             ;   in Loop: Header=BB16_7 Depth=1
	s_or_b64 exec, exec, s[28:29]
	s_mov_b64 s[36:37], 0
	s_and_saveexec_b64 s[28:29], s[34:35]
	s_cbranch_execz .LBB16_227
; %bb.139:                              ;   in Loop: Header=BB16_7 Depth=1
	s_xor_b64 s[18:19], s[30:31], -1
	s_mov_b64 s[40:41], 0
	v_mov_b32_e32 v16, 1
	v_mov_b32_e32 v4, 1
	s_and_saveexec_b64 s[30:31], s[18:19]
	s_cbranch_execz .LBB16_148
; %bb.140:                              ;   in Loop: Header=BB16_7 Depth=1
	v_cmp_ge_i32_e32 vcc, s46, v15
	s_and_saveexec_b64 s[18:19], vcc
	s_xor_b64 s[34:35], exec, s[18:19]
	s_cbranch_execz .LBB16_145
; %bb.141:                              ;   in Loop: Header=BB16_7 Depth=1
	ds_read_b32 v1, v7 offset:4096
	v_and_b32_e32 v2, v30, v6
	v_lshl_or_b32 v30, 1, v36, v2
	v_or_b32_e32 v38, v38, v3
	s_waitcnt lgkmcnt(0)
	v_cmp_ne_u32_e32 vcc, 0, v1
	s_cbranch_vccnz .LBB16_145
; %bb.142:                              ;   in Loop: Header=BB16_7 Depth=1
	s_and_saveexec_b64 s[36:37], s[0:1]
; %bb.143:                              ;   in Loop: Header=BB16_7 Depth=1
	v_mov_b32_e32 v1, s46
	ds_write_b32 v7, v1 offset:4100
; %bb.144:                              ;   in Loop: Header=BB16_7 Depth=1
	s_or_b64 exec, exec, s[36:37]
	s_waitcnt lgkmcnt(0)
	s_barrier
.LBB16_145:                             ;   in Loop: Header=BB16_7 Depth=1
	s_or_saveexec_b64 s[34:35], s[34:35]
	s_mov_b64 s[36:37], 0
	v_mov_b32_e32 v4, 8
	s_xor_b64 exec, exec, s[34:35]
; %bb.146:                              ;   in Loop: Header=BB16_7 Depth=1
	s_mov_b64 s[36:37], exec
	v_subrev_u32_e32 v15, s46, v15
	v_mov_b32_e32 v4, 0
; %bb.147:                              ;   in Loop: Header=BB16_7 Depth=1
	s_or_b64 exec, exec, s[34:35]
	s_and_b64 s[40:41], s[36:37], exec
	v_mov_b32_e32 v16, v15
.LBB16_148:                             ;   in Loop: Header=BB16_7 Depth=1
	s_or_b64 exec, exec, s[30:31]
	s_mov_b64 s[38:39], -1
                                        ; implicit-def: $sgpr34_sgpr35
                                        ; implicit-def: $sgpr36_sgpr37
	s_and_saveexec_b64 s[30:31], s[40:41]
	s_cbranch_execz .LBB16_226
; %bb.149:                              ;   in Loop: Header=BB16_7 Depth=1
	s_cmp_eq_u32 s54, 1
	s_cselect_b64 s[18:19], -1, 0
	v_cmp_eq_u32_e32 vcc, 1, v16
	s_and_b64 s[40:41], s[18:19], vcc
	s_mov_b64 s[42:43], -1
                                        ; implicit-def: $sgpr36_sgpr37
                                        ; implicit-def: $sgpr34_sgpr35
	s_and_saveexec_b64 s[38:39], s[40:41]
	s_cbranch_execz .LBB16_175
; %bb.150:                              ;   in Loop: Header=BB16_7 Depth=1
	ds_read_b32 v1, v7 offset:4096
	s_waitcnt lgkmcnt(0)
	s_barrier
	v_readfirstlane_b32 s18, v1
	s_and_saveexec_b64 s[34:35], s[4:5]
; %bb.151:                              ;   in Loop: Header=BB16_7 Depth=1
	ds_write_b32 v21, v7
; %bb.152:                              ;   in Loop: Header=BB16_7 Depth=1
	s_or_b64 exec, exec, s[34:35]
	v_and_b32_e32 v1, v30, v6
	v_lshl_or_b32 v30, 2, v36, v1
	v_or_b32_e32 v38, v38, v3
	s_mov_b64 s[34:35], -1
	s_mov_b64 s[36:37], 0
	s_cmp_gt_i32 s18, 0
	s_mov_b64 s[42:43], 0
	s_mov_b64 s[44:45], -1
	s_waitcnt lgkmcnt(0)
	s_barrier
                                        ; implicit-def: $vgpr14
	s_cbranch_scc1 .LBB16_163
; %bb.153:                              ;   in Loop: Header=BB16_7 Depth=1
	s_mov_b64 s[44:45], 0
                                        ; implicit-def: $vgpr14
	s_mov_b64 s[46:47], exec
	v_readlane_b32 s48, v48, 20
	v_readlane_b32 s49, v48, 21
	s_and_b64 s[48:49], s[46:47], s[48:49]
	s_mov_b64 exec, s[48:49]
	s_cbranch_execz .LBB16_162
; %bb.154:                              ;   in Loop: Header=BB16_7 Depth=1
	v_mov_b32_e32 v1, v5
	v_mov_b32_e32 v15, v0
                                        ; implicit-def: $sgpr48_sgpr49
	s_branch .LBB16_157
.LBB16_155:                             ;   in Loop: Header=BB16_157 Depth=2
	s_or_b64 exec, exec, s[50:51]
	s_waitcnt lgkmcnt(0)
	s_barrier
	ds_read_b64 v[13:14], v7 offset:3072
	s_mov_b64 s[50:51], -1
	s_mov_b64 s[52:53], -1
	s_waitcnt lgkmcnt(0)
	s_barrier
	v_cmp_ne_u32_e32 vcc, 0, v13
	s_cbranch_vccz .LBB16_160
.LBB16_156:                             ;   in Loop: Header=BB16_157 Depth=2
	s_and_b64 s[50:51], exec, s[50:51]
	s_or_b64 s[42:43], s[50:51], s[42:43]
	s_andn2_b64 s[48:49], s[48:49], exec
	s_and_b64 s[50:51], s[52:53], exec
	s_or_b64 s[48:49], s[48:49], s[50:51]
	s_andn2_b64 exec, exec, s[42:43]
	s_cbranch_execz .LBB16_161
.LBB16_157:                             ;   Parent Loop BB16_7 Depth=1
                                        ; =>  This Inner Loop Header: Depth=2
	v_cmp_gt_i32_e32 vcc, s60, v15
	s_and_saveexec_b64 s[50:51], vcc
	s_cbranch_execz .LBB16_155
; %bb.158:                              ;   in Loop: Header=BB16_157 Depth=2
	v_ashrrev_i32_e32 v2, 31, v1
	v_lshlrev_b64 v[13:14], 2, v[1:2]
	v_mov_b32_e32 v2, s67
	v_add_co_u32_e32 v13, vcc, s62, v13
	v_addc_co_u32_e32 v14, vcc, v2, v14, vcc
	global_load_dword v13, v[13:14], off
	s_waitcnt vmcnt(0)
	v_xor_b32_e32 v2, 0x80000000, v13
	v_and_b32_e32 v2, v2, v38
	v_cmp_eq_u32_e32 vcc, v2, v30
	s_and_b64 exec, exec, vcc
	s_cbranch_execz .LBB16_155
; %bb.159:                              ;   in Loop: Header=BB16_157 Depth=2
	ds_write_b64 v7, v[12:13] offset:3072
	s_branch .LBB16_155
.LBB16_160:                             ;   in Loop: Header=BB16_157 Depth=2
	v_add_u32_e32 v15, s66, v15
	v_cmp_le_i32_e32 vcc, s78, v15
	v_add_u32_e32 v1, s74, v1
	s_mov_b64 s[52:53], 0
	s_orn2_b64 s[50:51], vcc, exec
	s_branch .LBB16_156
.LBB16_161:                             ;   in Loop: Header=BB16_7 Depth=1
	s_or_b64 exec, exec, s[42:43]
	s_and_b64 s[42:43], s[48:49], exec
.LBB16_162:                             ;   in Loop: Header=BB16_7 Depth=1
	s_or_b64 exec, exec, s[46:47]
.LBB16_163:                             ;   in Loop: Header=BB16_7 Depth=1
	s_and_b64 vcc, exec, s[44:45]
	s_cbranch_vccz .LBB16_174
; %bb.164:                              ;   in Loop: Header=BB16_7 Depth=1
	v_readlane_b32 s19, v48, 7
	s_add_i32 s19, s18, s19
	s_abs_i32 s35, s19
	v_readlane_b32 s36, v48, 19
	s_mul_hi_u32 s36, s35, s36
	s_mul_i32 s36, s36, s66
	s_sub_i32 s35, s35, s36
	s_ashr_i32 s34, s19, 31
	s_sub_i32 s36, s35, s66
	s_cmp_ge_u32 s35, s66
	s_cselect_b32 s35, s36, s35
	s_sub_i32 s36, s35, s66
	s_cmp_ge_u32 s35, s66
	s_cselect_b32 s35, s36, s35
	s_xor_b32 s35, s35, s34
	s_sub_i32 s34, s34, s35
	s_add_i32 s19, s19, s34
	v_cmp_gt_i32_e32 vcc, s19, v0
                                        ; implicit-def: $vgpr14
	s_and_saveexec_b64 s[34:35], vcc
	s_cbranch_execz .LBB16_173
; %bb.165:                              ;   in Loop: Header=BB16_7 Depth=1
	s_mov_b64 s[36:37], 0
	v_mov_b32_e32 v1, v19
	v_mov_b32_e32 v2, v0
                                        ; implicit-def: $sgpr44_sgpr45
	s_branch .LBB16_168
.LBB16_166:                             ;   in Loop: Header=BB16_168 Depth=2
	s_or_b64 exec, exec, s[46:47]
	s_waitcnt lgkmcnt(0)
	s_barrier
	ds_read_b64 v[13:14], v7 offset:3072
	s_mov_b64 s[46:47], -1
	s_mov_b64 s[48:49], -1
	s_waitcnt lgkmcnt(0)
	s_barrier
	v_cmp_eq_u32_e32 vcc, 0, v13
	s_cbranch_vccnz .LBB16_171
.LBB16_167:                             ;   in Loop: Header=BB16_168 Depth=2
	s_and_b64 s[46:47], exec, s[46:47]
	s_or_b64 s[36:37], s[46:47], s[36:37]
	s_andn2_b64 s[44:45], s[44:45], exec
	s_and_b64 s[46:47], s[48:49], exec
	s_or_b64 s[44:45], s[44:45], s[46:47]
	s_andn2_b64 exec, exec, s[36:37]
	s_cbranch_execz .LBB16_172
.LBB16_168:                             ;   Parent Loop BB16_7 Depth=1
                                        ; =>  This Inner Loop Header: Depth=2
	v_cmp_gt_i32_e32 vcc, s18, v2
	s_and_saveexec_b64 s[46:47], vcc
	s_cbranch_execz .LBB16_166
; %bb.169:                              ;   in Loop: Header=BB16_168 Depth=2
	ds_read_b32 v13, v1
	s_waitcnt lgkmcnt(0)
	v_xor_b32_e32 v14, 0x80000000, v13
	v_and_b32_e32 v14, v14, v38
	v_cmp_eq_u32_e32 vcc, v14, v30
	s_and_b64 exec, exec, vcc
	s_cbranch_execz .LBB16_166
; %bb.170:                              ;   in Loop: Header=BB16_168 Depth=2
	ds_write_b64 v7, v[12:13] offset:3072
	s_branch .LBB16_166
.LBB16_171:                             ;   in Loop: Header=BB16_168 Depth=2
	v_add_u32_e32 v2, s66, v2
	v_cmp_le_i32_e32 vcc, s19, v2
	v_add_u32_e32 v1, s33, v1
	s_mov_b64 s[48:49], 0
	s_orn2_b64 s[46:47], vcc, exec
	s_branch .LBB16_167
.LBB16_172:                             ;   in Loop: Header=BB16_7 Depth=1
	s_or_b64 exec, exec, s[36:37]
	s_andn2_b64 s[18:19], s[42:43], exec
	s_and_b64 s[36:37], s[44:45], exec
	s_or_b64 s[42:43], s[18:19], s[36:37]
.LBB16_173:                             ;   in Loop: Header=BB16_7 Depth=1
	s_or_b64 exec, exec, s[34:35]
	s_mov_b64 s[34:35], 0
	s_mov_b64 s[36:37], -1
.LBB16_174:                             ;   in Loop: Header=BB16_7 Depth=1
	s_orn2_b64 s[42:43], s[42:43], exec
.LBB16_175:                             ;   in Loop: Header=BB16_7 Depth=1
	s_or_b64 exec, exec, s[38:39]
	s_mov_b64 s[44:45], 0
	s_and_saveexec_b64 s[38:39], s[42:43]
	s_cbranch_execz .LBB16_225
; %bb.176:                              ;   in Loop: Header=BB16_7 Depth=1
	s_xor_b64 s[18:19], s[40:41], -1
	s_mov_b64 s[48:49], 0
	v_mov_b32_e32 v15, 1
	v_mov_b32_e32 v4, 1
	s_and_saveexec_b64 s[40:41], s[18:19]
	s_cbranch_execz .LBB16_185
; %bb.177:                              ;   in Loop: Header=BB16_7 Depth=1
	v_cmp_ge_i32_e32 vcc, s54, v16
	s_and_saveexec_b64 s[18:19], vcc
	s_xor_b64 s[42:43], exec, s[18:19]
	s_cbranch_execz .LBB16_182
; %bb.178:                              ;   in Loop: Header=BB16_7 Depth=1
	ds_read_b32 v1, v7 offset:4096
	v_and_b32_e32 v2, v30, v6
	v_lshl_or_b32 v30, 2, v36, v2
	v_or_b32_e32 v38, v38, v3
	s_waitcnt lgkmcnt(0)
	v_cmp_ne_u32_e32 vcc, 0, v1
	s_cbranch_vccnz .LBB16_182
; %bb.179:                              ;   in Loop: Header=BB16_7 Depth=1
	s_and_saveexec_b64 s[44:45], s[0:1]
; %bb.180:                              ;   in Loop: Header=BB16_7 Depth=1
	v_mov_b32_e32 v1, s54
	ds_write_b32 v7, v1 offset:4100
; %bb.181:                              ;   in Loop: Header=BB16_7 Depth=1
	s_or_b64 exec, exec, s[44:45]
	s_waitcnt lgkmcnt(0)
	s_barrier
.LBB16_182:                             ;   in Loop: Header=BB16_7 Depth=1
	s_or_saveexec_b64 s[42:43], s[42:43]
	s_mov_b64 s[44:45], 0
	v_mov_b32_e32 v4, 8
	s_xor_b64 exec, exec, s[42:43]
; %bb.183:                              ;   in Loop: Header=BB16_7 Depth=1
	s_mov_b64 s[44:45], exec
	v_subrev_u32_e32 v16, s54, v16
	v_mov_b32_e32 v4, 0
; %bb.184:                              ;   in Loop: Header=BB16_7 Depth=1
	s_or_b64 exec, exec, s[42:43]
	s_and_b64 s[48:49], s[44:45], exec
	v_mov_b32_e32 v15, v16
.LBB16_185:                             ;   in Loop: Header=BB16_7 Depth=1
	s_or_b64 exec, exec, s[40:41]
	s_mov_b64 s[42:43], -1
                                        ; implicit-def: $sgpr46_sgpr47
                                        ; implicit-def: $sgpr44_sgpr45
	s_and_saveexec_b64 s[40:41], s[48:49]
	s_cbranch_execz .LBB16_224
; %bb.186:                              ;   in Loop: Header=BB16_7 Depth=1
	s_cmp_eq_u32 s17, 1
	s_cselect_b64 s[18:19], -1, 0
	v_cmp_eq_u32_e32 vcc, 1, v15
	s_and_b64 s[42:43], s[18:19], vcc
	s_mov_b64 s[50:51], -1
                                        ; implicit-def: $sgpr46_sgpr47
                                        ; implicit-def: $sgpr44_sgpr45
	s_and_saveexec_b64 s[48:49], s[42:43]
	s_cbranch_execz .LBB16_212
; %bb.187:                              ;   in Loop: Header=BB16_7 Depth=1
	ds_read_b32 v1, v7 offset:4096
	s_waitcnt lgkmcnt(0)
	s_barrier
	v_readfirstlane_b32 s18, v1
	s_and_saveexec_b64 s[44:45], s[4:5]
; %bb.188:                              ;   in Loop: Header=BB16_7 Depth=1
	ds_write_b32 v21, v7
; %bb.189:                              ;   in Loop: Header=BB16_7 Depth=1
	s_or_b64 exec, exec, s[44:45]
	v_or_b32_e32 v30, v30, v3
	v_or_b32_e32 v38, v38, v3
	s_mov_b64 s[44:45], -1
	s_mov_b64 s[46:47], 0
	s_cmp_gt_i32 s18, 0
	s_mov_b64 s[50:51], 0
	s_mov_b64 s[52:53], -1
	s_waitcnt lgkmcnt(0)
	s_barrier
                                        ; implicit-def: $vgpr14
	s_cbranch_scc1 .LBB16_200
; %bb.190:                              ;   in Loop: Header=BB16_7 Depth=1
	s_mov_b64 s[52:53], 0
                                        ; implicit-def: $vgpr14
	s_mov_b64 s[54:55], exec
	v_readlane_b32 s56, v48, 20
	v_readlane_b32 s57, v48, 21
	s_and_b64 s[56:57], s[54:55], s[56:57]
	s_mov_b64 exec, s[56:57]
	s_cbranch_execz .LBB16_199
; %bb.191:                              ;   in Loop: Header=BB16_7 Depth=1
	v_mov_b32_e32 v1, v5
	v_mov_b32_e32 v6, v0
                                        ; implicit-def: $sgpr56_sgpr57
	s_branch .LBB16_194
.LBB16_192:                             ;   in Loop: Header=BB16_194 Depth=2
	s_or_b64 exec, exec, s[58:59]
	s_waitcnt lgkmcnt(0)
	s_barrier
	ds_read_b64 v[13:14], v7 offset:3072
	s_mov_b64 s[58:59], -1
	s_mov_b64 s[64:65], -1
	s_waitcnt lgkmcnt(0)
	s_barrier
	v_cmp_ne_u32_e32 vcc, 0, v13
	s_cbranch_vccz .LBB16_197
.LBB16_193:                             ;   in Loop: Header=BB16_194 Depth=2
	s_and_b64 s[58:59], exec, s[58:59]
	s_or_b64 s[50:51], s[58:59], s[50:51]
	s_andn2_b64 s[56:57], s[56:57], exec
	s_and_b64 s[58:59], s[64:65], exec
	s_or_b64 s[56:57], s[56:57], s[58:59]
	s_andn2_b64 exec, exec, s[50:51]
	s_cbranch_execz .LBB16_198
.LBB16_194:                             ;   Parent Loop BB16_7 Depth=1
                                        ; =>  This Inner Loop Header: Depth=2
	v_cmp_gt_i32_e32 vcc, s60, v6
	s_and_saveexec_b64 s[58:59], vcc
	s_cbranch_execz .LBB16_192
; %bb.195:                              ;   in Loop: Header=BB16_194 Depth=2
	v_ashrrev_i32_e32 v2, 31, v1
	v_lshlrev_b64 v[13:14], 2, v[1:2]
	v_mov_b32_e32 v2, s67
	v_add_co_u32_e32 v13, vcc, s62, v13
	v_addc_co_u32_e32 v14, vcc, v2, v14, vcc
	global_load_dword v13, v[13:14], off
	s_waitcnt vmcnt(0)
	v_xor_b32_e32 v2, 0x80000000, v13
	v_and_b32_e32 v2, v2, v38
	v_cmp_eq_u32_e32 vcc, v2, v30
	s_and_b64 exec, exec, vcc
	s_cbranch_execz .LBB16_192
; %bb.196:                              ;   in Loop: Header=BB16_194 Depth=2
	ds_write_b64 v7, v[12:13] offset:3072
	s_branch .LBB16_192
.LBB16_197:                             ;   in Loop: Header=BB16_194 Depth=2
	v_add_u32_e32 v6, s66, v6
	v_cmp_le_i32_e32 vcc, s78, v6
	v_add_u32_e32 v1, s74, v1
	s_mov_b64 s[64:65], 0
	s_orn2_b64 s[58:59], vcc, exec
	s_branch .LBB16_193
.LBB16_198:                             ;   in Loop: Header=BB16_7 Depth=1
	s_or_b64 exec, exec, s[50:51]
	s_and_b64 s[50:51], s[56:57], exec
.LBB16_199:                             ;   in Loop: Header=BB16_7 Depth=1
	s_or_b64 exec, exec, s[54:55]
.LBB16_200:                             ;   in Loop: Header=BB16_7 Depth=1
	s_and_b64 vcc, exec, s[52:53]
	s_cbranch_vccz .LBB16_211
; %bb.201:                              ;   in Loop: Header=BB16_7 Depth=1
	v_readlane_b32 s19, v48, 7
	s_add_i32 s19, s18, s19
	s_abs_i32 s45, s19
	v_readlane_b32 s46, v48, 19
	s_mul_hi_u32 s46, s45, s46
	s_mul_i32 s46, s46, s66
	s_sub_i32 s45, s45, s46
	s_ashr_i32 s44, s19, 31
	s_sub_i32 s46, s45, s66
	s_cmp_ge_u32 s45, s66
	s_cselect_b32 s45, s46, s45
	s_sub_i32 s46, s45, s66
	s_cmp_ge_u32 s45, s66
	s_cselect_b32 s45, s46, s45
	s_xor_b32 s45, s45, s44
	s_sub_i32 s44, s44, s45
	s_add_i32 s19, s19, s44
	v_cmp_gt_i32_e32 vcc, s19, v0
                                        ; implicit-def: $vgpr14
	s_and_saveexec_b64 s[44:45], vcc
	s_cbranch_execz .LBB16_210
; %bb.202:                              ;   in Loop: Header=BB16_7 Depth=1
	s_mov_b64 s[46:47], 0
	v_mov_b32_e32 v1, v19
	v_mov_b32_e32 v2, v0
                                        ; implicit-def: $sgpr52_sgpr53
	s_branch .LBB16_205
.LBB16_203:                             ;   in Loop: Header=BB16_205 Depth=2
	s_or_b64 exec, exec, s[54:55]
	s_waitcnt lgkmcnt(0)
	s_barrier
	ds_read_b64 v[13:14], v7 offset:3072
	s_mov_b64 s[54:55], -1
	s_mov_b64 s[56:57], -1
	s_waitcnt lgkmcnt(0)
	s_barrier
	v_cmp_eq_u32_e32 vcc, 0, v13
	s_cbranch_vccnz .LBB16_208
.LBB16_204:                             ;   in Loop: Header=BB16_205 Depth=2
	s_and_b64 s[54:55], exec, s[54:55]
	s_or_b64 s[46:47], s[54:55], s[46:47]
	s_andn2_b64 s[52:53], s[52:53], exec
	s_and_b64 s[54:55], s[56:57], exec
	s_or_b64 s[52:53], s[52:53], s[54:55]
	s_andn2_b64 exec, exec, s[46:47]
	s_cbranch_execz .LBB16_209
.LBB16_205:                             ;   Parent Loop BB16_7 Depth=1
                                        ; =>  This Inner Loop Header: Depth=2
	v_cmp_gt_i32_e32 vcc, s18, v2
	s_and_saveexec_b64 s[54:55], vcc
	s_cbranch_execz .LBB16_203
; %bb.206:                              ;   in Loop: Header=BB16_205 Depth=2
	ds_read_b32 v13, v1
	s_waitcnt lgkmcnt(0)
	v_xor_b32_e32 v6, 0x80000000, v13
	v_and_b32_e32 v6, v6, v38
	v_cmp_eq_u32_e32 vcc, v6, v30
	s_and_b64 exec, exec, vcc
	s_cbranch_execz .LBB16_203
; %bb.207:                              ;   in Loop: Header=BB16_205 Depth=2
	ds_write_b64 v7, v[12:13] offset:3072
	s_branch .LBB16_203
.LBB16_208:                             ;   in Loop: Header=BB16_205 Depth=2
	v_add_u32_e32 v2, s66, v2
	v_cmp_le_i32_e32 vcc, s19, v2
	v_add_u32_e32 v1, s33, v1
	s_mov_b64 s[56:57], 0
	s_orn2_b64 s[54:55], vcc, exec
	s_branch .LBB16_204
.LBB16_209:                             ;   in Loop: Header=BB16_7 Depth=1
	s_or_b64 exec, exec, s[46:47]
	s_andn2_b64 s[18:19], s[50:51], exec
	s_and_b64 s[46:47], s[52:53], exec
	s_or_b64 s[50:51], s[18:19], s[46:47]
.LBB16_210:                             ;   in Loop: Header=BB16_7 Depth=1
	s_or_b64 exec, exec, s[44:45]
	s_mov_b64 s[44:45], 0
	s_mov_b64 s[46:47], -1
.LBB16_211:                             ;   in Loop: Header=BB16_7 Depth=1
	s_orn2_b64 s[50:51], s[50:51], exec
.LBB16_212:                             ;   in Loop: Header=BB16_7 Depth=1
	s_or_b64 exec, exec, s[48:49]
	s_mov_b64 s[52:53], 0
	s_and_saveexec_b64 s[48:49], s[50:51]
	s_cbranch_execz .LBB16_223
; %bb.213:                              ;   in Loop: Header=BB16_7 Depth=1
	s_xor_b64 s[18:19], s[42:43], -1
	v_mov_b32_e32 v4, 1
	v_mov_b32_e32 v1, 1
	s_and_saveexec_b64 s[42:43], s[18:19]
	s_cbranch_execz .LBB16_222
; %bb.214:                              ;   in Loop: Header=BB16_7 Depth=1
	v_cmp_ge_i32_e32 vcc, s17, v15
	s_and_saveexec_b64 s[18:19], vcc
	s_xor_b64 s[50:51], exec, s[18:19]
	s_cbranch_execz .LBB16_219
; %bb.215:                              ;   in Loop: Header=BB16_7 Depth=1
	ds_read_b32 v1, v7 offset:4096
	v_or_b32_e32 v30, v30, v3
	v_or_b32_e32 v38, v38, v3
	s_waitcnt lgkmcnt(0)
	v_cmp_ne_u32_e32 vcc, 0, v1
	s_cbranch_vccnz .LBB16_219
; %bb.216:                              ;   in Loop: Header=BB16_7 Depth=1
	s_and_saveexec_b64 s[52:53], s[0:1]
; %bb.217:                              ;   in Loop: Header=BB16_7 Depth=1
	v_mov_b32_e32 v1, s17
	ds_write_b32 v7, v1 offset:4100
; %bb.218:                              ;   in Loop: Header=BB16_7 Depth=1
	s_or_b64 exec, exec, s[52:53]
	s_waitcnt lgkmcnt(0)
	s_barrier
.LBB16_219:                             ;   in Loop: Header=BB16_7 Depth=1
	s_andn2_saveexec_b64 s[50:51], s[50:51]
; %bb.220:                              ;   in Loop: Header=BB16_7 Depth=1
	v_subrev_u32_e32 v15, s17, v15
; %bb.221:                              ;   in Loop: Header=BB16_7 Depth=1
	s_or_b64 exec, exec, s[50:51]
	v_mov_b32_e32 v4, 8
	v_mov_b32_e32 v1, v15
.LBB16_222:                             ;   in Loop: Header=BB16_7 Depth=1
	s_or_b64 exec, exec, s[42:43]
	s_mov_b64 s[52:53], exec
	v_mov_b32_e32 v15, v1
.LBB16_223:                             ;   in Loop: Header=BB16_7 Depth=1
	s_or_b64 exec, exec, s[48:49]
	s_orn2_b64 s[42:43], s[52:53], exec
.LBB16_224:                             ;   in Loop: Header=BB16_7 Depth=1
	s_or_b64 exec, exec, s[40:41]
	s_andn2_b64 s[18:19], s[36:37], exec
	s_and_b64 s[36:37], s[46:47], exec
	s_or_b64 s[36:37], s[18:19], s[36:37]
	s_andn2_b64 s[18:19], s[34:35], exec
	s_and_b64 s[34:35], s[44:45], exec
	s_or_b64 s[34:35], s[18:19], s[34:35]
	s_and_b64 s[44:45], s[42:43], exec
	v_mov_b32_e32 v16, v15
.LBB16_225:                             ;   in Loop: Header=BB16_7 Depth=1
	s_or_b64 exec, exec, s[38:39]
	s_orn2_b64 s[38:39], s[44:45], exec
.LBB16_226:                             ;   in Loop: Header=BB16_7 Depth=1
	s_or_b64 exec, exec, s[30:31]
	s_andn2_b64 s[18:19], s[26:27], exec
	s_and_b64 s[26:27], s[36:37], exec
	s_or_b64 s[26:27], s[18:19], s[26:27]
	s_andn2_b64 s[18:19], s[24:25], exec
	s_and_b64 s[24:25], s[34:35], exec
	s_or_b64 s[24:25], s[18:19], s[24:25]
	s_and_b64 s[36:37], s[38:39], exec
	v_mov_b32_e32 v15, v16
.LBB16_227:                             ;   in Loop: Header=BB16_7 Depth=1
	s_or_b64 exec, exec, s[28:29]
	s_orn2_b64 s[28:29], s[36:37], exec
.LBB16_228:                             ;   in Loop: Header=BB16_7 Depth=1
	s_or_b64 exec, exec, s[22:23]
	s_mov_b64 s[30:31], 0
	s_and_saveexec_b64 s[18:19], s[28:29]
	s_xor_b64 s[22:23], exec, s[18:19]
	s_cbranch_execz .LBB16_5
; %bb.229:                              ;   in Loop: Header=BB16_7 Depth=1
	v_and_b32_e32 v1, 7, v4
	v_cmp_eq_u32_e32 vcc, 0, v1
	s_mov_b64 s[20:21], -1
	s_mov_b64 s[28:29], -1
	s_and_saveexec_b64 s[30:31], vcc
	s_cbranch_execz .LBB16_4
; %bb.230:                              ;   in Loop: Header=BB16_7 Depth=1
	v_add_u32_e32 v1, -2, v36
	v_cmp_eq_u32_e32 vcc, 0, v36
	v_xor_b32_e32 v37, 1, v37
	s_xor_b64 s[28:29], exec, -1
	s_orn2_b64 s[20:21], vcc, exec
	v_mov_b32_e32 v36, v1
	s_branch .LBB16_4
.LBB16_231:
	s_or_b64 exec, exec, s[80:81]
	s_xor_b64 s[8:9], s[86:87], -1
	s_xor_b64 s[2:3], s[82:83], -1
	;; [unrolled: 1-line block ×3, first 2 shown]
	s_mov_b64 s[4:5], 0
	s_and_saveexec_b64 s[10:11], s[2:3]
	s_xor_b64 s[2:3], exec, s[10:11]
	s_cbranch_execnz .LBB16_236
; %bb.232:
	s_andn2_saveexec_b64 s[0:1], s[2:3]
	s_cbranch_execnz .LBB16_256
.LBB16_233:
	s_or_b64 exec, exec, s[0:1]
	s_and_saveexec_b64 s[0:1], s[4:5]
.LBB16_234:
	; divergent unreachable
.LBB16_235:
	s_endpgm
.LBB16_236:
	s_and_saveexec_b64 s[4:5], s[8:9]
	s_xor_b64 s[4:5], exec, s[4:5]
	s_cbranch_execz .LBB16_254
; %bb.237:
	s_and_saveexec_b64 s[8:9], s[6:7]
	s_xor_b64 s[6:7], exec, s[8:9]
; %bb.238:
	v_xor_b32_e32 v14, 0x80000000, v30
; %bb.239:
	s_or_b64 exec, exec, s[6:7]
	s_and_saveexec_b64 s[6:7], s[0:1]
; %bb.240:
	v_mov_b32_e32 v1, 0
	v_mov_b32_e32 v2, s60
	ds_write_b32 v1, v2 offset:4108
; %bb.241:
	s_or_b64 exec, exec, s[6:7]
	v_mov_b32_e32 v1, 0
	s_waitcnt lgkmcnt(0)
	s_barrier
	ds_read_b32 v1, v1 offset:4108
	s_waitcnt lgkmcnt(0)
	v_min_i32_e32 v1, s60, v1
	v_cmp_lt_i32_e32 vcc, v0, v1
	s_and_saveexec_b64 s[6:7], vcc
	s_cbranch_execz .LBB16_251
; %bb.242:
	s_mov_b64 s[8:9], 0
	v_mov_b32_e32 v3, s67
                                        ; implicit-def: $sgpr10_sgpr11
                                        ; implicit-def: $sgpr14_sgpr15
                                        ; implicit-def: $sgpr12_sgpr13
	s_branch .LBB16_244
.LBB16_243:                             ;   in Loop: Header=BB16_244 Depth=1
	s_or_b64 exec, exec, s[16:17]
	s_and_b64 s[16:17], exec, s[14:15]
	s_or_b64 s[8:9], s[16:17], s[8:9]
	s_andn2_b64 s[10:11], s[10:11], exec
	s_and_b64 s[16:17], s[12:13], exec
	s_or_b64 s[10:11], s[10:11], s[16:17]
	s_andn2_b64 exec, exec, s[8:9]
	s_cbranch_execz .LBB16_246
.LBB16_244:                             ; =>This Inner Loop Header: Depth=1
	v_ashrrev_i32_e32 v6, 31, v5
	v_lshlrev_b64 v[6:7], 2, v[5:6]
	v_mov_b32_e32 v2, v0
	v_add_co_u32_e32 v6, vcc, s62, v6
	v_addc_co_u32_e32 v7, vcc, v3, v7, vcc
	global_load_dword v4, v[6:7], off
	s_or_b64 s[12:13], s[12:13], exec
	s_or_b64 s[14:15], s[14:15], exec
                                        ; implicit-def: $vgpr0
	s_waitcnt vmcnt(0)
	v_cmp_ne_u32_e32 vcc, v4, v14
	s_and_saveexec_b64 s[16:17], vcc
	s_cbranch_execz .LBB16_243
; %bb.245:                              ;   in Loop: Header=BB16_244 Depth=1
	v_add_u32_e32 v0, s66, v2
	v_cmp_ge_i32_e32 vcc, v0, v1
	s_andn2_b64 s[14:15], s[14:15], exec
	s_and_b64 s[18:19], vcc, exec
	v_add_u32_e32 v5, s74, v5
	s_andn2_b64 s[12:13], s[12:13], exec
	s_or_b64 s[14:15], s[14:15], s[18:19]
	s_branch .LBB16_243
.LBB16_246:
	s_or_b64 exec, exec, s[8:9]
	s_and_saveexec_b64 s[8:9], s[10:11]
	s_xor_b64 s[8:9], exec, s[8:9]
	s_cbranch_execz .LBB16_251
; %bb.247:
	s_mov_b64 s[8:9], exec
	s_brev_b32 s10, -2
.LBB16_248:                             ; =>This Inner Loop Header: Depth=1
	s_ff1_i32_b64 s11, s[8:9]
	v_readlane_b32 s14, v2, s11
	s_lshl_b64 s[12:13], 1, s11
	s_min_i32 s10, s10, s14
	s_andn2_b64 s[8:9], s[8:9], s[12:13]
	s_cmp_lg_u64 s[8:9], 0
	s_cbranch_scc1 .LBB16_248
; %bb.249:
	v_mbcnt_lo_u32_b32 v0, exec_lo, 0
	v_mbcnt_hi_u32_b32 v0, exec_hi, v0
	v_cmp_eq_u32_e32 vcc, 0, v0
	s_and_saveexec_b64 s[8:9], vcc
	s_xor_b64 s[8:9], exec, s[8:9]
; %bb.250:
	v_mov_b32_e32 v0, 0
	v_mov_b32_e32 v1, s10
	ds_min_i32 v0, v1 offset:4108
.LBB16_251:
	s_or_b64 exec, exec, s[6:7]
	s_waitcnt lgkmcnt(0)
	s_barrier
	s_and_saveexec_b64 s[6:7], s[0:1]
	v_readlane_b32 s8, v48, 6
	s_cbranch_execz .LBB16_253
; %bb.252:
	v_readlane_b32 s0, v48, 5
	s_mul_i32 s0, s0, s8
	v_readlane_b32 s1, v48, 4
	s_mul_i32 s8, s1, s8
	s_ashr_i32 s1, s0, 31
	v_mov_b32_e32 v2, 0
	s_lshl_b64 s[0:1], s[0:1], 2
	v_readlane_b32 s10, v48, 2
	ds_read_b32 v0, v2 offset:4108
	v_readlane_b32 s11, v48, 3
	s_add_u32 s0, s10, s0
	s_addc_u32 s1, s11, s1
	s_ashr_i32 s9, s8, 31
	s_lshl_b64 s[8:9], s[8:9], 3
	v_readlane_b32 s10, v48, 0
	v_readlane_b32 s11, v48, 1
	s_add_u32 s8, s10, s8
	s_addc_u32 s9, s11, s9
	s_waitcnt lgkmcnt(0)
	v_ashrrev_i32_e32 v1, 31, v0
	global_store_dwordx2 v2, v[0:1], s[8:9]
	global_store_dword v2, v14, s[0:1]
.LBB16_253:
	s_or_b64 exec, exec, s[6:7]
.LBB16_254:
	s_or_saveexec_b64 s[0:1], s[4:5]
	s_mov_b64 s[4:5], 0
	s_xor_b64 exec, exec, s[0:1]
	s_cbranch_execnz .LBB16_257
.LBB16_255:
	s_or_b64 exec, exec, s[0:1]
	s_and_b64 s[4:5], s[4:5], exec
	s_andn2_saveexec_b64 s[0:1], s[2:3]
	s_cbranch_execz .LBB16_233
.LBB16_256:
	s_or_b64 s[4:5], s[4:5], exec
	s_trap 2
	s_or_b64 exec, exec, s[0:1]
	s_and_saveexec_b64 s[0:1], s[4:5]
	s_cbranch_execnz .LBB16_234
	s_branch .LBB16_235
.LBB16_257:
	s_mov_b64 s[4:5], exec
	s_trap 2
	s_branch .LBB16_255
	.section	.rodata,"a",@progbits
	.p2align	6, 0x0
	.amdhsa_kernel _ZN2at6native12_GLOBAL__N_114gatherKthValueIiiLi1EEEvNS_4cuda6detail10TensorInfoIKT_T0_EES8_S8_S8_S8_NS5_IS6_S8_EENS5_IlS8_EE
		.amdhsa_group_segment_fixed_size 4112
		.amdhsa_private_segment_fixed_size 0
		.amdhsa_kernarg_size 920
		.amdhsa_user_sgpr_count 6
		.amdhsa_user_sgpr_private_segment_buffer 1
		.amdhsa_user_sgpr_dispatch_ptr 0
		.amdhsa_user_sgpr_queue_ptr 0
		.amdhsa_user_sgpr_kernarg_segment_ptr 1
		.amdhsa_user_sgpr_dispatch_id 0
		.amdhsa_user_sgpr_flat_scratch_init 0
		.amdhsa_user_sgpr_private_segment_size 0
		.amdhsa_uses_dynamic_stack 0
		.amdhsa_system_sgpr_private_segment_wavefront_offset 0
		.amdhsa_system_sgpr_workgroup_id_x 1
		.amdhsa_system_sgpr_workgroup_id_y 1
		.amdhsa_system_sgpr_workgroup_id_z 1
		.amdhsa_system_sgpr_workgroup_info 0
		.amdhsa_system_vgpr_workitem_id 0
		.amdhsa_next_free_vgpr 49
		.amdhsa_next_free_sgpr 96
		.amdhsa_reserve_vcc 1
		.amdhsa_reserve_flat_scratch 0
		.amdhsa_float_round_mode_32 0
		.amdhsa_float_round_mode_16_64 0
		.amdhsa_float_denorm_mode_32 3
		.amdhsa_float_denorm_mode_16_64 3
		.amdhsa_dx10_clamp 1
		.amdhsa_ieee_mode 1
		.amdhsa_fp16_overflow 0
		.amdhsa_exception_fp_ieee_invalid_op 0
		.amdhsa_exception_fp_denorm_src 0
		.amdhsa_exception_fp_ieee_div_zero 0
		.amdhsa_exception_fp_ieee_overflow 0
		.amdhsa_exception_fp_ieee_underflow 0
		.amdhsa_exception_fp_ieee_inexact 0
		.amdhsa_exception_int_div_zero 0
	.end_amdhsa_kernel
	.section	.text._ZN2at6native12_GLOBAL__N_114gatherKthValueIiiLi1EEEvNS_4cuda6detail10TensorInfoIKT_T0_EES8_S8_S8_S8_NS5_IS6_S8_EENS5_IlS8_EE,"axG",@progbits,_ZN2at6native12_GLOBAL__N_114gatherKthValueIiiLi1EEEvNS_4cuda6detail10TensorInfoIKT_T0_EES8_S8_S8_S8_NS5_IS6_S8_EENS5_IlS8_EE,comdat
.Lfunc_end16:
	.size	_ZN2at6native12_GLOBAL__N_114gatherKthValueIiiLi1EEEvNS_4cuda6detail10TensorInfoIKT_T0_EES8_S8_S8_S8_NS5_IS6_S8_EENS5_IlS8_EE, .Lfunc_end16-_ZN2at6native12_GLOBAL__N_114gatherKthValueIiiLi1EEEvNS_4cuda6detail10TensorInfoIKT_T0_EES8_S8_S8_S8_NS5_IS6_S8_EENS5_IlS8_EE
                                        ; -- End function
	.set _ZN2at6native12_GLOBAL__N_114gatherKthValueIiiLi1EEEvNS_4cuda6detail10TensorInfoIKT_T0_EES8_S8_S8_S8_NS5_IS6_S8_EENS5_IlS8_EE.num_vgpr, 49
	.set _ZN2at6native12_GLOBAL__N_114gatherKthValueIiiLi1EEEvNS_4cuda6detail10TensorInfoIKT_T0_EES8_S8_S8_S8_NS5_IS6_S8_EENS5_IlS8_EE.num_agpr, 0
	.set _ZN2at6native12_GLOBAL__N_114gatherKthValueIiiLi1EEEvNS_4cuda6detail10TensorInfoIKT_T0_EES8_S8_S8_S8_NS5_IS6_S8_EENS5_IlS8_EE.numbered_sgpr, 96
	.set _ZN2at6native12_GLOBAL__N_114gatherKthValueIiiLi1EEEvNS_4cuda6detail10TensorInfoIKT_T0_EES8_S8_S8_S8_NS5_IS6_S8_EENS5_IlS8_EE.num_named_barrier, 0
	.set _ZN2at6native12_GLOBAL__N_114gatherKthValueIiiLi1EEEvNS_4cuda6detail10TensorInfoIKT_T0_EES8_S8_S8_S8_NS5_IS6_S8_EENS5_IlS8_EE.private_seg_size, 0
	.set _ZN2at6native12_GLOBAL__N_114gatherKthValueIiiLi1EEEvNS_4cuda6detail10TensorInfoIKT_T0_EES8_S8_S8_S8_NS5_IS6_S8_EENS5_IlS8_EE.uses_vcc, 1
	.set _ZN2at6native12_GLOBAL__N_114gatherKthValueIiiLi1EEEvNS_4cuda6detail10TensorInfoIKT_T0_EES8_S8_S8_S8_NS5_IS6_S8_EENS5_IlS8_EE.uses_flat_scratch, 0
	.set _ZN2at6native12_GLOBAL__N_114gatherKthValueIiiLi1EEEvNS_4cuda6detail10TensorInfoIKT_T0_EES8_S8_S8_S8_NS5_IS6_S8_EENS5_IlS8_EE.has_dyn_sized_stack, 0
	.set _ZN2at6native12_GLOBAL__N_114gatherKthValueIiiLi1EEEvNS_4cuda6detail10TensorInfoIKT_T0_EES8_S8_S8_S8_NS5_IS6_S8_EENS5_IlS8_EE.has_recursion, 0
	.set _ZN2at6native12_GLOBAL__N_114gatherKthValueIiiLi1EEEvNS_4cuda6detail10TensorInfoIKT_T0_EES8_S8_S8_S8_NS5_IS6_S8_EENS5_IlS8_EE.has_indirect_call, 0
	.section	.AMDGPU.csdata,"",@progbits
; Kernel info:
; codeLenInByte = 8828
; TotalNumSgprs: 100
; NumVgprs: 49
; ScratchSize: 0
; MemoryBound: 0
; FloatMode: 240
; IeeeMode: 1
; LDSByteSize: 4112 bytes/workgroup (compile time only)
; SGPRBlocks: 12
; VGPRBlocks: 12
; NumSGPRsForWavesPerEU: 100
; NumVGPRsForWavesPerEU: 49
; Occupancy: 4
; WaveLimiterHint : 1
; COMPUTE_PGM_RSRC2:SCRATCH_EN: 0
; COMPUTE_PGM_RSRC2:USER_SGPR: 6
; COMPUTE_PGM_RSRC2:TRAP_HANDLER: 0
; COMPUTE_PGM_RSRC2:TGID_X_EN: 1
; COMPUTE_PGM_RSRC2:TGID_Y_EN: 1
; COMPUTE_PGM_RSRC2:TGID_Z_EN: 1
; COMPUTE_PGM_RSRC2:TIDIG_COMP_CNT: 0
	.section	.text._ZN2at6native12_GLOBAL__N_114gatherKthValueIiiLi2EEEvNS_4cuda6detail10TensorInfoIKT_T0_EES8_S8_S8_S8_NS5_IS6_S8_EENS5_IlS8_EE,"axG",@progbits,_ZN2at6native12_GLOBAL__N_114gatherKthValueIiiLi2EEEvNS_4cuda6detail10TensorInfoIKT_T0_EES8_S8_S8_S8_NS5_IS6_S8_EENS5_IlS8_EE,comdat
	.globl	_ZN2at6native12_GLOBAL__N_114gatherKthValueIiiLi2EEEvNS_4cuda6detail10TensorInfoIKT_T0_EES8_S8_S8_S8_NS5_IS6_S8_EENS5_IlS8_EE ; -- Begin function _ZN2at6native12_GLOBAL__N_114gatherKthValueIiiLi2EEEvNS_4cuda6detail10TensorInfoIKT_T0_EES8_S8_S8_S8_NS5_IS6_S8_EENS5_IlS8_EE
	.p2align	8
	.type	_ZN2at6native12_GLOBAL__N_114gatherKthValueIiiLi2EEEvNS_4cuda6detail10TensorInfoIKT_T0_EES8_S8_S8_S8_NS5_IS6_S8_EENS5_IlS8_EE,@function
_ZN2at6native12_GLOBAL__N_114gatherKthValueIiiLi2EEEvNS_4cuda6detail10TensorInfoIKT_T0_EES8_S8_S8_S8_NS5_IS6_S8_EENS5_IlS8_EE: ; @_ZN2at6native12_GLOBAL__N_114gatherKthValueIiiLi2EEEvNS_4cuda6detail10TensorInfoIKT_T0_EES8_S8_S8_S8_NS5_IS6_S8_EENS5_IlS8_EE
; %bb.0:
	s_load_dwordx2 s[12:13], s[4:5], 0x298
	s_load_dwordx4 s[60:63], s[4:5], 0xd8
	s_add_u32 s10, s4, 0x298
	s_addc_u32 s11, s5, 0
	s_waitcnt lgkmcnt(0)
	s_mul_i32 s0, s13, s8
	s_add_i32 s0, s0, s7
	s_mul_i32 s0, s0, s12
	s_add_i32 s18, s0, s6
	s_cmp_ge_i32 s18, s62
	s_cbranch_scc1 .LBB17_235
; %bb.1:
	s_load_dword s7, s[4:5], 0xc
	s_load_dwordx2 s[0:1], s[4:5], 0xe8
	s_load_dword s21, s[4:5], 0xf4
                                        ; implicit-def: $vgpr48 : SGPR spill to VGPR lane
                                        ; kill: killed $sgpr4 killed $sgpr5
	s_abs_i32 s22, s18
	s_ashr_i32 s20, s18, 31
	s_waitcnt lgkmcnt(0)
	s_abs_i32 s13, s7
	v_writelane_b32 v48, s0, 0
	v_writelane_b32 v48, s1, 1
	s_load_dwordx2 s[8:9], s[4:5], 0x6c
	s_load_dwordx2 s[2:3], s[4:5], 0x0
	;; [unrolled: 1-line block ×3, first 2 shown]
	v_cvt_f32_u32_e32 v1, s13
	s_ashr_i32 s14, s7, 31
	s_waitcnt lgkmcnt(0)
	v_writelane_b32 v48, s0, 2
	v_writelane_b32 v48, s1, 3
	s_load_dword s19, s[4:5], 0x1cc
	s_load_dwordx2 s[0:1], s[4:5], 0x1c0
	v_rcp_iflag_f32_e32 v1, v1
	s_waitcnt lgkmcnt(0)
	v_writelane_b32 v48, s0, 4
	v_writelane_b32 v48, s1, 5
	s_load_dwordx2 s[0:1], s[4:5], 0x154
	v_mul_f32_e32 v1, 0x4f7ffffe, v1
	s_abs_i32 s5, s21
	v_cvt_u32_f32_e32 v1, v1
	v_cvt_f32_u32_e32 v2, s5
	s_waitcnt lgkmcnt(0)
	v_writelane_b32 v48, s0, 6
	v_writelane_b32 v48, s1, 7
	v_readfirstlane_b32 s1, v1
	v_rcp_iflag_f32_e32 v1, v2
	s_abs_i32 s4, s19
	v_cvt_f32_u32_e32 v2, s4
	s_sub_i32 s0, 0, s13
	v_mul_f32_e32 v1, 0x4f7ffffe, v1
	v_cvt_u32_f32_e32 v1, v1
	v_rcp_iflag_f32_e32 v2, v2
	s_mul_i32 s0, s0, s1
	s_mul_hi_u32 s0, s1, s0
	s_add_i32 s1, s1, s0
	s_mul_hi_u32 s15, s22, s1
	s_sub_i32 s0, 0, s5
	v_readfirstlane_b32 s1, v1
	v_mul_f32_e32 v1, 0x4f7ffffe, v2
	s_mul_i32 s0, s0, s1
	v_cvt_u32_f32_e32 v1, v1
	s_mul_hi_u32 s0, s1, s0
	s_add_i32 s1, s1, s0
	v_writelane_b32 v48, s5, 8
	s_mul_hi_u32 s0, s22, s1
	v_writelane_b32 v48, s0, 9
	s_sub_i32 s0, 0, s4
	v_readfirstlane_b32 s1, v1
	s_mul_i32 s0, s0, s1
	s_mul_hi_u32 s0, s1, s0
	s_add_i32 s1, s1, s0
	v_writelane_b32 v48, s4, 10
	s_mul_hi_u32 s0, s22, s1
	v_writelane_b32 v48, s0, 11
	v_cmp_eq_u32_e64 s[0:1], 0, v0
	s_and_saveexec_b64 s[4:5], s[0:1]
; %bb.2:
	v_mov_b32_e32 v1, 0
	v_mov_b32_e32 v2, s60
	;; [unrolled: 1-line block ×3, first 2 shown]
	ds_write_b96 v1, v[1:3] offset:4096
; %bb.3:
	s_or_b64 exec, exec, s[4:5]
	v_writelane_b32 v48, s21, 12
	s_ashr_i32 s4, s21, 31
	v_writelane_b32 v48, s4, 13
	s_mul_i32 s5, s15, s13
	v_writelane_b32 v48, s19, 14
	s_ashr_i32 s4, s19, 31
	s_sub_i32 s5, s22, s5
	v_writelane_b32 v48, s4, 15
	s_xor_b32 s4, s20, s14
	s_add_i32 s14, s15, 1
	s_sub_i32 s16, s5, s13
	s_cmp_ge_u32 s5, s13
	s_cselect_b32 s14, s14, s15
	s_cselect_b32 s5, s16, s5
	s_add_i32 s15, s14, 1
	s_cmp_ge_u32 s5, s13
	s_cselect_b32 s5, s15, s14
	s_xor_b32 s5, s5, s4
	s_sub_i32 s4, s5, s4
	s_mul_i32 s5, s4, s7
	s_sub_i32 s5, s18, s5
	s_mul_i32 s5, s5, s9
	s_mul_i32 s4, s4, s8
	v_mul_lo_u32 v5, s63, v0
	s_add_i32 s4, s4, s5
	s_waitcnt lgkmcnt(0)
	s_barrier
	s_load_dword s7, s[10:11], 0xc
	s_ashr_i32 s5, s4, 31
	v_mov_b32_e32 v7, 0
	s_lshl_b64 s[4:5], s[4:5], 2
	v_mbcnt_lo_u32_b32 v1, -1, 0
	v_mov_b32_e32 v6, v7
	s_add_u32 s62, s2, s4
	v_mbcnt_hi_u32_b32 v20, -1, v1
	v_lshlrev_b64 v[1:2], 2, v[5:6]
	s_addc_u32 s70, s3, s5
	v_cmp_gt_u32_e32 vcc, 64, v0
	v_cmp_gt_i32_e64 s[4:5], 4, v20
	s_and_b64 s[72:73], vcc, s[4:5]
	v_mov_b32_e32 v22, s70
	v_add_co_u32_e32 v8, vcc, s62, v1
	v_writelane_b32 v48, s20, 16
	s_waitcnt lgkmcnt(0)
	s_and_b32 s71, s7, 0xffff
	v_addc_co_u32_e32 v9, vcc, v22, v2, vcc
	v_lshlrev_b64 v[2:3], v20, -1
	v_writelane_b32 v48, s22, 17
	s_add_i32 s8, s71, -1
	v_writelane_b32 v48, s18, 18
	s_lshl_b32 s33, s71, 2
	s_bfe_u32 s7, s7, 0xa0006
	s_add_i32 s82, s8, s60
	v_not_b32_e32 v25, v2
	v_lshrrev_b32_e32 v2, 2, v0
	v_writelane_b32 v48, s8, 19
	s_cmpk_gt_i32 s60, 0x300
	v_cmp_gt_u32_e64 s[8:9], s60, v0
	v_and_b32_e32 v2, 0xf0, v2
	s_cselect_b64 s[74:75], -1, 0
	v_writelane_b32 v48, s8, 20
	s_cmp_gt_u32 s71, 63
	v_or_b32_e32 v26, 0xc00, v2
	v_cvt_f32_u32_e32 v2, s33
	v_writelane_b32 v48, s9, 21
	v_cmp_gt_i32_e64 s[8:9], s60, v0
	s_cselect_b64 s[76:77], -1, 0
	s_cmp_lt_u32 s6, s12
	v_writelane_b32 v48, s8, 22
	s_cselect_b32 s6, 12, 18
	v_writelane_b32 v48, s9, 23
	s_add_u32 s8, s10, s6
	s_addc_u32 s9, s11, 0
	v_rcp_iflag_f32_e32 v2, v2
	v_writelane_b32 v48, s8, 24
	s_add_i32 s6, s7, -1
	v_writelane_b32 v48, s9, 25
	s_bfe_u32 s9, s71, 0x30006
	s_and_b32 s6, s6, 0xffff
	s_cmp_gt_u32 s6, 6
	s_cselect_b64 s[10:11], -1, 0
	v_mul_f32_e32 v2, 0x4f7ffffe, v2
	v_writelane_b32 v48, s10, 26
	s_and_b32 s8, s7, 0x3f8
	v_cvt_u32_f32_e32 v2, v2
	v_writelane_b32 v48, s11, 27
	s_cmp_lg_u32 s9, 0
	v_writelane_b32 v48, s9, 28
	s_cselect_b64 s[6:7], -1, 0
	v_writelane_b32 v48, s6, 29
	v_writelane_b32 v48, s7, 30
	s_sub_i32 s6, 0, s33
	v_readfirstlane_b32 s7, v2
	s_mul_i32 s6, s6, s7
	s_mul_hi_u32 s6, s7, s6
	s_add_i32 s9, s7, s6
	s_mul_hi_u32 s6, s60, s9
	s_mul_i32 s6, s6, s33
	s_sub_i32 s6, s60, s6
	s_sub_i32 s7, s6, s33
	s_cmp_ge_u32 s6, s33
	s_cselect_b32 s6, s7, s6
	s_sub_i32 s7, s6, s33
	s_cmp_ge_u32 s6, s33
	s_cselect_b32 s6, s7, s6
	s_sub_i32 s80, s60, s6
	v_add_u32_e32 v27, s80, v0
	v_cvt_f32_u32_e32 v4, s71
	v_mul_lo_u32 v2, v27, s63
	v_not_b32_e32 v24, v3
	s_sub_i32 s17, 0, s71
	v_rcp_iflag_f32_e32 v4, v4
	v_ashrrev_i32_e32 v3, 31, v2
	v_lshlrev_b64 v[2:3], 2, v[2:3]
	s_abs_i32 s16, s82
	v_add_co_u32_e32 v10, vcc, s62, v2
	v_mul_f32_e32 v2, 0x4f7ffffe, v4
	v_cvt_u32_f32_e32 v2, v2
	s_ashr_i32 s7, s82, 31
	v_lshlrev_b32_e32 v19, 2, v0
	v_lshlrev_b32_e32 v1, 2, v20
	v_readfirstlane_b32 s18, v2
	s_mul_i32 s17, s17, s18
	s_mul_hi_u32 s17, s18, s17
	s_add_i32 s17, s18, s17
	v_writelane_b32 v48, s17, 31
	s_mul_hi_u32 s17, s16, s17
	s_mul_i32 s17, s17, s71
	s_sub_i32 s16, s16, s17
	s_sub_i32 s17, s16, s71
	s_cmp_ge_u32 s16, s71
	s_cselect_b32 s16, s17, s16
	s_sub_i32 s17, s16, s71
	v_mul_lo_u32 v2, s63, v19
	s_cmp_ge_u32 s16, s71
	s_cselect_b32 s16, s17, s16
	s_xor_b32 s16, s16, s7
	s_sub_i32 s7, s7, s16
	v_add_u32_e32 v28, s63, v2
	v_or_b32_e32 v2, 2, v19
	s_add_i32 s82, s82, s7
	v_mul_lo_u32 v29, s63, v2
	v_or_b32_e32 v2, 3, v19
	s_add_i32 s7, s71, s60
	v_mul_lo_u32 v31, s63, v2
	v_add_u32_e32 v2, s7, v0
	v_subrev_u32_e32 v2, s6, v2
	v_mul_lo_u32 v33, s63, v2
	v_cmp_gt_i32_e64 s[16:17], s82, v0
	v_mov_b32_e32 v6, s70
	v_writelane_b32 v48, s16, 32
	s_mul_i32 s78, s63, s71
	v_cmp_eq_u32_e64 s[2:3], 0, v20
	v_cmp_gt_u32_e64 s[4:5], 2, v0
	v_add_u32_e32 v21, 0xc00, v19
	v_and_b32_e32 v23, 0x100, v1
	v_cmp_gt_i32_e64 s[10:11], s80, v19
	v_cmp_gt_u32_e64 s[12:13], s60, v27
	v_addc_co_u32_e32 v11, vcc, v6, v3, vcc
	v_cmp_gt_i32_e64 s[14:15], s60, v27
	v_writelane_b32 v48, s17, 33
	s_lshl_b32 s83, s78, 2
	v_lshlrev_b32_e32 v32, 2, v5
	v_lshlrev_b32_e32 v34, 4, v0
	s_lshl_b32 s16, s71, 4
	v_or_b32_e32 v35, 0xc00, v1
	s_mov_b64 s[84:85], 0
	v_mov_b32_e32 v36, 30
	v_mov_b32_e32 v39, s61
	;; [unrolled: 1-line block ×7, first 2 shown]
                                        ; implicit-def: $sgpr86_sgpr87
                                        ; implicit-def: $sgpr90_sgpr91
                                        ; implicit-def: $sgpr88_sgpr89
                                        ; implicit-def: $sgpr94_sgpr95
                                        ; implicit-def: $sgpr64_sgpr65
                                        ; implicit-def: $sgpr92_sgpr93
	s_branch .LBB17_7
.LBB17_4:                               ;   in Loop: Header=BB17_7 Depth=1
	s_or_b64 exec, exec, s[30:31]
	s_and_b64 s[30:31], s[28:29], exec
	s_andn2_b64 s[26:27], s[26:27], exec
	s_andn2_b64 s[24:25], s[24:25], exec
	s_orn2_b64 s[20:21], s[20:21], exec
.LBB17_5:                               ;   in Loop: Header=BB17_7 Depth=1
	s_or_b64 exec, exec, s[22:23]
	s_andn2_b64 s[18:19], s[92:93], exec
	s_and_b64 s[22:23], s[30:31], exec
	s_or_b64 s[92:93], s[18:19], s[22:23]
	s_andn2_b64 s[18:19], s[64:65], exec
	s_and_b64 s[22:23], s[26:27], exec
	s_or_b64 s[64:65], s[18:19], s[22:23]
	;; [unrolled: 3-line block ×3, first 2 shown]
	s_orn2_b64 s[20:21], s[20:21], exec
.LBB17_6:                               ;   in Loop: Header=BB17_7 Depth=1
	s_or_b64 exec, exec, s[6:7]
	s_and_b64 s[6:7], exec, s[20:21]
	s_or_b64 s[84:85], s[6:7], s[84:85]
	s_andn2_b64 s[6:7], s[88:89], exec
	s_and_b64 s[18:19], s[92:93], exec
	s_or_b64 s[88:89], s[6:7], s[18:19]
	s_andn2_b64 s[6:7], s[90:91], exec
	s_and_b64 s[18:19], s[64:65], exec
	;; [unrolled: 3-line block ×3, first 2 shown]
	s_or_b64 s[86:87], s[6:7], s[18:19]
	v_mov_b32_e32 v39, v15
	s_andn2_b64 exec, exec, s[84:85]
	s_cbranch_execz .LBB17_231
.LBB17_7:                               ; =>This Loop Header: Depth=1
                                        ;     Child Loop BB17_13 Depth 2
                                        ;     Child Loop BB17_28 Depth 2
	;; [unrolled: 1-line block ×16, first 2 shown]
	ds_read_b64 v[1:2], v7 offset:4096
	s_waitcnt lgkmcnt(0)
	v_readfirstlane_b32 s17, v1
	s_cmp_gt_i32 s17, 0
	s_cbranch_scc1 .LBB17_35
; %bb.8:                                ;   in Loop: Header=BB17_7 Depth=1
	s_and_b64 vcc, exec, s[74:75]
	s_cbranch_vccz .LBB17_21
; %bb.9:                                ;   in Loop: Header=BB17_7 Depth=1
	s_movk_i32 s6, 0x301
	v_cmp_gt_i32_e32 vcc, s6, v2
	s_mov_b64 s[20:21], 0
	s_mov_b64 s[6:7], 0
	s_cbranch_vccz .LBB17_22
; %bb.10:                               ;   in Loop: Header=BB17_7 Depth=1
	s_mov_b64 s[22:23], exec
	v_readlane_b32 s6, v48, 20
	v_readlane_b32 s7, v48, 21
	s_and_b64 s[6:7], s[22:23], s[6:7]
	s_mov_b64 exec, s[6:7]
	s_cbranch_execz .LBB17_67
; %bb.11:                               ;   in Loop: Header=BB17_7 Depth=1
	v_readlane_b32 s6, v48, 24
	v_readlane_b32 s7, v48, 25
	s_nop 4
	global_load_ushort v1, v7, s[6:7]
	global_load_dword v3, v[8:9], off
	s_mov_b64 s[24:25], 0
	v_mov_b32_e32 v4, v0
	s_waitcnt vmcnt(1)
	v_add_u32_e32 v2, v0, v1
	v_mul_lo_u32 v6, s63, v2
	v_mul_lo_u32 v2, s63, v1
	s_branch .LBB17_13
.LBB17_12:                              ;   in Loop: Header=BB17_13 Depth=2
	s_or_b64 exec, exec, s[6:7]
	v_cmp_le_i32_e32 vcc, s60, v4
	v_add_u32_e32 v6, v6, v2
	s_or_b64 s[24:25], vcc, s[24:25]
	v_mov_b32_e32 v3, v13
	s_andn2_b64 exec, exec, s[24:25]
	s_cbranch_execz .LBB17_67
.LBB17_13:                              ;   Parent Loop BB17_7 Depth=1
                                        ; =>  This Inner Loop Header: Depth=2
	v_add_u32_e32 v4, v4, v1
	v_cmp_gt_u32_e32 vcc, s60, v4
	s_waitcnt lgkmcnt(0)
	v_mov_b32_e32 v15, 0
	v_mov_b32_e32 v13, 0
	s_and_saveexec_b64 s[6:7], vcc
	s_cbranch_execz .LBB17_15
; %bb.14:                               ;   in Loop: Header=BB17_13 Depth=2
	v_lshlrev_b64 v[16:17], 2, v[6:7]
	v_add_co_u32_e32 v16, vcc, s62, v16
	v_addc_co_u32_e32 v17, vcc, v22, v17, vcc
	global_load_dword v13, v[16:17], off
.LBB17_15:                              ;   in Loop: Header=BB17_13 Depth=2
	s_or_b64 exec, exec, s[6:7]
	s_waitcnt vmcnt(0)
	v_xor_b32_e32 v16, 0x80000000, v3
	v_and_b32_e32 v16, v16, v38
	v_cmp_eq_u32_e32 vcc, v16, v30
	s_cmp_lg_u64 vcc, 0
	s_cselect_b64 s[6:7], -1, 0
	s_and_b64 s[6:7], s[2:3], s[6:7]
	s_and_saveexec_b64 s[26:27], s[6:7]
	s_cbranch_execz .LBB17_19
; %bb.16:                               ;   in Loop: Header=BB17_13 Depth=2
	s_mov_b64 s[30:31], exec
	v_mbcnt_lo_u32_b32 v15, s30, 0
	v_mbcnt_hi_u32_b32 v15, s31, v15
	s_bcnt1_i32_b64 s18, vcc
	v_cmp_eq_u32_e64 s[6:7], 0, v15
                                        ; implicit-def: $vgpr16
	s_and_saveexec_b64 s[28:29], s[6:7]
; %bb.17:                               ;   in Loop: Header=BB17_13 Depth=2
	s_bcnt1_i32_b64 s6, s[30:31]
	s_mul_i32 s6, s18, s6
	v_mov_b32_e32 v16, s6
	ds_add_rtn_u32 v16, v7, v16 offset:4104
; %bb.18:                               ;   in Loop: Header=BB17_13 Depth=2
	s_or_b64 exec, exec, s[28:29]
	s_waitcnt lgkmcnt(0)
	v_readfirstlane_b32 s6, v16
	v_mov_b32_e32 v16, s6
	v_mad_u32_u24 v15, s18, v15, v16
.LBB17_19:                              ;   in Loop: Header=BB17_13 Depth=2
	s_or_b64 exec, exec, s[26:27]
	ds_bpermute_b32 v15, v23, v15
	s_and_saveexec_b64 s[6:7], vcc
	s_cbranch_execz .LBB17_12
; %bb.20:                               ;   in Loop: Header=BB17_13 Depth=2
	v_and_b32_e32 v17, vcc_lo, v25
	v_and_b32_e32 v16, vcc_hi, v24
	v_bcnt_u32_b32 v17, v17, 0
	v_bcnt_u32_b32 v16, v16, v17
	v_lshlrev_b32_e32 v16, 2, v16
	s_waitcnt lgkmcnt(0)
	v_lshl_add_u32 v15, v15, 2, v16
	ds_write_b32 v15, v3
	s_branch .LBB17_12
.LBB17_21:                              ;   in Loop: Header=BB17_7 Depth=1
	s_mov_b64 s[20:21], -1
	s_mov_b64 s[6:7], 0
.LBB17_22:                              ;   in Loop: Header=BB17_7 Depth=1
	s_and_b64 vcc, exec, s[20:21]
	s_cbranch_vccz .LBB17_33
.LBB17_23:                              ;   in Loop: Header=BB17_7 Depth=1
	v_mov_b32_e32 v1, 0
	s_mov_b64 s[6:7], exec
	v_readlane_b32 s18, v48, 20
	v_readlane_b32 s19, v48, 21
	s_and_b64 s[18:19], s[6:7], s[18:19]
	s_mov_b64 exec, s[18:19]
	s_cbranch_execz .LBB17_25
; %bb.24:                               ;   in Loop: Header=BB17_7 Depth=1
	global_load_dword v1, v[8:9], off
.LBB17_25:                              ;   in Loop: Header=BB17_7 Depth=1
	s_or_b64 exec, exec, s[6:7]
	s_mov_b64 s[6:7], exec
	v_readlane_b32 s18, v48, 22
	v_readlane_b32 s19, v48, 23
	s_and_b64 s[18:19], s[6:7], s[18:19]
	s_mov_b64 exec, s[18:19]
	s_cbranch_execz .LBB17_30
; %bb.26:                               ;   in Loop: Header=BB17_7 Depth=1
	v_readlane_b32 s18, v48, 24
	v_readlane_b32 s19, v48, 25
	s_mov_b64 s[20:21], 0
	v_mov_b32_e32 v13, v19
	v_mov_b32_e32 v15, v0
	s_nop 1
	global_load_ushort v2, v7, s[18:19]
	s_waitcnt vmcnt(0)
	v_add_u32_e32 v4, v0, v2
	v_mul_lo_u32 v6, s63, v4
	v_mul_lo_u32 v4, s63, v2
	v_lshlrev_b32_e32 v3, 2, v2
	s_branch .LBB17_28
.LBB17_27:                              ;   in Loop: Header=BB17_28 Depth=2
	s_or_b64 exec, exec, s[22:23]
	v_cmp_le_i32_e32 vcc, s60, v15
	ds_write_b32 v13, v1
	v_add_u32_e32 v13, v13, v3
	v_add_u32_e32 v6, v6, v4
	s_or_b64 s[20:21], vcc, s[20:21]
	s_waitcnt vmcnt(0)
	v_mov_b32_e32 v1, v16
	s_andn2_b64 exec, exec, s[20:21]
	s_cbranch_execz .LBB17_30
.LBB17_28:                              ;   Parent Loop BB17_7 Depth=1
                                        ; =>  This Inner Loop Header: Depth=2
	v_add_u32_e32 v15, v15, v2
	v_cmp_gt_u32_e32 vcc, s60, v15
	v_mov_b32_e32 v16, 0
	s_and_saveexec_b64 s[22:23], vcc
	s_cbranch_execz .LBB17_27
; %bb.29:                               ;   in Loop: Header=BB17_28 Depth=2
	v_lshlrev_b64 v[16:17], 2, v[6:7]
	v_mov_b32_e32 v18, s70
	v_add_co_u32_e32 v16, vcc, s62, v16
	v_addc_co_u32_e32 v17, vcc, v18, v17, vcc
	global_load_dword v16, v[16:17], off
	s_branch .LBB17_27
.LBB17_30:                              ;   in Loop: Header=BB17_7 Depth=1
	s_or_b64 exec, exec, s[6:7]
	s_waitcnt vmcnt(0) lgkmcnt(0)
	s_barrier
	s_and_saveexec_b64 s[6:7], s[0:1]
; %bb.31:                               ;   in Loop: Header=BB17_7 Depth=1
	v_mov_b32_e32 v1, s60
	ds_write_b32 v7, v1 offset:4096
; %bb.32:                               ;   in Loop: Header=BB17_7 Depth=1
	s_or_b64 exec, exec, s[6:7]
	s_mov_b64 s[6:7], -1
	s_waitcnt lgkmcnt(0)
	s_barrier
.LBB17_33:                              ;   in Loop: Header=BB17_7 Depth=1
	s_and_b64 vcc, exec, s[6:7]
	s_cbranch_vccz .LBB17_35
; %bb.34:                               ;   in Loop: Header=BB17_7 Depth=1
	ds_read_b32 v1, v7 offset:4096
	s_waitcnt lgkmcnt(0)
	v_readfirstlane_b32 s17, v1
.LBB17_35:                              ;   in Loop: Header=BB17_7 Depth=1
	s_cmp_lt_i32 s17, 1
	s_mov_b64 s[6:7], -1
                                        ; implicit-def: $vgpr4
	s_cbranch_scc1 .LBB17_45
; %bb.36:                               ;   in Loop: Header=BB17_7 Depth=1
	s_and_b64 vcc, exec, s[6:7]
	s_cbranch_vccnz .LBB17_58
.LBB17_37:                              ;   in Loop: Header=BB17_7 Depth=1
	v_lshlrev_b32_e32 v6, 6, v37
	s_and_saveexec_b64 s[6:7], s[2:3]
	s_cbranch_execz .LBB17_39
.LBB17_38:                              ;   in Loop: Header=BB17_7 Depth=1
	s_waitcnt vmcnt(0)
	v_lshl_add_u32 v13, v6, 2, v26
	ds_write_b128 v13, v[1:4]
.LBB17_39:                              ;   in Loop: Header=BB17_7 Depth=1
	s_or_b64 exec, exec, s[6:7]
	s_waitcnt vmcnt(0) lgkmcnt(0)
	s_barrier
	s_and_saveexec_b64 s[6:7], s[72:73]
	s_cbranch_execz .LBB17_75
; %bb.40:                               ;   in Loop: Header=BB17_7 Depth=1
	s_andn2_b64 vcc, exec, s[76:77]
	v_mov_b32_e32 v1, 0
	s_cbranch_vccnz .LBB17_74
; %bb.41:                               ;   in Loop: Header=BB17_7 Depth=1
	v_readlane_b32 s18, v48, 26
	v_readlane_b32 s19, v48, 27
	s_andn2_b64 vcc, exec, s[18:19]
	s_cbranch_vccnz .LBB17_70
; %bb.42:                               ;   in Loop: Header=BB17_7 Depth=1
	v_lshl_add_u32 v2, v37, 8, v35
	s_mov_b32 s17, 0
	v_mov_b32_e32 v1, 0
.LBB17_43:                              ;   Parent Loop BB17_7 Depth=1
                                        ; =>  This Inner Loop Header: Depth=2
	ds_read2_b32 v[3:4], v2 offset1:4
	ds_read2_b32 v[15:16], v2 offset0:8 offset1:12
	ds_read2_b32 v[17:18], v2 offset0:16 offset1:20
	;; [unrolled: 1-line block ×3, first 2 shown]
	s_add_i32 s17, s17, 8
	s_waitcnt lgkmcnt(3)
	v_add3_u32 v1, v3, v1, v4
	s_waitcnt lgkmcnt(2)
	v_add3_u32 v1, v15, v1, v16
	;; [unrolled: 2-line block ×3, first 2 shown]
	v_add_u32_e32 v2, 0x80, v2
	s_cmp_eq_u32 s8, s17
	s_waitcnt lgkmcnt(0)
	v_add3_u32 v1, v40, v1, v41
	s_cbranch_scc0 .LBB17_43
; %bb.44:                               ;   in Loop: Header=BB17_7 Depth=1
	s_mov_b32 s17, s8
	s_branch .LBB17_71
.LBB17_45:                              ;   in Loop: Header=BB17_7 Depth=1
	v_mov_b32_e32 v1, 0
	v_mov_b32_e32 v2, 0
	;; [unrolled: 1-line block ×4, first 2 shown]
	s_and_saveexec_b64 s[66:67], s[10:11]
	s_cbranch_execnz .LBB17_48
; %bb.46:                               ;   in Loop: Header=BB17_7 Depth=1
	s_or_b64 exec, exec, s[66:67]
	v_mov_b32_e32 v13, 0
	s_and_saveexec_b64 s[6:7], s[12:13]
	s_cbranch_execnz .LBB17_51
.LBB17_47:                              ;   in Loop: Header=BB17_7 Depth=1
	s_or_b64 exec, exec, s[6:7]
	s_and_saveexec_b64 s[20:21], s[14:15]
	s_cbranch_execnz .LBB17_52
	s_branch .LBB17_57
.LBB17_48:                              ;   in Loop: Header=BB17_7 Depth=1
	s_mov_b32 s61, 0
	s_mov_b64 s[68:69], 0
	s_mov_b32 s79, 0
	s_mov_b32 s81, 0
	;; [unrolled: 1-line block ×4, first 2 shown]
	v_mov_b32_e32 v6, v19
.LBB17_49:                              ;   Parent Loop BB17_7 Depth=1
                                        ; =>  This Inner Loop Header: Depth=2
	v_add_u32_e32 v1, s61, v32
	v_ashrrev_i32_e32 v2, 31, v1
	v_add_u32_e32 v3, s61, v28
	v_lshlrev_b64 v[1:2], 2, v[1:2]
	v_ashrrev_i32_e32 v4, 31, v3
	v_mov_b32_e32 v13, s70
	v_add_u32_e32 v15, s61, v29
	v_lshlrev_b64 v[3:4], 2, v[3:4]
	v_add_co_u32_e64 v1, s[6:7], s62, v1
	v_ashrrev_i32_e32 v16, 31, v15
	v_addc_co_u32_e64 v2, s[6:7], v13, v2, s[6:7]
	v_add_u32_e32 v17, s61, v31
	v_lshlrev_b64 v[15:16], 2, v[15:16]
	v_add_co_u32_e64 v3, s[6:7], s62, v3
	v_ashrrev_i32_e32 v18, 31, v17
	v_addc_co_u32_e64 v4, s[6:7], v13, v4, s[6:7]
	v_lshlrev_b64 v[17:18], 2, v[17:18]
	v_add_co_u32_e64 v15, s[6:7], s62, v15
	v_addc_co_u32_e64 v16, s[6:7], v13, v16, s[6:7]
	v_add_co_u32_e64 v17, s[6:7], s62, v17
	v_addc_co_u32_e64 v18, s[6:7], v13, v18, s[6:7]
	global_load_dword v1, v[1:2], off
	s_nop 0
	global_load_dword v2, v[3:4], off
	s_nop 0
	global_load_dword v3, v[15:16], off
	global_load_dword v4, v[17:18], off
	v_add_u32_e32 v6, s33, v6
	s_add_i32 s61, s61, s83
	v_cmp_le_i32_e32 vcc, s80, v6
	s_waitcnt vmcnt(3)
	v_xor_b32_e32 v1, 0x80000000, v1
	s_waitcnt vmcnt(2)
	v_xor_b32_e32 v2, 0x80000000, v2
	v_and_b32_e32 v13, v1, v38
	v_bfe_u32 v1, v1, v36, 2
	s_waitcnt vmcnt(1)
	v_xor_b32_e32 v3, 0x80000000, v3
	v_and_b32_e32 v15, v2, v38
	v_bfe_u32 v2, v2, v36, 2
	v_cmp_eq_u32_e64 s[6:7], v13, v30
	v_cmp_eq_u32_e64 s[26:27], 0, v1
	s_waitcnt vmcnt(0)
	v_xor_b32_e32 v4, 0x80000000, v4
	v_and_b32_e32 v16, v3, v38
	v_bfe_u32 v3, v3, v36, 2
	v_cmp_eq_u32_e64 s[20:21], v15, v30
	v_cmp_eq_u32_e64 s[28:29], 0, v2
	s_and_b64 s[26:27], s[6:7], s[26:27]
	v_and_b32_e32 v17, v4, v38
	v_bfe_u32 v4, v4, v36, 2
	v_cmp_eq_u32_e64 s[22:23], v16, v30
	v_cmp_eq_u32_e64 s[30:31], 0, v3
	;; [unrolled: 1-line block ×5, first 2 shown]
	v_cndmask_b32_e64 v1, 0, 1, s[26:27]
	s_and_b64 s[26:27], s[20:21], s[28:29]
	v_cmp_eq_u32_e64 s[24:25], v17, v30
	v_cmp_eq_u32_e64 s[34:35], 0, v4
	;; [unrolled: 1-line block ×5, first 2 shown]
	v_cndmask_b32_e64 v2, 0, 1, s[26:27]
	s_and_b64 s[26:27], s[22:23], s[30:31]
	v_cmp_eq_u32_e64 s[40:41], 1, v3
	v_cmp_eq_u32_e64 s[48:49], 2, v3
	;; [unrolled: 1-line block ×3, first 2 shown]
	v_cndmask_b32_e64 v3, 0, 1, s[26:27]
	s_and_b64 s[26:27], s[24:25], s[34:35]
	v_cmp_eq_u32_e64 s[42:43], 1, v4
	v_cmp_eq_u32_e64 s[50:51], 2, v4
	;; [unrolled: 1-line block ×3, first 2 shown]
	v_cndmask_b32_e64 v4, 0, 1, s[26:27]
	s_and_b64 s[26:27], s[6:7], s[36:37]
	v_cndmask_b32_e64 v13, 0, 1, s[26:27]
	s_and_b64 s[26:27], s[20:21], s[38:39]
	;; [unrolled: 2-line block ×5, first 2 shown]
	s_and_b64 s[6:7], s[6:7], s[52:53]
	v_cndmask_b32_e64 v18, 0, 1, s[26:27]
	s_and_b64 s[26:27], s[20:21], s[46:47]
	v_cndmask_b32_e64 v43, 0, 1, s[6:7]
	;; [unrolled: 2-line block ×7, first 2 shown]
	v_cndmask_b32_e64 v46, 0, 1, s[6:7]
	v_cmp_ne_u32_e64 s[6:7], 0, v1
	v_cmp_ne_u32_e64 s[20:21], 0, v2
	;; [unrolled: 1-line block ×11, first 2 shown]
	s_bcnt1_i32_b64 s6, s[6:7]
	s_bcnt1_i32_b64 s7, s[20:21]
	;; [unrolled: 1-line block ×8, first 2 shown]
	v_cmp_ne_u32_e64 s[34:35], 0, v17
	v_cmp_ne_u32_e64 s[40:41], 0, v41
	v_cmp_ne_u32_e64 s[48:49], 0, v45
	s_bcnt1_i32_b64 s23, s[28:29]
	s_bcnt1_i32_b64 s27, s[38:39]
	;; [unrolled: 1-line block ×3, first 2 shown]
	s_add_i32 s6, s19, s6
	s_add_i32 s18, s18, s22
	;; [unrolled: 1-line block ×4, first 2 shown]
	v_cmp_ne_u32_e64 s[42:43], 0, v42
	v_cmp_ne_u32_e64 s[50:51], 0, v46
	s_bcnt1_i32_b64 s25, s[34:35]
	s_bcnt1_i32_b64 s28, s[40:41]
	;; [unrolled: 1-line block ×3, first 2 shown]
	s_add_i32 s6, s6, s7
	s_add_i32 s7, s18, s23
	;; [unrolled: 1-line block ×4, first 2 shown]
	s_bcnt1_i32_b64 s29, s[42:43]
	s_bcnt1_i32_b64 s35, s[50:51]
	s_add_i32 s6, s6, s20
	s_add_i32 s7, s7, s24
	s_add_i32 s20, s18, s28
	s_add_i32 s22, s19, s34
	s_add_i32 s19, s6, s21
	s_add_i32 s18, s7, s25
	s_add_i32 s81, s20, s29
	s_add_i32 s79, s22, s35
	s_or_b64 s[68:69], vcc, s[68:69]
	v_mov_b32_e32 v1, s19
	v_mov_b32_e32 v2, s18
	;; [unrolled: 1-line block ×4, first 2 shown]
	s_andn2_b64 exec, exec, s[68:69]
	s_cbranch_execnz .LBB17_49
; %bb.50:                               ;   in Loop: Header=BB17_7 Depth=1
	s_or_b64 exec, exec, s[68:69]
	s_or_b64 exec, exec, s[66:67]
	v_mov_b32_e32 v13, 0
	s_and_saveexec_b64 s[6:7], s[12:13]
	s_cbranch_execz .LBB17_47
.LBB17_51:                              ;   in Loop: Header=BB17_7 Depth=1
	global_load_dword v13, v[10:11], off
	s_or_b64 exec, exec, s[6:7]
	s_and_saveexec_b64 s[20:21], s[14:15]
	s_cbranch_execz .LBB17_57
.LBB17_52:                              ;   in Loop: Header=BB17_7 Depth=1
	s_mov_b64 s[22:23], 0
	v_mov_b32_e32 v15, v33
	v_mov_b32_e32 v6, v27
	s_branch .LBB17_54
.LBB17_53:                              ;   in Loop: Header=BB17_54 Depth=2
	s_or_b64 exec, exec, s[6:7]
	s_waitcnt vmcnt(0)
	v_xor_b32_e32 v13, 0x80000000, v13
	v_and_b32_e32 v17, v13, v38
	v_bfe_u32 v13, v13, v36, 2
	v_cmp_eq_u32_e32 vcc, v17, v30
	v_cmp_eq_u32_e64 s[6:7], 0, v13
	s_and_b64 s[6:7], vcc, s[6:7]
	v_cndmask_b32_e64 v17, 0, 1, s[6:7]
	v_cmp_ne_u32_e64 s[6:7], 0, v17
	s_bcnt1_i32_b64 s6, s[6:7]
	v_add_u32_e32 v1, s6, v1
	v_cmp_eq_u32_e64 s[6:7], 1, v13
	s_and_b64 s[6:7], vcc, s[6:7]
	v_cndmask_b32_e64 v17, 0, 1, s[6:7]
	v_cmp_ne_u32_e64 s[6:7], 0, v17
	s_bcnt1_i32_b64 s6, s[6:7]
	v_add_u32_e32 v2, s6, v2
	;; [unrolled: 6-line block ×3, first 2 shown]
	v_cmp_eq_u32_e64 s[6:7], 3, v13
	s_and_b64 s[6:7], vcc, s[6:7]
	v_cndmask_b32_e64 v13, 0, 1, s[6:7]
	v_cmp_ne_u32_e32 vcc, 0, v13
	s_bcnt1_i32_b64 s6, vcc
	v_cmp_le_i32_e32 vcc, s60, v6
	v_add_u32_e32 v4, s6, v4
	v_add_u32_e32 v15, s78, v15
	s_or_b64 s[22:23], vcc, s[22:23]
	v_mov_b32_e32 v13, v16
	s_andn2_b64 exec, exec, s[22:23]
	s_cbranch_execz .LBB17_56
.LBB17_54:                              ;   Parent Loop BB17_7 Depth=1
                                        ; =>  This Inner Loop Header: Depth=2
	v_add_u32_e32 v6, s71, v6
	v_cmp_gt_u32_e32 vcc, s60, v6
	v_mov_b32_e32 v16, 0
	s_and_saveexec_b64 s[6:7], vcc
	s_cbranch_execz .LBB17_53
; %bb.55:                               ;   in Loop: Header=BB17_54 Depth=2
	v_ashrrev_i32_e32 v16, 31, v15
	v_lshlrev_b64 v[16:17], 2, v[15:16]
	v_mov_b32_e32 v18, s70
	v_add_co_u32_e32 v16, vcc, s62, v16
	v_addc_co_u32_e32 v17, vcc, v18, v17, vcc
	global_load_dword v16, v[16:17], off
	s_branch .LBB17_53
.LBB17_56:                              ;   in Loop: Header=BB17_7 Depth=1
	s_or_b64 exec, exec, s[22:23]
.LBB17_57:                              ;   in Loop: Header=BB17_7 Depth=1
	s_or_b64 exec, exec, s[20:21]
	s_branch .LBB17_37
.LBB17_58:                              ;   in Loop: Header=BB17_7 Depth=1
	s_mul_hi_u32 s6, s17, s9
	s_mul_i32 s6, s6, s33
	s_sub_i32 s6, s17, s6
	s_sub_i32 s7, s6, s33
	s_cmp_ge_u32 s6, s33
	s_cselect_b32 s6, s7, s6
	s_sub_i32 s7, s6, s33
	s_cmp_ge_u32 s6, s33
	s_cselect_b32 s6, s7, s6
	s_sub_i32 s18, s17, s6
	v_cmp_gt_u32_e32 vcc, s18, v19
	v_mov_b32_e32 v1, 0
	v_mov_b32_e32 v2, 0
	;; [unrolled: 1-line block ×4, first 2 shown]
	s_and_saveexec_b64 s[66:67], vcc
	s_cbranch_execz .LBB17_62
; %bb.59:                               ;   in Loop: Header=BB17_7 Depth=1
	s_mov_b32 s19, 0
	s_mov_b64 s[68:69], 0
	v_mov_b32_e32 v6, v34
	s_mov_b32 s61, 0
	s_mov_b32 s79, 0
	;; [unrolled: 1-line block ×3, first 2 shown]
	s_waitcnt vmcnt(0)
	v_mov_b32_e32 v13, v19
.LBB17_60:                              ;   Parent Loop BB17_7 Depth=1
                                        ; =>  This Inner Loop Header: Depth=2
	ds_read_b128 v[1:4], v6
	v_add_u32_e32 v13, s33, v13
	v_cmp_le_i32_e32 vcc, s18, v13
	v_add_u32_e32 v6, s16, v6
	s_waitcnt lgkmcnt(0)
	v_xor_b32_e32 v1, 0x80000000, v1
	v_xor_b32_e32 v2, 0x80000000, v2
	v_and_b32_e32 v15, v1, v38
	v_bfe_u32 v1, v1, v36, 2
	v_xor_b32_e32 v3, 0x80000000, v3
	v_and_b32_e32 v16, v2, v38
	v_bfe_u32 v2, v2, v36, 2
	v_cmp_eq_u32_e64 s[6:7], v15, v30
	v_cmp_eq_u32_e64 s[26:27], 0, v1
	v_xor_b32_e32 v4, 0x80000000, v4
	v_and_b32_e32 v17, v3, v38
	v_bfe_u32 v3, v3, v36, 2
	v_cmp_eq_u32_e64 s[20:21], v16, v30
	v_cmp_eq_u32_e64 s[28:29], 0, v2
	s_and_b64 s[26:27], s[6:7], s[26:27]
	v_and_b32_e32 v18, v4, v38
	v_bfe_u32 v4, v4, v36, 2
	v_cmp_eq_u32_e64 s[22:23], v17, v30
	v_cmp_eq_u32_e64 s[30:31], 0, v3
	;; [unrolled: 1-line block ×5, first 2 shown]
	v_cndmask_b32_e64 v1, 0, 1, s[26:27]
	s_and_b64 s[26:27], s[20:21], s[28:29]
	v_cmp_eq_u32_e64 s[24:25], v18, v30
	v_cmp_eq_u32_e64 s[34:35], 0, v4
	;; [unrolled: 1-line block ×5, first 2 shown]
	v_cndmask_b32_e64 v2, 0, 1, s[26:27]
	s_and_b64 s[26:27], s[22:23], s[30:31]
	v_cmp_eq_u32_e64 s[40:41], 1, v3
	v_cmp_eq_u32_e64 s[48:49], 2, v3
	;; [unrolled: 1-line block ×3, first 2 shown]
	v_cndmask_b32_e64 v3, 0, 1, s[26:27]
	s_and_b64 s[26:27], s[24:25], s[34:35]
	v_cmp_eq_u32_e64 s[42:43], 1, v4
	v_cmp_eq_u32_e64 s[50:51], 2, v4
	;; [unrolled: 1-line block ×3, first 2 shown]
	v_cndmask_b32_e64 v4, 0, 1, s[26:27]
	s_and_b64 s[26:27], s[6:7], s[36:37]
	v_cndmask_b32_e64 v15, 0, 1, s[26:27]
	s_and_b64 s[26:27], s[20:21], s[38:39]
	;; [unrolled: 2-line block ×5, first 2 shown]
	s_and_b64 s[6:7], s[6:7], s[52:53]
	v_cndmask_b32_e64 v40, 0, 1, s[26:27]
	s_and_b64 s[26:27], s[20:21], s[46:47]
	v_cndmask_b32_e64 v44, 0, 1, s[6:7]
	;; [unrolled: 2-line block ×7, first 2 shown]
	v_cndmask_b32_e64 v47, 0, 1, s[6:7]
	v_cmp_ne_u32_e64 s[6:7], 0, v1
	v_cmp_ne_u32_e64 s[20:21], 0, v2
	;; [unrolled: 1-line block ×11, first 2 shown]
	s_bcnt1_i32_b64 s6, s[6:7]
	s_bcnt1_i32_b64 s7, s[20:21]
	;; [unrolled: 1-line block ×8, first 2 shown]
	v_cmp_ne_u32_e64 s[34:35], 0, v18
	v_cmp_ne_u32_e64 s[40:41], 0, v42
	;; [unrolled: 1-line block ×3, first 2 shown]
	s_bcnt1_i32_b64 s23, s[28:29]
	s_bcnt1_i32_b64 s27, s[38:39]
	;; [unrolled: 1-line block ×3, first 2 shown]
	s_add_i32 s6, s81, s6
	s_add_i32 s22, s79, s22
	;; [unrolled: 1-line block ×4, first 2 shown]
	v_cmp_ne_u32_e64 s[42:43], 0, v43
	v_cmp_ne_u32_e64 s[50:51], 0, v47
	s_bcnt1_i32_b64 s25, s[34:35]
	s_bcnt1_i32_b64 s28, s[40:41]
	;; [unrolled: 1-line block ×3, first 2 shown]
	s_add_i32 s6, s6, s7
	s_add_i32 s7, s22, s23
	;; [unrolled: 1-line block ×4, first 2 shown]
	s_bcnt1_i32_b64 s29, s[42:43]
	s_bcnt1_i32_b64 s35, s[50:51]
	s_add_i32 s6, s6, s20
	s_add_i32 s7, s7, s24
	;; [unrolled: 1-line block ×8, first 2 shown]
	s_or_b64 s[68:69], vcc, s[68:69]
	v_mov_b32_e32 v1, s81
	v_mov_b32_e32 v2, s79
	;; [unrolled: 1-line block ×4, first 2 shown]
	s_andn2_b64 exec, exec, s[68:69]
	s_cbranch_execnz .LBB17_60
; %bb.61:                               ;   in Loop: Header=BB17_7 Depth=1
	s_or_b64 exec, exec, s[68:69]
.LBB17_62:                              ;   in Loop: Header=BB17_7 Depth=1
	s_or_b64 exec, exec, s[66:67]
	v_add_u32_e32 v6, s18, v0
	v_cmp_gt_i32_e32 vcc, s17, v6
	s_and_saveexec_b64 s[28:29], vcc
	s_cbranch_execz .LBB17_66
; %bb.63:                               ;   in Loop: Header=BB17_7 Depth=1
	s_waitcnt vmcnt(0)
	v_lshlrev_b32_e32 v13, 2, v6
	s_mov_b64 s[30:31], 0
.LBB17_64:                              ;   Parent Loop BB17_7 Depth=1
                                        ; =>  This Inner Loop Header: Depth=2
	ds_read_b32 v15, v13
	v_add_u32_e32 v6, s71, v6
	v_cmp_le_i32_e32 vcc, s17, v6
	v_add_u32_e32 v13, s33, v13
	s_waitcnt lgkmcnt(0)
	v_xor_b32_e32 v15, 0x80000000, v15
	v_and_b32_e32 v16, v15, v38
	v_bfe_u32 v15, v15, v36, 2
	v_cmp_eq_u32_e64 s[6:7], v16, v30
	v_cmp_eq_u32_e64 s[20:21], 0, v15
	;; [unrolled: 1-line block ×3, first 2 shown]
	s_and_b64 s[18:19], s[6:7], s[20:21]
	v_cmp_eq_u32_e64 s[24:25], 2, v15
	v_cmp_eq_u32_e64 s[26:27], 3, v15
	v_cndmask_b32_e64 v15, 0, 1, s[18:19]
	s_and_b64 s[18:19], s[6:7], s[22:23]
	v_cndmask_b32_e64 v16, 0, 1, s[18:19]
	s_and_b64 s[18:19], s[6:7], s[24:25]
	s_and_b64 s[6:7], s[6:7], s[26:27]
	v_cndmask_b32_e64 v17, 0, 1, s[18:19]
	v_cndmask_b32_e64 v18, 0, 1, s[6:7]
	v_cmp_ne_u32_e64 s[6:7], 0, v15
	v_cmp_ne_u32_e64 s[20:21], 0, v16
	;; [unrolled: 1-line block ×4, first 2 shown]
	s_bcnt1_i32_b64 s6, s[6:7]
	s_bcnt1_i32_b64 s7, s[20:21]
	;; [unrolled: 1-line block ×4, first 2 shown]
	v_add_u32_e32 v1, s6, v1
	v_add_u32_e32 v2, s7, v2
	;; [unrolled: 1-line block ×3, first 2 shown]
	s_or_b64 s[30:31], vcc, s[30:31]
	v_add_u32_e32 v4, s19, v4
	s_andn2_b64 exec, exec, s[30:31]
	s_cbranch_execnz .LBB17_64
; %bb.65:                               ;   in Loop: Header=BB17_7 Depth=1
	s_or_b64 exec, exec, s[30:31]
.LBB17_66:                              ;   in Loop: Header=BB17_7 Depth=1
	s_or_b64 exec, exec, s[28:29]
	v_lshlrev_b32_e32 v6, 6, v37
	s_and_saveexec_b64 s[6:7], s[2:3]
	s_cbranch_execnz .LBB17_38
	s_branch .LBB17_39
.LBB17_67:                              ;   in Loop: Header=BB17_7 Depth=1
	s_or_b64 exec, exec, s[22:23]
	s_waitcnt lgkmcnt(0)
	s_barrier
	s_and_saveexec_b64 s[6:7], s[0:1]
	s_cbranch_execz .LBB17_69
; %bb.68:                               ;   in Loop: Header=BB17_7 Depth=1
	ds_read_b32 v1, v7 offset:4104
	s_waitcnt lgkmcnt(0)
	ds_write_b32 v7, v1 offset:4096
.LBB17_69:                              ;   in Loop: Header=BB17_7 Depth=1
	s_or_b64 exec, exec, s[6:7]
	s_waitcnt lgkmcnt(0)
	s_barrier
	s_mov_b64 s[6:7], -1
	s_and_b64 vcc, exec, s[20:21]
	s_cbranch_vccnz .LBB17_23
	s_branch .LBB17_33
.LBB17_70:                              ;   in Loop: Header=BB17_7 Depth=1
	v_mov_b32_e32 v1, 0
	s_mov_b32 s17, 0
.LBB17_71:                              ;   in Loop: Header=BB17_7 Depth=1
	v_readlane_b32 s18, v48, 29
	v_readlane_b32 s19, v48, 30
	s_andn2_b64 vcc, exec, s[18:19]
	s_cbranch_vccnz .LBB17_74
; %bb.72:                               ;   in Loop: Header=BB17_7 Depth=1
	v_lshlrev_b32_e32 v2, 8, v37
	s_lshl_b32 s17, s17, 4
	v_add_u32_e32 v2, s17, v2
	v_add_u32_e32 v2, v35, v2
	v_readlane_b32 s17, v48, 28
.LBB17_73:                              ;   Parent Loop BB17_7 Depth=1
                                        ; =>  This Inner Loop Header: Depth=2
	ds_read_b32 v3, v2
	s_add_i32 s17, s17, -1
	v_add_u32_e32 v2, 16, v2
	s_cmp_lg_u32 s17, 0
	s_waitcnt lgkmcnt(0)
	v_add_u32_e32 v1, v3, v1
	s_cbranch_scc1 .LBB17_73
.LBB17_74:                              ;   in Loop: Header=BB17_7 Depth=1
	v_add_lshl_u32 v2, v6, v20, 2
	ds_write_b32 v2, v1 offset:3072
.LBB17_75:                              ;   in Loop: Header=BB17_7 Depth=1
	s_or_b64 exec, exec, s[6:7]
	v_lshlrev_b32_e32 v1, 2, v6
	s_waitcnt lgkmcnt(0)
	s_barrier
	ds_read_b128 v[1:4], v1 offset:3072
	v_cmp_eq_u32_e32 vcc, 1, v39
	s_mov_b64 s[20:21], -1
	s_mov_b64 s[28:29], -1
                                        ; implicit-def: $sgpr26_sgpr27
                                        ; implicit-def: $sgpr24_sgpr25
	s_waitcnt lgkmcnt(0)
	v_readfirstlane_b32 s42, v1
	s_cmp_eq_u32 s42, 1
	v_readfirstlane_b32 s54, v3
	v_lshlrev_b32_e64 v3, v36, 3
	s_cselect_b64 s[6:7], -1, 0
	v_readfirstlane_b32 s46, v2
	v_readfirstlane_b32 s17, v4
	v_not_b32_e32 v6, v3
	s_and_b64 s[22:23], s[6:7], vcc
	s_and_saveexec_b64 s[6:7], s[22:23]
	s_cbranch_execz .LBB17_101
; %bb.76:                               ;   in Loop: Header=BB17_7 Depth=1
	ds_read_b32 v1, v7 offset:4096
	s_waitcnt lgkmcnt(0)
	s_barrier
	v_readfirstlane_b32 s18, v1
	s_and_saveexec_b64 s[24:25], s[4:5]
; %bb.77:                               ;   in Loop: Header=BB17_7 Depth=1
	ds_write_b32 v21, v7
; %bb.78:                               ;   in Loop: Header=BB17_7 Depth=1
	s_or_b64 exec, exec, s[24:25]
	v_and_b32_e32 v30, v30, v6
	v_or_b32_e32 v38, v38, v3
	s_mov_b64 s[24:25], -1
	s_mov_b64 s[26:27], 0
	s_cmp_lt_i32 s18, 1
	s_mov_b64 s[28:29], 0
	s_mov_b64 s[30:31], -1
	s_waitcnt lgkmcnt(0)
	s_barrier
                                        ; implicit-def: $vgpr14
	s_cbranch_scc0 .LBB17_89
; %bb.79:                               ;   in Loop: Header=BB17_7 Depth=1
	s_mov_b64 s[30:31], 0
                                        ; implicit-def: $vgpr14
	s_mov_b64 s[34:35], exec
	v_readlane_b32 s36, v48, 32
	v_readlane_b32 s37, v48, 33
	s_and_b64 s[36:37], s[34:35], s[36:37]
	s_mov_b64 exec, s[36:37]
	s_cbranch_execz .LBB17_88
; %bb.80:                               ;   in Loop: Header=BB17_7 Depth=1
	v_mov_b32_e32 v1, v5
	v_mov_b32_e32 v4, v0
                                        ; implicit-def: $sgpr36_sgpr37
	s_branch .LBB17_83
.LBB17_81:                              ;   in Loop: Header=BB17_83 Depth=2
	s_or_b64 exec, exec, s[38:39]
	s_waitcnt lgkmcnt(0)
	s_barrier
	ds_read_b64 v[13:14], v7 offset:3072
	s_mov_b64 s[38:39], -1
	s_mov_b64 s[40:41], -1
	s_waitcnt lgkmcnt(0)
	s_barrier
	v_cmp_ne_u32_e32 vcc, 0, v13
	s_cbranch_vccz .LBB17_86
.LBB17_82:                              ;   in Loop: Header=BB17_83 Depth=2
	s_and_b64 s[38:39], exec, s[38:39]
	s_or_b64 s[28:29], s[38:39], s[28:29]
	s_andn2_b64 s[36:37], s[36:37], exec
	s_and_b64 s[38:39], s[40:41], exec
	s_or_b64 s[36:37], s[36:37], s[38:39]
	s_andn2_b64 exec, exec, s[28:29]
	s_cbranch_execz .LBB17_87
.LBB17_83:                              ;   Parent Loop BB17_7 Depth=1
                                        ; =>  This Inner Loop Header: Depth=2
	v_cmp_gt_i32_e32 vcc, s60, v4
	s_and_saveexec_b64 s[38:39], vcc
	s_cbranch_execz .LBB17_81
; %bb.84:                               ;   in Loop: Header=BB17_83 Depth=2
	v_ashrrev_i32_e32 v2, 31, v1
	v_lshlrev_b64 v[13:14], 2, v[1:2]
	v_mov_b32_e32 v2, s70
	v_add_co_u32_e32 v13, vcc, s62, v13
	v_addc_co_u32_e32 v14, vcc, v2, v14, vcc
	global_load_dword v13, v[13:14], off
	s_waitcnt vmcnt(0)
	v_xor_b32_e32 v2, 0x80000000, v13
	v_and_b32_e32 v2, v2, v38
	v_cmp_eq_u32_e32 vcc, v2, v30
	s_and_b64 exec, exec, vcc
	s_cbranch_execz .LBB17_81
; %bb.85:                               ;   in Loop: Header=BB17_83 Depth=2
	ds_write_b64 v7, v[12:13] offset:3072
	s_branch .LBB17_81
.LBB17_86:                              ;   in Loop: Header=BB17_83 Depth=2
	v_add_u32_e32 v4, s71, v4
	v_cmp_le_i32_e32 vcc, s82, v4
	v_add_u32_e32 v1, s78, v1
	s_mov_b64 s[40:41], 0
	s_orn2_b64 s[38:39], vcc, exec
	s_branch .LBB17_82
.LBB17_87:                              ;   in Loop: Header=BB17_7 Depth=1
	s_or_b64 exec, exec, s[28:29]
	s_and_b64 s[28:29], s[36:37], exec
.LBB17_88:                              ;   in Loop: Header=BB17_7 Depth=1
	s_or_b64 exec, exec, s[34:35]
.LBB17_89:                              ;   in Loop: Header=BB17_7 Depth=1
	s_and_b64 vcc, exec, s[30:31]
	s_cbranch_vccz .LBB17_100
; %bb.90:                               ;   in Loop: Header=BB17_7 Depth=1
	v_readlane_b32 s19, v48, 19
	s_add_i32 s19, s18, s19
	s_abs_i32 s25, s19
	v_readlane_b32 s26, v48, 31
	s_mul_hi_u32 s26, s25, s26
	s_mul_i32 s26, s26, s71
	s_sub_i32 s25, s25, s26
	s_ashr_i32 s24, s19, 31
	s_sub_i32 s26, s25, s71
	s_cmp_ge_u32 s25, s71
	s_cselect_b32 s25, s26, s25
	s_sub_i32 s26, s25, s71
	s_cmp_ge_u32 s25, s71
	s_cselect_b32 s25, s26, s25
	s_xor_b32 s25, s25, s24
	s_sub_i32 s24, s24, s25
	s_add_i32 s19, s19, s24
	v_cmp_gt_i32_e32 vcc, s19, v0
                                        ; implicit-def: $vgpr14
	s_and_saveexec_b64 s[24:25], vcc
	s_cbranch_execz .LBB17_99
; %bb.91:                               ;   in Loop: Header=BB17_7 Depth=1
	s_mov_b64 s[26:27], 0
	v_mov_b32_e32 v1, v19
	v_mov_b32_e32 v2, v0
                                        ; implicit-def: $sgpr30_sgpr31
	s_branch .LBB17_94
.LBB17_92:                              ;   in Loop: Header=BB17_94 Depth=2
	s_or_b64 exec, exec, s[34:35]
	s_waitcnt lgkmcnt(0)
	s_barrier
	ds_read_b64 v[13:14], v7 offset:3072
	s_mov_b64 s[34:35], -1
	s_mov_b64 s[36:37], -1
	s_waitcnt lgkmcnt(0)
	s_barrier
	v_cmp_ne_u32_e32 vcc, 0, v13
	s_cbranch_vccz .LBB17_97
.LBB17_93:                              ;   in Loop: Header=BB17_94 Depth=2
	s_and_b64 s[34:35], exec, s[34:35]
	s_or_b64 s[26:27], s[34:35], s[26:27]
	s_andn2_b64 s[30:31], s[30:31], exec
	s_and_b64 s[34:35], s[36:37], exec
	s_or_b64 s[30:31], s[30:31], s[34:35]
	s_andn2_b64 exec, exec, s[26:27]
	s_cbranch_execz .LBB17_98
.LBB17_94:                              ;   Parent Loop BB17_7 Depth=1
                                        ; =>  This Inner Loop Header: Depth=2
	v_cmp_gt_i32_e32 vcc, s18, v2
	s_and_saveexec_b64 s[34:35], vcc
	s_cbranch_execz .LBB17_92
; %bb.95:                               ;   in Loop: Header=BB17_94 Depth=2
	ds_read_b32 v13, v1
	s_waitcnt lgkmcnt(0)
	v_xor_b32_e32 v4, 0x80000000, v13
	v_and_b32_e32 v4, v4, v38
	v_cmp_eq_u32_e32 vcc, v4, v30
	s_and_b64 exec, exec, vcc
	s_cbranch_execz .LBB17_92
; %bb.96:                               ;   in Loop: Header=BB17_94 Depth=2
	ds_write_b64 v7, v[12:13] offset:3072
	s_branch .LBB17_92
.LBB17_97:                              ;   in Loop: Header=BB17_94 Depth=2
	v_add_u32_e32 v2, s71, v2
	v_cmp_le_i32_e32 vcc, s19, v2
	v_add_u32_e32 v1, s33, v1
	s_mov_b64 s[36:37], 0
	s_orn2_b64 s[34:35], vcc, exec
	s_branch .LBB17_93
.LBB17_98:                              ;   in Loop: Header=BB17_7 Depth=1
	s_or_b64 exec, exec, s[26:27]
	s_andn2_b64 s[18:19], s[28:29], exec
	s_and_b64 s[26:27], s[30:31], exec
	s_or_b64 s[28:29], s[18:19], s[26:27]
.LBB17_99:                              ;   in Loop: Header=BB17_7 Depth=1
	s_or_b64 exec, exec, s[24:25]
	s_mov_b64 s[24:25], 0
	s_mov_b64 s[26:27], -1
.LBB17_100:                             ;   in Loop: Header=BB17_7 Depth=1
	s_orn2_b64 s[28:29], s[28:29], exec
.LBB17_101:                             ;   in Loop: Header=BB17_7 Depth=1
	s_or_b64 exec, exec, s[6:7]
	s_andn2_b64 s[6:7], s[64:65], exec
	s_and_b64 s[18:19], s[26:27], exec
	s_or_b64 s[64:65], s[6:7], s[18:19]
	s_andn2_b64 s[6:7], s[94:95], exec
	s_and_b64 s[18:19], s[24:25], exec
	s_andn2_b64 s[92:93], s[92:93], exec
	s_or_b64 s[94:95], s[6:7], s[18:19]
                                        ; implicit-def: $vgpr15
	s_and_saveexec_b64 s[6:7], s[28:29]
	s_cbranch_execz .LBB17_6
; %bb.102:                              ;   in Loop: Header=BB17_7 Depth=1
	s_xor_b64 s[18:19], s[22:23], -1
	s_mov_b64 s[22:23], 0
	v_mov_b32_e32 v15, 1
	v_mov_b32_e32 v4, 1
	s_and_saveexec_b64 s[20:21], s[18:19]
	s_cbranch_execz .LBB17_111
; %bb.103:                              ;   in Loop: Header=BB17_7 Depth=1
	v_cmp_ge_i32_e32 vcc, s42, v39
	s_and_saveexec_b64 s[18:19], vcc
	s_xor_b64 s[22:23], exec, s[18:19]
	s_cbranch_execz .LBB17_108
; %bb.104:                              ;   in Loop: Header=BB17_7 Depth=1
	ds_read_b32 v1, v7 offset:4096
	v_and_b32_e32 v30, v30, v6
	v_or_b32_e32 v38, v38, v3
	s_waitcnt lgkmcnt(0)
	v_cmp_ne_u32_e32 vcc, 0, v1
	s_cbranch_vccnz .LBB17_108
; %bb.105:                              ;   in Loop: Header=BB17_7 Depth=1
	s_and_saveexec_b64 s[24:25], s[0:1]
; %bb.106:                              ;   in Loop: Header=BB17_7 Depth=1
	v_mov_b32_e32 v1, s42
	ds_write_b32 v7, v1 offset:4100
; %bb.107:                              ;   in Loop: Header=BB17_7 Depth=1
	s_or_b64 exec, exec, s[24:25]
	s_waitcnt lgkmcnt(0)
	s_barrier
.LBB17_108:                             ;   in Loop: Header=BB17_7 Depth=1
	s_or_saveexec_b64 s[22:23], s[22:23]
	s_mov_b64 s[24:25], 0
	v_mov_b32_e32 v4, 8
	s_xor_b64 exec, exec, s[22:23]
; %bb.109:                              ;   in Loop: Header=BB17_7 Depth=1
	s_mov_b64 s[24:25], exec
	v_subrev_u32_e32 v39, s42, v39
	v_mov_b32_e32 v4, 0
; %bb.110:                              ;   in Loop: Header=BB17_7 Depth=1
	s_or_b64 exec, exec, s[22:23]
	s_and_b64 s[22:23], s[24:25], exec
	v_mov_b32_e32 v15, v39
.LBB17_111:                             ;   in Loop: Header=BB17_7 Depth=1
	s_or_b64 exec, exec, s[20:21]
	s_mov_b64 s[20:21], -1
	s_mov_b64 s[28:29], -1
                                        ; implicit-def: $sgpr24_sgpr25
                                        ; implicit-def: $sgpr26_sgpr27
	s_and_saveexec_b64 s[18:19], s[22:23]
	s_xor_b64 s[22:23], exec, s[18:19]
	s_cbranch_execz .LBB17_228
; %bb.112:                              ;   in Loop: Header=BB17_7 Depth=1
	s_cmp_eq_u32 s46, 1
	s_cselect_b64 s[18:19], -1, 0
	v_cmp_eq_u32_e32 vcc, 1, v15
	s_and_b64 s[30:31], s[18:19], vcc
	s_mov_b64 s[34:35], -1
                                        ; implicit-def: $sgpr26_sgpr27
                                        ; implicit-def: $sgpr24_sgpr25
	s_and_saveexec_b64 s[28:29], s[30:31]
	s_cbranch_execz .LBB17_138
; %bb.113:                              ;   in Loop: Header=BB17_7 Depth=1
	ds_read_b32 v1, v7 offset:4096
	s_waitcnt lgkmcnt(0)
	s_barrier
	v_readfirstlane_b32 s18, v1
	s_and_saveexec_b64 s[24:25], s[4:5]
; %bb.114:                              ;   in Loop: Header=BB17_7 Depth=1
	ds_write_b32 v21, v7
; %bb.115:                              ;   in Loop: Header=BB17_7 Depth=1
	s_or_b64 exec, exec, s[24:25]
	v_and_b32_e32 v1, v30, v6
	v_lshl_or_b32 v30, 1, v36, v1
	v_or_b32_e32 v38, v38, v3
	s_mov_b64 s[24:25], -1
	s_mov_b64 s[26:27], 0
	s_cmp_gt_i32 s18, 0
	s_mov_b64 s[34:35], 0
	s_mov_b64 s[36:37], -1
	s_waitcnt lgkmcnt(0)
	s_barrier
                                        ; implicit-def: $vgpr14
	s_cbranch_scc1 .LBB17_126
; %bb.116:                              ;   in Loop: Header=BB17_7 Depth=1
	s_mov_b64 s[36:37], 0
                                        ; implicit-def: $vgpr14
	s_mov_b64 s[38:39], exec
	v_readlane_b32 s40, v48, 32
	v_readlane_b32 s41, v48, 33
	s_and_b64 s[40:41], s[38:39], s[40:41]
	s_mov_b64 exec, s[40:41]
	s_cbranch_execz .LBB17_125
; %bb.117:                              ;   in Loop: Header=BB17_7 Depth=1
	v_mov_b32_e32 v1, v5
	v_mov_b32_e32 v16, v0
                                        ; implicit-def: $sgpr40_sgpr41
	s_branch .LBB17_120
.LBB17_118:                             ;   in Loop: Header=BB17_120 Depth=2
	s_or_b64 exec, exec, s[42:43]
	s_waitcnt lgkmcnt(0)
	s_barrier
	ds_read_b64 v[13:14], v7 offset:3072
	s_mov_b64 s[42:43], -1
	s_mov_b64 s[44:45], -1
	s_waitcnt lgkmcnt(0)
	s_barrier
	v_cmp_ne_u32_e32 vcc, 0, v13
	s_cbranch_vccz .LBB17_123
.LBB17_119:                             ;   in Loop: Header=BB17_120 Depth=2
	s_and_b64 s[42:43], exec, s[42:43]
	s_or_b64 s[34:35], s[42:43], s[34:35]
	s_andn2_b64 s[40:41], s[40:41], exec
	s_and_b64 s[42:43], s[44:45], exec
	s_or_b64 s[40:41], s[40:41], s[42:43]
	s_andn2_b64 exec, exec, s[34:35]
	s_cbranch_execz .LBB17_124
.LBB17_120:                             ;   Parent Loop BB17_7 Depth=1
                                        ; =>  This Inner Loop Header: Depth=2
	v_cmp_gt_i32_e32 vcc, s60, v16
	s_and_saveexec_b64 s[42:43], vcc
	s_cbranch_execz .LBB17_118
; %bb.121:                              ;   in Loop: Header=BB17_120 Depth=2
	v_ashrrev_i32_e32 v2, 31, v1
	v_lshlrev_b64 v[13:14], 2, v[1:2]
	v_mov_b32_e32 v2, s70
	v_add_co_u32_e32 v13, vcc, s62, v13
	v_addc_co_u32_e32 v14, vcc, v2, v14, vcc
	global_load_dword v13, v[13:14], off
	s_waitcnt vmcnt(0)
	v_xor_b32_e32 v2, 0x80000000, v13
	v_and_b32_e32 v2, v2, v38
	v_cmp_eq_u32_e32 vcc, v2, v30
	s_and_b64 exec, exec, vcc
	s_cbranch_execz .LBB17_118
; %bb.122:                              ;   in Loop: Header=BB17_120 Depth=2
	ds_write_b64 v7, v[12:13] offset:3072
	s_branch .LBB17_118
.LBB17_123:                             ;   in Loop: Header=BB17_120 Depth=2
	v_add_u32_e32 v16, s71, v16
	v_cmp_le_i32_e32 vcc, s82, v16
	v_add_u32_e32 v1, s78, v1
	s_mov_b64 s[44:45], 0
	s_orn2_b64 s[42:43], vcc, exec
	s_branch .LBB17_119
.LBB17_124:                             ;   in Loop: Header=BB17_7 Depth=1
	s_or_b64 exec, exec, s[34:35]
	s_and_b64 s[34:35], s[40:41], exec
.LBB17_125:                             ;   in Loop: Header=BB17_7 Depth=1
	s_or_b64 exec, exec, s[38:39]
.LBB17_126:                             ;   in Loop: Header=BB17_7 Depth=1
	s_and_b64 vcc, exec, s[36:37]
	s_cbranch_vccz .LBB17_137
; %bb.127:                              ;   in Loop: Header=BB17_7 Depth=1
	v_readlane_b32 s19, v48, 19
	s_add_i32 s19, s18, s19
	s_abs_i32 s25, s19
	v_readlane_b32 s26, v48, 31
	s_mul_hi_u32 s26, s25, s26
	s_mul_i32 s26, s26, s71
	s_sub_i32 s25, s25, s26
	s_ashr_i32 s24, s19, 31
	s_sub_i32 s26, s25, s71
	s_cmp_ge_u32 s25, s71
	s_cselect_b32 s25, s26, s25
	s_sub_i32 s26, s25, s71
	s_cmp_ge_u32 s25, s71
	s_cselect_b32 s25, s26, s25
	s_xor_b32 s25, s25, s24
	s_sub_i32 s24, s24, s25
	s_add_i32 s19, s19, s24
	v_cmp_gt_i32_e32 vcc, s19, v0
                                        ; implicit-def: $vgpr14
	s_and_saveexec_b64 s[24:25], vcc
	s_cbranch_execz .LBB17_136
; %bb.128:                              ;   in Loop: Header=BB17_7 Depth=1
	s_mov_b64 s[26:27], 0
	v_mov_b32_e32 v1, v19
	v_mov_b32_e32 v2, v0
                                        ; implicit-def: $sgpr36_sgpr37
	s_branch .LBB17_131
.LBB17_129:                             ;   in Loop: Header=BB17_131 Depth=2
	s_or_b64 exec, exec, s[38:39]
	s_waitcnt lgkmcnt(0)
	s_barrier
	ds_read_b64 v[13:14], v7 offset:3072
	s_mov_b64 s[38:39], -1
	s_mov_b64 s[40:41], -1
	s_waitcnt lgkmcnt(0)
	s_barrier
	v_cmp_eq_u32_e32 vcc, 0, v13
	s_cbranch_vccnz .LBB17_134
.LBB17_130:                             ;   in Loop: Header=BB17_131 Depth=2
	s_and_b64 s[38:39], exec, s[38:39]
	s_or_b64 s[26:27], s[38:39], s[26:27]
	s_andn2_b64 s[36:37], s[36:37], exec
	s_and_b64 s[38:39], s[40:41], exec
	s_or_b64 s[36:37], s[36:37], s[38:39]
	s_andn2_b64 exec, exec, s[26:27]
	s_cbranch_execz .LBB17_135
.LBB17_131:                             ;   Parent Loop BB17_7 Depth=1
                                        ; =>  This Inner Loop Header: Depth=2
	v_cmp_gt_i32_e32 vcc, s18, v2
	s_and_saveexec_b64 s[38:39], vcc
	s_cbranch_execz .LBB17_129
; %bb.132:                              ;   in Loop: Header=BB17_131 Depth=2
	ds_read_b32 v13, v1
	s_waitcnt lgkmcnt(0)
	v_xor_b32_e32 v14, 0x80000000, v13
	v_and_b32_e32 v14, v14, v38
	v_cmp_eq_u32_e32 vcc, v14, v30
	s_and_b64 exec, exec, vcc
	s_cbranch_execz .LBB17_129
; %bb.133:                              ;   in Loop: Header=BB17_131 Depth=2
	ds_write_b64 v7, v[12:13] offset:3072
	s_branch .LBB17_129
.LBB17_134:                             ;   in Loop: Header=BB17_131 Depth=2
	v_add_u32_e32 v2, s71, v2
	v_cmp_le_i32_e32 vcc, s19, v2
	v_add_u32_e32 v1, s33, v1
	s_mov_b64 s[40:41], 0
	s_orn2_b64 s[38:39], vcc, exec
	s_branch .LBB17_130
.LBB17_135:                             ;   in Loop: Header=BB17_7 Depth=1
	s_or_b64 exec, exec, s[26:27]
	s_andn2_b64 s[18:19], s[34:35], exec
	s_and_b64 s[26:27], s[36:37], exec
	s_or_b64 s[34:35], s[18:19], s[26:27]
.LBB17_136:                             ;   in Loop: Header=BB17_7 Depth=1
	s_or_b64 exec, exec, s[24:25]
	s_mov_b64 s[24:25], 0
	s_mov_b64 s[26:27], -1
.LBB17_137:                             ;   in Loop: Header=BB17_7 Depth=1
	s_orn2_b64 s[34:35], s[34:35], exec
.LBB17_138:                             ;   in Loop: Header=BB17_7 Depth=1
	s_or_b64 exec, exec, s[28:29]
	s_mov_b64 s[36:37], 0
	s_and_saveexec_b64 s[28:29], s[34:35]
	s_cbranch_execz .LBB17_227
; %bb.139:                              ;   in Loop: Header=BB17_7 Depth=1
	s_xor_b64 s[18:19], s[30:31], -1
	s_mov_b64 s[40:41], 0
	v_mov_b32_e32 v16, 1
	v_mov_b32_e32 v4, 1
	s_and_saveexec_b64 s[30:31], s[18:19]
	s_cbranch_execz .LBB17_148
; %bb.140:                              ;   in Loop: Header=BB17_7 Depth=1
	v_cmp_ge_i32_e32 vcc, s46, v15
	s_and_saveexec_b64 s[18:19], vcc
	s_xor_b64 s[34:35], exec, s[18:19]
	s_cbranch_execz .LBB17_145
; %bb.141:                              ;   in Loop: Header=BB17_7 Depth=1
	ds_read_b32 v1, v7 offset:4096
	v_and_b32_e32 v2, v30, v6
	v_lshl_or_b32 v30, 1, v36, v2
	v_or_b32_e32 v38, v38, v3
	s_waitcnt lgkmcnt(0)
	v_cmp_ne_u32_e32 vcc, 0, v1
	s_cbranch_vccnz .LBB17_145
; %bb.142:                              ;   in Loop: Header=BB17_7 Depth=1
	s_and_saveexec_b64 s[36:37], s[0:1]
; %bb.143:                              ;   in Loop: Header=BB17_7 Depth=1
	v_mov_b32_e32 v1, s46
	ds_write_b32 v7, v1 offset:4100
; %bb.144:                              ;   in Loop: Header=BB17_7 Depth=1
	s_or_b64 exec, exec, s[36:37]
	s_waitcnt lgkmcnt(0)
	s_barrier
.LBB17_145:                             ;   in Loop: Header=BB17_7 Depth=1
	s_or_saveexec_b64 s[34:35], s[34:35]
	s_mov_b64 s[36:37], 0
	v_mov_b32_e32 v4, 8
	s_xor_b64 exec, exec, s[34:35]
; %bb.146:                              ;   in Loop: Header=BB17_7 Depth=1
	s_mov_b64 s[36:37], exec
	v_subrev_u32_e32 v15, s46, v15
	v_mov_b32_e32 v4, 0
; %bb.147:                              ;   in Loop: Header=BB17_7 Depth=1
	s_or_b64 exec, exec, s[34:35]
	s_and_b64 s[40:41], s[36:37], exec
	v_mov_b32_e32 v16, v15
.LBB17_148:                             ;   in Loop: Header=BB17_7 Depth=1
	s_or_b64 exec, exec, s[30:31]
	s_mov_b64 s[38:39], -1
                                        ; implicit-def: $sgpr34_sgpr35
                                        ; implicit-def: $sgpr36_sgpr37
	s_and_saveexec_b64 s[30:31], s[40:41]
	s_cbranch_execz .LBB17_226
; %bb.149:                              ;   in Loop: Header=BB17_7 Depth=1
	s_cmp_eq_u32 s54, 1
	s_cselect_b64 s[18:19], -1, 0
	v_cmp_eq_u32_e32 vcc, 1, v16
	s_and_b64 s[40:41], s[18:19], vcc
	s_mov_b64 s[42:43], -1
                                        ; implicit-def: $sgpr36_sgpr37
                                        ; implicit-def: $sgpr34_sgpr35
	s_and_saveexec_b64 s[38:39], s[40:41]
	s_cbranch_execz .LBB17_175
; %bb.150:                              ;   in Loop: Header=BB17_7 Depth=1
	ds_read_b32 v1, v7 offset:4096
	s_waitcnt lgkmcnt(0)
	s_barrier
	v_readfirstlane_b32 s18, v1
	s_and_saveexec_b64 s[34:35], s[4:5]
; %bb.151:                              ;   in Loop: Header=BB17_7 Depth=1
	ds_write_b32 v21, v7
; %bb.152:                              ;   in Loop: Header=BB17_7 Depth=1
	s_or_b64 exec, exec, s[34:35]
	v_and_b32_e32 v1, v30, v6
	v_lshl_or_b32 v30, 2, v36, v1
	v_or_b32_e32 v38, v38, v3
	s_mov_b64 s[34:35], -1
	s_mov_b64 s[36:37], 0
	s_cmp_gt_i32 s18, 0
	s_mov_b64 s[42:43], 0
	s_mov_b64 s[44:45], -1
	s_waitcnt lgkmcnt(0)
	s_barrier
                                        ; implicit-def: $vgpr14
	s_cbranch_scc1 .LBB17_163
; %bb.153:                              ;   in Loop: Header=BB17_7 Depth=1
	s_mov_b64 s[44:45], 0
                                        ; implicit-def: $vgpr14
	s_mov_b64 s[46:47], exec
	v_readlane_b32 s48, v48, 32
	v_readlane_b32 s49, v48, 33
	s_and_b64 s[48:49], s[46:47], s[48:49]
	s_mov_b64 exec, s[48:49]
	s_cbranch_execz .LBB17_162
; %bb.154:                              ;   in Loop: Header=BB17_7 Depth=1
	v_mov_b32_e32 v1, v5
	v_mov_b32_e32 v15, v0
                                        ; implicit-def: $sgpr48_sgpr49
	s_branch .LBB17_157
.LBB17_155:                             ;   in Loop: Header=BB17_157 Depth=2
	s_or_b64 exec, exec, s[50:51]
	s_waitcnt lgkmcnt(0)
	s_barrier
	ds_read_b64 v[13:14], v7 offset:3072
	s_mov_b64 s[50:51], -1
	s_mov_b64 s[52:53], -1
	s_waitcnt lgkmcnt(0)
	s_barrier
	v_cmp_ne_u32_e32 vcc, 0, v13
	s_cbranch_vccz .LBB17_160
.LBB17_156:                             ;   in Loop: Header=BB17_157 Depth=2
	s_and_b64 s[50:51], exec, s[50:51]
	s_or_b64 s[42:43], s[50:51], s[42:43]
	s_andn2_b64 s[48:49], s[48:49], exec
	s_and_b64 s[50:51], s[52:53], exec
	s_or_b64 s[48:49], s[48:49], s[50:51]
	s_andn2_b64 exec, exec, s[42:43]
	s_cbranch_execz .LBB17_161
.LBB17_157:                             ;   Parent Loop BB17_7 Depth=1
                                        ; =>  This Inner Loop Header: Depth=2
	v_cmp_gt_i32_e32 vcc, s60, v15
	s_and_saveexec_b64 s[50:51], vcc
	s_cbranch_execz .LBB17_155
; %bb.158:                              ;   in Loop: Header=BB17_157 Depth=2
	v_ashrrev_i32_e32 v2, 31, v1
	v_lshlrev_b64 v[13:14], 2, v[1:2]
	v_mov_b32_e32 v2, s70
	v_add_co_u32_e32 v13, vcc, s62, v13
	v_addc_co_u32_e32 v14, vcc, v2, v14, vcc
	global_load_dword v13, v[13:14], off
	s_waitcnt vmcnt(0)
	v_xor_b32_e32 v2, 0x80000000, v13
	v_and_b32_e32 v2, v2, v38
	v_cmp_eq_u32_e32 vcc, v2, v30
	s_and_b64 exec, exec, vcc
	s_cbranch_execz .LBB17_155
; %bb.159:                              ;   in Loop: Header=BB17_157 Depth=2
	ds_write_b64 v7, v[12:13] offset:3072
	s_branch .LBB17_155
.LBB17_160:                             ;   in Loop: Header=BB17_157 Depth=2
	v_add_u32_e32 v15, s71, v15
	v_cmp_le_i32_e32 vcc, s82, v15
	v_add_u32_e32 v1, s78, v1
	s_mov_b64 s[52:53], 0
	s_orn2_b64 s[50:51], vcc, exec
	s_branch .LBB17_156
.LBB17_161:                             ;   in Loop: Header=BB17_7 Depth=1
	s_or_b64 exec, exec, s[42:43]
	s_and_b64 s[42:43], s[48:49], exec
.LBB17_162:                             ;   in Loop: Header=BB17_7 Depth=1
	s_or_b64 exec, exec, s[46:47]
.LBB17_163:                             ;   in Loop: Header=BB17_7 Depth=1
	s_and_b64 vcc, exec, s[44:45]
	s_cbranch_vccz .LBB17_174
; %bb.164:                              ;   in Loop: Header=BB17_7 Depth=1
	v_readlane_b32 s19, v48, 19
	s_add_i32 s19, s18, s19
	s_abs_i32 s35, s19
	v_readlane_b32 s36, v48, 31
	s_mul_hi_u32 s36, s35, s36
	s_mul_i32 s36, s36, s71
	s_sub_i32 s35, s35, s36
	s_ashr_i32 s34, s19, 31
	s_sub_i32 s36, s35, s71
	s_cmp_ge_u32 s35, s71
	s_cselect_b32 s35, s36, s35
	s_sub_i32 s36, s35, s71
	s_cmp_ge_u32 s35, s71
	s_cselect_b32 s35, s36, s35
	s_xor_b32 s35, s35, s34
	s_sub_i32 s34, s34, s35
	s_add_i32 s19, s19, s34
	v_cmp_gt_i32_e32 vcc, s19, v0
                                        ; implicit-def: $vgpr14
	s_and_saveexec_b64 s[34:35], vcc
	s_cbranch_execz .LBB17_173
; %bb.165:                              ;   in Loop: Header=BB17_7 Depth=1
	s_mov_b64 s[36:37], 0
	v_mov_b32_e32 v1, v19
	v_mov_b32_e32 v2, v0
                                        ; implicit-def: $sgpr44_sgpr45
	s_branch .LBB17_168
.LBB17_166:                             ;   in Loop: Header=BB17_168 Depth=2
	s_or_b64 exec, exec, s[46:47]
	s_waitcnt lgkmcnt(0)
	s_barrier
	ds_read_b64 v[13:14], v7 offset:3072
	s_mov_b64 s[46:47], -1
	s_mov_b64 s[48:49], -1
	s_waitcnt lgkmcnt(0)
	s_barrier
	v_cmp_eq_u32_e32 vcc, 0, v13
	s_cbranch_vccnz .LBB17_171
.LBB17_167:                             ;   in Loop: Header=BB17_168 Depth=2
	s_and_b64 s[46:47], exec, s[46:47]
	s_or_b64 s[36:37], s[46:47], s[36:37]
	s_andn2_b64 s[44:45], s[44:45], exec
	s_and_b64 s[46:47], s[48:49], exec
	s_or_b64 s[44:45], s[44:45], s[46:47]
	s_andn2_b64 exec, exec, s[36:37]
	s_cbranch_execz .LBB17_172
.LBB17_168:                             ;   Parent Loop BB17_7 Depth=1
                                        ; =>  This Inner Loop Header: Depth=2
	v_cmp_gt_i32_e32 vcc, s18, v2
	s_and_saveexec_b64 s[46:47], vcc
	s_cbranch_execz .LBB17_166
; %bb.169:                              ;   in Loop: Header=BB17_168 Depth=2
	ds_read_b32 v13, v1
	s_waitcnt lgkmcnt(0)
	v_xor_b32_e32 v14, 0x80000000, v13
	v_and_b32_e32 v14, v14, v38
	v_cmp_eq_u32_e32 vcc, v14, v30
	s_and_b64 exec, exec, vcc
	s_cbranch_execz .LBB17_166
; %bb.170:                              ;   in Loop: Header=BB17_168 Depth=2
	ds_write_b64 v7, v[12:13] offset:3072
	s_branch .LBB17_166
.LBB17_171:                             ;   in Loop: Header=BB17_168 Depth=2
	v_add_u32_e32 v2, s71, v2
	v_cmp_le_i32_e32 vcc, s19, v2
	v_add_u32_e32 v1, s33, v1
	s_mov_b64 s[48:49], 0
	s_orn2_b64 s[46:47], vcc, exec
	s_branch .LBB17_167
.LBB17_172:                             ;   in Loop: Header=BB17_7 Depth=1
	s_or_b64 exec, exec, s[36:37]
	s_andn2_b64 s[18:19], s[42:43], exec
	s_and_b64 s[36:37], s[44:45], exec
	s_or_b64 s[42:43], s[18:19], s[36:37]
.LBB17_173:                             ;   in Loop: Header=BB17_7 Depth=1
	s_or_b64 exec, exec, s[34:35]
	s_mov_b64 s[34:35], 0
	s_mov_b64 s[36:37], -1
.LBB17_174:                             ;   in Loop: Header=BB17_7 Depth=1
	s_orn2_b64 s[42:43], s[42:43], exec
.LBB17_175:                             ;   in Loop: Header=BB17_7 Depth=1
	s_or_b64 exec, exec, s[38:39]
	s_mov_b64 s[44:45], 0
	s_and_saveexec_b64 s[38:39], s[42:43]
	s_cbranch_execz .LBB17_225
; %bb.176:                              ;   in Loop: Header=BB17_7 Depth=1
	s_xor_b64 s[18:19], s[40:41], -1
	s_mov_b64 s[48:49], 0
	v_mov_b32_e32 v15, 1
	v_mov_b32_e32 v4, 1
	s_and_saveexec_b64 s[40:41], s[18:19]
	s_cbranch_execz .LBB17_185
; %bb.177:                              ;   in Loop: Header=BB17_7 Depth=1
	v_cmp_ge_i32_e32 vcc, s54, v16
	s_and_saveexec_b64 s[18:19], vcc
	s_xor_b64 s[42:43], exec, s[18:19]
	s_cbranch_execz .LBB17_182
; %bb.178:                              ;   in Loop: Header=BB17_7 Depth=1
	ds_read_b32 v1, v7 offset:4096
	v_and_b32_e32 v2, v30, v6
	v_lshl_or_b32 v30, 2, v36, v2
	v_or_b32_e32 v38, v38, v3
	s_waitcnt lgkmcnt(0)
	v_cmp_ne_u32_e32 vcc, 0, v1
	s_cbranch_vccnz .LBB17_182
; %bb.179:                              ;   in Loop: Header=BB17_7 Depth=1
	s_and_saveexec_b64 s[44:45], s[0:1]
; %bb.180:                              ;   in Loop: Header=BB17_7 Depth=1
	v_mov_b32_e32 v1, s54
	ds_write_b32 v7, v1 offset:4100
; %bb.181:                              ;   in Loop: Header=BB17_7 Depth=1
	s_or_b64 exec, exec, s[44:45]
	s_waitcnt lgkmcnt(0)
	s_barrier
.LBB17_182:                             ;   in Loop: Header=BB17_7 Depth=1
	s_or_saveexec_b64 s[42:43], s[42:43]
	s_mov_b64 s[44:45], 0
	v_mov_b32_e32 v4, 8
	s_xor_b64 exec, exec, s[42:43]
; %bb.183:                              ;   in Loop: Header=BB17_7 Depth=1
	s_mov_b64 s[44:45], exec
	v_subrev_u32_e32 v16, s54, v16
	v_mov_b32_e32 v4, 0
; %bb.184:                              ;   in Loop: Header=BB17_7 Depth=1
	s_or_b64 exec, exec, s[42:43]
	s_and_b64 s[48:49], s[44:45], exec
	v_mov_b32_e32 v15, v16
.LBB17_185:                             ;   in Loop: Header=BB17_7 Depth=1
	s_or_b64 exec, exec, s[40:41]
	s_mov_b64 s[42:43], -1
                                        ; implicit-def: $sgpr46_sgpr47
                                        ; implicit-def: $sgpr44_sgpr45
	s_and_saveexec_b64 s[40:41], s[48:49]
	s_cbranch_execz .LBB17_224
; %bb.186:                              ;   in Loop: Header=BB17_7 Depth=1
	s_cmp_eq_u32 s17, 1
	s_cselect_b64 s[18:19], -1, 0
	v_cmp_eq_u32_e32 vcc, 1, v15
	s_and_b64 s[42:43], s[18:19], vcc
	s_mov_b64 s[50:51], -1
                                        ; implicit-def: $sgpr46_sgpr47
                                        ; implicit-def: $sgpr44_sgpr45
	s_and_saveexec_b64 s[48:49], s[42:43]
	s_cbranch_execz .LBB17_212
; %bb.187:                              ;   in Loop: Header=BB17_7 Depth=1
	ds_read_b32 v1, v7 offset:4096
	s_waitcnt lgkmcnt(0)
	s_barrier
	v_readfirstlane_b32 s18, v1
	s_and_saveexec_b64 s[44:45], s[4:5]
; %bb.188:                              ;   in Loop: Header=BB17_7 Depth=1
	ds_write_b32 v21, v7
; %bb.189:                              ;   in Loop: Header=BB17_7 Depth=1
	s_or_b64 exec, exec, s[44:45]
	v_or_b32_e32 v30, v30, v3
	v_or_b32_e32 v38, v38, v3
	s_mov_b64 s[44:45], -1
	s_mov_b64 s[46:47], 0
	s_cmp_gt_i32 s18, 0
	s_mov_b64 s[50:51], 0
	s_mov_b64 s[52:53], -1
	s_waitcnt lgkmcnt(0)
	s_barrier
                                        ; implicit-def: $vgpr14
	s_cbranch_scc1 .LBB17_200
; %bb.190:                              ;   in Loop: Header=BB17_7 Depth=1
	s_mov_b64 s[52:53], 0
                                        ; implicit-def: $vgpr14
	s_mov_b64 s[54:55], exec
	v_readlane_b32 s56, v48, 32
	v_readlane_b32 s57, v48, 33
	s_and_b64 s[56:57], s[54:55], s[56:57]
	s_mov_b64 exec, s[56:57]
	s_cbranch_execz .LBB17_199
; %bb.191:                              ;   in Loop: Header=BB17_7 Depth=1
	v_mov_b32_e32 v1, v5
	v_mov_b32_e32 v6, v0
                                        ; implicit-def: $sgpr56_sgpr57
	s_branch .LBB17_194
.LBB17_192:                             ;   in Loop: Header=BB17_194 Depth=2
	s_or_b64 exec, exec, s[58:59]
	s_waitcnt lgkmcnt(0)
	s_barrier
	ds_read_b64 v[13:14], v7 offset:3072
	s_mov_b64 s[58:59], -1
	s_mov_b64 s[66:67], -1
	s_waitcnt lgkmcnt(0)
	s_barrier
	v_cmp_ne_u32_e32 vcc, 0, v13
	s_cbranch_vccz .LBB17_197
.LBB17_193:                             ;   in Loop: Header=BB17_194 Depth=2
	s_and_b64 s[58:59], exec, s[58:59]
	s_or_b64 s[50:51], s[58:59], s[50:51]
	s_andn2_b64 s[56:57], s[56:57], exec
	s_and_b64 s[58:59], s[66:67], exec
	s_or_b64 s[56:57], s[56:57], s[58:59]
	s_andn2_b64 exec, exec, s[50:51]
	s_cbranch_execz .LBB17_198
.LBB17_194:                             ;   Parent Loop BB17_7 Depth=1
                                        ; =>  This Inner Loop Header: Depth=2
	v_cmp_gt_i32_e32 vcc, s60, v6
	s_and_saveexec_b64 s[58:59], vcc
	s_cbranch_execz .LBB17_192
; %bb.195:                              ;   in Loop: Header=BB17_194 Depth=2
	v_ashrrev_i32_e32 v2, 31, v1
	v_lshlrev_b64 v[13:14], 2, v[1:2]
	v_mov_b32_e32 v2, s70
	v_add_co_u32_e32 v13, vcc, s62, v13
	v_addc_co_u32_e32 v14, vcc, v2, v14, vcc
	global_load_dword v13, v[13:14], off
	s_waitcnt vmcnt(0)
	v_xor_b32_e32 v2, 0x80000000, v13
	v_and_b32_e32 v2, v2, v38
	v_cmp_eq_u32_e32 vcc, v2, v30
	s_and_b64 exec, exec, vcc
	s_cbranch_execz .LBB17_192
; %bb.196:                              ;   in Loop: Header=BB17_194 Depth=2
	ds_write_b64 v7, v[12:13] offset:3072
	s_branch .LBB17_192
.LBB17_197:                             ;   in Loop: Header=BB17_194 Depth=2
	v_add_u32_e32 v6, s71, v6
	v_cmp_le_i32_e32 vcc, s82, v6
	v_add_u32_e32 v1, s78, v1
	s_mov_b64 s[66:67], 0
	s_orn2_b64 s[58:59], vcc, exec
	s_branch .LBB17_193
.LBB17_198:                             ;   in Loop: Header=BB17_7 Depth=1
	s_or_b64 exec, exec, s[50:51]
	s_and_b64 s[50:51], s[56:57], exec
.LBB17_199:                             ;   in Loop: Header=BB17_7 Depth=1
	s_or_b64 exec, exec, s[54:55]
.LBB17_200:                             ;   in Loop: Header=BB17_7 Depth=1
	s_and_b64 vcc, exec, s[52:53]
	s_cbranch_vccz .LBB17_211
; %bb.201:                              ;   in Loop: Header=BB17_7 Depth=1
	v_readlane_b32 s19, v48, 19
	s_add_i32 s19, s18, s19
	s_abs_i32 s45, s19
	v_readlane_b32 s46, v48, 31
	s_mul_hi_u32 s46, s45, s46
	s_mul_i32 s46, s46, s71
	s_sub_i32 s45, s45, s46
	s_ashr_i32 s44, s19, 31
	s_sub_i32 s46, s45, s71
	s_cmp_ge_u32 s45, s71
	s_cselect_b32 s45, s46, s45
	s_sub_i32 s46, s45, s71
	s_cmp_ge_u32 s45, s71
	s_cselect_b32 s45, s46, s45
	s_xor_b32 s45, s45, s44
	s_sub_i32 s44, s44, s45
	s_add_i32 s19, s19, s44
	v_cmp_gt_i32_e32 vcc, s19, v0
                                        ; implicit-def: $vgpr14
	s_and_saveexec_b64 s[44:45], vcc
	s_cbranch_execz .LBB17_210
; %bb.202:                              ;   in Loop: Header=BB17_7 Depth=1
	s_mov_b64 s[46:47], 0
	v_mov_b32_e32 v1, v19
	v_mov_b32_e32 v2, v0
                                        ; implicit-def: $sgpr52_sgpr53
	s_branch .LBB17_205
.LBB17_203:                             ;   in Loop: Header=BB17_205 Depth=2
	s_or_b64 exec, exec, s[54:55]
	s_waitcnt lgkmcnt(0)
	s_barrier
	ds_read_b64 v[13:14], v7 offset:3072
	s_mov_b64 s[54:55], -1
	s_mov_b64 s[56:57], -1
	s_waitcnt lgkmcnt(0)
	s_barrier
	v_cmp_eq_u32_e32 vcc, 0, v13
	s_cbranch_vccnz .LBB17_208
.LBB17_204:                             ;   in Loop: Header=BB17_205 Depth=2
	s_and_b64 s[54:55], exec, s[54:55]
	s_or_b64 s[46:47], s[54:55], s[46:47]
	s_andn2_b64 s[52:53], s[52:53], exec
	s_and_b64 s[54:55], s[56:57], exec
	s_or_b64 s[52:53], s[52:53], s[54:55]
	s_andn2_b64 exec, exec, s[46:47]
	s_cbranch_execz .LBB17_209
.LBB17_205:                             ;   Parent Loop BB17_7 Depth=1
                                        ; =>  This Inner Loop Header: Depth=2
	v_cmp_gt_i32_e32 vcc, s18, v2
	s_and_saveexec_b64 s[54:55], vcc
	s_cbranch_execz .LBB17_203
; %bb.206:                              ;   in Loop: Header=BB17_205 Depth=2
	ds_read_b32 v13, v1
	s_waitcnt lgkmcnt(0)
	v_xor_b32_e32 v6, 0x80000000, v13
	v_and_b32_e32 v6, v6, v38
	v_cmp_eq_u32_e32 vcc, v6, v30
	s_and_b64 exec, exec, vcc
	s_cbranch_execz .LBB17_203
; %bb.207:                              ;   in Loop: Header=BB17_205 Depth=2
	ds_write_b64 v7, v[12:13] offset:3072
	s_branch .LBB17_203
.LBB17_208:                             ;   in Loop: Header=BB17_205 Depth=2
	v_add_u32_e32 v2, s71, v2
	v_cmp_le_i32_e32 vcc, s19, v2
	v_add_u32_e32 v1, s33, v1
	s_mov_b64 s[56:57], 0
	s_orn2_b64 s[54:55], vcc, exec
	s_branch .LBB17_204
.LBB17_209:                             ;   in Loop: Header=BB17_7 Depth=1
	s_or_b64 exec, exec, s[46:47]
	s_andn2_b64 s[18:19], s[50:51], exec
	s_and_b64 s[46:47], s[52:53], exec
	s_or_b64 s[50:51], s[18:19], s[46:47]
.LBB17_210:                             ;   in Loop: Header=BB17_7 Depth=1
	s_or_b64 exec, exec, s[44:45]
	s_mov_b64 s[44:45], 0
	s_mov_b64 s[46:47], -1
.LBB17_211:                             ;   in Loop: Header=BB17_7 Depth=1
	s_orn2_b64 s[50:51], s[50:51], exec
.LBB17_212:                             ;   in Loop: Header=BB17_7 Depth=1
	s_or_b64 exec, exec, s[48:49]
	s_mov_b64 s[52:53], 0
	s_and_saveexec_b64 s[48:49], s[50:51]
	s_cbranch_execz .LBB17_223
; %bb.213:                              ;   in Loop: Header=BB17_7 Depth=1
	s_xor_b64 s[18:19], s[42:43], -1
	v_mov_b32_e32 v4, 1
	v_mov_b32_e32 v1, 1
	s_and_saveexec_b64 s[42:43], s[18:19]
	s_cbranch_execz .LBB17_222
; %bb.214:                              ;   in Loop: Header=BB17_7 Depth=1
	v_cmp_ge_i32_e32 vcc, s17, v15
	s_and_saveexec_b64 s[18:19], vcc
	s_xor_b64 s[50:51], exec, s[18:19]
	s_cbranch_execz .LBB17_219
; %bb.215:                              ;   in Loop: Header=BB17_7 Depth=1
	ds_read_b32 v1, v7 offset:4096
	v_or_b32_e32 v30, v30, v3
	v_or_b32_e32 v38, v38, v3
	s_waitcnt lgkmcnt(0)
	v_cmp_ne_u32_e32 vcc, 0, v1
	s_cbranch_vccnz .LBB17_219
; %bb.216:                              ;   in Loop: Header=BB17_7 Depth=1
	s_and_saveexec_b64 s[52:53], s[0:1]
; %bb.217:                              ;   in Loop: Header=BB17_7 Depth=1
	v_mov_b32_e32 v1, s17
	ds_write_b32 v7, v1 offset:4100
; %bb.218:                              ;   in Loop: Header=BB17_7 Depth=1
	s_or_b64 exec, exec, s[52:53]
	s_waitcnt lgkmcnt(0)
	s_barrier
.LBB17_219:                             ;   in Loop: Header=BB17_7 Depth=1
	s_andn2_saveexec_b64 s[50:51], s[50:51]
; %bb.220:                              ;   in Loop: Header=BB17_7 Depth=1
	v_subrev_u32_e32 v15, s17, v15
; %bb.221:                              ;   in Loop: Header=BB17_7 Depth=1
	s_or_b64 exec, exec, s[50:51]
	v_mov_b32_e32 v4, 8
	v_mov_b32_e32 v1, v15
.LBB17_222:                             ;   in Loop: Header=BB17_7 Depth=1
	s_or_b64 exec, exec, s[42:43]
	s_mov_b64 s[52:53], exec
	v_mov_b32_e32 v15, v1
.LBB17_223:                             ;   in Loop: Header=BB17_7 Depth=1
	s_or_b64 exec, exec, s[48:49]
	s_orn2_b64 s[42:43], s[52:53], exec
.LBB17_224:                             ;   in Loop: Header=BB17_7 Depth=1
	s_or_b64 exec, exec, s[40:41]
	s_andn2_b64 s[18:19], s[36:37], exec
	s_and_b64 s[36:37], s[46:47], exec
	s_or_b64 s[36:37], s[18:19], s[36:37]
	s_andn2_b64 s[18:19], s[34:35], exec
	s_and_b64 s[34:35], s[44:45], exec
	s_or_b64 s[34:35], s[18:19], s[34:35]
	s_and_b64 s[44:45], s[42:43], exec
	v_mov_b32_e32 v16, v15
.LBB17_225:                             ;   in Loop: Header=BB17_7 Depth=1
	s_or_b64 exec, exec, s[38:39]
	s_orn2_b64 s[38:39], s[44:45], exec
.LBB17_226:                             ;   in Loop: Header=BB17_7 Depth=1
	s_or_b64 exec, exec, s[30:31]
	s_andn2_b64 s[18:19], s[26:27], exec
	s_and_b64 s[26:27], s[36:37], exec
	s_or_b64 s[26:27], s[18:19], s[26:27]
	s_andn2_b64 s[18:19], s[24:25], exec
	s_and_b64 s[24:25], s[34:35], exec
	s_or_b64 s[24:25], s[18:19], s[24:25]
	s_and_b64 s[36:37], s[38:39], exec
	v_mov_b32_e32 v15, v16
.LBB17_227:                             ;   in Loop: Header=BB17_7 Depth=1
	s_or_b64 exec, exec, s[28:29]
	s_orn2_b64 s[28:29], s[36:37], exec
.LBB17_228:                             ;   in Loop: Header=BB17_7 Depth=1
	s_or_b64 exec, exec, s[22:23]
	s_mov_b64 s[30:31], 0
	s_and_saveexec_b64 s[18:19], s[28:29]
	s_xor_b64 s[22:23], exec, s[18:19]
	s_cbranch_execz .LBB17_5
; %bb.229:                              ;   in Loop: Header=BB17_7 Depth=1
	v_and_b32_e32 v1, 7, v4
	v_cmp_eq_u32_e32 vcc, 0, v1
	s_mov_b64 s[20:21], -1
	s_mov_b64 s[28:29], -1
	s_and_saveexec_b64 s[30:31], vcc
	s_cbranch_execz .LBB17_4
; %bb.230:                              ;   in Loop: Header=BB17_7 Depth=1
	v_add_u32_e32 v1, -2, v36
	v_cmp_eq_u32_e32 vcc, 0, v36
	v_xor_b32_e32 v37, 1, v37
	s_xor_b64 s[28:29], exec, -1
	s_orn2_b64 s[20:21], vcc, exec
	v_mov_b32_e32 v36, v1
	s_branch .LBB17_4
.LBB17_231:
	s_or_b64 exec, exec, s[84:85]
	s_xor_b64 s[8:9], s[90:91], -1
	s_xor_b64 s[2:3], s[86:87], -1
	;; [unrolled: 1-line block ×3, first 2 shown]
	s_mov_b64 s[4:5], 0
	s_and_saveexec_b64 s[10:11], s[2:3]
	s_xor_b64 s[2:3], exec, s[10:11]
	s_cbranch_execnz .LBB17_236
; %bb.232:
	s_andn2_saveexec_b64 s[0:1], s[2:3]
	s_cbranch_execnz .LBB17_256
.LBB17_233:
	s_or_b64 exec, exec, s[0:1]
	s_and_saveexec_b64 s[0:1], s[4:5]
.LBB17_234:
	; divergent unreachable
.LBB17_235:
	s_endpgm
.LBB17_236:
	s_and_saveexec_b64 s[4:5], s[8:9]
	s_xor_b64 s[4:5], exec, s[4:5]
	s_cbranch_execz .LBB17_254
; %bb.237:
	s_and_saveexec_b64 s[8:9], s[6:7]
	s_xor_b64 s[6:7], exec, s[8:9]
; %bb.238:
	v_xor_b32_e32 v14, 0x80000000, v30
; %bb.239:
	s_or_b64 exec, exec, s[6:7]
	s_and_saveexec_b64 s[6:7], s[0:1]
	v_readlane_b32 s20, v48, 18
	v_readlane_b32 s21, v48, 14
	;; [unrolled: 1-line block ×5, first 2 shown]
; %bb.240:
	v_mov_b32_e32 v1, 0
	v_mov_b32_e32 v2, s60
	ds_write_b32 v1, v2 offset:4108
; %bb.241:
	s_or_b64 exec, exec, s[6:7]
	v_mov_b32_e32 v1, 0
	s_waitcnt lgkmcnt(0)
	s_barrier
	ds_read_b32 v1, v1 offset:4108
	s_waitcnt lgkmcnt(0)
	v_min_i32_e32 v1, s60, v1
	v_cmp_lt_i32_e32 vcc, v0, v1
	s_and_saveexec_b64 s[6:7], vcc
	s_cbranch_execz .LBB17_251
; %bb.242:
	s_mov_b64 s[8:9], 0
	v_mov_b32_e32 v3, s70
                                        ; implicit-def: $sgpr10_sgpr11
                                        ; implicit-def: $sgpr14_sgpr15
                                        ; implicit-def: $sgpr12_sgpr13
	s_branch .LBB17_244
.LBB17_243:                             ;   in Loop: Header=BB17_244 Depth=1
	s_or_b64 exec, exec, s[16:17]
	s_and_b64 s[16:17], exec, s[14:15]
	s_or_b64 s[8:9], s[16:17], s[8:9]
	s_andn2_b64 s[10:11], s[10:11], exec
	s_and_b64 s[16:17], s[12:13], exec
	s_or_b64 s[10:11], s[10:11], s[16:17]
	s_andn2_b64 exec, exec, s[8:9]
	s_cbranch_execz .LBB17_246
.LBB17_244:                             ; =>This Inner Loop Header: Depth=1
	v_ashrrev_i32_e32 v6, 31, v5
	v_lshlrev_b64 v[6:7], 2, v[5:6]
	v_mov_b32_e32 v2, v0
	v_add_co_u32_e32 v6, vcc, s62, v6
	v_addc_co_u32_e32 v7, vcc, v3, v7, vcc
	global_load_dword v4, v[6:7], off
	s_or_b64 s[12:13], s[12:13], exec
	s_or_b64 s[14:15], s[14:15], exec
                                        ; implicit-def: $vgpr0
	s_waitcnt vmcnt(0)
	v_cmp_ne_u32_e32 vcc, v4, v14
	s_and_saveexec_b64 s[16:17], vcc
	s_cbranch_execz .LBB17_243
; %bb.245:                              ;   in Loop: Header=BB17_244 Depth=1
	v_add_u32_e32 v0, s71, v2
	v_cmp_ge_i32_e32 vcc, v0, v1
	s_andn2_b64 s[14:15], s[14:15], exec
	s_and_b64 s[18:19], vcc, exec
	v_add_u32_e32 v5, s78, v5
	s_andn2_b64 s[12:13], s[12:13], exec
	s_or_b64 s[14:15], s[14:15], s[18:19]
	s_branch .LBB17_243
.LBB17_246:
	s_or_b64 exec, exec, s[8:9]
	s_and_saveexec_b64 s[8:9], s[10:11]
	s_xor_b64 s[8:9], exec, s[8:9]
	s_cbranch_execz .LBB17_251
; %bb.247:
	s_mov_b64 s[8:9], exec
	s_brev_b32 s10, -2
.LBB17_248:                             ; =>This Inner Loop Header: Depth=1
	s_ff1_i32_b64 s11, s[8:9]
	v_readlane_b32 s14, v2, s11
	s_lshl_b64 s[12:13], 1, s11
	s_min_i32 s10, s10, s14
	s_andn2_b64 s[8:9], s[8:9], s[12:13]
	s_cmp_lg_u64 s[8:9], 0
	s_cbranch_scc1 .LBB17_248
; %bb.249:
	v_mbcnt_lo_u32_b32 v0, exec_lo, 0
	v_mbcnt_hi_u32_b32 v0, exec_hi, v0
	v_cmp_eq_u32_e32 vcc, 0, v0
	s_and_saveexec_b64 s[8:9], vcc
	s_xor_b64 s[8:9], exec, s[8:9]
; %bb.250:
	v_mov_b32_e32 v0, 0
	v_mov_b32_e32 v1, s10
	ds_min_i32 v0, v1 offset:4108
.LBB17_251:
	s_or_b64 exec, exec, s[6:7]
	s_waitcnt lgkmcnt(0)
	s_barrier
	s_and_saveexec_b64 s[6:7], s[0:1]
	s_cbranch_execz .LBB17_253
; %bb.252:
	v_readlane_b32 s10, v48, 8
	v_readlane_b32 s11, v48, 9
	s_mul_i32 s1, s11, s10
	v_readlane_b32 s0, v48, 13
	s_sub_i32 s1, s24, s1
	s_xor_b32 s0, s22, s0
	s_add_i32 s8, s11, 1
	s_sub_i32 s9, s1, s10
	s_cmp_ge_u32 s1, s10
	s_cselect_b32 s8, s8, s11
	s_cselect_b32 s1, s9, s1
	s_add_i32 s9, s8, 1
	s_cmp_ge_u32 s1, s10
	s_cselect_b32 s1, s9, s8
	s_xor_b32 s1, s1, s0
	s_sub_i32 s0, s1, s0
	s_mul_i32 s1, s0, s23
	v_readlane_b32 s8, v48, 6
	s_sub_i32 s1, s20, s1
	v_readlane_b32 s9, v48, 7
	v_readlane_b32 s11, v48, 10
	;; [unrolled: 1-line block ×3, first 2 shown]
	s_mul_i32 s1, s1, s9
	s_mul_i32 s0, s0, s8
	;; [unrolled: 1-line block ×3, first 2 shown]
	s_add_i32 s0, s0, s1
	v_readlane_b32 s1, v48, 15
	s_sub_i32 s8, s24, s8
	s_xor_b32 s1, s22, s1
	s_add_i32 s9, s12, 1
	s_sub_i32 s10, s8, s11
	s_cmp_ge_u32 s8, s11
	s_cselect_b32 s9, s9, s12
	s_cselect_b32 s8, s10, s8
	s_add_i32 s10, s9, 1
	s_cmp_ge_u32 s8, s11
	s_cselect_b32 s8, s10, s9
	s_xor_b32 s8, s8, s1
	s_sub_i32 s1, s8, s1
	s_mul_i32 s8, s1, s21
	v_readlane_b32 s10, v48, 2
	s_sub_i32 s8, s20, s8
	v_readlane_b32 s11, v48, 3
	s_mul_i32 s8, s8, s11
	s_mul_i32 s1, s1, s10
	s_add_i32 s8, s1, s8
	s_ashr_i32 s1, s0, 31
	v_mov_b32_e32 v2, 0
	s_lshl_b64 s[0:1], s[0:1], 2
	v_readlane_b32 s10, v48, 0
	ds_read_b32 v0, v2 offset:4108
	v_readlane_b32 s11, v48, 1
	s_add_u32 s0, s10, s0
	s_addc_u32 s1, s11, s1
	s_ashr_i32 s9, s8, 31
	s_lshl_b64 s[8:9], s[8:9], 3
	v_readlane_b32 s10, v48, 4
	v_readlane_b32 s11, v48, 5
	s_add_u32 s8, s10, s8
	s_addc_u32 s9, s11, s9
	s_waitcnt lgkmcnt(0)
	v_ashrrev_i32_e32 v1, 31, v0
	global_store_dwordx2 v2, v[0:1], s[8:9]
	global_store_dword v2, v14, s[0:1]
.LBB17_253:
	s_or_b64 exec, exec, s[6:7]
.LBB17_254:
	s_or_saveexec_b64 s[0:1], s[4:5]
	s_mov_b64 s[4:5], 0
	s_xor_b64 exec, exec, s[0:1]
	s_cbranch_execnz .LBB17_257
.LBB17_255:
	s_or_b64 exec, exec, s[0:1]
	s_and_b64 s[4:5], s[4:5], exec
	s_andn2_saveexec_b64 s[0:1], s[2:3]
	s_cbranch_execz .LBB17_233
.LBB17_256:
	s_or_b64 s[4:5], s[4:5], exec
	s_trap 2
	s_or_b64 exec, exec, s[0:1]
	s_and_saveexec_b64 s[0:1], s[4:5]
	s_cbranch_execnz .LBB17_234
	s_branch .LBB17_235
.LBB17_257:
	s_mov_b64 s[4:5], exec
	s_trap 2
	s_branch .LBB17_255
	.section	.rodata,"a",@progbits
	.p2align	6, 0x0
	.amdhsa_kernel _ZN2at6native12_GLOBAL__N_114gatherKthValueIiiLi2EEEvNS_4cuda6detail10TensorInfoIKT_T0_EES8_S8_S8_S8_NS5_IS6_S8_EENS5_IlS8_EE
		.amdhsa_group_segment_fixed_size 4112
		.amdhsa_private_segment_fixed_size 0
		.amdhsa_kernarg_size 920
		.amdhsa_user_sgpr_count 6
		.amdhsa_user_sgpr_private_segment_buffer 1
		.amdhsa_user_sgpr_dispatch_ptr 0
		.amdhsa_user_sgpr_queue_ptr 0
		.amdhsa_user_sgpr_kernarg_segment_ptr 1
		.amdhsa_user_sgpr_dispatch_id 0
		.amdhsa_user_sgpr_flat_scratch_init 0
		.amdhsa_user_sgpr_private_segment_size 0
		.amdhsa_uses_dynamic_stack 0
		.amdhsa_system_sgpr_private_segment_wavefront_offset 0
		.amdhsa_system_sgpr_workgroup_id_x 1
		.amdhsa_system_sgpr_workgroup_id_y 1
		.amdhsa_system_sgpr_workgroup_id_z 1
		.amdhsa_system_sgpr_workgroup_info 0
		.amdhsa_system_vgpr_workitem_id 0
		.amdhsa_next_free_vgpr 49
		.amdhsa_next_free_sgpr 96
		.amdhsa_reserve_vcc 1
		.amdhsa_reserve_flat_scratch 0
		.amdhsa_float_round_mode_32 0
		.amdhsa_float_round_mode_16_64 0
		.amdhsa_float_denorm_mode_32 3
		.amdhsa_float_denorm_mode_16_64 3
		.amdhsa_dx10_clamp 1
		.amdhsa_ieee_mode 1
		.amdhsa_fp16_overflow 0
		.amdhsa_exception_fp_ieee_invalid_op 0
		.amdhsa_exception_fp_denorm_src 0
		.amdhsa_exception_fp_ieee_div_zero 0
		.amdhsa_exception_fp_ieee_overflow 0
		.amdhsa_exception_fp_ieee_underflow 0
		.amdhsa_exception_fp_ieee_inexact 0
		.amdhsa_exception_int_div_zero 0
	.end_amdhsa_kernel
	.section	.text._ZN2at6native12_GLOBAL__N_114gatherKthValueIiiLi2EEEvNS_4cuda6detail10TensorInfoIKT_T0_EES8_S8_S8_S8_NS5_IS6_S8_EENS5_IlS8_EE,"axG",@progbits,_ZN2at6native12_GLOBAL__N_114gatherKthValueIiiLi2EEEvNS_4cuda6detail10TensorInfoIKT_T0_EES8_S8_S8_S8_NS5_IS6_S8_EENS5_IlS8_EE,comdat
.Lfunc_end17:
	.size	_ZN2at6native12_GLOBAL__N_114gatherKthValueIiiLi2EEEvNS_4cuda6detail10TensorInfoIKT_T0_EES8_S8_S8_S8_NS5_IS6_S8_EENS5_IlS8_EE, .Lfunc_end17-_ZN2at6native12_GLOBAL__N_114gatherKthValueIiiLi2EEEvNS_4cuda6detail10TensorInfoIKT_T0_EES8_S8_S8_S8_NS5_IS6_S8_EENS5_IlS8_EE
                                        ; -- End function
	.set _ZN2at6native12_GLOBAL__N_114gatherKthValueIiiLi2EEEvNS_4cuda6detail10TensorInfoIKT_T0_EES8_S8_S8_S8_NS5_IS6_S8_EENS5_IlS8_EE.num_vgpr, 49
	.set _ZN2at6native12_GLOBAL__N_114gatherKthValueIiiLi2EEEvNS_4cuda6detail10TensorInfoIKT_T0_EES8_S8_S8_S8_NS5_IS6_S8_EENS5_IlS8_EE.num_agpr, 0
	.set _ZN2at6native12_GLOBAL__N_114gatherKthValueIiiLi2EEEvNS_4cuda6detail10TensorInfoIKT_T0_EES8_S8_S8_S8_NS5_IS6_S8_EENS5_IlS8_EE.numbered_sgpr, 96
	.set _ZN2at6native12_GLOBAL__N_114gatherKthValueIiiLi2EEEvNS_4cuda6detail10TensorInfoIKT_T0_EES8_S8_S8_S8_NS5_IS6_S8_EENS5_IlS8_EE.num_named_barrier, 0
	.set _ZN2at6native12_GLOBAL__N_114gatherKthValueIiiLi2EEEvNS_4cuda6detail10TensorInfoIKT_T0_EES8_S8_S8_S8_NS5_IS6_S8_EENS5_IlS8_EE.private_seg_size, 0
	.set _ZN2at6native12_GLOBAL__N_114gatherKthValueIiiLi2EEEvNS_4cuda6detail10TensorInfoIKT_T0_EES8_S8_S8_S8_NS5_IS6_S8_EENS5_IlS8_EE.uses_vcc, 1
	.set _ZN2at6native12_GLOBAL__N_114gatherKthValueIiiLi2EEEvNS_4cuda6detail10TensorInfoIKT_T0_EES8_S8_S8_S8_NS5_IS6_S8_EENS5_IlS8_EE.uses_flat_scratch, 0
	.set _ZN2at6native12_GLOBAL__N_114gatherKthValueIiiLi2EEEvNS_4cuda6detail10TensorInfoIKT_T0_EES8_S8_S8_S8_NS5_IS6_S8_EENS5_IlS8_EE.has_dyn_sized_stack, 0
	.set _ZN2at6native12_GLOBAL__N_114gatherKthValueIiiLi2EEEvNS_4cuda6detail10TensorInfoIKT_T0_EES8_S8_S8_S8_NS5_IS6_S8_EENS5_IlS8_EE.has_recursion, 0
	.set _ZN2at6native12_GLOBAL__N_114gatherKthValueIiiLi2EEEvNS_4cuda6detail10TensorInfoIKT_T0_EES8_S8_S8_S8_NS5_IS6_S8_EENS5_IlS8_EE.has_indirect_call, 0
	.section	.AMDGPU.csdata,"",@progbits
; Kernel info:
; codeLenInByte = 9420
; TotalNumSgprs: 100
; NumVgprs: 49
; ScratchSize: 0
; MemoryBound: 0
; FloatMode: 240
; IeeeMode: 1
; LDSByteSize: 4112 bytes/workgroup (compile time only)
; SGPRBlocks: 12
; VGPRBlocks: 12
; NumSGPRsForWavesPerEU: 100
; NumVGPRsForWavesPerEU: 49
; Occupancy: 4
; WaveLimiterHint : 1
; COMPUTE_PGM_RSRC2:SCRATCH_EN: 0
; COMPUTE_PGM_RSRC2:USER_SGPR: 6
; COMPUTE_PGM_RSRC2:TRAP_HANDLER: 0
; COMPUTE_PGM_RSRC2:TGID_X_EN: 1
; COMPUTE_PGM_RSRC2:TGID_Y_EN: 1
; COMPUTE_PGM_RSRC2:TGID_Z_EN: 1
; COMPUTE_PGM_RSRC2:TIDIG_COMP_CNT: 0
	.section	.text._ZN2at6native12_GLOBAL__N_114gatherKthValueIiiLi3EEEvNS_4cuda6detail10TensorInfoIKT_T0_EES8_S8_S8_S8_NS5_IS6_S8_EENS5_IlS8_EE,"axG",@progbits,_ZN2at6native12_GLOBAL__N_114gatherKthValueIiiLi3EEEvNS_4cuda6detail10TensorInfoIKT_T0_EES8_S8_S8_S8_NS5_IS6_S8_EENS5_IlS8_EE,comdat
	.globl	_ZN2at6native12_GLOBAL__N_114gatherKthValueIiiLi3EEEvNS_4cuda6detail10TensorInfoIKT_T0_EES8_S8_S8_S8_NS5_IS6_S8_EENS5_IlS8_EE ; -- Begin function _ZN2at6native12_GLOBAL__N_114gatherKthValueIiiLi3EEEvNS_4cuda6detail10TensorInfoIKT_T0_EES8_S8_S8_S8_NS5_IS6_S8_EENS5_IlS8_EE
	.p2align	8
	.type	_ZN2at6native12_GLOBAL__N_114gatherKthValueIiiLi3EEEvNS_4cuda6detail10TensorInfoIKT_T0_EES8_S8_S8_S8_NS5_IS6_S8_EENS5_IlS8_EE,@function
_ZN2at6native12_GLOBAL__N_114gatherKthValueIiiLi3EEEvNS_4cuda6detail10TensorInfoIKT_T0_EES8_S8_S8_S8_NS5_IS6_S8_EENS5_IlS8_EE: ; @_ZN2at6native12_GLOBAL__N_114gatherKthValueIiiLi3EEEvNS_4cuda6detail10TensorInfoIKT_T0_EES8_S8_S8_S8_NS5_IS6_S8_EENS5_IlS8_EE
; %bb.0:
	s_load_dwordx2 s[14:15], s[4:5], 0x298
	s_load_dwordx4 s[68:71], s[4:5], 0xd8
	s_add_u32 s12, s4, 0x298
	s_addc_u32 s13, s5, 0
	s_waitcnt lgkmcnt(0)
	s_mul_i32 s0, s15, s8
	s_add_i32 s0, s0, s7
	s_mul_i32 s0, s0, s14
	s_add_i32 s24, s0, s6
	s_cmp_ge_i32 s24, s70
	s_cbranch_scc1 .LBB18_235
; %bb.1:
	s_load_dwordx2 s[2:3], s[4:5], 0xc
	s_load_dwordx2 s[26:27], s[4:5], 0xf4
	s_ashr_i32 s1, s24, 31
	s_abs_i32 s8, s24
	s_load_dwordx4 s[28:31], s[4:5], 0x154
	s_waitcnt lgkmcnt(0)
	s_abs_i32 s0, s3
	v_cvt_f32_u32_e32 v1, s0
	s_ashr_i32 s7, s3, 31
	s_xor_b32 s9, s1, s7
	s_sub_i32 s7, 0, s0
	v_rcp_iflag_f32_e32 v1, v1
                                        ; implicit-def: $vgpr48 : SGPR spill to VGPR lane
                                        ; kill: killed $sgpr4 killed $sgpr5
	v_writelane_b32 v48, s28, 0
	v_writelane_b32 v48, s29, 1
	v_mul_f32_e32 v1, 0x4f7ffffe, v1
	v_cvt_u32_f32_e32 v1, v1
	v_writelane_b32 v48, s30, 2
	v_writelane_b32 v48, s31, 3
	s_load_dwordx2 s[28:29], s[4:5], 0x1cc
	s_load_dwordx2 s[22:23], s[4:5], 0x1c0
	v_readfirstlane_b32 s10, v1
	s_mul_i32 s7, s7, s10
	s_mul_hi_u32 s7, s10, s7
	s_add_i32 s10, s10, s7
	s_mul_hi_u32 s7, s8, s10
	s_mul_i32 s10, s7, s0
	s_sub_i32 s10, s8, s10
	s_add_i32 s11, s7, 1
	s_sub_i32 s15, s10, s0
	s_cmp_ge_u32 s10, s0
	s_cselect_b32 s7, s11, s7
	s_cselect_b32 s10, s15, s10
	s_add_i32 s11, s7, 1
	s_cmp_ge_u32 s10, s0
	s_cselect_b32 s0, s11, s7
	s_abs_i32 s7, s2
	v_cvt_f32_u32_e32 v1, s7
	s_abs_i32 s11, s27
	v_cvt_f32_u32_e32 v2, s11
	s_xor_b32 s0, s0, s9
	v_rcp_iflag_f32_e32 v1, v1
	s_sub_i32 s16, 0, s7
	v_rcp_iflag_f32_e32 v2, v2
	s_sub_i32 s18, s0, s9
	v_mul_f32_e32 v1, 0x4f7ffffe, v1
	v_cvt_u32_f32_e32 v1, v1
	v_mul_f32_e32 v2, 0x4f7ffffe, v2
	v_cvt_u32_f32_e32 v2, v2
	s_ashr_i32 s10, s27, 31
	v_readfirstlane_b32 s0, v1
	s_mul_i32 s16, s16, s0
	s_mul_hi_u32 s9, s0, s16
	s_add_i32 s0, s0, s9
	s_sub_i32 s9, 0, s11
	v_readfirstlane_b32 s16, v2
	s_mul_i32 s9, s9, s16
	s_mul_hi_u32 s9, s16, s9
	s_add_i32 s16, s16, s9
	s_mul_hi_u32 s9, s8, s16
	s_mul_i32 s16, s9, s11
	s_sub_i32 s16, s8, s16
	s_ashr_i32 s15, s2, 31
	s_xor_b32 s10, s1, s10
	s_ashr_i32 s19, s18, 31
	s_abs_i32 s20, s18
	s_add_i32 s17, s9, 1
	s_sub_i32 s21, s16, s11
	s_cmp_ge_u32 s16, s11
	s_cselect_b32 s9, s17, s9
	s_cselect_b32 s16, s21, s16
	s_add_i32 s17, s9, 1
	s_cmp_ge_u32 s16, s11
	s_cselect_b32 s9, s17, s9
	s_abs_i32 s11, s26
	v_cvt_f32_u32_e32 v1, s11
	s_xor_b32 s9, s9, s10
	s_sub_i32 s25, s9, s10
	s_waitcnt lgkmcnt(0)
	s_abs_i32 s9, s29
	v_rcp_iflag_f32_e32 v1, v1
	v_cvt_f32_u32_e32 v2, s9
	v_writelane_b32 v48, s22, 4
	v_writelane_b32 v48, s23, 5
	v_mul_f32_e32 v1, 0x4f7ffffe, v1
	v_cvt_u32_f32_e32 v1, v1
	v_writelane_b32 v48, s11, 6
	s_sub_i32 s10, 0, s11
	s_abs_i32 s23, s25
	v_readfirstlane_b32 s11, v1
	v_rcp_iflag_f32_e32 v1, v2
	s_mul_i32 s10, s10, s11
	s_mul_hi_u32 s10, s11, s10
	s_add_i32 s21, s11, s10
	v_mul_f32_e32 v1, 0x4f7ffffe, v1
	v_cvt_u32_f32_e32 v1, v1
	s_ashr_i32 s10, s29, 31
	s_xor_b32 s1, s1, s10
	s_sub_i32 s10, 0, s9
	v_readfirstlane_b32 s11, v1
	s_mul_i32 s10, s10, s11
	s_mul_hi_u32 s10, s11, s10
	s_add_i32 s11, s11, s10
	s_mul_hi_u32 s10, s8, s11
	s_mul_i32 s11, s10, s9
	s_sub_i32 s8, s8, s11
	s_add_i32 s11, s10, 1
	s_sub_i32 s22, s8, s9
	s_cmp_ge_u32 s8, s9
	s_cselect_b32 s10, s11, s10
	s_cselect_b32 s8, s22, s8
	s_add_i32 s11, s10, 1
	s_cmp_ge_u32 s8, s9
	s_cselect_b32 s22, s11, s10
	s_load_dwordx4 s[8:11], s[4:5], 0x22c
	s_abs_i32 s30, s28
	v_cvt_f32_u32_e32 v1, s30
	s_load_dwordx2 s[16:17], s[4:5], 0x0
	s_waitcnt lgkmcnt(0)
	v_writelane_b32 v48, s8, 7
	v_writelane_b32 v48, s9, 8
	;; [unrolled: 1-line block ×4, first 2 shown]
	s_load_dwordx2 s[8:9], s[4:5], 0xe8
	v_rcp_iflag_f32_e32 v1, v1
	v_mul_f32_e32 v1, 0x4f7ffffe, v1
	s_waitcnt lgkmcnt(0)
	v_writelane_b32 v48, s8, 11
	v_cvt_u32_f32_e32 v1, v1
	v_writelane_b32 v48, s9, 12
	s_load_dwordx4 s[8:11], s[4:5], 0x6c
	s_waitcnt lgkmcnt(0)
	s_mul_hi_u32 s11, s20, s0
	v_writelane_b32 v48, s23, 13
	s_mul_hi_u32 s0, s23, s21
	v_writelane_b32 v48, s0, 14
	s_xor_b32 s0, s22, s1
	s_sub_i32 s21, s0, s1
	s_sub_i32 s0, 0, s30
	v_readfirstlane_b32 s1, v1
	s_mul_i32 s0, s0, s1
	s_mul_hi_u32 s0, s1, s0
	s_abs_i32 s4, s21
	v_writelane_b32 v48, s30, 15
	s_add_i32 s1, s1, s0
	v_writelane_b32 v48, s4, 16
	s_mul_hi_u32 s0, s4, s1
	v_writelane_b32 v48, s0, 17
	v_cmp_eq_u32_e64 s[0:1], 0, v0
	s_and_saveexec_b64 s[4:5], s[0:1]
; %bb.2:
	v_mov_b32_e32 v1, 0
	v_mov_b32_e32 v2, s68
	;; [unrolled: 1-line block ×3, first 2 shown]
	ds_write_b96 v1, v[1:3] offset:4096
; %bb.3:
	s_or_b64 exec, exec, s[4:5]
	v_writelane_b32 v48, s25, 18
	s_ashr_i32 s4, s25, 31
	v_writelane_b32 v48, s4, 19
	v_writelane_b32 v48, s26, 20
	;; [unrolled: 1-line block ×3, first 2 shown]
	s_ashr_i32 s4, s26, 31
	v_writelane_b32 v48, s4, 22
	v_writelane_b32 v48, s21, 23
	s_ashr_i32 s4, s21, 31
	v_writelane_b32 v48, s4, 24
	v_writelane_b32 v48, s28, 25
	s_mul_i32 s3, s18, s3
	s_mul_i32 s5, s11, s7
	v_writelane_b32 v48, s29, 26
	s_ashr_i32 s4, s28, 31
	s_sub_i32 s3, s24, s3
	s_sub_i32 s5, s20, s5
	v_writelane_b32 v48, s4, 27
	s_mul_i32 s3, s3, s10
	s_xor_b32 s4, s19, s15
	s_add_i32 s10, s11, 1
	s_sub_i32 s15, s5, s7
	s_cmp_ge_u32 s5, s7
	s_cselect_b32 s10, s10, s11
	s_cselect_b32 s5, s15, s5
	s_add_i32 s11, s10, 1
	s_cmp_ge_u32 s5, s7
	s_cselect_b32 s5, s11, s10
	s_xor_b32 s5, s5, s4
	s_sub_i32 s4, s5, s4
	s_mul_i32 s2, s4, s2
	s_sub_i32 s2, s18, s2
	s_mul_i32 s2, s2, s9
	s_add_i32 s2, s2, s3
	s_mul_i32 s4, s4, s8
	s_add_i32 s2, s2, s4
	s_waitcnt lgkmcnt(0)
	s_barrier
	s_load_dword s4, s[12:13], 0xc
	v_mul_lo_u32 v5, s71, v0
	s_ashr_i32 s3, s2, 31
	v_mov_b32_e32 v7, 0
	s_lshl_b64 s[2:3], s[2:3], 2
	v_mbcnt_lo_u32_b32 v1, -1, 0
	v_mov_b32_e32 v6, v7
	s_add_u32 s70, s16, s2
	v_mbcnt_hi_u32_b32 v20, -1, v1
	v_lshlrev_b64 v[1:2], 2, v[5:6]
	s_addc_u32 s77, s17, s3
	s_waitcnt lgkmcnt(0)
	s_and_b32 s76, s4, 0xffff
	s_bfe_u32 s7, s4, 0xa0006
	v_cmp_gt_u32_e32 vcc, 64, v0
	v_cmp_gt_i32_e64 s[4:5], 4, v20
	s_and_b64 s[80:81], vcc, s[4:5]
	v_mov_b32_e32 v22, s77
	v_add_co_u32_e32 v8, vcc, s70, v1
	v_addc_co_u32_e32 v9, vcc, v22, v2, vcc
	v_lshlrev_b64 v[2:3], v20, -1
	s_add_i32 s8, s76, -1
	v_writelane_b32 v48, s24, 28
	s_lshl_b32 s33, s76, 2
	s_add_i32 s90, s8, s68
	v_not_b32_e32 v25, v2
	v_lshrrev_b32_e32 v2, 2, v0
	v_writelane_b32 v48, s8, 29
	s_cmpk_gt_i32 s68, 0x300
	v_cmp_gt_u32_e64 s[8:9], s68, v0
	v_and_b32_e32 v2, 0xf0, v2
	s_cselect_b64 s[82:83], -1, 0
	v_writelane_b32 v48, s8, 30
	s_cmp_gt_u32 s76, 63
	v_or_b32_e32 v26, 0xc00, v2
	v_cvt_f32_u32_e32 v2, s33
	v_writelane_b32 v48, s9, 31
	v_cmp_gt_i32_e64 s[8:9], s68, v0
	s_cselect_b64 s[84:85], -1, 0
	s_cmp_lt_u32 s6, s14
	v_writelane_b32 v48, s8, 32
	s_cselect_b32 s6, 12, 18
	v_writelane_b32 v48, s9, 33
	s_add_u32 s8, s12, s6
	s_addc_u32 s9, s13, 0
	v_rcp_iflag_f32_e32 v2, v2
	v_writelane_b32 v48, s8, 34
	s_add_i32 s6, s7, -1
	v_writelane_b32 v48, s9, 35
	s_bfe_u32 s9, s76, 0x30006
	s_and_b32 s6, s6, 0xffff
	s_cmp_gt_u32 s6, 6
	s_cselect_b64 s[10:11], -1, 0
	v_mul_f32_e32 v2, 0x4f7ffffe, v2
	v_writelane_b32 v48, s10, 36
	s_and_b32 s8, s7, 0x3f8
	v_cvt_u32_f32_e32 v2, v2
	v_writelane_b32 v48, s11, 37
	s_cmp_lg_u32 s9, 0
	v_writelane_b32 v48, s9, 38
	s_cselect_b64 s[6:7], -1, 0
	v_writelane_b32 v48, s6, 39
	v_writelane_b32 v48, s7, 40
	s_sub_i32 s6, 0, s33
	v_readfirstlane_b32 s7, v2
	s_mul_i32 s6, s6, s7
	s_mul_hi_u32 s6, s7, s6
	s_add_i32 s9, s7, s6
	s_mul_hi_u32 s6, s68, s9
	s_mul_i32 s6, s6, s33
	s_sub_i32 s6, s68, s6
	s_sub_i32 s7, s6, s33
	s_cmp_ge_u32 s6, s33
	s_cselect_b32 s6, s7, s6
	s_sub_i32 s7, s6, s33
	s_cmp_ge_u32 s6, s33
	s_cselect_b32 s6, s7, s6
	s_sub_i32 s88, s68, s6
	v_add_u32_e32 v27, s88, v0
	v_cvt_f32_u32_e32 v4, s76
	v_mul_lo_u32 v2, v27, s71
	v_not_b32_e32 v24, v3
	s_sub_i32 s17, 0, s76
	v_rcp_iflag_f32_e32 v4, v4
	v_ashrrev_i32_e32 v3, 31, v2
	v_lshlrev_b64 v[2:3], 2, v[2:3]
	s_abs_i32 s16, s90
	v_add_co_u32_e32 v10, vcc, s70, v2
	v_mul_f32_e32 v2, 0x4f7ffffe, v4
	v_cvt_u32_f32_e32 v2, v2
	s_ashr_i32 s7, s90, 31
	v_lshlrev_b32_e32 v19, 2, v0
	v_lshlrev_b32_e32 v1, 2, v20
	v_readfirstlane_b32 s18, v2
	s_mul_i32 s17, s17, s18
	s_mul_hi_u32 s17, s18, s17
	s_add_i32 s17, s18, s17
	v_writelane_b32 v48, s17, 41
	s_mul_hi_u32 s17, s16, s17
	s_mul_i32 s17, s17, s76
	s_sub_i32 s16, s16, s17
	s_sub_i32 s17, s16, s76
	s_cmp_ge_u32 s16, s76
	s_cselect_b32 s16, s17, s16
	s_sub_i32 s17, s16, s76
	v_mul_lo_u32 v2, s71, v19
	s_cmp_ge_u32 s16, s76
	s_cselect_b32 s16, s17, s16
	s_xor_b32 s16, s16, s7
	s_sub_i32 s7, s7, s16
	v_add_u32_e32 v28, s71, v2
	v_or_b32_e32 v2, 2, v19
	s_add_i32 s90, s90, s7
	v_mul_lo_u32 v29, s71, v2
	v_or_b32_e32 v2, 3, v19
	s_add_i32 s7, s76, s68
	v_mul_lo_u32 v31, s71, v2
	v_add_u32_e32 v2, s7, v0
	v_subrev_u32_e32 v2, s6, v2
	v_mul_lo_u32 v33, s71, v2
	v_cmp_gt_i32_e64 s[16:17], s90, v0
	v_mov_b32_e32 v6, s77
	v_writelane_b32 v48, s16, 42
	s_mul_i32 s86, s71, s76
	v_cmp_eq_u32_e64 s[2:3], 0, v20
	v_cmp_gt_u32_e64 s[4:5], 2, v0
	v_add_u32_e32 v21, 0xc00, v19
	v_and_b32_e32 v23, 0x100, v1
	v_cmp_gt_i32_e64 s[10:11], s88, v19
	v_cmp_gt_u32_e64 s[12:13], s68, v27
	v_addc_co_u32_e32 v11, vcc, v6, v3, vcc
	v_cmp_gt_i32_e64 s[14:15], s68, v27
	v_writelane_b32 v48, s17, 43
	s_lshl_b32 s91, s86, 2
	v_lshlrev_b32_e32 v32, 2, v5
	v_lshlrev_b32_e32 v34, 4, v0
	s_lshl_b32 s16, s76, 4
	v_or_b32_e32 v35, 0xc00, v1
	s_mov_b64 s[92:93], 0
	v_mov_b32_e32 v36, 30
	v_mov_b32_e32 v39, s69
	;; [unrolled: 1-line block ×7, first 2 shown]
                                        ; implicit-def: $sgpr94_sgpr95
                                        ; implicit-def: $sgpr78_sgpr79
                                        ; implicit-def: $sgpr74_sgpr75
                                        ; implicit-def: $sgpr62_sgpr63
                                        ; implicit-def: $sgpr64_sgpr65
                                        ; implicit-def: $sgpr60_sgpr61
	s_branch .LBB18_7
.LBB18_4:                               ;   in Loop: Header=BB18_7 Depth=1
	s_or_b64 exec, exec, s[30:31]
	s_and_b64 s[30:31], s[28:29], exec
	s_andn2_b64 s[26:27], s[26:27], exec
	s_andn2_b64 s[24:25], s[24:25], exec
	s_orn2_b64 s[20:21], s[20:21], exec
.LBB18_5:                               ;   in Loop: Header=BB18_7 Depth=1
	s_or_b64 exec, exec, s[22:23]
	s_andn2_b64 s[18:19], s[60:61], exec
	s_and_b64 s[22:23], s[30:31], exec
	s_or_b64 s[60:61], s[18:19], s[22:23]
	s_andn2_b64 s[18:19], s[64:65], exec
	s_and_b64 s[22:23], s[26:27], exec
	s_or_b64 s[64:65], s[18:19], s[22:23]
	;; [unrolled: 3-line block ×3, first 2 shown]
	s_orn2_b64 s[20:21], s[20:21], exec
.LBB18_6:                               ;   in Loop: Header=BB18_7 Depth=1
	s_or_b64 exec, exec, s[6:7]
	s_and_b64 s[6:7], exec, s[20:21]
	s_or_b64 s[92:93], s[6:7], s[92:93]
	s_andn2_b64 s[6:7], s[74:75], exec
	s_and_b64 s[18:19], s[60:61], exec
	s_or_b64 s[74:75], s[6:7], s[18:19]
	s_andn2_b64 s[6:7], s[78:79], exec
	s_and_b64 s[18:19], s[64:65], exec
	;; [unrolled: 3-line block ×3, first 2 shown]
	s_or_b64 s[94:95], s[6:7], s[18:19]
	v_mov_b32_e32 v39, v15
	s_andn2_b64 exec, exec, s[92:93]
	s_cbranch_execz .LBB18_231
.LBB18_7:                               ; =>This Loop Header: Depth=1
                                        ;     Child Loop BB18_13 Depth 2
                                        ;     Child Loop BB18_28 Depth 2
	;; [unrolled: 1-line block ×16, first 2 shown]
	ds_read_b64 v[1:2], v7 offset:4096
	s_waitcnt lgkmcnt(0)
	v_readfirstlane_b32 s17, v1
	s_cmp_gt_i32 s17, 0
	s_cbranch_scc1 .LBB18_35
; %bb.8:                                ;   in Loop: Header=BB18_7 Depth=1
	s_and_b64 vcc, exec, s[82:83]
	s_cbranch_vccz .LBB18_21
; %bb.9:                                ;   in Loop: Header=BB18_7 Depth=1
	s_movk_i32 s6, 0x301
	v_cmp_gt_i32_e32 vcc, s6, v2
	s_mov_b64 s[20:21], 0
	s_mov_b64 s[6:7], 0
	s_cbranch_vccz .LBB18_22
; %bb.10:                               ;   in Loop: Header=BB18_7 Depth=1
	s_mov_b64 s[22:23], exec
	v_readlane_b32 s6, v48, 30
	v_readlane_b32 s7, v48, 31
	s_and_b64 s[6:7], s[22:23], s[6:7]
	s_mov_b64 exec, s[6:7]
	s_cbranch_execz .LBB18_67
; %bb.11:                               ;   in Loop: Header=BB18_7 Depth=1
	v_readlane_b32 s6, v48, 34
	v_readlane_b32 s7, v48, 35
	s_nop 4
	global_load_ushort v1, v7, s[6:7]
	global_load_dword v3, v[8:9], off
	s_mov_b64 s[24:25], 0
	v_mov_b32_e32 v4, v0
	s_waitcnt vmcnt(1)
	v_add_u32_e32 v2, v0, v1
	v_mul_lo_u32 v6, s71, v2
	v_mul_lo_u32 v2, s71, v1
	s_branch .LBB18_13
.LBB18_12:                              ;   in Loop: Header=BB18_13 Depth=2
	s_or_b64 exec, exec, s[6:7]
	v_cmp_le_i32_e32 vcc, s68, v4
	v_add_u32_e32 v6, v6, v2
	s_or_b64 s[24:25], vcc, s[24:25]
	v_mov_b32_e32 v3, v13
	s_andn2_b64 exec, exec, s[24:25]
	s_cbranch_execz .LBB18_67
.LBB18_13:                              ;   Parent Loop BB18_7 Depth=1
                                        ; =>  This Inner Loop Header: Depth=2
	v_add_u32_e32 v4, v4, v1
	v_cmp_gt_u32_e32 vcc, s68, v4
	s_waitcnt lgkmcnt(0)
	v_mov_b32_e32 v15, 0
	v_mov_b32_e32 v13, 0
	s_and_saveexec_b64 s[6:7], vcc
	s_cbranch_execz .LBB18_15
; %bb.14:                               ;   in Loop: Header=BB18_13 Depth=2
	v_lshlrev_b64 v[16:17], 2, v[6:7]
	v_add_co_u32_e32 v16, vcc, s70, v16
	v_addc_co_u32_e32 v17, vcc, v22, v17, vcc
	global_load_dword v13, v[16:17], off
.LBB18_15:                              ;   in Loop: Header=BB18_13 Depth=2
	s_or_b64 exec, exec, s[6:7]
	s_waitcnt vmcnt(0)
	v_xor_b32_e32 v16, 0x80000000, v3
	v_and_b32_e32 v16, v16, v38
	v_cmp_eq_u32_e32 vcc, v16, v30
	s_cmp_lg_u64 vcc, 0
	s_cselect_b64 s[6:7], -1, 0
	s_and_b64 s[6:7], s[2:3], s[6:7]
	s_and_saveexec_b64 s[26:27], s[6:7]
	s_cbranch_execz .LBB18_19
; %bb.16:                               ;   in Loop: Header=BB18_13 Depth=2
	s_mov_b64 s[30:31], exec
	v_mbcnt_lo_u32_b32 v15, s30, 0
	v_mbcnt_hi_u32_b32 v15, s31, v15
	s_bcnt1_i32_b64 s18, vcc
	v_cmp_eq_u32_e64 s[6:7], 0, v15
                                        ; implicit-def: $vgpr16
	s_and_saveexec_b64 s[28:29], s[6:7]
; %bb.17:                               ;   in Loop: Header=BB18_13 Depth=2
	s_bcnt1_i32_b64 s6, s[30:31]
	s_mul_i32 s6, s18, s6
	v_mov_b32_e32 v16, s6
	ds_add_rtn_u32 v16, v7, v16 offset:4104
; %bb.18:                               ;   in Loop: Header=BB18_13 Depth=2
	s_or_b64 exec, exec, s[28:29]
	s_waitcnt lgkmcnt(0)
	v_readfirstlane_b32 s6, v16
	v_mov_b32_e32 v16, s6
	v_mad_u32_u24 v15, s18, v15, v16
.LBB18_19:                              ;   in Loop: Header=BB18_13 Depth=2
	s_or_b64 exec, exec, s[26:27]
	ds_bpermute_b32 v15, v23, v15
	s_and_saveexec_b64 s[6:7], vcc
	s_cbranch_execz .LBB18_12
; %bb.20:                               ;   in Loop: Header=BB18_13 Depth=2
	v_and_b32_e32 v17, vcc_lo, v25
	v_and_b32_e32 v16, vcc_hi, v24
	v_bcnt_u32_b32 v17, v17, 0
	v_bcnt_u32_b32 v16, v16, v17
	v_lshlrev_b32_e32 v16, 2, v16
	s_waitcnt lgkmcnt(0)
	v_lshl_add_u32 v15, v15, 2, v16
	ds_write_b32 v15, v3
	s_branch .LBB18_12
.LBB18_21:                              ;   in Loop: Header=BB18_7 Depth=1
	s_mov_b64 s[20:21], -1
	s_mov_b64 s[6:7], 0
.LBB18_22:                              ;   in Loop: Header=BB18_7 Depth=1
	s_and_b64 vcc, exec, s[20:21]
	s_cbranch_vccz .LBB18_33
.LBB18_23:                              ;   in Loop: Header=BB18_7 Depth=1
	v_mov_b32_e32 v1, 0
	s_mov_b64 s[6:7], exec
	v_readlane_b32 s18, v48, 30
	v_readlane_b32 s19, v48, 31
	s_and_b64 s[18:19], s[6:7], s[18:19]
	s_mov_b64 exec, s[18:19]
	s_cbranch_execz .LBB18_25
; %bb.24:                               ;   in Loop: Header=BB18_7 Depth=1
	global_load_dword v1, v[8:9], off
.LBB18_25:                              ;   in Loop: Header=BB18_7 Depth=1
	s_or_b64 exec, exec, s[6:7]
	s_mov_b64 s[6:7], exec
	v_readlane_b32 s18, v48, 32
	v_readlane_b32 s19, v48, 33
	s_and_b64 s[18:19], s[6:7], s[18:19]
	s_mov_b64 exec, s[18:19]
	s_cbranch_execz .LBB18_30
; %bb.26:                               ;   in Loop: Header=BB18_7 Depth=1
	v_readlane_b32 s18, v48, 34
	v_readlane_b32 s19, v48, 35
	s_mov_b64 s[20:21], 0
	v_mov_b32_e32 v13, v19
	v_mov_b32_e32 v15, v0
	s_nop 1
	global_load_ushort v2, v7, s[18:19]
	s_waitcnt vmcnt(0)
	v_add_u32_e32 v4, v0, v2
	v_mul_lo_u32 v6, s71, v4
	v_mul_lo_u32 v4, s71, v2
	v_lshlrev_b32_e32 v3, 2, v2
	s_branch .LBB18_28
.LBB18_27:                              ;   in Loop: Header=BB18_28 Depth=2
	s_or_b64 exec, exec, s[22:23]
	v_cmp_le_i32_e32 vcc, s68, v15
	ds_write_b32 v13, v1
	v_add_u32_e32 v13, v13, v3
	v_add_u32_e32 v6, v6, v4
	s_or_b64 s[20:21], vcc, s[20:21]
	s_waitcnt vmcnt(0)
	v_mov_b32_e32 v1, v16
	s_andn2_b64 exec, exec, s[20:21]
	s_cbranch_execz .LBB18_30
.LBB18_28:                              ;   Parent Loop BB18_7 Depth=1
                                        ; =>  This Inner Loop Header: Depth=2
	v_add_u32_e32 v15, v15, v2
	v_cmp_gt_u32_e32 vcc, s68, v15
	v_mov_b32_e32 v16, 0
	s_and_saveexec_b64 s[22:23], vcc
	s_cbranch_execz .LBB18_27
; %bb.29:                               ;   in Loop: Header=BB18_28 Depth=2
	v_lshlrev_b64 v[16:17], 2, v[6:7]
	v_mov_b32_e32 v18, s77
	v_add_co_u32_e32 v16, vcc, s70, v16
	v_addc_co_u32_e32 v17, vcc, v18, v17, vcc
	global_load_dword v16, v[16:17], off
	s_branch .LBB18_27
.LBB18_30:                              ;   in Loop: Header=BB18_7 Depth=1
	s_or_b64 exec, exec, s[6:7]
	s_waitcnt vmcnt(0) lgkmcnt(0)
	s_barrier
	s_and_saveexec_b64 s[6:7], s[0:1]
; %bb.31:                               ;   in Loop: Header=BB18_7 Depth=1
	v_mov_b32_e32 v1, s68
	ds_write_b32 v7, v1 offset:4096
; %bb.32:                               ;   in Loop: Header=BB18_7 Depth=1
	s_or_b64 exec, exec, s[6:7]
	s_mov_b64 s[6:7], -1
	s_waitcnt lgkmcnt(0)
	s_barrier
.LBB18_33:                              ;   in Loop: Header=BB18_7 Depth=1
	s_and_b64 vcc, exec, s[6:7]
	s_cbranch_vccz .LBB18_35
; %bb.34:                               ;   in Loop: Header=BB18_7 Depth=1
	ds_read_b32 v1, v7 offset:4096
	s_waitcnt lgkmcnt(0)
	v_readfirstlane_b32 s17, v1
.LBB18_35:                              ;   in Loop: Header=BB18_7 Depth=1
	s_cmp_lt_i32 s17, 1
	s_mov_b64 s[6:7], -1
                                        ; implicit-def: $vgpr4
	s_cbranch_scc1 .LBB18_45
; %bb.36:                               ;   in Loop: Header=BB18_7 Depth=1
	s_and_b64 vcc, exec, s[6:7]
	s_cbranch_vccnz .LBB18_58
.LBB18_37:                              ;   in Loop: Header=BB18_7 Depth=1
	v_lshlrev_b32_e32 v6, 6, v37
	s_and_saveexec_b64 s[6:7], s[2:3]
	s_cbranch_execz .LBB18_39
.LBB18_38:                              ;   in Loop: Header=BB18_7 Depth=1
	s_waitcnt vmcnt(0)
	v_lshl_add_u32 v13, v6, 2, v26
	ds_write_b128 v13, v[1:4]
.LBB18_39:                              ;   in Loop: Header=BB18_7 Depth=1
	s_or_b64 exec, exec, s[6:7]
	s_waitcnt vmcnt(0) lgkmcnt(0)
	s_barrier
	s_and_saveexec_b64 s[6:7], s[80:81]
	s_cbranch_execz .LBB18_75
; %bb.40:                               ;   in Loop: Header=BB18_7 Depth=1
	s_andn2_b64 vcc, exec, s[84:85]
	v_mov_b32_e32 v1, 0
	s_cbranch_vccnz .LBB18_74
; %bb.41:                               ;   in Loop: Header=BB18_7 Depth=1
	v_readlane_b32 s18, v48, 36
	v_readlane_b32 s19, v48, 37
	s_andn2_b64 vcc, exec, s[18:19]
	s_cbranch_vccnz .LBB18_70
; %bb.42:                               ;   in Loop: Header=BB18_7 Depth=1
	v_lshl_add_u32 v2, v37, 8, v35
	s_mov_b32 s17, 0
	v_mov_b32_e32 v1, 0
.LBB18_43:                              ;   Parent Loop BB18_7 Depth=1
                                        ; =>  This Inner Loop Header: Depth=2
	ds_read2_b32 v[3:4], v2 offset1:4
	ds_read2_b32 v[15:16], v2 offset0:8 offset1:12
	ds_read2_b32 v[17:18], v2 offset0:16 offset1:20
	;; [unrolled: 1-line block ×3, first 2 shown]
	s_add_i32 s17, s17, 8
	s_waitcnt lgkmcnt(3)
	v_add3_u32 v1, v3, v1, v4
	s_waitcnt lgkmcnt(2)
	v_add3_u32 v1, v15, v1, v16
	;; [unrolled: 2-line block ×3, first 2 shown]
	v_add_u32_e32 v2, 0x80, v2
	s_cmp_eq_u32 s8, s17
	s_waitcnt lgkmcnt(0)
	v_add3_u32 v1, v40, v1, v41
	s_cbranch_scc0 .LBB18_43
; %bb.44:                               ;   in Loop: Header=BB18_7 Depth=1
	s_mov_b32 s17, s8
	s_branch .LBB18_71
.LBB18_45:                              ;   in Loop: Header=BB18_7 Depth=1
	v_mov_b32_e32 v1, 0
	v_mov_b32_e32 v2, 0
	v_mov_b32_e32 v3, 0
	v_mov_b32_e32 v4, 0
	s_and_saveexec_b64 s[66:67], s[10:11]
	s_cbranch_execnz .LBB18_48
; %bb.46:                               ;   in Loop: Header=BB18_7 Depth=1
	s_or_b64 exec, exec, s[66:67]
	v_mov_b32_e32 v13, 0
	s_and_saveexec_b64 s[6:7], s[12:13]
	s_cbranch_execnz .LBB18_51
.LBB18_47:                              ;   in Loop: Header=BB18_7 Depth=1
	s_or_b64 exec, exec, s[6:7]
	s_and_saveexec_b64 s[20:21], s[14:15]
	s_cbranch_execnz .LBB18_52
	s_branch .LBB18_57
.LBB18_48:                              ;   in Loop: Header=BB18_7 Depth=1
	s_mov_b32 s69, 0
	s_mov_b64 s[72:73], 0
	s_mov_b32 s87, 0
	s_mov_b32 s89, 0
	;; [unrolled: 1-line block ×4, first 2 shown]
	v_mov_b32_e32 v6, v19
.LBB18_49:                              ;   Parent Loop BB18_7 Depth=1
                                        ; =>  This Inner Loop Header: Depth=2
	v_add_u32_e32 v1, s69, v32
	v_ashrrev_i32_e32 v2, 31, v1
	v_add_u32_e32 v3, s69, v28
	v_lshlrev_b64 v[1:2], 2, v[1:2]
	v_ashrrev_i32_e32 v4, 31, v3
	v_mov_b32_e32 v13, s77
	v_add_u32_e32 v15, s69, v29
	v_lshlrev_b64 v[3:4], 2, v[3:4]
	v_add_co_u32_e64 v1, s[6:7], s70, v1
	v_ashrrev_i32_e32 v16, 31, v15
	v_addc_co_u32_e64 v2, s[6:7], v13, v2, s[6:7]
	v_add_u32_e32 v17, s69, v31
	v_lshlrev_b64 v[15:16], 2, v[15:16]
	v_add_co_u32_e64 v3, s[6:7], s70, v3
	v_ashrrev_i32_e32 v18, 31, v17
	v_addc_co_u32_e64 v4, s[6:7], v13, v4, s[6:7]
	v_lshlrev_b64 v[17:18], 2, v[17:18]
	v_add_co_u32_e64 v15, s[6:7], s70, v15
	v_addc_co_u32_e64 v16, s[6:7], v13, v16, s[6:7]
	v_add_co_u32_e64 v17, s[6:7], s70, v17
	v_addc_co_u32_e64 v18, s[6:7], v13, v18, s[6:7]
	global_load_dword v1, v[1:2], off
	s_nop 0
	global_load_dword v2, v[3:4], off
	s_nop 0
	global_load_dword v3, v[15:16], off
	global_load_dword v4, v[17:18], off
	v_add_u32_e32 v6, s33, v6
	s_add_i32 s69, s69, s91
	v_cmp_le_i32_e32 vcc, s88, v6
	s_waitcnt vmcnt(3)
	v_xor_b32_e32 v1, 0x80000000, v1
	s_waitcnt vmcnt(2)
	v_xor_b32_e32 v2, 0x80000000, v2
	v_and_b32_e32 v13, v1, v38
	v_bfe_u32 v1, v1, v36, 2
	s_waitcnt vmcnt(1)
	v_xor_b32_e32 v3, 0x80000000, v3
	v_and_b32_e32 v15, v2, v38
	v_bfe_u32 v2, v2, v36, 2
	v_cmp_eq_u32_e64 s[6:7], v13, v30
	v_cmp_eq_u32_e64 s[26:27], 0, v1
	s_waitcnt vmcnt(0)
	v_xor_b32_e32 v4, 0x80000000, v4
	v_and_b32_e32 v16, v3, v38
	v_bfe_u32 v3, v3, v36, 2
	v_cmp_eq_u32_e64 s[20:21], v15, v30
	v_cmp_eq_u32_e64 s[28:29], 0, v2
	s_and_b64 s[26:27], s[6:7], s[26:27]
	v_and_b32_e32 v17, v4, v38
	v_bfe_u32 v4, v4, v36, 2
	v_cmp_eq_u32_e64 s[22:23], v16, v30
	v_cmp_eq_u32_e64 s[30:31], 0, v3
	;; [unrolled: 1-line block ×5, first 2 shown]
	v_cndmask_b32_e64 v1, 0, 1, s[26:27]
	s_and_b64 s[26:27], s[20:21], s[28:29]
	v_cmp_eq_u32_e64 s[24:25], v17, v30
	v_cmp_eq_u32_e64 s[34:35], 0, v4
	;; [unrolled: 1-line block ×5, first 2 shown]
	v_cndmask_b32_e64 v2, 0, 1, s[26:27]
	s_and_b64 s[26:27], s[22:23], s[30:31]
	v_cmp_eq_u32_e64 s[40:41], 1, v3
	v_cmp_eq_u32_e64 s[48:49], 2, v3
	;; [unrolled: 1-line block ×3, first 2 shown]
	v_cndmask_b32_e64 v3, 0, 1, s[26:27]
	s_and_b64 s[26:27], s[24:25], s[34:35]
	v_cmp_eq_u32_e64 s[42:43], 1, v4
	v_cmp_eq_u32_e64 s[50:51], 2, v4
	;; [unrolled: 1-line block ×3, first 2 shown]
	v_cndmask_b32_e64 v4, 0, 1, s[26:27]
	s_and_b64 s[26:27], s[6:7], s[36:37]
	v_cndmask_b32_e64 v13, 0, 1, s[26:27]
	s_and_b64 s[26:27], s[20:21], s[38:39]
	;; [unrolled: 2-line block ×5, first 2 shown]
	s_and_b64 s[6:7], s[6:7], s[52:53]
	v_cndmask_b32_e64 v18, 0, 1, s[26:27]
	s_and_b64 s[26:27], s[20:21], s[46:47]
	v_cndmask_b32_e64 v43, 0, 1, s[6:7]
	;; [unrolled: 2-line block ×7, first 2 shown]
	v_cndmask_b32_e64 v46, 0, 1, s[6:7]
	v_cmp_ne_u32_e64 s[6:7], 0, v1
	v_cmp_ne_u32_e64 s[20:21], 0, v2
	;; [unrolled: 1-line block ×11, first 2 shown]
	s_bcnt1_i32_b64 s6, s[6:7]
	s_bcnt1_i32_b64 s7, s[20:21]
	;; [unrolled: 1-line block ×8, first 2 shown]
	v_cmp_ne_u32_e64 s[34:35], 0, v17
	v_cmp_ne_u32_e64 s[40:41], 0, v41
	v_cmp_ne_u32_e64 s[48:49], 0, v45
	s_bcnt1_i32_b64 s23, s[28:29]
	s_bcnt1_i32_b64 s27, s[38:39]
	;; [unrolled: 1-line block ×3, first 2 shown]
	s_add_i32 s6, s19, s6
	s_add_i32 s18, s18, s22
	;; [unrolled: 1-line block ×4, first 2 shown]
	v_cmp_ne_u32_e64 s[42:43], 0, v42
	v_cmp_ne_u32_e64 s[50:51], 0, v46
	s_bcnt1_i32_b64 s25, s[34:35]
	s_bcnt1_i32_b64 s28, s[40:41]
	;; [unrolled: 1-line block ×3, first 2 shown]
	s_add_i32 s6, s6, s7
	s_add_i32 s7, s18, s23
	;; [unrolled: 1-line block ×4, first 2 shown]
	s_bcnt1_i32_b64 s29, s[42:43]
	s_bcnt1_i32_b64 s35, s[50:51]
	s_add_i32 s6, s6, s20
	s_add_i32 s7, s7, s24
	;; [unrolled: 1-line block ×8, first 2 shown]
	s_or_b64 s[72:73], vcc, s[72:73]
	v_mov_b32_e32 v1, s19
	v_mov_b32_e32 v2, s18
	;; [unrolled: 1-line block ×4, first 2 shown]
	s_andn2_b64 exec, exec, s[72:73]
	s_cbranch_execnz .LBB18_49
; %bb.50:                               ;   in Loop: Header=BB18_7 Depth=1
	s_or_b64 exec, exec, s[72:73]
	s_or_b64 exec, exec, s[66:67]
	v_mov_b32_e32 v13, 0
	s_and_saveexec_b64 s[6:7], s[12:13]
	s_cbranch_execz .LBB18_47
.LBB18_51:                              ;   in Loop: Header=BB18_7 Depth=1
	global_load_dword v13, v[10:11], off
	s_or_b64 exec, exec, s[6:7]
	s_and_saveexec_b64 s[20:21], s[14:15]
	s_cbranch_execz .LBB18_57
.LBB18_52:                              ;   in Loop: Header=BB18_7 Depth=1
	s_mov_b64 s[22:23], 0
	v_mov_b32_e32 v15, v33
	v_mov_b32_e32 v6, v27
	s_branch .LBB18_54
.LBB18_53:                              ;   in Loop: Header=BB18_54 Depth=2
	s_or_b64 exec, exec, s[6:7]
	s_waitcnt vmcnt(0)
	v_xor_b32_e32 v13, 0x80000000, v13
	v_and_b32_e32 v17, v13, v38
	v_bfe_u32 v13, v13, v36, 2
	v_cmp_eq_u32_e32 vcc, v17, v30
	v_cmp_eq_u32_e64 s[6:7], 0, v13
	s_and_b64 s[6:7], vcc, s[6:7]
	v_cndmask_b32_e64 v17, 0, 1, s[6:7]
	v_cmp_ne_u32_e64 s[6:7], 0, v17
	s_bcnt1_i32_b64 s6, s[6:7]
	v_add_u32_e32 v1, s6, v1
	v_cmp_eq_u32_e64 s[6:7], 1, v13
	s_and_b64 s[6:7], vcc, s[6:7]
	v_cndmask_b32_e64 v17, 0, 1, s[6:7]
	v_cmp_ne_u32_e64 s[6:7], 0, v17
	s_bcnt1_i32_b64 s6, s[6:7]
	v_add_u32_e32 v2, s6, v2
	;; [unrolled: 6-line block ×3, first 2 shown]
	v_cmp_eq_u32_e64 s[6:7], 3, v13
	s_and_b64 s[6:7], vcc, s[6:7]
	v_cndmask_b32_e64 v13, 0, 1, s[6:7]
	v_cmp_ne_u32_e32 vcc, 0, v13
	s_bcnt1_i32_b64 s6, vcc
	v_cmp_le_i32_e32 vcc, s68, v6
	v_add_u32_e32 v4, s6, v4
	v_add_u32_e32 v15, s86, v15
	s_or_b64 s[22:23], vcc, s[22:23]
	v_mov_b32_e32 v13, v16
	s_andn2_b64 exec, exec, s[22:23]
	s_cbranch_execz .LBB18_56
.LBB18_54:                              ;   Parent Loop BB18_7 Depth=1
                                        ; =>  This Inner Loop Header: Depth=2
	v_add_u32_e32 v6, s76, v6
	v_cmp_gt_u32_e32 vcc, s68, v6
	v_mov_b32_e32 v16, 0
	s_and_saveexec_b64 s[6:7], vcc
	s_cbranch_execz .LBB18_53
; %bb.55:                               ;   in Loop: Header=BB18_54 Depth=2
	v_ashrrev_i32_e32 v16, 31, v15
	v_lshlrev_b64 v[16:17], 2, v[15:16]
	v_mov_b32_e32 v18, s77
	v_add_co_u32_e32 v16, vcc, s70, v16
	v_addc_co_u32_e32 v17, vcc, v18, v17, vcc
	global_load_dword v16, v[16:17], off
	s_branch .LBB18_53
.LBB18_56:                              ;   in Loop: Header=BB18_7 Depth=1
	s_or_b64 exec, exec, s[22:23]
.LBB18_57:                              ;   in Loop: Header=BB18_7 Depth=1
	s_or_b64 exec, exec, s[20:21]
	s_branch .LBB18_37
.LBB18_58:                              ;   in Loop: Header=BB18_7 Depth=1
	s_mul_hi_u32 s6, s17, s9
	s_mul_i32 s6, s6, s33
	s_sub_i32 s6, s17, s6
	s_sub_i32 s7, s6, s33
	s_cmp_ge_u32 s6, s33
	s_cselect_b32 s6, s7, s6
	s_sub_i32 s7, s6, s33
	s_cmp_ge_u32 s6, s33
	s_cselect_b32 s6, s7, s6
	s_sub_i32 s18, s17, s6
	v_cmp_gt_u32_e32 vcc, s18, v19
	v_mov_b32_e32 v1, 0
	v_mov_b32_e32 v2, 0
	;; [unrolled: 1-line block ×4, first 2 shown]
	s_and_saveexec_b64 s[66:67], vcc
	s_cbranch_execz .LBB18_62
; %bb.59:                               ;   in Loop: Header=BB18_7 Depth=1
	s_mov_b32 s19, 0
	s_mov_b64 s[72:73], 0
	v_mov_b32_e32 v6, v34
	s_mov_b32 s69, 0
	s_mov_b32 s87, 0
	;; [unrolled: 1-line block ×3, first 2 shown]
	s_waitcnt vmcnt(0)
	v_mov_b32_e32 v13, v19
.LBB18_60:                              ;   Parent Loop BB18_7 Depth=1
                                        ; =>  This Inner Loop Header: Depth=2
	ds_read_b128 v[1:4], v6
	v_add_u32_e32 v13, s33, v13
	v_cmp_le_i32_e32 vcc, s18, v13
	v_add_u32_e32 v6, s16, v6
	s_waitcnt lgkmcnt(0)
	v_xor_b32_e32 v1, 0x80000000, v1
	v_xor_b32_e32 v2, 0x80000000, v2
	v_and_b32_e32 v15, v1, v38
	v_bfe_u32 v1, v1, v36, 2
	v_xor_b32_e32 v3, 0x80000000, v3
	v_and_b32_e32 v16, v2, v38
	v_bfe_u32 v2, v2, v36, 2
	v_cmp_eq_u32_e64 s[6:7], v15, v30
	v_cmp_eq_u32_e64 s[26:27], 0, v1
	v_xor_b32_e32 v4, 0x80000000, v4
	v_and_b32_e32 v17, v3, v38
	v_bfe_u32 v3, v3, v36, 2
	v_cmp_eq_u32_e64 s[20:21], v16, v30
	v_cmp_eq_u32_e64 s[28:29], 0, v2
	s_and_b64 s[26:27], s[6:7], s[26:27]
	v_and_b32_e32 v18, v4, v38
	v_bfe_u32 v4, v4, v36, 2
	v_cmp_eq_u32_e64 s[22:23], v17, v30
	v_cmp_eq_u32_e64 s[30:31], 0, v3
	;; [unrolled: 1-line block ×5, first 2 shown]
	v_cndmask_b32_e64 v1, 0, 1, s[26:27]
	s_and_b64 s[26:27], s[20:21], s[28:29]
	v_cmp_eq_u32_e64 s[24:25], v18, v30
	v_cmp_eq_u32_e64 s[34:35], 0, v4
	;; [unrolled: 1-line block ×5, first 2 shown]
	v_cndmask_b32_e64 v2, 0, 1, s[26:27]
	s_and_b64 s[26:27], s[22:23], s[30:31]
	v_cmp_eq_u32_e64 s[40:41], 1, v3
	v_cmp_eq_u32_e64 s[48:49], 2, v3
	;; [unrolled: 1-line block ×3, first 2 shown]
	v_cndmask_b32_e64 v3, 0, 1, s[26:27]
	s_and_b64 s[26:27], s[24:25], s[34:35]
	v_cmp_eq_u32_e64 s[42:43], 1, v4
	v_cmp_eq_u32_e64 s[50:51], 2, v4
	;; [unrolled: 1-line block ×3, first 2 shown]
	v_cndmask_b32_e64 v4, 0, 1, s[26:27]
	s_and_b64 s[26:27], s[6:7], s[36:37]
	v_cndmask_b32_e64 v15, 0, 1, s[26:27]
	s_and_b64 s[26:27], s[20:21], s[38:39]
	;; [unrolled: 2-line block ×5, first 2 shown]
	s_and_b64 s[6:7], s[6:7], s[52:53]
	v_cndmask_b32_e64 v40, 0, 1, s[26:27]
	s_and_b64 s[26:27], s[20:21], s[46:47]
	v_cndmask_b32_e64 v44, 0, 1, s[6:7]
	;; [unrolled: 2-line block ×7, first 2 shown]
	v_cndmask_b32_e64 v47, 0, 1, s[6:7]
	v_cmp_ne_u32_e64 s[6:7], 0, v1
	v_cmp_ne_u32_e64 s[20:21], 0, v2
	;; [unrolled: 1-line block ×11, first 2 shown]
	s_bcnt1_i32_b64 s6, s[6:7]
	s_bcnt1_i32_b64 s7, s[20:21]
	;; [unrolled: 1-line block ×8, first 2 shown]
	v_cmp_ne_u32_e64 s[34:35], 0, v18
	v_cmp_ne_u32_e64 s[40:41], 0, v42
	;; [unrolled: 1-line block ×3, first 2 shown]
	s_bcnt1_i32_b64 s23, s[28:29]
	s_bcnt1_i32_b64 s27, s[38:39]
	;; [unrolled: 1-line block ×3, first 2 shown]
	s_add_i32 s6, s89, s6
	s_add_i32 s22, s87, s22
	;; [unrolled: 1-line block ×4, first 2 shown]
	v_cmp_ne_u32_e64 s[42:43], 0, v43
	v_cmp_ne_u32_e64 s[50:51], 0, v47
	s_bcnt1_i32_b64 s25, s[34:35]
	s_bcnt1_i32_b64 s28, s[40:41]
	;; [unrolled: 1-line block ×3, first 2 shown]
	s_add_i32 s6, s6, s7
	s_add_i32 s7, s22, s23
	;; [unrolled: 1-line block ×4, first 2 shown]
	s_bcnt1_i32_b64 s29, s[42:43]
	s_bcnt1_i32_b64 s35, s[50:51]
	s_add_i32 s6, s6, s20
	s_add_i32 s7, s7, s24
	;; [unrolled: 1-line block ×8, first 2 shown]
	s_or_b64 s[72:73], vcc, s[72:73]
	v_mov_b32_e32 v1, s89
	v_mov_b32_e32 v2, s87
	;; [unrolled: 1-line block ×4, first 2 shown]
	s_andn2_b64 exec, exec, s[72:73]
	s_cbranch_execnz .LBB18_60
; %bb.61:                               ;   in Loop: Header=BB18_7 Depth=1
	s_or_b64 exec, exec, s[72:73]
.LBB18_62:                              ;   in Loop: Header=BB18_7 Depth=1
	s_or_b64 exec, exec, s[66:67]
	v_add_u32_e32 v6, s18, v0
	v_cmp_gt_i32_e32 vcc, s17, v6
	s_and_saveexec_b64 s[28:29], vcc
	s_cbranch_execz .LBB18_66
; %bb.63:                               ;   in Loop: Header=BB18_7 Depth=1
	s_waitcnt vmcnt(0)
	v_lshlrev_b32_e32 v13, 2, v6
	s_mov_b64 s[30:31], 0
.LBB18_64:                              ;   Parent Loop BB18_7 Depth=1
                                        ; =>  This Inner Loop Header: Depth=2
	ds_read_b32 v15, v13
	v_add_u32_e32 v6, s76, v6
	v_cmp_le_i32_e32 vcc, s17, v6
	v_add_u32_e32 v13, s33, v13
	s_waitcnt lgkmcnt(0)
	v_xor_b32_e32 v15, 0x80000000, v15
	v_and_b32_e32 v16, v15, v38
	v_bfe_u32 v15, v15, v36, 2
	v_cmp_eq_u32_e64 s[6:7], v16, v30
	v_cmp_eq_u32_e64 s[20:21], 0, v15
	v_cmp_eq_u32_e64 s[22:23], 1, v15
	s_and_b64 s[18:19], s[6:7], s[20:21]
	v_cmp_eq_u32_e64 s[24:25], 2, v15
	v_cmp_eq_u32_e64 s[26:27], 3, v15
	v_cndmask_b32_e64 v15, 0, 1, s[18:19]
	s_and_b64 s[18:19], s[6:7], s[22:23]
	v_cndmask_b32_e64 v16, 0, 1, s[18:19]
	s_and_b64 s[18:19], s[6:7], s[24:25]
	s_and_b64 s[6:7], s[6:7], s[26:27]
	v_cndmask_b32_e64 v17, 0, 1, s[18:19]
	v_cndmask_b32_e64 v18, 0, 1, s[6:7]
	v_cmp_ne_u32_e64 s[6:7], 0, v15
	v_cmp_ne_u32_e64 s[20:21], 0, v16
	;; [unrolled: 1-line block ×4, first 2 shown]
	s_bcnt1_i32_b64 s6, s[6:7]
	s_bcnt1_i32_b64 s7, s[20:21]
	;; [unrolled: 1-line block ×4, first 2 shown]
	v_add_u32_e32 v1, s6, v1
	v_add_u32_e32 v2, s7, v2
	;; [unrolled: 1-line block ×3, first 2 shown]
	s_or_b64 s[30:31], vcc, s[30:31]
	v_add_u32_e32 v4, s19, v4
	s_andn2_b64 exec, exec, s[30:31]
	s_cbranch_execnz .LBB18_64
; %bb.65:                               ;   in Loop: Header=BB18_7 Depth=1
	s_or_b64 exec, exec, s[30:31]
.LBB18_66:                              ;   in Loop: Header=BB18_7 Depth=1
	s_or_b64 exec, exec, s[28:29]
	v_lshlrev_b32_e32 v6, 6, v37
	s_and_saveexec_b64 s[6:7], s[2:3]
	s_cbranch_execnz .LBB18_38
	s_branch .LBB18_39
.LBB18_67:                              ;   in Loop: Header=BB18_7 Depth=1
	s_or_b64 exec, exec, s[22:23]
	s_waitcnt lgkmcnt(0)
	s_barrier
	s_and_saveexec_b64 s[6:7], s[0:1]
	s_cbranch_execz .LBB18_69
; %bb.68:                               ;   in Loop: Header=BB18_7 Depth=1
	ds_read_b32 v1, v7 offset:4104
	s_waitcnt lgkmcnt(0)
	ds_write_b32 v7, v1 offset:4096
.LBB18_69:                              ;   in Loop: Header=BB18_7 Depth=1
	s_or_b64 exec, exec, s[6:7]
	s_waitcnt lgkmcnt(0)
	s_barrier
	s_mov_b64 s[6:7], -1
	s_and_b64 vcc, exec, s[20:21]
	s_cbranch_vccnz .LBB18_23
	s_branch .LBB18_33
.LBB18_70:                              ;   in Loop: Header=BB18_7 Depth=1
	v_mov_b32_e32 v1, 0
	s_mov_b32 s17, 0
.LBB18_71:                              ;   in Loop: Header=BB18_7 Depth=1
	v_readlane_b32 s18, v48, 39
	v_readlane_b32 s19, v48, 40
	s_andn2_b64 vcc, exec, s[18:19]
	s_cbranch_vccnz .LBB18_74
; %bb.72:                               ;   in Loop: Header=BB18_7 Depth=1
	v_lshlrev_b32_e32 v2, 8, v37
	s_lshl_b32 s17, s17, 4
	v_add_u32_e32 v2, s17, v2
	v_add_u32_e32 v2, v35, v2
	v_readlane_b32 s17, v48, 38
.LBB18_73:                              ;   Parent Loop BB18_7 Depth=1
                                        ; =>  This Inner Loop Header: Depth=2
	ds_read_b32 v3, v2
	s_add_i32 s17, s17, -1
	v_add_u32_e32 v2, 16, v2
	s_cmp_lg_u32 s17, 0
	s_waitcnt lgkmcnt(0)
	v_add_u32_e32 v1, v3, v1
	s_cbranch_scc1 .LBB18_73
.LBB18_74:                              ;   in Loop: Header=BB18_7 Depth=1
	v_add_lshl_u32 v2, v6, v20, 2
	ds_write_b32 v2, v1 offset:3072
.LBB18_75:                              ;   in Loop: Header=BB18_7 Depth=1
	s_or_b64 exec, exec, s[6:7]
	v_lshlrev_b32_e32 v1, 2, v6
	s_waitcnt lgkmcnt(0)
	s_barrier
	ds_read_b128 v[1:4], v1 offset:3072
	v_cmp_eq_u32_e32 vcc, 1, v39
	s_mov_b64 s[20:21], -1
	s_mov_b64 s[28:29], -1
                                        ; implicit-def: $sgpr26_sgpr27
                                        ; implicit-def: $sgpr24_sgpr25
	s_waitcnt lgkmcnt(0)
	v_readfirstlane_b32 s42, v1
	s_cmp_eq_u32 s42, 1
	v_readfirstlane_b32 s54, v3
	v_lshlrev_b32_e64 v3, v36, 3
	s_cselect_b64 s[6:7], -1, 0
	v_readfirstlane_b32 s46, v2
	v_readfirstlane_b32 s17, v4
	v_not_b32_e32 v6, v3
	s_and_b64 s[22:23], s[6:7], vcc
	s_and_saveexec_b64 s[6:7], s[22:23]
	s_cbranch_execz .LBB18_101
; %bb.76:                               ;   in Loop: Header=BB18_7 Depth=1
	ds_read_b32 v1, v7 offset:4096
	s_waitcnt lgkmcnt(0)
	s_barrier
	v_readfirstlane_b32 s18, v1
	s_and_saveexec_b64 s[24:25], s[4:5]
; %bb.77:                               ;   in Loop: Header=BB18_7 Depth=1
	ds_write_b32 v21, v7
; %bb.78:                               ;   in Loop: Header=BB18_7 Depth=1
	s_or_b64 exec, exec, s[24:25]
	v_and_b32_e32 v30, v30, v6
	v_or_b32_e32 v38, v38, v3
	s_mov_b64 s[24:25], -1
	s_mov_b64 s[26:27], 0
	s_cmp_lt_i32 s18, 1
	s_mov_b64 s[28:29], 0
	s_mov_b64 s[30:31], -1
	s_waitcnt lgkmcnt(0)
	s_barrier
                                        ; implicit-def: $vgpr14
	s_cbranch_scc0 .LBB18_89
; %bb.79:                               ;   in Loop: Header=BB18_7 Depth=1
	s_mov_b64 s[30:31], 0
                                        ; implicit-def: $vgpr14
	s_mov_b64 s[34:35], exec
	v_readlane_b32 s36, v48, 42
	v_readlane_b32 s37, v48, 43
	s_and_b64 s[36:37], s[34:35], s[36:37]
	s_mov_b64 exec, s[36:37]
	s_cbranch_execz .LBB18_88
; %bb.80:                               ;   in Loop: Header=BB18_7 Depth=1
	v_mov_b32_e32 v1, v5
	v_mov_b32_e32 v4, v0
                                        ; implicit-def: $sgpr36_sgpr37
	s_branch .LBB18_83
.LBB18_81:                              ;   in Loop: Header=BB18_83 Depth=2
	s_or_b64 exec, exec, s[38:39]
	s_waitcnt lgkmcnt(0)
	s_barrier
	ds_read_b64 v[13:14], v7 offset:3072
	s_mov_b64 s[38:39], -1
	s_mov_b64 s[40:41], -1
	s_waitcnt lgkmcnt(0)
	s_barrier
	v_cmp_ne_u32_e32 vcc, 0, v13
	s_cbranch_vccz .LBB18_86
.LBB18_82:                              ;   in Loop: Header=BB18_83 Depth=2
	s_and_b64 s[38:39], exec, s[38:39]
	s_or_b64 s[28:29], s[38:39], s[28:29]
	s_andn2_b64 s[36:37], s[36:37], exec
	s_and_b64 s[38:39], s[40:41], exec
	s_or_b64 s[36:37], s[36:37], s[38:39]
	s_andn2_b64 exec, exec, s[28:29]
	s_cbranch_execz .LBB18_87
.LBB18_83:                              ;   Parent Loop BB18_7 Depth=1
                                        ; =>  This Inner Loop Header: Depth=2
	v_cmp_gt_i32_e32 vcc, s68, v4
	s_and_saveexec_b64 s[38:39], vcc
	s_cbranch_execz .LBB18_81
; %bb.84:                               ;   in Loop: Header=BB18_83 Depth=2
	v_ashrrev_i32_e32 v2, 31, v1
	v_lshlrev_b64 v[13:14], 2, v[1:2]
	v_mov_b32_e32 v2, s77
	v_add_co_u32_e32 v13, vcc, s70, v13
	v_addc_co_u32_e32 v14, vcc, v2, v14, vcc
	global_load_dword v13, v[13:14], off
	s_waitcnt vmcnt(0)
	v_xor_b32_e32 v2, 0x80000000, v13
	v_and_b32_e32 v2, v2, v38
	v_cmp_eq_u32_e32 vcc, v2, v30
	s_and_b64 exec, exec, vcc
	s_cbranch_execz .LBB18_81
; %bb.85:                               ;   in Loop: Header=BB18_83 Depth=2
	ds_write_b64 v7, v[12:13] offset:3072
	s_branch .LBB18_81
.LBB18_86:                              ;   in Loop: Header=BB18_83 Depth=2
	v_add_u32_e32 v4, s76, v4
	v_cmp_le_i32_e32 vcc, s90, v4
	v_add_u32_e32 v1, s86, v1
	s_mov_b64 s[40:41], 0
	s_orn2_b64 s[38:39], vcc, exec
	s_branch .LBB18_82
.LBB18_87:                              ;   in Loop: Header=BB18_7 Depth=1
	s_or_b64 exec, exec, s[28:29]
	s_and_b64 s[28:29], s[36:37], exec
.LBB18_88:                              ;   in Loop: Header=BB18_7 Depth=1
	s_or_b64 exec, exec, s[34:35]
.LBB18_89:                              ;   in Loop: Header=BB18_7 Depth=1
	s_and_b64 vcc, exec, s[30:31]
	s_cbranch_vccz .LBB18_100
; %bb.90:                               ;   in Loop: Header=BB18_7 Depth=1
	v_readlane_b32 s19, v48, 29
	s_add_i32 s19, s18, s19
	s_abs_i32 s25, s19
	v_readlane_b32 s26, v48, 41
	s_mul_hi_u32 s26, s25, s26
	s_mul_i32 s26, s26, s76
	s_sub_i32 s25, s25, s26
	s_ashr_i32 s24, s19, 31
	s_sub_i32 s26, s25, s76
	s_cmp_ge_u32 s25, s76
	s_cselect_b32 s25, s26, s25
	s_sub_i32 s26, s25, s76
	s_cmp_ge_u32 s25, s76
	s_cselect_b32 s25, s26, s25
	s_xor_b32 s25, s25, s24
	s_sub_i32 s24, s24, s25
	s_add_i32 s19, s19, s24
	v_cmp_gt_i32_e32 vcc, s19, v0
                                        ; implicit-def: $vgpr14
	s_and_saveexec_b64 s[24:25], vcc
	s_cbranch_execz .LBB18_99
; %bb.91:                               ;   in Loop: Header=BB18_7 Depth=1
	s_mov_b64 s[26:27], 0
	v_mov_b32_e32 v1, v19
	v_mov_b32_e32 v2, v0
                                        ; implicit-def: $sgpr30_sgpr31
	s_branch .LBB18_94
.LBB18_92:                              ;   in Loop: Header=BB18_94 Depth=2
	s_or_b64 exec, exec, s[34:35]
	s_waitcnt lgkmcnt(0)
	s_barrier
	ds_read_b64 v[13:14], v7 offset:3072
	s_mov_b64 s[34:35], -1
	s_mov_b64 s[36:37], -1
	s_waitcnt lgkmcnt(0)
	s_barrier
	v_cmp_ne_u32_e32 vcc, 0, v13
	s_cbranch_vccz .LBB18_97
.LBB18_93:                              ;   in Loop: Header=BB18_94 Depth=2
	s_and_b64 s[34:35], exec, s[34:35]
	s_or_b64 s[26:27], s[34:35], s[26:27]
	s_andn2_b64 s[30:31], s[30:31], exec
	s_and_b64 s[34:35], s[36:37], exec
	s_or_b64 s[30:31], s[30:31], s[34:35]
	s_andn2_b64 exec, exec, s[26:27]
	s_cbranch_execz .LBB18_98
.LBB18_94:                              ;   Parent Loop BB18_7 Depth=1
                                        ; =>  This Inner Loop Header: Depth=2
	v_cmp_gt_i32_e32 vcc, s18, v2
	s_and_saveexec_b64 s[34:35], vcc
	s_cbranch_execz .LBB18_92
; %bb.95:                               ;   in Loop: Header=BB18_94 Depth=2
	ds_read_b32 v13, v1
	s_waitcnt lgkmcnt(0)
	v_xor_b32_e32 v4, 0x80000000, v13
	v_and_b32_e32 v4, v4, v38
	v_cmp_eq_u32_e32 vcc, v4, v30
	s_and_b64 exec, exec, vcc
	s_cbranch_execz .LBB18_92
; %bb.96:                               ;   in Loop: Header=BB18_94 Depth=2
	ds_write_b64 v7, v[12:13] offset:3072
	s_branch .LBB18_92
.LBB18_97:                              ;   in Loop: Header=BB18_94 Depth=2
	v_add_u32_e32 v2, s76, v2
	v_cmp_le_i32_e32 vcc, s19, v2
	v_add_u32_e32 v1, s33, v1
	s_mov_b64 s[36:37], 0
	s_orn2_b64 s[34:35], vcc, exec
	s_branch .LBB18_93
.LBB18_98:                              ;   in Loop: Header=BB18_7 Depth=1
	s_or_b64 exec, exec, s[26:27]
	s_andn2_b64 s[18:19], s[28:29], exec
	s_and_b64 s[26:27], s[30:31], exec
	s_or_b64 s[28:29], s[18:19], s[26:27]
.LBB18_99:                              ;   in Loop: Header=BB18_7 Depth=1
	s_or_b64 exec, exec, s[24:25]
	s_mov_b64 s[24:25], 0
	s_mov_b64 s[26:27], -1
.LBB18_100:                             ;   in Loop: Header=BB18_7 Depth=1
	s_orn2_b64 s[28:29], s[28:29], exec
.LBB18_101:                             ;   in Loop: Header=BB18_7 Depth=1
	s_or_b64 exec, exec, s[6:7]
	s_andn2_b64 s[6:7], s[64:65], exec
	s_and_b64 s[18:19], s[26:27], exec
	s_or_b64 s[64:65], s[6:7], s[18:19]
	s_andn2_b64 s[6:7], s[62:63], exec
	s_and_b64 s[18:19], s[24:25], exec
	s_andn2_b64 s[60:61], s[60:61], exec
	s_or_b64 s[62:63], s[6:7], s[18:19]
                                        ; implicit-def: $vgpr15
	s_and_saveexec_b64 s[6:7], s[28:29]
	s_cbranch_execz .LBB18_6
; %bb.102:                              ;   in Loop: Header=BB18_7 Depth=1
	s_xor_b64 s[18:19], s[22:23], -1
	s_mov_b64 s[22:23], 0
	v_mov_b32_e32 v15, 1
	v_mov_b32_e32 v4, 1
	s_and_saveexec_b64 s[20:21], s[18:19]
	s_cbranch_execz .LBB18_111
; %bb.103:                              ;   in Loop: Header=BB18_7 Depth=1
	v_cmp_ge_i32_e32 vcc, s42, v39
	s_and_saveexec_b64 s[18:19], vcc
	s_xor_b64 s[22:23], exec, s[18:19]
	s_cbranch_execz .LBB18_108
; %bb.104:                              ;   in Loop: Header=BB18_7 Depth=1
	ds_read_b32 v1, v7 offset:4096
	v_and_b32_e32 v30, v30, v6
	v_or_b32_e32 v38, v38, v3
	s_waitcnt lgkmcnt(0)
	v_cmp_ne_u32_e32 vcc, 0, v1
	s_cbranch_vccnz .LBB18_108
; %bb.105:                              ;   in Loop: Header=BB18_7 Depth=1
	s_and_saveexec_b64 s[24:25], s[0:1]
; %bb.106:                              ;   in Loop: Header=BB18_7 Depth=1
	v_mov_b32_e32 v1, s42
	ds_write_b32 v7, v1 offset:4100
; %bb.107:                              ;   in Loop: Header=BB18_7 Depth=1
	s_or_b64 exec, exec, s[24:25]
	s_waitcnt lgkmcnt(0)
	s_barrier
.LBB18_108:                             ;   in Loop: Header=BB18_7 Depth=1
	s_or_saveexec_b64 s[22:23], s[22:23]
	s_mov_b64 s[24:25], 0
	v_mov_b32_e32 v4, 8
	s_xor_b64 exec, exec, s[22:23]
; %bb.109:                              ;   in Loop: Header=BB18_7 Depth=1
	s_mov_b64 s[24:25], exec
	v_subrev_u32_e32 v39, s42, v39
	v_mov_b32_e32 v4, 0
; %bb.110:                              ;   in Loop: Header=BB18_7 Depth=1
	s_or_b64 exec, exec, s[22:23]
	s_and_b64 s[22:23], s[24:25], exec
	v_mov_b32_e32 v15, v39
.LBB18_111:                             ;   in Loop: Header=BB18_7 Depth=1
	s_or_b64 exec, exec, s[20:21]
	s_mov_b64 s[20:21], -1
	s_mov_b64 s[28:29], -1
                                        ; implicit-def: $sgpr24_sgpr25
                                        ; implicit-def: $sgpr26_sgpr27
	s_and_saveexec_b64 s[18:19], s[22:23]
	s_xor_b64 s[22:23], exec, s[18:19]
	s_cbranch_execz .LBB18_228
; %bb.112:                              ;   in Loop: Header=BB18_7 Depth=1
	s_cmp_eq_u32 s46, 1
	s_cselect_b64 s[18:19], -1, 0
	v_cmp_eq_u32_e32 vcc, 1, v15
	s_and_b64 s[30:31], s[18:19], vcc
	s_mov_b64 s[34:35], -1
                                        ; implicit-def: $sgpr26_sgpr27
                                        ; implicit-def: $sgpr24_sgpr25
	s_and_saveexec_b64 s[28:29], s[30:31]
	s_cbranch_execz .LBB18_138
; %bb.113:                              ;   in Loop: Header=BB18_7 Depth=1
	ds_read_b32 v1, v7 offset:4096
	s_waitcnt lgkmcnt(0)
	s_barrier
	v_readfirstlane_b32 s18, v1
	s_and_saveexec_b64 s[24:25], s[4:5]
; %bb.114:                              ;   in Loop: Header=BB18_7 Depth=1
	ds_write_b32 v21, v7
; %bb.115:                              ;   in Loop: Header=BB18_7 Depth=1
	s_or_b64 exec, exec, s[24:25]
	v_and_b32_e32 v1, v30, v6
	v_lshl_or_b32 v30, 1, v36, v1
	v_or_b32_e32 v38, v38, v3
	s_mov_b64 s[24:25], -1
	s_mov_b64 s[26:27], 0
	s_cmp_gt_i32 s18, 0
	s_mov_b64 s[34:35], 0
	s_mov_b64 s[36:37], -1
	s_waitcnt lgkmcnt(0)
	s_barrier
                                        ; implicit-def: $vgpr14
	s_cbranch_scc1 .LBB18_126
; %bb.116:                              ;   in Loop: Header=BB18_7 Depth=1
	s_mov_b64 s[36:37], 0
                                        ; implicit-def: $vgpr14
	s_mov_b64 s[38:39], exec
	v_readlane_b32 s40, v48, 42
	v_readlane_b32 s41, v48, 43
	s_and_b64 s[40:41], s[38:39], s[40:41]
	s_mov_b64 exec, s[40:41]
	s_cbranch_execz .LBB18_125
; %bb.117:                              ;   in Loop: Header=BB18_7 Depth=1
	v_mov_b32_e32 v1, v5
	v_mov_b32_e32 v16, v0
                                        ; implicit-def: $sgpr40_sgpr41
	s_branch .LBB18_120
.LBB18_118:                             ;   in Loop: Header=BB18_120 Depth=2
	s_or_b64 exec, exec, s[42:43]
	s_waitcnt lgkmcnt(0)
	s_barrier
	ds_read_b64 v[13:14], v7 offset:3072
	s_mov_b64 s[42:43], -1
	s_mov_b64 s[44:45], -1
	s_waitcnt lgkmcnt(0)
	s_barrier
	v_cmp_ne_u32_e32 vcc, 0, v13
	s_cbranch_vccz .LBB18_123
.LBB18_119:                             ;   in Loop: Header=BB18_120 Depth=2
	s_and_b64 s[42:43], exec, s[42:43]
	s_or_b64 s[34:35], s[42:43], s[34:35]
	s_andn2_b64 s[40:41], s[40:41], exec
	s_and_b64 s[42:43], s[44:45], exec
	s_or_b64 s[40:41], s[40:41], s[42:43]
	s_andn2_b64 exec, exec, s[34:35]
	s_cbranch_execz .LBB18_124
.LBB18_120:                             ;   Parent Loop BB18_7 Depth=1
                                        ; =>  This Inner Loop Header: Depth=2
	v_cmp_gt_i32_e32 vcc, s68, v16
	s_and_saveexec_b64 s[42:43], vcc
	s_cbranch_execz .LBB18_118
; %bb.121:                              ;   in Loop: Header=BB18_120 Depth=2
	v_ashrrev_i32_e32 v2, 31, v1
	v_lshlrev_b64 v[13:14], 2, v[1:2]
	v_mov_b32_e32 v2, s77
	v_add_co_u32_e32 v13, vcc, s70, v13
	v_addc_co_u32_e32 v14, vcc, v2, v14, vcc
	global_load_dword v13, v[13:14], off
	s_waitcnt vmcnt(0)
	v_xor_b32_e32 v2, 0x80000000, v13
	v_and_b32_e32 v2, v2, v38
	v_cmp_eq_u32_e32 vcc, v2, v30
	s_and_b64 exec, exec, vcc
	s_cbranch_execz .LBB18_118
; %bb.122:                              ;   in Loop: Header=BB18_120 Depth=2
	ds_write_b64 v7, v[12:13] offset:3072
	s_branch .LBB18_118
.LBB18_123:                             ;   in Loop: Header=BB18_120 Depth=2
	v_add_u32_e32 v16, s76, v16
	v_cmp_le_i32_e32 vcc, s90, v16
	v_add_u32_e32 v1, s86, v1
	s_mov_b64 s[44:45], 0
	s_orn2_b64 s[42:43], vcc, exec
	s_branch .LBB18_119
.LBB18_124:                             ;   in Loop: Header=BB18_7 Depth=1
	s_or_b64 exec, exec, s[34:35]
	s_and_b64 s[34:35], s[40:41], exec
.LBB18_125:                             ;   in Loop: Header=BB18_7 Depth=1
	s_or_b64 exec, exec, s[38:39]
.LBB18_126:                             ;   in Loop: Header=BB18_7 Depth=1
	s_and_b64 vcc, exec, s[36:37]
	s_cbranch_vccz .LBB18_137
; %bb.127:                              ;   in Loop: Header=BB18_7 Depth=1
	v_readlane_b32 s19, v48, 29
	s_add_i32 s19, s18, s19
	s_abs_i32 s25, s19
	v_readlane_b32 s26, v48, 41
	s_mul_hi_u32 s26, s25, s26
	s_mul_i32 s26, s26, s76
	s_sub_i32 s25, s25, s26
	s_ashr_i32 s24, s19, 31
	s_sub_i32 s26, s25, s76
	s_cmp_ge_u32 s25, s76
	s_cselect_b32 s25, s26, s25
	s_sub_i32 s26, s25, s76
	s_cmp_ge_u32 s25, s76
	s_cselect_b32 s25, s26, s25
	s_xor_b32 s25, s25, s24
	s_sub_i32 s24, s24, s25
	s_add_i32 s19, s19, s24
	v_cmp_gt_i32_e32 vcc, s19, v0
                                        ; implicit-def: $vgpr14
	s_and_saveexec_b64 s[24:25], vcc
	s_cbranch_execz .LBB18_136
; %bb.128:                              ;   in Loop: Header=BB18_7 Depth=1
	s_mov_b64 s[26:27], 0
	v_mov_b32_e32 v1, v19
	v_mov_b32_e32 v2, v0
                                        ; implicit-def: $sgpr36_sgpr37
	s_branch .LBB18_131
.LBB18_129:                             ;   in Loop: Header=BB18_131 Depth=2
	s_or_b64 exec, exec, s[38:39]
	s_waitcnt lgkmcnt(0)
	s_barrier
	ds_read_b64 v[13:14], v7 offset:3072
	s_mov_b64 s[38:39], -1
	s_mov_b64 s[40:41], -1
	s_waitcnt lgkmcnt(0)
	s_barrier
	v_cmp_eq_u32_e32 vcc, 0, v13
	s_cbranch_vccnz .LBB18_134
.LBB18_130:                             ;   in Loop: Header=BB18_131 Depth=2
	s_and_b64 s[38:39], exec, s[38:39]
	s_or_b64 s[26:27], s[38:39], s[26:27]
	s_andn2_b64 s[36:37], s[36:37], exec
	s_and_b64 s[38:39], s[40:41], exec
	s_or_b64 s[36:37], s[36:37], s[38:39]
	s_andn2_b64 exec, exec, s[26:27]
	s_cbranch_execz .LBB18_135
.LBB18_131:                             ;   Parent Loop BB18_7 Depth=1
                                        ; =>  This Inner Loop Header: Depth=2
	v_cmp_gt_i32_e32 vcc, s18, v2
	s_and_saveexec_b64 s[38:39], vcc
	s_cbranch_execz .LBB18_129
; %bb.132:                              ;   in Loop: Header=BB18_131 Depth=2
	ds_read_b32 v13, v1
	s_waitcnt lgkmcnt(0)
	v_xor_b32_e32 v14, 0x80000000, v13
	v_and_b32_e32 v14, v14, v38
	v_cmp_eq_u32_e32 vcc, v14, v30
	s_and_b64 exec, exec, vcc
	s_cbranch_execz .LBB18_129
; %bb.133:                              ;   in Loop: Header=BB18_131 Depth=2
	ds_write_b64 v7, v[12:13] offset:3072
	s_branch .LBB18_129
.LBB18_134:                             ;   in Loop: Header=BB18_131 Depth=2
	v_add_u32_e32 v2, s76, v2
	v_cmp_le_i32_e32 vcc, s19, v2
	v_add_u32_e32 v1, s33, v1
	s_mov_b64 s[40:41], 0
	s_orn2_b64 s[38:39], vcc, exec
	s_branch .LBB18_130
.LBB18_135:                             ;   in Loop: Header=BB18_7 Depth=1
	s_or_b64 exec, exec, s[26:27]
	s_andn2_b64 s[18:19], s[34:35], exec
	s_and_b64 s[26:27], s[36:37], exec
	s_or_b64 s[34:35], s[18:19], s[26:27]
.LBB18_136:                             ;   in Loop: Header=BB18_7 Depth=1
	s_or_b64 exec, exec, s[24:25]
	s_mov_b64 s[24:25], 0
	s_mov_b64 s[26:27], -1
.LBB18_137:                             ;   in Loop: Header=BB18_7 Depth=1
	s_orn2_b64 s[34:35], s[34:35], exec
.LBB18_138:                             ;   in Loop: Header=BB18_7 Depth=1
	s_or_b64 exec, exec, s[28:29]
	s_mov_b64 s[36:37], 0
	s_and_saveexec_b64 s[28:29], s[34:35]
	s_cbranch_execz .LBB18_227
; %bb.139:                              ;   in Loop: Header=BB18_7 Depth=1
	s_xor_b64 s[18:19], s[30:31], -1
	s_mov_b64 s[40:41], 0
	v_mov_b32_e32 v16, 1
	v_mov_b32_e32 v4, 1
	s_and_saveexec_b64 s[30:31], s[18:19]
	s_cbranch_execz .LBB18_148
; %bb.140:                              ;   in Loop: Header=BB18_7 Depth=1
	v_cmp_ge_i32_e32 vcc, s46, v15
	s_and_saveexec_b64 s[18:19], vcc
	s_xor_b64 s[34:35], exec, s[18:19]
	s_cbranch_execz .LBB18_145
; %bb.141:                              ;   in Loop: Header=BB18_7 Depth=1
	ds_read_b32 v1, v7 offset:4096
	v_and_b32_e32 v2, v30, v6
	v_lshl_or_b32 v30, 1, v36, v2
	v_or_b32_e32 v38, v38, v3
	s_waitcnt lgkmcnt(0)
	v_cmp_ne_u32_e32 vcc, 0, v1
	s_cbranch_vccnz .LBB18_145
; %bb.142:                              ;   in Loop: Header=BB18_7 Depth=1
	s_and_saveexec_b64 s[36:37], s[0:1]
; %bb.143:                              ;   in Loop: Header=BB18_7 Depth=1
	v_mov_b32_e32 v1, s46
	ds_write_b32 v7, v1 offset:4100
; %bb.144:                              ;   in Loop: Header=BB18_7 Depth=1
	s_or_b64 exec, exec, s[36:37]
	s_waitcnt lgkmcnt(0)
	s_barrier
.LBB18_145:                             ;   in Loop: Header=BB18_7 Depth=1
	s_or_saveexec_b64 s[34:35], s[34:35]
	s_mov_b64 s[36:37], 0
	v_mov_b32_e32 v4, 8
	s_xor_b64 exec, exec, s[34:35]
; %bb.146:                              ;   in Loop: Header=BB18_7 Depth=1
	s_mov_b64 s[36:37], exec
	v_subrev_u32_e32 v15, s46, v15
	v_mov_b32_e32 v4, 0
; %bb.147:                              ;   in Loop: Header=BB18_7 Depth=1
	s_or_b64 exec, exec, s[34:35]
	s_and_b64 s[40:41], s[36:37], exec
	v_mov_b32_e32 v16, v15
.LBB18_148:                             ;   in Loop: Header=BB18_7 Depth=1
	s_or_b64 exec, exec, s[30:31]
	s_mov_b64 s[38:39], -1
                                        ; implicit-def: $sgpr34_sgpr35
                                        ; implicit-def: $sgpr36_sgpr37
	s_and_saveexec_b64 s[30:31], s[40:41]
	s_cbranch_execz .LBB18_226
; %bb.149:                              ;   in Loop: Header=BB18_7 Depth=1
	s_cmp_eq_u32 s54, 1
	s_cselect_b64 s[18:19], -1, 0
	v_cmp_eq_u32_e32 vcc, 1, v16
	s_and_b64 s[40:41], s[18:19], vcc
	s_mov_b64 s[42:43], -1
                                        ; implicit-def: $sgpr36_sgpr37
                                        ; implicit-def: $sgpr34_sgpr35
	s_and_saveexec_b64 s[38:39], s[40:41]
	s_cbranch_execz .LBB18_175
; %bb.150:                              ;   in Loop: Header=BB18_7 Depth=1
	ds_read_b32 v1, v7 offset:4096
	s_waitcnt lgkmcnt(0)
	s_barrier
	v_readfirstlane_b32 s18, v1
	s_and_saveexec_b64 s[34:35], s[4:5]
; %bb.151:                              ;   in Loop: Header=BB18_7 Depth=1
	ds_write_b32 v21, v7
; %bb.152:                              ;   in Loop: Header=BB18_7 Depth=1
	s_or_b64 exec, exec, s[34:35]
	v_and_b32_e32 v1, v30, v6
	v_lshl_or_b32 v30, 2, v36, v1
	v_or_b32_e32 v38, v38, v3
	s_mov_b64 s[34:35], -1
	s_mov_b64 s[36:37], 0
	s_cmp_gt_i32 s18, 0
	s_mov_b64 s[42:43], 0
	s_mov_b64 s[44:45], -1
	s_waitcnt lgkmcnt(0)
	s_barrier
                                        ; implicit-def: $vgpr14
	s_cbranch_scc1 .LBB18_163
; %bb.153:                              ;   in Loop: Header=BB18_7 Depth=1
	s_mov_b64 s[44:45], 0
                                        ; implicit-def: $vgpr14
	s_mov_b64 s[46:47], exec
	v_readlane_b32 s48, v48, 42
	v_readlane_b32 s49, v48, 43
	s_and_b64 s[48:49], s[46:47], s[48:49]
	s_mov_b64 exec, s[48:49]
	s_cbranch_execz .LBB18_162
; %bb.154:                              ;   in Loop: Header=BB18_7 Depth=1
	v_mov_b32_e32 v1, v5
	v_mov_b32_e32 v15, v0
                                        ; implicit-def: $sgpr48_sgpr49
	s_branch .LBB18_157
.LBB18_155:                             ;   in Loop: Header=BB18_157 Depth=2
	s_or_b64 exec, exec, s[50:51]
	s_waitcnt lgkmcnt(0)
	s_barrier
	ds_read_b64 v[13:14], v7 offset:3072
	s_mov_b64 s[50:51], -1
	s_mov_b64 s[52:53], -1
	s_waitcnt lgkmcnt(0)
	s_barrier
	v_cmp_ne_u32_e32 vcc, 0, v13
	s_cbranch_vccz .LBB18_160
.LBB18_156:                             ;   in Loop: Header=BB18_157 Depth=2
	s_and_b64 s[50:51], exec, s[50:51]
	s_or_b64 s[42:43], s[50:51], s[42:43]
	s_andn2_b64 s[48:49], s[48:49], exec
	s_and_b64 s[50:51], s[52:53], exec
	s_or_b64 s[48:49], s[48:49], s[50:51]
	s_andn2_b64 exec, exec, s[42:43]
	s_cbranch_execz .LBB18_161
.LBB18_157:                             ;   Parent Loop BB18_7 Depth=1
                                        ; =>  This Inner Loop Header: Depth=2
	v_cmp_gt_i32_e32 vcc, s68, v15
	s_and_saveexec_b64 s[50:51], vcc
	s_cbranch_execz .LBB18_155
; %bb.158:                              ;   in Loop: Header=BB18_157 Depth=2
	v_ashrrev_i32_e32 v2, 31, v1
	v_lshlrev_b64 v[13:14], 2, v[1:2]
	v_mov_b32_e32 v2, s77
	v_add_co_u32_e32 v13, vcc, s70, v13
	v_addc_co_u32_e32 v14, vcc, v2, v14, vcc
	global_load_dword v13, v[13:14], off
	s_waitcnt vmcnt(0)
	v_xor_b32_e32 v2, 0x80000000, v13
	v_and_b32_e32 v2, v2, v38
	v_cmp_eq_u32_e32 vcc, v2, v30
	s_and_b64 exec, exec, vcc
	s_cbranch_execz .LBB18_155
; %bb.159:                              ;   in Loop: Header=BB18_157 Depth=2
	ds_write_b64 v7, v[12:13] offset:3072
	s_branch .LBB18_155
.LBB18_160:                             ;   in Loop: Header=BB18_157 Depth=2
	v_add_u32_e32 v15, s76, v15
	v_cmp_le_i32_e32 vcc, s90, v15
	v_add_u32_e32 v1, s86, v1
	s_mov_b64 s[52:53], 0
	s_orn2_b64 s[50:51], vcc, exec
	s_branch .LBB18_156
.LBB18_161:                             ;   in Loop: Header=BB18_7 Depth=1
	s_or_b64 exec, exec, s[42:43]
	s_and_b64 s[42:43], s[48:49], exec
.LBB18_162:                             ;   in Loop: Header=BB18_7 Depth=1
	s_or_b64 exec, exec, s[46:47]
.LBB18_163:                             ;   in Loop: Header=BB18_7 Depth=1
	s_and_b64 vcc, exec, s[44:45]
	s_cbranch_vccz .LBB18_174
; %bb.164:                              ;   in Loop: Header=BB18_7 Depth=1
	v_readlane_b32 s19, v48, 29
	s_add_i32 s19, s18, s19
	s_abs_i32 s35, s19
	v_readlane_b32 s36, v48, 41
	s_mul_hi_u32 s36, s35, s36
	s_mul_i32 s36, s36, s76
	s_sub_i32 s35, s35, s36
	s_ashr_i32 s34, s19, 31
	s_sub_i32 s36, s35, s76
	s_cmp_ge_u32 s35, s76
	s_cselect_b32 s35, s36, s35
	s_sub_i32 s36, s35, s76
	s_cmp_ge_u32 s35, s76
	s_cselect_b32 s35, s36, s35
	s_xor_b32 s35, s35, s34
	s_sub_i32 s34, s34, s35
	s_add_i32 s19, s19, s34
	v_cmp_gt_i32_e32 vcc, s19, v0
                                        ; implicit-def: $vgpr14
	s_and_saveexec_b64 s[34:35], vcc
	s_cbranch_execz .LBB18_173
; %bb.165:                              ;   in Loop: Header=BB18_7 Depth=1
	s_mov_b64 s[36:37], 0
	v_mov_b32_e32 v1, v19
	v_mov_b32_e32 v2, v0
                                        ; implicit-def: $sgpr44_sgpr45
	s_branch .LBB18_168
.LBB18_166:                             ;   in Loop: Header=BB18_168 Depth=2
	s_or_b64 exec, exec, s[46:47]
	s_waitcnt lgkmcnt(0)
	s_barrier
	ds_read_b64 v[13:14], v7 offset:3072
	s_mov_b64 s[46:47], -1
	s_mov_b64 s[48:49], -1
	s_waitcnt lgkmcnt(0)
	s_barrier
	v_cmp_eq_u32_e32 vcc, 0, v13
	s_cbranch_vccnz .LBB18_171
.LBB18_167:                             ;   in Loop: Header=BB18_168 Depth=2
	s_and_b64 s[46:47], exec, s[46:47]
	s_or_b64 s[36:37], s[46:47], s[36:37]
	s_andn2_b64 s[44:45], s[44:45], exec
	s_and_b64 s[46:47], s[48:49], exec
	s_or_b64 s[44:45], s[44:45], s[46:47]
	s_andn2_b64 exec, exec, s[36:37]
	s_cbranch_execz .LBB18_172
.LBB18_168:                             ;   Parent Loop BB18_7 Depth=1
                                        ; =>  This Inner Loop Header: Depth=2
	v_cmp_gt_i32_e32 vcc, s18, v2
	s_and_saveexec_b64 s[46:47], vcc
	s_cbranch_execz .LBB18_166
; %bb.169:                              ;   in Loop: Header=BB18_168 Depth=2
	ds_read_b32 v13, v1
	s_waitcnt lgkmcnt(0)
	v_xor_b32_e32 v14, 0x80000000, v13
	v_and_b32_e32 v14, v14, v38
	v_cmp_eq_u32_e32 vcc, v14, v30
	s_and_b64 exec, exec, vcc
	s_cbranch_execz .LBB18_166
; %bb.170:                              ;   in Loop: Header=BB18_168 Depth=2
	ds_write_b64 v7, v[12:13] offset:3072
	s_branch .LBB18_166
.LBB18_171:                             ;   in Loop: Header=BB18_168 Depth=2
	v_add_u32_e32 v2, s76, v2
	v_cmp_le_i32_e32 vcc, s19, v2
	v_add_u32_e32 v1, s33, v1
	s_mov_b64 s[48:49], 0
	s_orn2_b64 s[46:47], vcc, exec
	s_branch .LBB18_167
.LBB18_172:                             ;   in Loop: Header=BB18_7 Depth=1
	s_or_b64 exec, exec, s[36:37]
	s_andn2_b64 s[18:19], s[42:43], exec
	s_and_b64 s[36:37], s[44:45], exec
	s_or_b64 s[42:43], s[18:19], s[36:37]
.LBB18_173:                             ;   in Loop: Header=BB18_7 Depth=1
	s_or_b64 exec, exec, s[34:35]
	s_mov_b64 s[34:35], 0
	s_mov_b64 s[36:37], -1
.LBB18_174:                             ;   in Loop: Header=BB18_7 Depth=1
	s_orn2_b64 s[42:43], s[42:43], exec
.LBB18_175:                             ;   in Loop: Header=BB18_7 Depth=1
	s_or_b64 exec, exec, s[38:39]
	s_mov_b64 s[44:45], 0
	s_and_saveexec_b64 s[38:39], s[42:43]
	s_cbranch_execz .LBB18_225
; %bb.176:                              ;   in Loop: Header=BB18_7 Depth=1
	s_xor_b64 s[18:19], s[40:41], -1
	s_mov_b64 s[48:49], 0
	v_mov_b32_e32 v15, 1
	v_mov_b32_e32 v4, 1
	s_and_saveexec_b64 s[40:41], s[18:19]
	s_cbranch_execz .LBB18_185
; %bb.177:                              ;   in Loop: Header=BB18_7 Depth=1
	v_cmp_ge_i32_e32 vcc, s54, v16
	s_and_saveexec_b64 s[18:19], vcc
	s_xor_b64 s[42:43], exec, s[18:19]
	s_cbranch_execz .LBB18_182
; %bb.178:                              ;   in Loop: Header=BB18_7 Depth=1
	ds_read_b32 v1, v7 offset:4096
	v_and_b32_e32 v2, v30, v6
	v_lshl_or_b32 v30, 2, v36, v2
	v_or_b32_e32 v38, v38, v3
	s_waitcnt lgkmcnt(0)
	v_cmp_ne_u32_e32 vcc, 0, v1
	s_cbranch_vccnz .LBB18_182
; %bb.179:                              ;   in Loop: Header=BB18_7 Depth=1
	s_and_saveexec_b64 s[44:45], s[0:1]
; %bb.180:                              ;   in Loop: Header=BB18_7 Depth=1
	v_mov_b32_e32 v1, s54
	ds_write_b32 v7, v1 offset:4100
; %bb.181:                              ;   in Loop: Header=BB18_7 Depth=1
	s_or_b64 exec, exec, s[44:45]
	s_waitcnt lgkmcnt(0)
	s_barrier
.LBB18_182:                             ;   in Loop: Header=BB18_7 Depth=1
	s_or_saveexec_b64 s[42:43], s[42:43]
	s_mov_b64 s[44:45], 0
	v_mov_b32_e32 v4, 8
	s_xor_b64 exec, exec, s[42:43]
; %bb.183:                              ;   in Loop: Header=BB18_7 Depth=1
	s_mov_b64 s[44:45], exec
	v_subrev_u32_e32 v16, s54, v16
	v_mov_b32_e32 v4, 0
; %bb.184:                              ;   in Loop: Header=BB18_7 Depth=1
	s_or_b64 exec, exec, s[42:43]
	s_and_b64 s[48:49], s[44:45], exec
	v_mov_b32_e32 v15, v16
.LBB18_185:                             ;   in Loop: Header=BB18_7 Depth=1
	s_or_b64 exec, exec, s[40:41]
	s_mov_b64 s[42:43], -1
                                        ; implicit-def: $sgpr46_sgpr47
                                        ; implicit-def: $sgpr44_sgpr45
	s_and_saveexec_b64 s[40:41], s[48:49]
	s_cbranch_execz .LBB18_224
; %bb.186:                              ;   in Loop: Header=BB18_7 Depth=1
	s_cmp_eq_u32 s17, 1
	s_cselect_b64 s[18:19], -1, 0
	v_cmp_eq_u32_e32 vcc, 1, v15
	s_and_b64 s[42:43], s[18:19], vcc
	s_mov_b64 s[50:51], -1
                                        ; implicit-def: $sgpr46_sgpr47
                                        ; implicit-def: $sgpr44_sgpr45
	s_and_saveexec_b64 s[48:49], s[42:43]
	s_cbranch_execz .LBB18_212
; %bb.187:                              ;   in Loop: Header=BB18_7 Depth=1
	ds_read_b32 v1, v7 offset:4096
	s_waitcnt lgkmcnt(0)
	s_barrier
	v_readfirstlane_b32 s18, v1
	s_and_saveexec_b64 s[44:45], s[4:5]
; %bb.188:                              ;   in Loop: Header=BB18_7 Depth=1
	ds_write_b32 v21, v7
; %bb.189:                              ;   in Loop: Header=BB18_7 Depth=1
	s_or_b64 exec, exec, s[44:45]
	v_or_b32_e32 v30, v30, v3
	v_or_b32_e32 v38, v38, v3
	s_mov_b64 s[44:45], -1
	s_mov_b64 s[46:47], 0
	s_cmp_gt_i32 s18, 0
	s_mov_b64 s[50:51], 0
	s_mov_b64 s[52:53], -1
	s_waitcnt lgkmcnt(0)
	s_barrier
                                        ; implicit-def: $vgpr14
	s_cbranch_scc1 .LBB18_200
; %bb.190:                              ;   in Loop: Header=BB18_7 Depth=1
	s_mov_b64 s[52:53], 0
                                        ; implicit-def: $vgpr14
	s_mov_b64 s[54:55], exec
	v_readlane_b32 s56, v48, 42
	v_readlane_b32 s57, v48, 43
	s_and_b64 s[56:57], s[54:55], s[56:57]
	s_mov_b64 exec, s[56:57]
	s_cbranch_execz .LBB18_199
; %bb.191:                              ;   in Loop: Header=BB18_7 Depth=1
	v_mov_b32_e32 v1, v5
	v_mov_b32_e32 v6, v0
                                        ; implicit-def: $sgpr56_sgpr57
	s_branch .LBB18_194
.LBB18_192:                             ;   in Loop: Header=BB18_194 Depth=2
	s_or_b64 exec, exec, s[58:59]
	s_waitcnt lgkmcnt(0)
	s_barrier
	ds_read_b64 v[13:14], v7 offset:3072
	s_mov_b64 s[58:59], -1
	s_mov_b64 s[66:67], -1
	s_waitcnt lgkmcnt(0)
	s_barrier
	v_cmp_ne_u32_e32 vcc, 0, v13
	s_cbranch_vccz .LBB18_197
.LBB18_193:                             ;   in Loop: Header=BB18_194 Depth=2
	s_and_b64 s[58:59], exec, s[58:59]
	s_or_b64 s[50:51], s[58:59], s[50:51]
	s_andn2_b64 s[56:57], s[56:57], exec
	s_and_b64 s[58:59], s[66:67], exec
	s_or_b64 s[56:57], s[56:57], s[58:59]
	s_andn2_b64 exec, exec, s[50:51]
	s_cbranch_execz .LBB18_198
.LBB18_194:                             ;   Parent Loop BB18_7 Depth=1
                                        ; =>  This Inner Loop Header: Depth=2
	v_cmp_gt_i32_e32 vcc, s68, v6
	s_and_saveexec_b64 s[58:59], vcc
	s_cbranch_execz .LBB18_192
; %bb.195:                              ;   in Loop: Header=BB18_194 Depth=2
	v_ashrrev_i32_e32 v2, 31, v1
	v_lshlrev_b64 v[13:14], 2, v[1:2]
	v_mov_b32_e32 v2, s77
	v_add_co_u32_e32 v13, vcc, s70, v13
	v_addc_co_u32_e32 v14, vcc, v2, v14, vcc
	global_load_dword v13, v[13:14], off
	s_waitcnt vmcnt(0)
	v_xor_b32_e32 v2, 0x80000000, v13
	v_and_b32_e32 v2, v2, v38
	v_cmp_eq_u32_e32 vcc, v2, v30
	s_and_b64 exec, exec, vcc
	s_cbranch_execz .LBB18_192
; %bb.196:                              ;   in Loop: Header=BB18_194 Depth=2
	ds_write_b64 v7, v[12:13] offset:3072
	s_branch .LBB18_192
.LBB18_197:                             ;   in Loop: Header=BB18_194 Depth=2
	v_add_u32_e32 v6, s76, v6
	v_cmp_le_i32_e32 vcc, s90, v6
	v_add_u32_e32 v1, s86, v1
	s_mov_b64 s[66:67], 0
	s_orn2_b64 s[58:59], vcc, exec
	s_branch .LBB18_193
.LBB18_198:                             ;   in Loop: Header=BB18_7 Depth=1
	s_or_b64 exec, exec, s[50:51]
	s_and_b64 s[50:51], s[56:57], exec
.LBB18_199:                             ;   in Loop: Header=BB18_7 Depth=1
	s_or_b64 exec, exec, s[54:55]
.LBB18_200:                             ;   in Loop: Header=BB18_7 Depth=1
	s_and_b64 vcc, exec, s[52:53]
	s_cbranch_vccz .LBB18_211
; %bb.201:                              ;   in Loop: Header=BB18_7 Depth=1
	v_readlane_b32 s19, v48, 29
	s_add_i32 s19, s18, s19
	s_abs_i32 s45, s19
	v_readlane_b32 s46, v48, 41
	s_mul_hi_u32 s46, s45, s46
	s_mul_i32 s46, s46, s76
	s_sub_i32 s45, s45, s46
	s_ashr_i32 s44, s19, 31
	s_sub_i32 s46, s45, s76
	s_cmp_ge_u32 s45, s76
	s_cselect_b32 s45, s46, s45
	s_sub_i32 s46, s45, s76
	s_cmp_ge_u32 s45, s76
	s_cselect_b32 s45, s46, s45
	s_xor_b32 s45, s45, s44
	s_sub_i32 s44, s44, s45
	s_add_i32 s19, s19, s44
	v_cmp_gt_i32_e32 vcc, s19, v0
                                        ; implicit-def: $vgpr14
	s_and_saveexec_b64 s[44:45], vcc
	s_cbranch_execz .LBB18_210
; %bb.202:                              ;   in Loop: Header=BB18_7 Depth=1
	s_mov_b64 s[46:47], 0
	v_mov_b32_e32 v1, v19
	v_mov_b32_e32 v2, v0
                                        ; implicit-def: $sgpr52_sgpr53
	s_branch .LBB18_205
.LBB18_203:                             ;   in Loop: Header=BB18_205 Depth=2
	s_or_b64 exec, exec, s[54:55]
	s_waitcnt lgkmcnt(0)
	s_barrier
	ds_read_b64 v[13:14], v7 offset:3072
	s_mov_b64 s[54:55], -1
	s_mov_b64 s[56:57], -1
	s_waitcnt lgkmcnt(0)
	s_barrier
	v_cmp_eq_u32_e32 vcc, 0, v13
	s_cbranch_vccnz .LBB18_208
.LBB18_204:                             ;   in Loop: Header=BB18_205 Depth=2
	s_and_b64 s[54:55], exec, s[54:55]
	s_or_b64 s[46:47], s[54:55], s[46:47]
	s_andn2_b64 s[52:53], s[52:53], exec
	s_and_b64 s[54:55], s[56:57], exec
	s_or_b64 s[52:53], s[52:53], s[54:55]
	s_andn2_b64 exec, exec, s[46:47]
	s_cbranch_execz .LBB18_209
.LBB18_205:                             ;   Parent Loop BB18_7 Depth=1
                                        ; =>  This Inner Loop Header: Depth=2
	v_cmp_gt_i32_e32 vcc, s18, v2
	s_and_saveexec_b64 s[54:55], vcc
	s_cbranch_execz .LBB18_203
; %bb.206:                              ;   in Loop: Header=BB18_205 Depth=2
	ds_read_b32 v13, v1
	s_waitcnt lgkmcnt(0)
	v_xor_b32_e32 v6, 0x80000000, v13
	v_and_b32_e32 v6, v6, v38
	v_cmp_eq_u32_e32 vcc, v6, v30
	s_and_b64 exec, exec, vcc
	s_cbranch_execz .LBB18_203
; %bb.207:                              ;   in Loop: Header=BB18_205 Depth=2
	ds_write_b64 v7, v[12:13] offset:3072
	s_branch .LBB18_203
.LBB18_208:                             ;   in Loop: Header=BB18_205 Depth=2
	v_add_u32_e32 v2, s76, v2
	v_cmp_le_i32_e32 vcc, s19, v2
	v_add_u32_e32 v1, s33, v1
	s_mov_b64 s[56:57], 0
	s_orn2_b64 s[54:55], vcc, exec
	s_branch .LBB18_204
.LBB18_209:                             ;   in Loop: Header=BB18_7 Depth=1
	s_or_b64 exec, exec, s[46:47]
	s_andn2_b64 s[18:19], s[50:51], exec
	s_and_b64 s[46:47], s[52:53], exec
	s_or_b64 s[50:51], s[18:19], s[46:47]
.LBB18_210:                             ;   in Loop: Header=BB18_7 Depth=1
	s_or_b64 exec, exec, s[44:45]
	s_mov_b64 s[44:45], 0
	s_mov_b64 s[46:47], -1
.LBB18_211:                             ;   in Loop: Header=BB18_7 Depth=1
	s_orn2_b64 s[50:51], s[50:51], exec
.LBB18_212:                             ;   in Loop: Header=BB18_7 Depth=1
	s_or_b64 exec, exec, s[48:49]
	s_mov_b64 s[52:53], 0
	s_and_saveexec_b64 s[48:49], s[50:51]
	s_cbranch_execz .LBB18_223
; %bb.213:                              ;   in Loop: Header=BB18_7 Depth=1
	s_xor_b64 s[18:19], s[42:43], -1
	v_mov_b32_e32 v4, 1
	v_mov_b32_e32 v1, 1
	s_and_saveexec_b64 s[42:43], s[18:19]
	s_cbranch_execz .LBB18_222
; %bb.214:                              ;   in Loop: Header=BB18_7 Depth=1
	v_cmp_ge_i32_e32 vcc, s17, v15
	s_and_saveexec_b64 s[18:19], vcc
	s_xor_b64 s[50:51], exec, s[18:19]
	s_cbranch_execz .LBB18_219
; %bb.215:                              ;   in Loop: Header=BB18_7 Depth=1
	ds_read_b32 v1, v7 offset:4096
	v_or_b32_e32 v30, v30, v3
	v_or_b32_e32 v38, v38, v3
	s_waitcnt lgkmcnt(0)
	v_cmp_ne_u32_e32 vcc, 0, v1
	s_cbranch_vccnz .LBB18_219
; %bb.216:                              ;   in Loop: Header=BB18_7 Depth=1
	s_and_saveexec_b64 s[52:53], s[0:1]
; %bb.217:                              ;   in Loop: Header=BB18_7 Depth=1
	v_mov_b32_e32 v1, s17
	ds_write_b32 v7, v1 offset:4100
; %bb.218:                              ;   in Loop: Header=BB18_7 Depth=1
	s_or_b64 exec, exec, s[52:53]
	s_waitcnt lgkmcnt(0)
	s_barrier
.LBB18_219:                             ;   in Loop: Header=BB18_7 Depth=1
	s_andn2_saveexec_b64 s[50:51], s[50:51]
; %bb.220:                              ;   in Loop: Header=BB18_7 Depth=1
	v_subrev_u32_e32 v15, s17, v15
; %bb.221:                              ;   in Loop: Header=BB18_7 Depth=1
	s_or_b64 exec, exec, s[50:51]
	v_mov_b32_e32 v4, 8
	v_mov_b32_e32 v1, v15
.LBB18_222:                             ;   in Loop: Header=BB18_7 Depth=1
	s_or_b64 exec, exec, s[42:43]
	s_mov_b64 s[52:53], exec
	v_mov_b32_e32 v15, v1
.LBB18_223:                             ;   in Loop: Header=BB18_7 Depth=1
	s_or_b64 exec, exec, s[48:49]
	s_orn2_b64 s[42:43], s[52:53], exec
.LBB18_224:                             ;   in Loop: Header=BB18_7 Depth=1
	s_or_b64 exec, exec, s[40:41]
	s_andn2_b64 s[18:19], s[36:37], exec
	s_and_b64 s[36:37], s[46:47], exec
	s_or_b64 s[36:37], s[18:19], s[36:37]
	s_andn2_b64 s[18:19], s[34:35], exec
	s_and_b64 s[34:35], s[44:45], exec
	s_or_b64 s[34:35], s[18:19], s[34:35]
	s_and_b64 s[44:45], s[42:43], exec
	v_mov_b32_e32 v16, v15
.LBB18_225:                             ;   in Loop: Header=BB18_7 Depth=1
	s_or_b64 exec, exec, s[38:39]
	s_orn2_b64 s[38:39], s[44:45], exec
.LBB18_226:                             ;   in Loop: Header=BB18_7 Depth=1
	s_or_b64 exec, exec, s[30:31]
	s_andn2_b64 s[18:19], s[26:27], exec
	s_and_b64 s[26:27], s[36:37], exec
	s_or_b64 s[26:27], s[18:19], s[26:27]
	s_andn2_b64 s[18:19], s[24:25], exec
	s_and_b64 s[24:25], s[34:35], exec
	s_or_b64 s[24:25], s[18:19], s[24:25]
	s_and_b64 s[36:37], s[38:39], exec
	v_mov_b32_e32 v15, v16
.LBB18_227:                             ;   in Loop: Header=BB18_7 Depth=1
	s_or_b64 exec, exec, s[28:29]
	s_orn2_b64 s[28:29], s[36:37], exec
.LBB18_228:                             ;   in Loop: Header=BB18_7 Depth=1
	s_or_b64 exec, exec, s[22:23]
	s_mov_b64 s[30:31], 0
	s_and_saveexec_b64 s[18:19], s[28:29]
	s_xor_b64 s[22:23], exec, s[18:19]
	s_cbranch_execz .LBB18_5
; %bb.229:                              ;   in Loop: Header=BB18_7 Depth=1
	v_and_b32_e32 v1, 7, v4
	v_cmp_eq_u32_e32 vcc, 0, v1
	s_mov_b64 s[20:21], -1
	s_mov_b64 s[28:29], -1
	s_and_saveexec_b64 s[30:31], vcc
	s_cbranch_execz .LBB18_4
; %bb.230:                              ;   in Loop: Header=BB18_7 Depth=1
	v_add_u32_e32 v1, -2, v36
	v_cmp_eq_u32_e32 vcc, 0, v36
	v_xor_b32_e32 v37, 1, v37
	s_xor_b64 s[28:29], exec, -1
	s_orn2_b64 s[20:21], vcc, exec
	v_mov_b32_e32 v36, v1
	s_branch .LBB18_4
.LBB18_231:
	s_or_b64 exec, exec, s[92:93]
	s_xor_b64 s[8:9], s[78:79], -1
	s_xor_b64 s[2:3], s[94:95], -1
	;; [unrolled: 1-line block ×3, first 2 shown]
	s_mov_b64 s[4:5], 0
	s_and_saveexec_b64 s[10:11], s[2:3]
	s_xor_b64 s[2:3], exec, s[10:11]
	s_cbranch_execnz .LBB18_236
; %bb.232:
	s_andn2_saveexec_b64 s[0:1], s[2:3]
	s_cbranch_execnz .LBB18_256
.LBB18_233:
	s_or_b64 exec, exec, s[0:1]
	s_and_saveexec_b64 s[0:1], s[4:5]
.LBB18_234:
	; divergent unreachable
.LBB18_235:
	s_endpgm
.LBB18_236:
	s_and_saveexec_b64 s[4:5], s[8:9]
	s_xor_b64 s[4:5], exec, s[4:5]
	s_cbranch_execz .LBB18_254
; %bb.237:
	s_and_saveexec_b64 s[8:9], s[6:7]
	s_xor_b64 s[6:7], exec, s[8:9]
; %bb.238:
	v_xor_b32_e32 v14, 0x80000000, v30
; %bb.239:
	s_or_b64 exec, exec, s[6:7]
	s_and_saveexec_b64 s[6:7], s[0:1]
	v_readlane_b32 s22, v48, 20
	v_readlane_b32 s24, v48, 25
	v_readlane_b32 s20, v48, 28
	v_readlane_b32 s23, v48, 21
	v_readlane_b32 s25, v48, 26
	v_readlane_b32 s21, v48, 18
	v_readlane_b32 s26, v48, 23
; %bb.240:
	v_mov_b32_e32 v1, 0
	v_mov_b32_e32 v2, s68
	ds_write_b32 v1, v2 offset:4108
; %bb.241:
	s_or_b64 exec, exec, s[6:7]
	v_mov_b32_e32 v1, 0
	s_waitcnt lgkmcnt(0)
	s_barrier
	ds_read_b32 v1, v1 offset:4108
	s_waitcnt lgkmcnt(0)
	v_min_i32_e32 v1, s68, v1
	v_cmp_lt_i32_e32 vcc, v0, v1
	s_and_saveexec_b64 s[6:7], vcc
	s_cbranch_execz .LBB18_251
; %bb.242:
	s_mov_b64 s[8:9], 0
	v_mov_b32_e32 v3, s77
                                        ; implicit-def: $sgpr10_sgpr11
                                        ; implicit-def: $sgpr14_sgpr15
                                        ; implicit-def: $sgpr12_sgpr13
	s_branch .LBB18_244
.LBB18_243:                             ;   in Loop: Header=BB18_244 Depth=1
	s_or_b64 exec, exec, s[16:17]
	s_and_b64 s[16:17], exec, s[14:15]
	s_or_b64 s[8:9], s[16:17], s[8:9]
	s_andn2_b64 s[10:11], s[10:11], exec
	s_and_b64 s[16:17], s[12:13], exec
	s_or_b64 s[10:11], s[10:11], s[16:17]
	s_andn2_b64 exec, exec, s[8:9]
	s_cbranch_execz .LBB18_246
.LBB18_244:                             ; =>This Inner Loop Header: Depth=1
	v_ashrrev_i32_e32 v6, 31, v5
	v_lshlrev_b64 v[6:7], 2, v[5:6]
	v_mov_b32_e32 v2, v0
	v_add_co_u32_e32 v6, vcc, s70, v6
	v_addc_co_u32_e32 v7, vcc, v3, v7, vcc
	global_load_dword v4, v[6:7], off
	s_or_b64 s[12:13], s[12:13], exec
	s_or_b64 s[14:15], s[14:15], exec
                                        ; implicit-def: $vgpr0
	s_waitcnt vmcnt(0)
	v_cmp_ne_u32_e32 vcc, v4, v14
	s_and_saveexec_b64 s[16:17], vcc
	s_cbranch_execz .LBB18_243
; %bb.245:                              ;   in Loop: Header=BB18_244 Depth=1
	v_add_u32_e32 v0, s76, v2
	v_cmp_ge_i32_e32 vcc, v0, v1
	s_andn2_b64 s[14:15], s[14:15], exec
	s_and_b64 s[18:19], vcc, exec
	v_add_u32_e32 v5, s86, v5
	s_andn2_b64 s[12:13], s[12:13], exec
	s_or_b64 s[14:15], s[14:15], s[18:19]
	s_branch .LBB18_243
.LBB18_246:
	s_or_b64 exec, exec, s[8:9]
	s_and_saveexec_b64 s[8:9], s[10:11]
	s_xor_b64 s[8:9], exec, s[8:9]
	s_cbranch_execz .LBB18_251
; %bb.247:
	s_mov_b64 s[8:9], exec
	s_brev_b32 s10, -2
.LBB18_248:                             ; =>This Inner Loop Header: Depth=1
	s_ff1_i32_b64 s11, s[8:9]
	v_readlane_b32 s14, v2, s11
	s_lshl_b64 s[12:13], 1, s11
	s_min_i32 s10, s10, s14
	s_andn2_b64 s[8:9], s[8:9], s[12:13]
	s_cmp_lg_u64 s[8:9], 0
	s_cbranch_scc1 .LBB18_248
; %bb.249:
	v_mbcnt_lo_u32_b32 v0, exec_lo, 0
	v_mbcnt_hi_u32_b32 v0, exec_hi, v0
	v_cmp_eq_u32_e32 vcc, 0, v0
	s_and_saveexec_b64 s[8:9], vcc
	s_xor_b64 s[8:9], exec, s[8:9]
; %bb.250:
	v_mov_b32_e32 v0, 0
	v_mov_b32_e32 v1, s10
	ds_min_i32 v0, v1 offset:4108
.LBB18_251:
	s_or_b64 exec, exec, s[6:7]
	s_waitcnt lgkmcnt(0)
	s_barrier
	s_and_saveexec_b64 s[6:7], s[0:1]
	s_cbranch_execz .LBB18_253
; %bb.252:
	v_readlane_b32 s8, v48, 0
	s_mul_i32 s0, s21, s23
	v_readlane_b32 s10, v48, 2
	s_sub_i32 s0, s20, s0
	v_readlane_b32 s9, v48, 1
	v_readlane_b32 s11, v48, 3
	s_mov_b32 s14, s10
	s_mov_b64 s[12:13], s[8:9]
	s_mul_i32 s0, s0, s14
	v_readlane_b32 s1, v48, 19
	v_readlane_b32 s8, v48, 22
	;; [unrolled: 1-line block ×4, first 2 shown]
	s_xor_b32 s1, s1, s8
	s_mul_i32 s8, s14, s11
	v_readlane_b32 s9, v48, 13
	s_sub_i32 s8, s9, s8
	s_add_i32 s9, s14, 1
	s_sub_i32 s10, s8, s11
	s_cmp_ge_u32 s8, s11
	s_cselect_b32 s9, s9, s14
	s_cselect_b32 s8, s10, s8
	s_add_i32 s10, s9, 1
	s_cmp_ge_u32 s8, s11
	s_cselect_b32 s8, s10, s9
	s_xor_b32 s8, s8, s1
	s_sub_i32 s1, s8, s1
	s_mul_i32 s8, s1, s22
	s_sub_i32 s8, s21, s8
	s_mul_i32 s8, s8, s13
	s_add_i32 s0, s8, s0
	s_mul_i32 s1, s1, s12
	v_readlane_b32 s8, v48, 7
	s_add_i32 s0, s0, s1
	s_mul_i32 s1, s26, s25
	v_readlane_b32 s10, v48, 9
	s_sub_i32 s1, s20, s1
	v_readlane_b32 s9, v48, 8
	s_mov_b32 s14, s10
	s_mov_b64 s[12:13], s[8:9]
	s_mul_i32 s1, s1, s14
	v_readlane_b32 s8, v48, 24
	v_readlane_b32 s9, v48, 27
	;; [unrolled: 1-line block ×4, first 2 shown]
	s_xor_b32 s8, s8, s9
	s_mul_i32 s9, s15, s14
	v_readlane_b32 s10, v48, 16
	v_readlane_b32 s11, v48, 10
	s_sub_i32 s9, s10, s9
	s_add_i32 s10, s15, 1
	s_sub_i32 s11, s9, s14
	s_cmp_ge_u32 s9, s14
	s_cselect_b32 s10, s10, s15
	s_cselect_b32 s9, s11, s9
	s_add_i32 s11, s10, 1
	s_cmp_ge_u32 s9, s14
	s_cselect_b32 s9, s11, s10
	s_xor_b32 s9, s9, s8
	s_sub_i32 s8, s9, s8
	s_mul_i32 s9, s8, s24
	s_sub_i32 s9, s26, s9
	s_mul_i32 s9, s9, s13
	s_add_i32 s1, s9, s1
	s_mul_i32 s8, s8, s12
	s_add_i32 s8, s1, s8
	s_ashr_i32 s1, s0, 31
	v_mov_b32_e32 v2, 0
	s_lshl_b64 s[0:1], s[0:1], 2
	v_readlane_b32 s10, v48, 11
	ds_read_b32 v0, v2 offset:4108
	v_readlane_b32 s11, v48, 12
	s_add_u32 s0, s10, s0
	s_addc_u32 s1, s11, s1
	s_ashr_i32 s9, s8, 31
	s_lshl_b64 s[8:9], s[8:9], 3
	v_readlane_b32 s10, v48, 4
	v_readlane_b32 s11, v48, 5
	s_add_u32 s8, s10, s8
	s_addc_u32 s9, s11, s9
	s_waitcnt lgkmcnt(0)
	v_ashrrev_i32_e32 v1, 31, v0
	global_store_dwordx2 v2, v[0:1], s[8:9]
	global_store_dword v2, v14, s[0:1]
.LBB18_253:
	s_or_b64 exec, exec, s[6:7]
.LBB18_254:
	s_or_saveexec_b64 s[0:1], s[4:5]
	s_mov_b64 s[4:5], 0
	s_xor_b64 exec, exec, s[0:1]
	s_cbranch_execnz .LBB18_257
.LBB18_255:
	s_or_b64 exec, exec, s[0:1]
	s_and_b64 s[4:5], s[4:5], exec
	s_andn2_saveexec_b64 s[0:1], s[2:3]
	s_cbranch_execz .LBB18_233
.LBB18_256:
	s_or_b64 s[4:5], s[4:5], exec
	s_trap 2
	s_or_b64 exec, exec, s[0:1]
	s_and_saveexec_b64 s[0:1], s[4:5]
	s_cbranch_execnz .LBB18_234
	s_branch .LBB18_235
.LBB18_257:
	s_mov_b64 s[4:5], exec
	s_trap 2
	s_branch .LBB18_255
	.section	.rodata,"a",@progbits
	.p2align	6, 0x0
	.amdhsa_kernel _ZN2at6native12_GLOBAL__N_114gatherKthValueIiiLi3EEEvNS_4cuda6detail10TensorInfoIKT_T0_EES8_S8_S8_S8_NS5_IS6_S8_EENS5_IlS8_EE
		.amdhsa_group_segment_fixed_size 4112
		.amdhsa_private_segment_fixed_size 0
		.amdhsa_kernarg_size 920
		.amdhsa_user_sgpr_count 6
		.amdhsa_user_sgpr_private_segment_buffer 1
		.amdhsa_user_sgpr_dispatch_ptr 0
		.amdhsa_user_sgpr_queue_ptr 0
		.amdhsa_user_sgpr_kernarg_segment_ptr 1
		.amdhsa_user_sgpr_dispatch_id 0
		.amdhsa_user_sgpr_flat_scratch_init 0
		.amdhsa_user_sgpr_private_segment_size 0
		.amdhsa_uses_dynamic_stack 0
		.amdhsa_system_sgpr_private_segment_wavefront_offset 0
		.amdhsa_system_sgpr_workgroup_id_x 1
		.amdhsa_system_sgpr_workgroup_id_y 1
		.amdhsa_system_sgpr_workgroup_id_z 1
		.amdhsa_system_sgpr_workgroup_info 0
		.amdhsa_system_vgpr_workitem_id 0
		.amdhsa_next_free_vgpr 49
		.amdhsa_next_free_sgpr 96
		.amdhsa_reserve_vcc 1
		.amdhsa_reserve_flat_scratch 0
		.amdhsa_float_round_mode_32 0
		.amdhsa_float_round_mode_16_64 0
		.amdhsa_float_denorm_mode_32 3
		.amdhsa_float_denorm_mode_16_64 3
		.amdhsa_dx10_clamp 1
		.amdhsa_ieee_mode 1
		.amdhsa_fp16_overflow 0
		.amdhsa_exception_fp_ieee_invalid_op 0
		.amdhsa_exception_fp_denorm_src 0
		.amdhsa_exception_fp_ieee_div_zero 0
		.amdhsa_exception_fp_ieee_overflow 0
		.amdhsa_exception_fp_ieee_underflow 0
		.amdhsa_exception_fp_ieee_inexact 0
		.amdhsa_exception_int_div_zero 0
	.end_amdhsa_kernel
	.section	.text._ZN2at6native12_GLOBAL__N_114gatherKthValueIiiLi3EEEvNS_4cuda6detail10TensorInfoIKT_T0_EES8_S8_S8_S8_NS5_IS6_S8_EENS5_IlS8_EE,"axG",@progbits,_ZN2at6native12_GLOBAL__N_114gatherKthValueIiiLi3EEEvNS_4cuda6detail10TensorInfoIKT_T0_EES8_S8_S8_S8_NS5_IS6_S8_EENS5_IlS8_EE,comdat
.Lfunc_end18:
	.size	_ZN2at6native12_GLOBAL__N_114gatherKthValueIiiLi3EEEvNS_4cuda6detail10TensorInfoIKT_T0_EES8_S8_S8_S8_NS5_IS6_S8_EENS5_IlS8_EE, .Lfunc_end18-_ZN2at6native12_GLOBAL__N_114gatherKthValueIiiLi3EEEvNS_4cuda6detail10TensorInfoIKT_T0_EES8_S8_S8_S8_NS5_IS6_S8_EENS5_IlS8_EE
                                        ; -- End function
	.set _ZN2at6native12_GLOBAL__N_114gatherKthValueIiiLi3EEEvNS_4cuda6detail10TensorInfoIKT_T0_EES8_S8_S8_S8_NS5_IS6_S8_EENS5_IlS8_EE.num_vgpr, 49
	.set _ZN2at6native12_GLOBAL__N_114gatherKthValueIiiLi3EEEvNS_4cuda6detail10TensorInfoIKT_T0_EES8_S8_S8_S8_NS5_IS6_S8_EENS5_IlS8_EE.num_agpr, 0
	.set _ZN2at6native12_GLOBAL__N_114gatherKthValueIiiLi3EEEvNS_4cuda6detail10TensorInfoIKT_T0_EES8_S8_S8_S8_NS5_IS6_S8_EENS5_IlS8_EE.numbered_sgpr, 96
	.set _ZN2at6native12_GLOBAL__N_114gatherKthValueIiiLi3EEEvNS_4cuda6detail10TensorInfoIKT_T0_EES8_S8_S8_S8_NS5_IS6_S8_EENS5_IlS8_EE.num_named_barrier, 0
	.set _ZN2at6native12_GLOBAL__N_114gatherKthValueIiiLi3EEEvNS_4cuda6detail10TensorInfoIKT_T0_EES8_S8_S8_S8_NS5_IS6_S8_EENS5_IlS8_EE.private_seg_size, 0
	.set _ZN2at6native12_GLOBAL__N_114gatherKthValueIiiLi3EEEvNS_4cuda6detail10TensorInfoIKT_T0_EES8_S8_S8_S8_NS5_IS6_S8_EENS5_IlS8_EE.uses_vcc, 1
	.set _ZN2at6native12_GLOBAL__N_114gatherKthValueIiiLi3EEEvNS_4cuda6detail10TensorInfoIKT_T0_EES8_S8_S8_S8_NS5_IS6_S8_EENS5_IlS8_EE.uses_flat_scratch, 0
	.set _ZN2at6native12_GLOBAL__N_114gatherKthValueIiiLi3EEEvNS_4cuda6detail10TensorInfoIKT_T0_EES8_S8_S8_S8_NS5_IS6_S8_EENS5_IlS8_EE.has_dyn_sized_stack, 0
	.set _ZN2at6native12_GLOBAL__N_114gatherKthValueIiiLi3EEEvNS_4cuda6detail10TensorInfoIKT_T0_EES8_S8_S8_S8_NS5_IS6_S8_EENS5_IlS8_EE.has_recursion, 0
	.set _ZN2at6native12_GLOBAL__N_114gatherKthValueIiiLi3EEEvNS_4cuda6detail10TensorInfoIKT_T0_EES8_S8_S8_S8_NS5_IS6_S8_EENS5_IlS8_EE.has_indirect_call, 0
	.section	.AMDGPU.csdata,"",@progbits
; Kernel info:
; codeLenInByte = 9984
; TotalNumSgprs: 100
; NumVgprs: 49
; ScratchSize: 0
; MemoryBound: 0
; FloatMode: 240
; IeeeMode: 1
; LDSByteSize: 4112 bytes/workgroup (compile time only)
; SGPRBlocks: 12
; VGPRBlocks: 12
; NumSGPRsForWavesPerEU: 100
; NumVGPRsForWavesPerEU: 49
; Occupancy: 4
; WaveLimiterHint : 1
; COMPUTE_PGM_RSRC2:SCRATCH_EN: 0
; COMPUTE_PGM_RSRC2:USER_SGPR: 6
; COMPUTE_PGM_RSRC2:TRAP_HANDLER: 0
; COMPUTE_PGM_RSRC2:TGID_X_EN: 1
; COMPUTE_PGM_RSRC2:TGID_Y_EN: 1
; COMPUTE_PGM_RSRC2:TGID_Z_EN: 1
; COMPUTE_PGM_RSRC2:TIDIG_COMP_CNT: 0
	.section	.text._ZN2at6native12_GLOBAL__N_114gatherKthValueIiiLin1EEEvNS_4cuda6detail10TensorInfoIKT_T0_EES8_S8_S8_S8_NS5_IS6_S8_EENS5_IlS8_EE,"axG",@progbits,_ZN2at6native12_GLOBAL__N_114gatherKthValueIiiLin1EEEvNS_4cuda6detail10TensorInfoIKT_T0_EES8_S8_S8_S8_NS5_IS6_S8_EENS5_IlS8_EE,comdat
	.globl	_ZN2at6native12_GLOBAL__N_114gatherKthValueIiiLin1EEEvNS_4cuda6detail10TensorInfoIKT_T0_EES8_S8_S8_S8_NS5_IS6_S8_EENS5_IlS8_EE ; -- Begin function _ZN2at6native12_GLOBAL__N_114gatherKthValueIiiLin1EEEvNS_4cuda6detail10TensorInfoIKT_T0_EES8_S8_S8_S8_NS5_IS6_S8_EENS5_IlS8_EE
	.p2align	8
	.type	_ZN2at6native12_GLOBAL__N_114gatherKthValueIiiLin1EEEvNS_4cuda6detail10TensorInfoIKT_T0_EES8_S8_S8_S8_NS5_IS6_S8_EENS5_IlS8_EE,@function
_ZN2at6native12_GLOBAL__N_114gatherKthValueIiiLin1EEEvNS_4cuda6detail10TensorInfoIKT_T0_EES8_S8_S8_S8_NS5_IS6_S8_EENS5_IlS8_EE: ; @_ZN2at6native12_GLOBAL__N_114gatherKthValueIiiLin1EEEvNS_4cuda6detail10TensorInfoIKT_T0_EES8_S8_S8_S8_NS5_IS6_S8_EENS5_IlS8_EE
; %bb.0:
	s_load_dwordx2 s[12:13], s[4:5], 0x298
	s_load_dwordx4 s[60:63], s[4:5], 0xd8
	s_add_u32 s10, s4, 0x298
	s_addc_u32 s11, s5, 0
	s_waitcnt lgkmcnt(0)
	s_mul_i32 s0, s13, s8
	s_add_i32 s0, s0, s7
	s_mul_i32 s0, s0, s12
	s_add_i32 s33, s0, s6
	s_cmp_ge_i32 s33, s62
	s_cbranch_scc1 .LBB19_244
; %bb.1:
	s_load_dword s0, s[4:5], 0xd0
	s_mov_b32 s3, 0
	s_mov_b32 s2, s33
	s_waitcnt lgkmcnt(0)
	s_cmp_lt_i32 s0, 2
	s_cbranch_scc1 .LBB19_4
; %bb.2:
	s_add_i32 s2, s0, -1
	s_add_i32 s7, s0, 1
	s_lshl_b64 s[0:1], s[2:3], 2
	s_add_u32 s0, s4, s0
	s_addc_u32 s1, s5, s1
	s_add_u32 s0, s0, 8
	s_addc_u32 s1, s1, 0
	s_mov_b32 s2, s33
.LBB19_3:                               ; =>This Inner Loop Header: Depth=1
	s_load_dword s8, s[0:1], 0x0
	s_load_dword s13, s[0:1], 0x64
	s_mov_b32 s9, s2
	s_abs_i32 s2, s2
	s_waitcnt lgkmcnt(0)
	s_abs_i32 s15, s8
	v_cvt_f32_u32_e32 v1, s15
	s_sub_i32 s16, 0, s15
	s_xor_b32 s14, s9, s8
	s_ashr_i32 s14, s14, 31
	v_rcp_iflag_f32_e32 v1, v1
	v_mul_f32_e32 v1, 0x4f7ffffe, v1
	v_cvt_u32_f32_e32 v1, v1
	v_readfirstlane_b32 s17, v1
	s_mul_i32 s16, s16, s17
	s_mul_hi_u32 s16, s17, s16
	s_add_i32 s17, s17, s16
	s_mul_hi_u32 s16, s2, s17
	s_mul_i32 s17, s16, s15
	s_sub_i32 s2, s2, s17
	s_add_i32 s18, s16, 1
	s_sub_i32 s17, s2, s15
	s_cmp_ge_u32 s2, s15
	s_cselect_b32 s16, s18, s16
	s_cselect_b32 s2, s17, s2
	s_add_i32 s17, s16, 1
	s_cmp_ge_u32 s2, s15
	s_cselect_b32 s2, s17, s16
	s_xor_b32 s2, s2, s14
	s_sub_i32 s2, s2, s14
	s_mul_i32 s8, s2, s8
	s_sub_i32 s8, s9, s8
	s_mul_i32 s8, s13, s8
	s_add_i32 s7, s7, -1
	s_add_i32 s3, s8, s3
	s_add_u32 s0, s0, -4
	s_addc_u32 s1, s1, -1
	s_cmp_gt_u32 s7, 2
	s_cbranch_scc1 .LBB19_3
.LBB19_4:
	s_load_dword s8, s[4:5], 0x1b8
	s_add_u32 s0, s4, 0xe8
	s_addc_u32 s1, s5, 0
	s_mov_b32 s65, 0
	s_mov_b32 s62, s33
	s_waitcnt lgkmcnt(0)
	s_cmp_lt_i32 s8, 2
	s_cbranch_scc1 .LBB19_7
; %bb.5:
	s_add_i32 s64, s8, -1
	s_add_i32 s7, s8, 1
	s_lshl_b64 s[8:9], s[64:65], 2
	s_add_u32 s8, s0, s8
	s_addc_u32 s9, s1, s9
	s_add_u32 s8, s8, 8
	s_addc_u32 s9, s9, 0
	s_mov_b32 s62, s33
.LBB19_6:                               ; =>This Inner Loop Header: Depth=1
	s_load_dword s13, s[8:9], 0x0
	s_load_dword s15, s[8:9], 0x64
	s_abs_i32 s16, s62
	s_mov_b32 s14, s62
	s_waitcnt lgkmcnt(0)
	s_abs_i32 s18, s13
	v_cvt_f32_u32_e32 v1, s18
	s_sub_i32 s19, 0, s18
	s_xor_b32 s17, s62, s13
	s_ashr_i32 s17, s17, 31
	v_rcp_iflag_f32_e32 v1, v1
	v_mul_f32_e32 v1, 0x4f7ffffe, v1
	v_cvt_u32_f32_e32 v1, v1
	v_readfirstlane_b32 s20, v1
	s_mul_i32 s19, s19, s20
	s_mul_hi_u32 s19, s20, s19
	s_add_i32 s20, s20, s19
	s_mul_hi_u32 s19, s16, s20
	s_mul_i32 s20, s19, s18
	s_sub_i32 s16, s16, s20
	s_add_i32 s21, s19, 1
	s_sub_i32 s20, s16, s18
	s_cmp_ge_u32 s16, s18
	s_cselect_b32 s19, s21, s19
	s_cselect_b32 s16, s20, s16
	s_add_i32 s20, s19, 1
	s_cmp_ge_u32 s16, s18
	s_cselect_b32 s16, s20, s19
	s_xor_b32 s16, s16, s17
	s_sub_i32 s62, s16, s17
	s_mul_i32 s13, s62, s13
	s_sub_i32 s13, s14, s13
	s_mul_i32 s13, s15, s13
	s_add_i32 s7, s7, -1
	s_add_i32 s65, s13, s65
	s_add_u32 s8, s8, -4
	s_addc_u32 s9, s9, -1
	s_cmp_gt_u32 s7, 2
	s_cbranch_scc1 .LBB19_6
.LBB19_7:
	s_load_dword s7, s[4:5], 0x6c
	s_load_dword s14, s[4:5], 0x290
	s_add_u32 s8, s4, 0x1c0
	s_addc_u32 s9, s5, 0
	s_mov_b32 s67, 0
	s_waitcnt lgkmcnt(0)
	s_cmp_lt_i32 s14, 2
	s_cbranch_scc1 .LBB19_10
; %bb.8:
	s_add_i32 s66, s14, -1
	s_add_i32 s13, s14, 1
	s_lshl_b64 s[14:15], s[66:67], 2
	s_add_u32 s8, s8, s14
	s_addc_u32 s9, s9, s15
	s_add_u32 s8, s8, 8
	s_addc_u32 s9, s9, 0
.LBB19_9:                               ; =>This Inner Loop Header: Depth=1
	s_load_dword s14, s[8:9], 0x0
	s_load_dword s16, s[8:9], 0x64
	s_abs_i32 s17, s33
	s_mov_b32 s15, s33
	s_waitcnt lgkmcnt(0)
	s_abs_i32 s19, s14
	v_cvt_f32_u32_e32 v1, s19
	s_sub_i32 s20, 0, s19
	s_xor_b32 s18, s33, s14
	s_ashr_i32 s18, s18, 31
	v_rcp_iflag_f32_e32 v1, v1
	v_mul_f32_e32 v1, 0x4f7ffffe, v1
	v_cvt_u32_f32_e32 v1, v1
	v_readfirstlane_b32 s21, v1
	s_mul_i32 s20, s20, s21
	s_mul_hi_u32 s20, s21, s20
	s_add_i32 s21, s21, s20
	s_mul_hi_u32 s20, s17, s21
	s_mul_i32 s21, s20, s19
	s_sub_i32 s17, s17, s21
	s_add_i32 s22, s20, 1
	s_sub_i32 s21, s17, s19
	s_cmp_ge_u32 s17, s19
	s_cselect_b32 s20, s22, s20
	s_cselect_b32 s17, s21, s17
	s_add_i32 s21, s20, 1
	s_cmp_ge_u32 s17, s19
	s_cselect_b32 s17, s21, s20
	s_xor_b32 s17, s17, s18
	s_sub_i32 s33, s17, s18
	s_mul_i32 s14, s33, s14
	s_sub_i32 s14, s15, s14
	s_mul_i32 s14, s16, s14
	s_add_i32 s13, s13, -1
	s_add_i32 s67, s14, s67
	s_add_u32 s8, s8, -4
	s_addc_u32 s9, s9, -1
	s_cmp_gt_u32 s13, 2
	s_cbranch_scc1 .LBB19_9
.LBB19_10:
	s_load_dword s0, s[0:1], 0x6c
                                        ; implicit-def: $vgpr48 : SGPR spill to VGPR lane
	s_waitcnt lgkmcnt(0)
	v_writelane_b32 v48, s0, 0
	s_load_dwordx2 s[8:9], s[4:5], 0x0
	s_load_dwordx2 s[0:1], s[4:5], 0xe8
	s_waitcnt lgkmcnt(0)
	v_writelane_b32 v48, s0, 1
	v_writelane_b32 v48, s1, 2
	s_load_dwordx2 s[0:1], s[4:5], 0x1c0
	s_waitcnt lgkmcnt(0)
	v_writelane_b32 v48, s0, 3
	v_writelane_b32 v48, s1, 4
	v_cmp_eq_u32_e64 s[0:1], 0, v0
	s_mov_b64 s[14:15], exec
	v_writelane_b32 v48, s0, 5
	v_writelane_b32 v48, s1, 6
	s_and_b64 s[0:1], s[14:15], s[0:1]
	s_mov_b64 exec, s[0:1]
; %bb.11:
	v_mov_b32_e32 v1, 0
	v_mov_b32_e32 v2, s60
	;; [unrolled: 1-line block ×3, first 2 shown]
	ds_write_b96 v1, v[1:3] offset:4096
; %bb.12:
	s_or_b64 exec, exec, s[14:15]
	s_load_dword s0, s[4:5], 0x22c
	s_waitcnt lgkmcnt(0)
	s_barrier
	v_mul_lo_u32 v5, s63, v0
	v_writelane_b32 v48, s0, 7
	s_mul_i32 s0, s7, s2
	s_load_dword s2, s[10:11], 0xc
	s_add_i32 s0, s0, s3
	s_ashr_i32 s1, s0, 31
	v_mov_b32_e32 v7, 0
	s_lshl_b64 s[0:1], s[0:1], 2
	v_mbcnt_lo_u32_b32 v1, -1, 0
	v_mov_b32_e32 v6, v7
	s_add_u32 s64, s8, s0
	v_mbcnt_hi_u32_b32 v20, -1, v1
	v_lshlrev_b64 v[1:2], 2, v[5:6]
	s_addc_u32 s78, s9, s1
	s_waitcnt lgkmcnt(0)
	s_and_b32 s66, s2, 0xffff
	v_cmp_gt_u32_e32 vcc, 64, v0
	v_cmp_gt_i32_e64 s[4:5], 4, v20
	s_and_b64 s[72:73], vcc, s[4:5]
	s_add_i32 s1, s66, -1
	v_mov_b32_e32 v22, s78
	v_add_co_u32_e32 v8, vcc, s64, v1
	s_lshl_b32 s79, s66, 2
	s_bfe_u32 s0, s2, 0xa0006
	s_add_i32 s81, s1, s60
	v_addc_co_u32_e32 v9, vcc, v22, v2, vcc
	v_lshlrev_b64 v[2:3], v20, -1
	s_cmpk_gt_i32 s60, 0x300
	v_writelane_b32 v48, s1, 8
	s_cselect_b64 s[8:9], -1, 0
	v_not_b32_e32 v25, v2
	v_lshrrev_b32_e32 v2, 2, v0
	v_writelane_b32 v48, s8, 9
	v_and_b32_e32 v2, 0xf0, v2
	v_writelane_b32 v48, s9, 10
	v_cmp_gt_u32_e64 s[8:9], s60, v0
	s_cmp_gt_u32 s66, 63
	v_or_b32_e32 v26, 0xc00, v2
	v_cvt_f32_u32_e32 v2, s79
	v_writelane_b32 v48, s8, 11
	s_cselect_b64 s[76:77], -1, 0
	s_cmp_lt_u32 s6, s12
	v_writelane_b32 v48, s9, 12
	v_cmp_gt_i32_e64 s[8:9], s60, v0
	s_cselect_b32 s1, 12, 18
	v_writelane_b32 v48, s8, 13
	s_add_u32 s6, s10, s1
	v_writelane_b32 v48, s9, 14
	s_addc_u32 s7, s11, 0
	v_rcp_iflag_f32_e32 v2, v2
	v_writelane_b32 v48, s6, 15
	s_add_i32 s1, s0, -1
	v_writelane_b32 v48, s7, 16
	s_bfe_u32 s6, s66, 0x30006
	s_and_b32 s1, s1, 0xffff
	s_cmp_gt_u32 s1, 6
	s_cselect_b64 s[8:9], -1, 0
	v_mul_f32_e32 v2, 0x4f7ffffe, v2
	v_writelane_b32 v48, s8, 17
	s_and_b32 s82, s0, 0x3f8
	v_cvt_u32_f32_e32 v2, v2
	v_writelane_b32 v48, s9, 18
	s_cmp_lg_u32 s6, 0
	v_writelane_b32 v48, s6, 19
	s_cselect_b64 s[0:1], -1, 0
	v_writelane_b32 v48, s0, 20
	v_writelane_b32 v48, s1, 21
	s_sub_i32 s0, 0, s79
	v_readfirstlane_b32 s1, v2
	s_mul_i32 s0, s0, s1
	s_mul_hi_u32 s0, s1, s0
	s_add_i32 s83, s1, s0
	s_mul_hi_u32 s0, s60, s83
	s_mul_i32 s0, s0, s79
	s_sub_i32 s0, s60, s0
	s_sub_i32 s1, s0, s79
	s_cmp_ge_u32 s0, s79
	s_cselect_b32 s0, s1, s0
	s_sub_i32 s1, s0, s79
	s_cmp_ge_u32 s0, s79
	s_cselect_b32 s0, s1, s0
	s_sub_i32 s16, s60, s0
	v_add_u32_e32 v27, s16, v0
	v_cvt_f32_u32_e32 v4, s66
	v_mul_lo_u32 v2, v27, s63
	v_not_b32_e32 v24, v3
	s_sub_i32 s7, 0, s66
	v_rcp_iflag_f32_e32 v4, v4
	v_ashrrev_i32_e32 v3, 31, v2
	v_lshlrev_b64 v[2:3], 2, v[2:3]
	s_abs_i32 s6, s81
	v_add_co_u32_e32 v10, vcc, s64, v2
	v_mul_f32_e32 v2, 0x4f7ffffe, v4
	v_cvt_u32_f32_e32 v2, v2
	s_ashr_i32 s1, s81, 31
	v_lshlrev_b32_e32 v19, 2, v0
	v_lshlrev_b32_e32 v1, 2, v20
	v_readfirstlane_b32 s8, v2
	s_mul_i32 s7, s7, s8
	s_mul_hi_u32 s7, s8, s7
	s_add_i32 s7, s8, s7
	v_writelane_b32 v48, s7, 22
	s_mul_hi_u32 s7, s6, s7
	s_mul_i32 s7, s7, s66
	s_sub_i32 s6, s6, s7
	s_sub_i32 s7, s6, s66
	s_cmp_ge_u32 s6, s66
	s_cselect_b32 s6, s7, s6
	s_sub_i32 s7, s6, s66
	v_mul_lo_u32 v2, s63, v19
	s_cmp_ge_u32 s6, s66
	s_cselect_b32 s6, s7, s6
	s_xor_b32 s6, s6, s1
	s_sub_i32 s1, s1, s6
	v_add_u32_e32 v28, s63, v2
	v_or_b32_e32 v2, 2, v19
	s_add_i32 s81, s81, s1
	v_mul_lo_u32 v29, s63, v2
	v_or_b32_e32 v2, 3, v19
	s_add_i32 s1, s66, s60
	v_mul_lo_u32 v31, s63, v2
	v_add_u32_e32 v2, s1, v0
	v_subrev_u32_e32 v2, s0, v2
	v_mul_lo_u32 v33, s63, v2
	v_mov_b32_e32 v6, s78
	v_cmp_gt_i32_e64 s[6:7], s81, v0
	s_mul_i32 s80, s63, s66
	v_cmp_eq_u32_e64 s[2:3], 0, v20
	v_cmp_gt_u32_e64 s[4:5], 2, v0
	v_add_u32_e32 v21, 0xc00, v19
	v_and_b32_e32 v23, 0x100, v1
	v_cmp_gt_i32_e64 s[10:11], s16, v19
	v_cmp_gt_u32_e64 s[12:13], s60, v27
	v_addc_co_u32_e32 v11, vcc, v6, v3, vcc
	v_cmp_gt_i32_e64 s[14:15], s60, v27
	v_writelane_b32 v48, s6, 23
	s_lshl_b32 s17, s80, 2
	v_lshlrev_b32_e32 v32, 2, v5
	v_lshlrev_b32_e32 v34, 4, v0
	s_lshl_b32 s18, s66, 4
	v_or_b32_e32 v35, 0xc00, v1
	s_mov_b64 s[84:85], 0
	v_mov_b32_e32 v36, 30
	v_mov_b32_e32 v39, s61
	;; [unrolled: 1-line block ×7, first 2 shown]
	v_writelane_b32 v48, s7, 24
                                        ; implicit-def: $sgpr86_sgpr87
                                        ; implicit-def: $sgpr90_sgpr91
                                        ; implicit-def: $sgpr88_sgpr89
                                        ; implicit-def: $sgpr94_sgpr95
                                        ; implicit-def: $sgpr68_sgpr69
                                        ; implicit-def: $sgpr92_sgpr93
	s_branch .LBB19_16
.LBB19_13:                              ;   in Loop: Header=BB19_16 Depth=1
	s_or_b64 exec, exec, s[28:29]
	s_and_b64 s[22:23], s[22:23], exec
	s_andn2_b64 s[26:27], s[26:27], exec
	s_andn2_b64 s[24:25], s[24:25], exec
	s_orn2_b64 s[20:21], s[20:21], exec
.LBB19_14:                              ;   in Loop: Header=BB19_16 Depth=1
	s_or_b64 exec, exec, s[8:9]
	s_andn2_b64 s[0:1], s[92:93], exec
	s_and_b64 s[8:9], s[22:23], exec
	s_or_b64 s[92:93], s[0:1], s[8:9]
	s_andn2_b64 s[0:1], s[68:69], exec
	s_and_b64 s[8:9], s[26:27], exec
	s_or_b64 s[68:69], s[0:1], s[8:9]
	;; [unrolled: 3-line block ×3, first 2 shown]
	s_orn2_b64 s[20:21], s[20:21], exec
.LBB19_15:                              ;   in Loop: Header=BB19_16 Depth=1
	s_or_b64 exec, exec, s[6:7]
	s_and_b64 s[0:1], exec, s[20:21]
	s_or_b64 s[84:85], s[0:1], s[84:85]
	s_andn2_b64 s[0:1], s[88:89], exec
	s_and_b64 s[6:7], s[92:93], exec
	s_or_b64 s[88:89], s[0:1], s[6:7]
	s_andn2_b64 s[0:1], s[90:91], exec
	s_and_b64 s[6:7], s[68:69], exec
	;; [unrolled: 3-line block ×3, first 2 shown]
	s_or_b64 s[86:87], s[0:1], s[6:7]
	v_mov_b32_e32 v39, v15
	s_andn2_b64 exec, exec, s[84:85]
	s_cbranch_execz .LBB19_240
.LBB19_16:                              ; =>This Loop Header: Depth=1
                                        ;     Child Loop BB19_22 Depth 2
                                        ;     Child Loop BB19_37 Depth 2
	;; [unrolled: 1-line block ×16, first 2 shown]
	ds_read_b64 v[1:2], v7 offset:4096
	s_waitcnt lgkmcnt(0)
	v_readfirstlane_b32 s19, v1
	s_cmp_gt_i32 s19, 0
	s_cbranch_scc1 .LBB19_44
; %bb.17:                               ;   in Loop: Header=BB19_16 Depth=1
	v_readlane_b32 s0, v48, 9
	v_readlane_b32 s1, v48, 10
	s_and_b64 vcc, exec, s[0:1]
	s_cbranch_vccz .LBB19_30
; %bb.18:                               ;   in Loop: Header=BB19_16 Depth=1
	s_movk_i32 s0, 0x301
	v_cmp_gt_i32_e32 vcc, s0, v2
	s_mov_b64 s[8:9], 0
	s_mov_b64 s[6:7], 0
	s_cbranch_vccz .LBB19_31
; %bb.19:                               ;   in Loop: Header=BB19_16 Depth=1
	s_mov_b64 s[20:21], exec
	v_readlane_b32 s0, v48, 11
	v_readlane_b32 s1, v48, 12
	s_and_b64 s[0:1], s[20:21], s[0:1]
	s_mov_b64 exec, s[0:1]
	s_cbranch_execz .LBB19_76
; %bb.20:                               ;   in Loop: Header=BB19_16 Depth=1
	v_readlane_b32 s0, v48, 15
	v_readlane_b32 s1, v48, 16
	s_nop 4
	global_load_ushort v1, v7, s[0:1]
	global_load_dword v3, v[8:9], off
	s_mov_b64 s[22:23], 0
	v_mov_b32_e32 v4, v0
	s_waitcnt vmcnt(1)
	v_add_u32_e32 v2, v0, v1
	v_mul_lo_u32 v6, s63, v2
	v_mul_lo_u32 v2, s63, v1
	s_branch .LBB19_22
.LBB19_21:                              ;   in Loop: Header=BB19_22 Depth=2
	s_or_b64 exec, exec, s[6:7]
	v_cmp_le_i32_e32 vcc, s60, v4
	v_add_u32_e32 v6, v6, v2
	s_or_b64 s[22:23], vcc, s[22:23]
	v_mov_b32_e32 v3, v13
	s_andn2_b64 exec, exec, s[22:23]
	s_cbranch_execz .LBB19_76
.LBB19_22:                              ;   Parent Loop BB19_16 Depth=1
                                        ; =>  This Inner Loop Header: Depth=2
	v_add_u32_e32 v4, v4, v1
	v_cmp_gt_u32_e32 vcc, s60, v4
	s_waitcnt lgkmcnt(0)
	v_mov_b32_e32 v15, 0
	v_mov_b32_e32 v13, 0
	s_and_saveexec_b64 s[6:7], vcc
	s_cbranch_execz .LBB19_24
; %bb.23:                               ;   in Loop: Header=BB19_22 Depth=2
	v_lshlrev_b64 v[16:17], 2, v[6:7]
	v_add_co_u32_e32 v16, vcc, s64, v16
	v_addc_co_u32_e32 v17, vcc, v22, v17, vcc
	global_load_dword v13, v[16:17], off
.LBB19_24:                              ;   in Loop: Header=BB19_22 Depth=2
	s_or_b64 exec, exec, s[6:7]
	s_waitcnt vmcnt(0)
	v_xor_b32_e32 v16, 0x80000000, v3
	v_and_b32_e32 v16, v16, v38
	v_cmp_eq_u32_e32 vcc, v16, v30
	s_cmp_lg_u64 vcc, 0
	s_cselect_b64 s[0:1], -1, 0
	s_and_b64 s[0:1], s[2:3], s[0:1]
	s_and_saveexec_b64 s[24:25], s[0:1]
	s_cbranch_execz .LBB19_28
; %bb.25:                               ;   in Loop: Header=BB19_22 Depth=2
	s_mov_b64 s[28:29], exec
	v_mbcnt_lo_u32_b32 v15, s28, 0
	v_mbcnt_hi_u32_b32 v15, s29, v15
	s_bcnt1_i32_b64 s0, vcc
	v_cmp_eq_u32_e64 s[6:7], 0, v15
                                        ; implicit-def: $vgpr16
	s_and_saveexec_b64 s[26:27], s[6:7]
; %bb.26:                               ;   in Loop: Header=BB19_22 Depth=2
	s_bcnt1_i32_b64 s1, s[28:29]
	s_mul_i32 s1, s0, s1
	v_mov_b32_e32 v16, s1
	ds_add_rtn_u32 v16, v7, v16 offset:4104
; %bb.27:                               ;   in Loop: Header=BB19_22 Depth=2
	s_or_b64 exec, exec, s[26:27]
	s_waitcnt lgkmcnt(0)
	v_readfirstlane_b32 s1, v16
	v_mov_b32_e32 v16, s1
	v_mad_u32_u24 v15, s0, v15, v16
.LBB19_28:                              ;   in Loop: Header=BB19_22 Depth=2
	s_or_b64 exec, exec, s[24:25]
	ds_bpermute_b32 v15, v23, v15
	s_and_saveexec_b64 s[6:7], vcc
	s_cbranch_execz .LBB19_21
; %bb.29:                               ;   in Loop: Header=BB19_22 Depth=2
	v_and_b32_e32 v17, vcc_lo, v25
	v_and_b32_e32 v16, vcc_hi, v24
	v_bcnt_u32_b32 v17, v17, 0
	v_bcnt_u32_b32 v16, v16, v17
	v_lshlrev_b32_e32 v16, 2, v16
	s_waitcnt lgkmcnt(0)
	v_lshl_add_u32 v15, v15, 2, v16
	ds_write_b32 v15, v3
	s_branch .LBB19_21
.LBB19_30:                              ;   in Loop: Header=BB19_16 Depth=1
	s_mov_b64 s[8:9], -1
	s_mov_b64 s[6:7], 0
.LBB19_31:                              ;   in Loop: Header=BB19_16 Depth=1
	s_and_b64 vcc, exec, s[8:9]
	s_cbranch_vccz .LBB19_42
.LBB19_32:                              ;   in Loop: Header=BB19_16 Depth=1
	v_mov_b32_e32 v1, 0
	s_mov_b64 s[6:7], exec
	v_readlane_b32 s0, v48, 11
	v_readlane_b32 s1, v48, 12
	s_and_b64 s[0:1], s[6:7], s[0:1]
	s_mov_b64 exec, s[0:1]
	s_cbranch_execz .LBB19_34
; %bb.33:                               ;   in Loop: Header=BB19_16 Depth=1
	global_load_dword v1, v[8:9], off
.LBB19_34:                              ;   in Loop: Header=BB19_16 Depth=1
	s_or_b64 exec, exec, s[6:7]
	s_mov_b64 s[6:7], exec
	v_readlane_b32 s0, v48, 13
	v_readlane_b32 s1, v48, 14
	s_and_b64 s[0:1], s[6:7], s[0:1]
	s_mov_b64 exec, s[0:1]
	s_cbranch_execz .LBB19_39
; %bb.35:                               ;   in Loop: Header=BB19_16 Depth=1
	v_readlane_b32 s0, v48, 15
	v_readlane_b32 s1, v48, 16
	s_mov_b64 s[8:9], 0
	v_mov_b32_e32 v13, v19
	v_mov_b32_e32 v15, v0
	s_nop 1
	global_load_ushort v2, v7, s[0:1]
	s_waitcnt vmcnt(0)
	v_add_u32_e32 v4, v0, v2
	v_mul_lo_u32 v6, s63, v4
	v_mul_lo_u32 v4, s63, v2
	v_lshlrev_b32_e32 v3, 2, v2
	s_branch .LBB19_37
.LBB19_36:                              ;   in Loop: Header=BB19_37 Depth=2
	s_or_b64 exec, exec, s[20:21]
	v_cmp_le_i32_e32 vcc, s60, v15
	ds_write_b32 v13, v1
	v_add_u32_e32 v13, v13, v3
	v_add_u32_e32 v6, v6, v4
	s_or_b64 s[8:9], vcc, s[8:9]
	s_waitcnt vmcnt(0)
	v_mov_b32_e32 v1, v16
	s_andn2_b64 exec, exec, s[8:9]
	s_cbranch_execz .LBB19_39
.LBB19_37:                              ;   Parent Loop BB19_16 Depth=1
                                        ; =>  This Inner Loop Header: Depth=2
	v_add_u32_e32 v15, v15, v2
	v_cmp_gt_u32_e32 vcc, s60, v15
	v_mov_b32_e32 v16, 0
	s_and_saveexec_b64 s[20:21], vcc
	s_cbranch_execz .LBB19_36
; %bb.38:                               ;   in Loop: Header=BB19_37 Depth=2
	v_lshlrev_b64 v[16:17], 2, v[6:7]
	v_mov_b32_e32 v18, s78
	v_add_co_u32_e32 v16, vcc, s64, v16
	v_addc_co_u32_e32 v17, vcc, v18, v17, vcc
	global_load_dword v16, v[16:17], off
	s_branch .LBB19_36
.LBB19_39:                              ;   in Loop: Header=BB19_16 Depth=1
	s_or_b64 exec, exec, s[6:7]
	s_waitcnt vmcnt(0) lgkmcnt(0)
	s_barrier
	s_mov_b64 s[6:7], exec
	v_readlane_b32 s0, v48, 5
	v_readlane_b32 s1, v48, 6
	s_and_b64 s[0:1], s[6:7], s[0:1]
	s_mov_b64 exec, s[0:1]
; %bb.40:                               ;   in Loop: Header=BB19_16 Depth=1
	v_mov_b32_e32 v1, s60
	ds_write_b32 v7, v1 offset:4096
; %bb.41:                               ;   in Loop: Header=BB19_16 Depth=1
	s_or_b64 exec, exec, s[6:7]
	s_mov_b64 s[6:7], -1
	s_waitcnt lgkmcnt(0)
	s_barrier
.LBB19_42:                              ;   in Loop: Header=BB19_16 Depth=1
	s_and_b64 vcc, exec, s[6:7]
	s_cbranch_vccz .LBB19_44
; %bb.43:                               ;   in Loop: Header=BB19_16 Depth=1
	ds_read_b32 v1, v7 offset:4096
	s_waitcnt lgkmcnt(0)
	v_readfirstlane_b32 s19, v1
.LBB19_44:                              ;   in Loop: Header=BB19_16 Depth=1
	s_cmp_lt_i32 s19, 1
	s_mov_b64 s[6:7], -1
                                        ; implicit-def: $vgpr4
	s_cbranch_scc1 .LBB19_54
; %bb.45:                               ;   in Loop: Header=BB19_16 Depth=1
	s_and_b64 vcc, exec, s[6:7]
	s_cbranch_vccnz .LBB19_67
.LBB19_46:                              ;   in Loop: Header=BB19_16 Depth=1
	v_lshlrev_b32_e32 v6, 6, v37
	s_and_saveexec_b64 s[6:7], s[2:3]
	s_cbranch_execz .LBB19_48
.LBB19_47:                              ;   in Loop: Header=BB19_16 Depth=1
	s_waitcnt vmcnt(0)
	v_lshl_add_u32 v13, v6, 2, v26
	ds_write_b128 v13, v[1:4]
.LBB19_48:                              ;   in Loop: Header=BB19_16 Depth=1
	s_or_b64 exec, exec, s[6:7]
	s_waitcnt vmcnt(0) lgkmcnt(0)
	s_barrier
	s_and_saveexec_b64 s[6:7], s[72:73]
	s_cbranch_execz .LBB19_84
; %bb.49:                               ;   in Loop: Header=BB19_16 Depth=1
	s_andn2_b64 vcc, exec, s[76:77]
	v_mov_b32_e32 v1, 0
	s_cbranch_vccnz .LBB19_83
; %bb.50:                               ;   in Loop: Header=BB19_16 Depth=1
	v_readlane_b32 s0, v48, 17
	v_readlane_b32 s1, v48, 18
	s_andn2_b64 vcc, exec, s[0:1]
	s_cbranch_vccnz .LBB19_79
; %bb.51:                               ;   in Loop: Header=BB19_16 Depth=1
	v_lshl_add_u32 v2, v37, 8, v35
	s_mov_b32 s0, 0
	v_mov_b32_e32 v1, 0
.LBB19_52:                              ;   Parent Loop BB19_16 Depth=1
                                        ; =>  This Inner Loop Header: Depth=2
	ds_read2_b32 v[3:4], v2 offset1:4
	ds_read2_b32 v[15:16], v2 offset0:8 offset1:12
	ds_read2_b32 v[17:18], v2 offset0:16 offset1:20
	;; [unrolled: 1-line block ×3, first 2 shown]
	s_add_i32 s0, s0, 8
	s_waitcnt lgkmcnt(3)
	v_add3_u32 v1, v3, v1, v4
	s_waitcnt lgkmcnt(2)
	v_add3_u32 v1, v15, v1, v16
	;; [unrolled: 2-line block ×3, first 2 shown]
	v_add_u32_e32 v2, 0x80, v2
	s_cmp_eq_u32 s82, s0
	s_waitcnt lgkmcnt(0)
	v_add3_u32 v1, v40, v1, v41
	s_cbranch_scc0 .LBB19_52
; %bb.53:                               ;   in Loop: Header=BB19_16 Depth=1
	s_mov_b32 s0, s82
	s_branch .LBB19_80
.LBB19_54:                              ;   in Loop: Header=BB19_16 Depth=1
	v_mov_b32_e32 v1, 0
	v_mov_b32_e32 v2, 0
	;; [unrolled: 1-line block ×4, first 2 shown]
	s_and_saveexec_b64 s[70:71], s[10:11]
	s_cbranch_execnz .LBB19_57
; %bb.55:                               ;   in Loop: Header=BB19_16 Depth=1
	s_or_b64 exec, exec, s[70:71]
	v_mov_b32_e32 v13, 0
	s_and_saveexec_b64 s[6:7], s[12:13]
	s_cbranch_execnz .LBB19_60
.LBB19_56:                              ;   in Loop: Header=BB19_16 Depth=1
	s_or_b64 exec, exec, s[6:7]
	s_and_saveexec_b64 s[8:9], s[14:15]
	s_cbranch_execnz .LBB19_61
	s_branch .LBB19_66
.LBB19_57:                              ;   in Loop: Header=BB19_16 Depth=1
	s_mov_b32 s61, 0
	s_mov_b64 s[8:9], 0
	s_mov_b32 s0, 0
	s_mov_b32 s1, 0
	;; [unrolled: 1-line block ×4, first 2 shown]
	v_mov_b32_e32 v6, v19
.LBB19_58:                              ;   Parent Loop BB19_16 Depth=1
                                        ; =>  This Inner Loop Header: Depth=2
	v_add_u32_e32 v1, s61, v32
	v_ashrrev_i32_e32 v2, 31, v1
	v_add_u32_e32 v3, s61, v28
	v_lshlrev_b64 v[1:2], 2, v[1:2]
	v_ashrrev_i32_e32 v4, 31, v3
	v_mov_b32_e32 v13, s78
	v_add_u32_e32 v15, s61, v29
	v_lshlrev_b64 v[3:4], 2, v[3:4]
	v_add_co_u32_e64 v1, s[6:7], s64, v1
	v_ashrrev_i32_e32 v16, 31, v15
	v_addc_co_u32_e64 v2, s[6:7], v13, v2, s[6:7]
	v_add_u32_e32 v17, s61, v31
	v_lshlrev_b64 v[15:16], 2, v[15:16]
	v_add_co_u32_e64 v3, s[6:7], s64, v3
	v_ashrrev_i32_e32 v18, 31, v17
	v_addc_co_u32_e64 v4, s[6:7], v13, v4, s[6:7]
	v_lshlrev_b64 v[17:18], 2, v[17:18]
	v_add_co_u32_e64 v15, s[6:7], s64, v15
	v_addc_co_u32_e64 v16, s[6:7], v13, v16, s[6:7]
	v_add_co_u32_e64 v17, s[6:7], s64, v17
	v_addc_co_u32_e64 v18, s[6:7], v13, v18, s[6:7]
	global_load_dword v1, v[1:2], off
	s_nop 0
	global_load_dword v2, v[3:4], off
	s_nop 0
	global_load_dword v3, v[15:16], off
	global_load_dword v4, v[17:18], off
	v_add_u32_e32 v6, s79, v6
	s_add_i32 s61, s61, s17
	v_cmp_le_i32_e32 vcc, s16, v6
	s_waitcnt vmcnt(3)
	v_xor_b32_e32 v1, 0x80000000, v1
	s_waitcnt vmcnt(2)
	v_xor_b32_e32 v2, 0x80000000, v2
	v_and_b32_e32 v13, v1, v38
	v_bfe_u32 v1, v1, v36, 2
	s_waitcnt vmcnt(1)
	v_xor_b32_e32 v3, 0x80000000, v3
	v_and_b32_e32 v15, v2, v38
	v_bfe_u32 v2, v2, v36, 2
	v_cmp_eq_u32_e64 s[6:7], v13, v30
	v_cmp_eq_u32_e64 s[26:27], 0, v1
	s_waitcnt vmcnt(0)
	v_xor_b32_e32 v4, 0x80000000, v4
	v_and_b32_e32 v16, v3, v38
	v_bfe_u32 v3, v3, v36, 2
	v_cmp_eq_u32_e64 s[20:21], v15, v30
	v_cmp_eq_u32_e64 s[28:29], 0, v2
	s_and_b64 s[26:27], s[6:7], s[26:27]
	v_and_b32_e32 v17, v4, v38
	v_bfe_u32 v4, v4, v36, 2
	v_cmp_eq_u32_e64 s[22:23], v16, v30
	v_cmp_eq_u32_e64 s[30:31], 0, v3
	;; [unrolled: 1-line block ×5, first 2 shown]
	v_cndmask_b32_e64 v1, 0, 1, s[26:27]
	s_and_b64 s[26:27], s[20:21], s[28:29]
	v_cmp_eq_u32_e64 s[24:25], v17, v30
	v_cmp_eq_u32_e64 s[34:35], 0, v4
	;; [unrolled: 1-line block ×5, first 2 shown]
	v_cndmask_b32_e64 v2, 0, 1, s[26:27]
	s_and_b64 s[26:27], s[22:23], s[30:31]
	v_cmp_eq_u32_e64 s[40:41], 1, v3
	v_cmp_eq_u32_e64 s[48:49], 2, v3
	;; [unrolled: 1-line block ×3, first 2 shown]
	v_cndmask_b32_e64 v3, 0, 1, s[26:27]
	s_and_b64 s[26:27], s[24:25], s[34:35]
	v_cmp_eq_u32_e64 s[42:43], 1, v4
	v_cmp_eq_u32_e64 s[50:51], 2, v4
	;; [unrolled: 1-line block ×3, first 2 shown]
	v_cndmask_b32_e64 v4, 0, 1, s[26:27]
	s_and_b64 s[26:27], s[6:7], s[36:37]
	v_cndmask_b32_e64 v13, 0, 1, s[26:27]
	s_and_b64 s[26:27], s[20:21], s[38:39]
	;; [unrolled: 2-line block ×5, first 2 shown]
	s_and_b64 s[6:7], s[6:7], s[52:53]
	v_cndmask_b32_e64 v18, 0, 1, s[26:27]
	s_and_b64 s[26:27], s[20:21], s[46:47]
	v_cndmask_b32_e64 v43, 0, 1, s[6:7]
	;; [unrolled: 2-line block ×7, first 2 shown]
	v_cndmask_b32_e64 v46, 0, 1, s[6:7]
	v_cmp_ne_u32_e64 s[6:7], 0, v1
	v_cmp_ne_u32_e64 s[20:21], 0, v2
	;; [unrolled: 1-line block ×11, first 2 shown]
	s_bcnt1_i32_b64 s6, s[6:7]
	s_bcnt1_i32_b64 s7, s[20:21]
	;; [unrolled: 1-line block ×8, first 2 shown]
	v_cmp_ne_u32_e64 s[34:35], 0, v17
	v_cmp_ne_u32_e64 s[40:41], 0, v41
	;; [unrolled: 1-line block ×3, first 2 shown]
	s_bcnt1_i32_b64 s23, s[28:29]
	s_bcnt1_i32_b64 s27, s[38:39]
	;; [unrolled: 1-line block ×3, first 2 shown]
	s_add_i32 s6, s75, s6
	s_add_i32 s22, s74, s22
	;; [unrolled: 1-line block ×4, first 2 shown]
	v_cmp_ne_u32_e64 s[42:43], 0, v42
	v_cmp_ne_u32_e64 s[50:51], 0, v46
	s_bcnt1_i32_b64 s25, s[34:35]
	s_bcnt1_i32_b64 s28, s[40:41]
	;; [unrolled: 1-line block ×3, first 2 shown]
	s_add_i32 s6, s6, s7
	s_add_i32 s7, s22, s23
	;; [unrolled: 1-line block ×4, first 2 shown]
	s_bcnt1_i32_b64 s29, s[42:43]
	s_bcnt1_i32_b64 s35, s[50:51]
	s_add_i32 s6, s6, s20
	s_add_i32 s7, s7, s24
	;; [unrolled: 1-line block ×8, first 2 shown]
	s_or_b64 s[8:9], vcc, s[8:9]
	v_mov_b32_e32 v1, s75
	v_mov_b32_e32 v2, s74
	;; [unrolled: 1-line block ×4, first 2 shown]
	s_andn2_b64 exec, exec, s[8:9]
	s_cbranch_execnz .LBB19_58
; %bb.59:                               ;   in Loop: Header=BB19_16 Depth=1
	s_or_b64 exec, exec, s[8:9]
	s_or_b64 exec, exec, s[70:71]
	v_mov_b32_e32 v13, 0
	s_and_saveexec_b64 s[6:7], s[12:13]
	s_cbranch_execz .LBB19_56
.LBB19_60:                              ;   in Loop: Header=BB19_16 Depth=1
	global_load_dword v13, v[10:11], off
	s_or_b64 exec, exec, s[6:7]
	s_and_saveexec_b64 s[8:9], s[14:15]
	s_cbranch_execz .LBB19_66
.LBB19_61:                              ;   in Loop: Header=BB19_16 Depth=1
	s_mov_b64 s[20:21], 0
	v_mov_b32_e32 v15, v33
	v_mov_b32_e32 v6, v27
	s_branch .LBB19_63
.LBB19_62:                              ;   in Loop: Header=BB19_63 Depth=2
	s_or_b64 exec, exec, s[6:7]
	s_waitcnt vmcnt(0)
	v_xor_b32_e32 v13, 0x80000000, v13
	v_and_b32_e32 v17, v13, v38
	v_bfe_u32 v13, v13, v36, 2
	v_cmp_eq_u32_e32 vcc, v17, v30
	v_cmp_eq_u32_e64 s[6:7], 0, v13
	s_and_b64 s[0:1], vcc, s[6:7]
	v_cndmask_b32_e64 v17, 0, 1, s[0:1]
	v_cmp_ne_u32_e64 s[6:7], 0, v17
	s_bcnt1_i32_b64 s0, s[6:7]
	v_cmp_eq_u32_e64 s[6:7], 1, v13
	v_add_u32_e32 v1, s0, v1
	s_and_b64 s[0:1], vcc, s[6:7]
	v_cndmask_b32_e64 v17, 0, 1, s[0:1]
	v_cmp_ne_u32_e64 s[6:7], 0, v17
	s_bcnt1_i32_b64 s0, s[6:7]
	v_cmp_eq_u32_e64 s[6:7], 2, v13
	v_add_u32_e32 v2, s0, v2
	;; [unrolled: 6-line block ×3, first 2 shown]
	s_and_b64 s[0:1], vcc, s[6:7]
	v_cndmask_b32_e64 v13, 0, 1, s[0:1]
	v_cmp_ne_u32_e32 vcc, 0, v13
	s_bcnt1_i32_b64 s0, vcc
	v_cmp_le_i32_e32 vcc, s60, v6
	v_add_u32_e32 v4, s0, v4
	v_add_u32_e32 v15, s80, v15
	s_or_b64 s[20:21], vcc, s[20:21]
	v_mov_b32_e32 v13, v16
	s_andn2_b64 exec, exec, s[20:21]
	s_cbranch_execz .LBB19_65
.LBB19_63:                              ;   Parent Loop BB19_16 Depth=1
                                        ; =>  This Inner Loop Header: Depth=2
	v_add_u32_e32 v6, s66, v6
	v_cmp_gt_u32_e32 vcc, s60, v6
	v_mov_b32_e32 v16, 0
	s_and_saveexec_b64 s[6:7], vcc
	s_cbranch_execz .LBB19_62
; %bb.64:                               ;   in Loop: Header=BB19_63 Depth=2
	v_ashrrev_i32_e32 v16, 31, v15
	v_lshlrev_b64 v[16:17], 2, v[15:16]
	v_mov_b32_e32 v18, s78
	v_add_co_u32_e32 v16, vcc, s64, v16
	v_addc_co_u32_e32 v17, vcc, v18, v17, vcc
	global_load_dword v16, v[16:17], off
	s_branch .LBB19_62
.LBB19_65:                              ;   in Loop: Header=BB19_16 Depth=1
	s_or_b64 exec, exec, s[20:21]
.LBB19_66:                              ;   in Loop: Header=BB19_16 Depth=1
	s_or_b64 exec, exec, s[8:9]
	s_branch .LBB19_46
.LBB19_67:                              ;   in Loop: Header=BB19_16 Depth=1
	s_mul_hi_u32 s0, s19, s83
	s_mul_i32 s0, s0, s79
	s_sub_i32 s0, s19, s0
	s_sub_i32 s1, s0, s79
	s_cmp_ge_u32 s0, s79
	s_cselect_b32 s0, s1, s0
	s_sub_i32 s1, s0, s79
	s_cmp_ge_u32 s0, s79
	s_cselect_b32 s0, s1, s0
	s_sub_i32 s0, s19, s0
	v_cmp_gt_u32_e32 vcc, s0, v19
	v_mov_b32_e32 v1, 0
	v_mov_b32_e32 v2, 0
	;; [unrolled: 1-line block ×4, first 2 shown]
	s_and_saveexec_b64 s[8:9], vcc
	s_cbranch_execz .LBB19_71
; %bb.68:                               ;   in Loop: Header=BB19_16 Depth=1
	s_mov_b32 s1, 0
	s_mov_b64 s[70:71], 0
	v_mov_b32_e32 v6, v34
	s_mov_b32 s61, 0
	s_mov_b32 s74, 0
	;; [unrolled: 1-line block ×3, first 2 shown]
	s_waitcnt vmcnt(0)
	v_mov_b32_e32 v13, v19
.LBB19_69:                              ;   Parent Loop BB19_16 Depth=1
                                        ; =>  This Inner Loop Header: Depth=2
	ds_read_b128 v[1:4], v6
	v_add_u32_e32 v13, s79, v13
	v_cmp_le_i32_e32 vcc, s0, v13
	v_add_u32_e32 v6, s18, v6
	s_waitcnt lgkmcnt(0)
	v_xor_b32_e32 v1, 0x80000000, v1
	v_xor_b32_e32 v2, 0x80000000, v2
	v_and_b32_e32 v15, v1, v38
	v_bfe_u32 v1, v1, v36, 2
	v_xor_b32_e32 v3, 0x80000000, v3
	v_and_b32_e32 v16, v2, v38
	v_bfe_u32 v2, v2, v36, 2
	v_cmp_eq_u32_e64 s[6:7], v15, v30
	v_cmp_eq_u32_e64 s[26:27], 0, v1
	v_xor_b32_e32 v4, 0x80000000, v4
	v_and_b32_e32 v17, v3, v38
	v_bfe_u32 v3, v3, v36, 2
	v_cmp_eq_u32_e64 s[20:21], v16, v30
	v_cmp_eq_u32_e64 s[28:29], 0, v2
	s_and_b64 s[26:27], s[6:7], s[26:27]
	v_and_b32_e32 v18, v4, v38
	v_bfe_u32 v4, v4, v36, 2
	v_cmp_eq_u32_e64 s[22:23], v17, v30
	v_cmp_eq_u32_e64 s[30:31], 0, v3
	;; [unrolled: 1-line block ×5, first 2 shown]
	v_cndmask_b32_e64 v1, 0, 1, s[26:27]
	s_and_b64 s[26:27], s[20:21], s[28:29]
	v_cmp_eq_u32_e64 s[24:25], v18, v30
	v_cmp_eq_u32_e64 s[34:35], 0, v4
	;; [unrolled: 1-line block ×5, first 2 shown]
	v_cndmask_b32_e64 v2, 0, 1, s[26:27]
	s_and_b64 s[26:27], s[22:23], s[30:31]
	v_cmp_eq_u32_e64 s[40:41], 1, v3
	v_cmp_eq_u32_e64 s[48:49], 2, v3
	;; [unrolled: 1-line block ×3, first 2 shown]
	v_cndmask_b32_e64 v3, 0, 1, s[26:27]
	s_and_b64 s[26:27], s[24:25], s[34:35]
	v_cmp_eq_u32_e64 s[42:43], 1, v4
	v_cmp_eq_u32_e64 s[50:51], 2, v4
	;; [unrolled: 1-line block ×3, first 2 shown]
	v_cndmask_b32_e64 v4, 0, 1, s[26:27]
	s_and_b64 s[26:27], s[6:7], s[36:37]
	v_cndmask_b32_e64 v15, 0, 1, s[26:27]
	s_and_b64 s[26:27], s[20:21], s[38:39]
	v_cndmask_b32_e64 v16, 0, 1, s[26:27]
	s_and_b64 s[26:27], s[22:23], s[40:41]
	v_cndmask_b32_e64 v17, 0, 1, s[26:27]
	s_and_b64 s[26:27], s[24:25], s[42:43]
	v_cndmask_b32_e64 v18, 0, 1, s[26:27]
	s_and_b64 s[26:27], s[6:7], s[44:45]
	s_and_b64 s[6:7], s[6:7], s[52:53]
	v_cndmask_b32_e64 v40, 0, 1, s[26:27]
	s_and_b64 s[26:27], s[20:21], s[46:47]
	v_cndmask_b32_e64 v44, 0, 1, s[6:7]
	s_and_b64 s[6:7], s[20:21], s[54:55]
	v_cndmask_b32_e64 v41, 0, 1, s[26:27]
	s_and_b64 s[26:27], s[22:23], s[48:49]
	v_cndmask_b32_e64 v45, 0, 1, s[6:7]
	s_and_b64 s[6:7], s[22:23], s[56:57]
	v_cndmask_b32_e64 v42, 0, 1, s[26:27]
	s_and_b64 s[26:27], s[24:25], s[50:51]
	v_cndmask_b32_e64 v46, 0, 1, s[6:7]
	s_and_b64 s[6:7], s[24:25], s[58:59]
	v_cndmask_b32_e64 v43, 0, 1, s[26:27]
	v_cndmask_b32_e64 v47, 0, 1, s[6:7]
	v_cmp_ne_u32_e64 s[6:7], 0, v1
	v_cmp_ne_u32_e64 s[20:21], 0, v2
	;; [unrolled: 1-line block ×11, first 2 shown]
	s_bcnt1_i32_b64 s6, s[6:7]
	s_bcnt1_i32_b64 s7, s[20:21]
	;; [unrolled: 1-line block ×8, first 2 shown]
	v_cmp_ne_u32_e64 s[34:35], 0, v18
	v_cmp_ne_u32_e64 s[40:41], 0, v42
	;; [unrolled: 1-line block ×3, first 2 shown]
	s_bcnt1_i32_b64 s23, s[28:29]
	s_bcnt1_i32_b64 s27, s[38:39]
	;; [unrolled: 1-line block ×3, first 2 shown]
	s_add_i32 s6, s75, s6
	s_add_i32 s22, s74, s22
	;; [unrolled: 1-line block ×4, first 2 shown]
	v_cmp_ne_u32_e64 s[42:43], 0, v43
	v_cmp_ne_u32_e64 s[50:51], 0, v47
	s_bcnt1_i32_b64 s25, s[34:35]
	s_bcnt1_i32_b64 s28, s[40:41]
	;; [unrolled: 1-line block ×3, first 2 shown]
	s_add_i32 s6, s6, s7
	s_add_i32 s7, s22, s23
	;; [unrolled: 1-line block ×4, first 2 shown]
	s_bcnt1_i32_b64 s29, s[42:43]
	s_bcnt1_i32_b64 s35, s[50:51]
	s_add_i32 s6, s6, s20
	s_add_i32 s7, s7, s24
	;; [unrolled: 1-line block ×8, first 2 shown]
	s_or_b64 s[70:71], vcc, s[70:71]
	v_mov_b32_e32 v1, s75
	v_mov_b32_e32 v2, s74
	;; [unrolled: 1-line block ×4, first 2 shown]
	s_andn2_b64 exec, exec, s[70:71]
	s_cbranch_execnz .LBB19_69
; %bb.70:                               ;   in Loop: Header=BB19_16 Depth=1
	s_or_b64 exec, exec, s[70:71]
.LBB19_71:                              ;   in Loop: Header=BB19_16 Depth=1
	s_or_b64 exec, exec, s[8:9]
	v_add_u32_e32 v6, s0, v0
	v_cmp_gt_i32_e32 vcc, s19, v6
	s_and_saveexec_b64 s[8:9], vcc
	s_cbranch_execz .LBB19_75
; %bb.72:                               ;   in Loop: Header=BB19_16 Depth=1
	s_waitcnt vmcnt(0)
	v_lshlrev_b32_e32 v13, 2, v6
	s_mov_b64 s[28:29], 0
.LBB19_73:                              ;   Parent Loop BB19_16 Depth=1
                                        ; =>  This Inner Loop Header: Depth=2
	ds_read_b32 v15, v13
	v_add_u32_e32 v6, s66, v6
	v_cmp_le_i32_e32 vcc, s19, v6
	v_add_u32_e32 v13, s79, v13
	s_waitcnt lgkmcnt(0)
	v_xor_b32_e32 v15, 0x80000000, v15
	v_and_b32_e32 v16, v15, v38
	v_bfe_u32 v15, v15, v36, 2
	v_cmp_eq_u32_e64 s[6:7], v16, v30
	v_cmp_eq_u32_e64 s[20:21], 0, v15
	v_cmp_eq_u32_e64 s[22:23], 1, v15
	s_and_b64 s[0:1], s[6:7], s[20:21]
	v_cmp_eq_u32_e64 s[24:25], 2, v15
	v_cmp_eq_u32_e64 s[26:27], 3, v15
	v_cndmask_b32_e64 v15, 0, 1, s[0:1]
	s_and_b64 s[0:1], s[6:7], s[22:23]
	v_cndmask_b32_e64 v16, 0, 1, s[0:1]
	s_and_b64 s[0:1], s[6:7], s[24:25]
	;; [unrolled: 2-line block ×3, first 2 shown]
	v_cndmask_b32_e64 v18, 0, 1, s[0:1]
	v_cmp_ne_u32_e64 s[6:7], 0, v15
	v_cmp_ne_u32_e64 s[20:21], 0, v16
	v_cmp_ne_u32_e64 s[22:23], 0, v17
	v_cmp_ne_u32_e64 s[24:25], 0, v18
	s_bcnt1_i32_b64 s0, s[6:7]
	s_bcnt1_i32_b64 s1, s[20:21]
	;; [unrolled: 1-line block ×4, first 2 shown]
	v_add_u32_e32 v1, s0, v1
	v_add_u32_e32 v2, s1, v2
	;; [unrolled: 1-line block ×3, first 2 shown]
	s_or_b64 s[28:29], vcc, s[28:29]
	v_add_u32_e32 v4, s7, v4
	s_andn2_b64 exec, exec, s[28:29]
	s_cbranch_execnz .LBB19_73
; %bb.74:                               ;   in Loop: Header=BB19_16 Depth=1
	s_or_b64 exec, exec, s[28:29]
.LBB19_75:                              ;   in Loop: Header=BB19_16 Depth=1
	s_or_b64 exec, exec, s[8:9]
	v_lshlrev_b32_e32 v6, 6, v37
	s_and_saveexec_b64 s[6:7], s[2:3]
	s_cbranch_execnz .LBB19_47
	s_branch .LBB19_48
.LBB19_76:                              ;   in Loop: Header=BB19_16 Depth=1
	s_or_b64 exec, exec, s[20:21]
	s_waitcnt lgkmcnt(0)
	s_barrier
	s_mov_b64 s[6:7], exec
	v_readlane_b32 s0, v48, 5
	v_readlane_b32 s1, v48, 6
	s_and_b64 s[0:1], s[6:7], s[0:1]
	s_mov_b64 exec, s[0:1]
	s_cbranch_execz .LBB19_78
; %bb.77:                               ;   in Loop: Header=BB19_16 Depth=1
	ds_read_b32 v1, v7 offset:4104
	s_waitcnt lgkmcnt(0)
	ds_write_b32 v7, v1 offset:4096
.LBB19_78:                              ;   in Loop: Header=BB19_16 Depth=1
	s_or_b64 exec, exec, s[6:7]
	s_waitcnt lgkmcnt(0)
	s_barrier
	s_mov_b64 s[6:7], -1
	s_and_b64 vcc, exec, s[8:9]
	s_cbranch_vccnz .LBB19_32
	s_branch .LBB19_42
.LBB19_79:                              ;   in Loop: Header=BB19_16 Depth=1
	v_mov_b32_e32 v1, 0
	s_mov_b32 s0, 0
.LBB19_80:                              ;   in Loop: Header=BB19_16 Depth=1
	v_readlane_b32 s8, v48, 20
	v_readlane_b32 s9, v48, 21
	s_andn2_b64 vcc, exec, s[8:9]
	s_cbranch_vccnz .LBB19_83
; %bb.81:                               ;   in Loop: Header=BB19_16 Depth=1
	v_lshlrev_b32_e32 v2, 8, v37
	s_lshl_b32 s0, s0, 4
	v_add_u32_e32 v2, s0, v2
	v_add_u32_e32 v2, v35, v2
	v_readlane_b32 s0, v48, 19
.LBB19_82:                              ;   Parent Loop BB19_16 Depth=1
                                        ; =>  This Inner Loop Header: Depth=2
	ds_read_b32 v3, v2
	s_add_i32 s0, s0, -1
	v_add_u32_e32 v2, 16, v2
	s_cmp_lg_u32 s0, 0
	s_waitcnt lgkmcnt(0)
	v_add_u32_e32 v1, v3, v1
	s_cbranch_scc1 .LBB19_82
.LBB19_83:                              ;   in Loop: Header=BB19_16 Depth=1
	v_add_lshl_u32 v2, v6, v20, 2
	ds_write_b32 v2, v1 offset:3072
.LBB19_84:                              ;   in Loop: Header=BB19_16 Depth=1
	s_or_b64 exec, exec, s[6:7]
	v_lshlrev_b32_e32 v1, 2, v6
	s_waitcnt lgkmcnt(0)
	s_barrier
	ds_read_b128 v[1:4], v1 offset:3072
	v_cmp_eq_u32_e32 vcc, 1, v39
	s_mov_b64 s[20:21], -1
	s_mov_b64 s[26:27], -1
                                        ; implicit-def: $sgpr24_sgpr25
                                        ; implicit-def: $sgpr22_sgpr23
	s_waitcnt lgkmcnt(0)
	v_readfirstlane_b32 s40, v1
	s_cmp_eq_u32 s40, 1
	v_readfirstlane_b32 s52, v3
	v_lshlrev_b32_e64 v3, v36, 3
	s_cselect_b64 s[0:1], -1, 0
	v_readfirstlane_b32 s44, v2
	v_readfirstlane_b32 s19, v4
	v_not_b32_e32 v6, v3
	s_and_b64 s[8:9], s[0:1], vcc
	s_and_saveexec_b64 s[6:7], s[8:9]
	s_cbranch_execz .LBB19_110
; %bb.85:                               ;   in Loop: Header=BB19_16 Depth=1
	ds_read_b32 v1, v7 offset:4096
	s_waitcnt lgkmcnt(0)
	s_barrier
	v_readfirstlane_b32 s0, v1
	s_and_saveexec_b64 s[22:23], s[4:5]
; %bb.86:                               ;   in Loop: Header=BB19_16 Depth=1
	ds_write_b32 v21, v7
; %bb.87:                               ;   in Loop: Header=BB19_16 Depth=1
	s_or_b64 exec, exec, s[22:23]
	v_and_b32_e32 v30, v30, v6
	v_or_b32_e32 v38, v38, v3
	s_mov_b64 s[22:23], -1
	s_mov_b64 s[24:25], 0
	s_cmp_lt_i32 s0, 1
	s_mov_b64 s[26:27], 0
	s_mov_b64 s[28:29], -1
	s_waitcnt lgkmcnt(0)
	s_barrier
                                        ; implicit-def: $vgpr14
	s_cbranch_scc0 .LBB19_98
; %bb.88:                               ;   in Loop: Header=BB19_16 Depth=1
	s_mov_b64 s[28:29], 0
                                        ; implicit-def: $vgpr14
	s_mov_b64 s[30:31], exec
	v_readlane_b32 s34, v48, 23
	v_readlane_b32 s35, v48, 24
	s_and_b64 s[34:35], s[30:31], s[34:35]
	s_mov_b64 exec, s[34:35]
	s_cbranch_execz .LBB19_97
; %bb.89:                               ;   in Loop: Header=BB19_16 Depth=1
	v_mov_b32_e32 v1, v5
	v_mov_b32_e32 v4, v0
                                        ; implicit-def: $sgpr34_sgpr35
	s_branch .LBB19_92
.LBB19_90:                              ;   in Loop: Header=BB19_92 Depth=2
	s_or_b64 exec, exec, s[36:37]
	s_waitcnt lgkmcnt(0)
	s_barrier
	ds_read_b64 v[13:14], v7 offset:3072
	s_mov_b64 s[36:37], -1
	s_mov_b64 s[38:39], -1
	s_waitcnt lgkmcnt(0)
	s_barrier
	v_cmp_ne_u32_e32 vcc, 0, v13
	s_cbranch_vccz .LBB19_95
.LBB19_91:                              ;   in Loop: Header=BB19_92 Depth=2
	s_and_b64 s[36:37], exec, s[36:37]
	s_or_b64 s[26:27], s[36:37], s[26:27]
	s_andn2_b64 s[34:35], s[34:35], exec
	s_and_b64 s[36:37], s[38:39], exec
	s_or_b64 s[34:35], s[34:35], s[36:37]
	s_andn2_b64 exec, exec, s[26:27]
	s_cbranch_execz .LBB19_96
.LBB19_92:                              ;   Parent Loop BB19_16 Depth=1
                                        ; =>  This Inner Loop Header: Depth=2
	v_cmp_gt_i32_e32 vcc, s60, v4
	s_and_saveexec_b64 s[36:37], vcc
	s_cbranch_execz .LBB19_90
; %bb.93:                               ;   in Loop: Header=BB19_92 Depth=2
	v_ashrrev_i32_e32 v2, 31, v1
	v_lshlrev_b64 v[13:14], 2, v[1:2]
	v_mov_b32_e32 v2, s78
	v_add_co_u32_e32 v13, vcc, s64, v13
	v_addc_co_u32_e32 v14, vcc, v2, v14, vcc
	global_load_dword v13, v[13:14], off
	s_waitcnt vmcnt(0)
	v_xor_b32_e32 v2, 0x80000000, v13
	v_and_b32_e32 v2, v2, v38
	v_cmp_eq_u32_e32 vcc, v2, v30
	s_and_b64 exec, exec, vcc
	s_cbranch_execz .LBB19_90
; %bb.94:                               ;   in Loop: Header=BB19_92 Depth=2
	ds_write_b64 v7, v[12:13] offset:3072
	s_branch .LBB19_90
.LBB19_95:                              ;   in Loop: Header=BB19_92 Depth=2
	v_add_u32_e32 v4, s66, v4
	v_cmp_le_i32_e32 vcc, s81, v4
	v_add_u32_e32 v1, s80, v1
	s_mov_b64 s[38:39], 0
	s_orn2_b64 s[36:37], vcc, exec
	s_branch .LBB19_91
.LBB19_96:                              ;   in Loop: Header=BB19_16 Depth=1
	s_or_b64 exec, exec, s[26:27]
	s_and_b64 s[26:27], s[34:35], exec
.LBB19_97:                              ;   in Loop: Header=BB19_16 Depth=1
	s_or_b64 exec, exec, s[30:31]
.LBB19_98:                              ;   in Loop: Header=BB19_16 Depth=1
	s_and_b64 vcc, exec, s[28:29]
	s_cbranch_vccz .LBB19_109
; %bb.99:                               ;   in Loop: Header=BB19_16 Depth=1
	v_readlane_b32 s1, v48, 8
	s_add_i32 s1, s0, s1
	s_abs_i32 s23, s1
	v_readlane_b32 s24, v48, 22
	s_mul_hi_u32 s24, s23, s24
	s_mul_i32 s24, s24, s66
	s_sub_i32 s23, s23, s24
	s_ashr_i32 s22, s1, 31
	s_sub_i32 s24, s23, s66
	s_cmp_ge_u32 s23, s66
	s_cselect_b32 s23, s24, s23
	s_sub_i32 s24, s23, s66
	s_cmp_ge_u32 s23, s66
	s_cselect_b32 s23, s24, s23
	s_xor_b32 s23, s23, s22
	s_sub_i32 s22, s22, s23
	s_add_i32 s1, s1, s22
	v_cmp_gt_i32_e32 vcc, s1, v0
                                        ; implicit-def: $vgpr14
	s_and_saveexec_b64 s[22:23], vcc
	s_cbranch_execz .LBB19_108
; %bb.100:                              ;   in Loop: Header=BB19_16 Depth=1
	s_mov_b64 s[24:25], 0
	v_mov_b32_e32 v1, v19
	v_mov_b32_e32 v2, v0
                                        ; implicit-def: $sgpr28_sgpr29
	s_branch .LBB19_103
.LBB19_101:                             ;   in Loop: Header=BB19_103 Depth=2
	s_or_b64 exec, exec, s[30:31]
	s_waitcnt lgkmcnt(0)
	s_barrier
	ds_read_b64 v[13:14], v7 offset:3072
	s_mov_b64 s[30:31], -1
	s_mov_b64 s[34:35], -1
	s_waitcnt lgkmcnt(0)
	s_barrier
	v_cmp_ne_u32_e32 vcc, 0, v13
	s_cbranch_vccz .LBB19_106
.LBB19_102:                             ;   in Loop: Header=BB19_103 Depth=2
	s_and_b64 s[30:31], exec, s[30:31]
	s_or_b64 s[24:25], s[30:31], s[24:25]
	s_andn2_b64 s[28:29], s[28:29], exec
	s_and_b64 s[30:31], s[34:35], exec
	s_or_b64 s[28:29], s[28:29], s[30:31]
	s_andn2_b64 exec, exec, s[24:25]
	s_cbranch_execz .LBB19_107
.LBB19_103:                             ;   Parent Loop BB19_16 Depth=1
                                        ; =>  This Inner Loop Header: Depth=2
	v_cmp_gt_i32_e32 vcc, s0, v2
	s_and_saveexec_b64 s[30:31], vcc
	s_cbranch_execz .LBB19_101
; %bb.104:                              ;   in Loop: Header=BB19_103 Depth=2
	ds_read_b32 v13, v1
	s_waitcnt lgkmcnt(0)
	v_xor_b32_e32 v4, 0x80000000, v13
	v_and_b32_e32 v4, v4, v38
	v_cmp_eq_u32_e32 vcc, v4, v30
	s_and_b64 exec, exec, vcc
	s_cbranch_execz .LBB19_101
; %bb.105:                              ;   in Loop: Header=BB19_103 Depth=2
	ds_write_b64 v7, v[12:13] offset:3072
	s_branch .LBB19_101
.LBB19_106:                             ;   in Loop: Header=BB19_103 Depth=2
	v_add_u32_e32 v2, s66, v2
	v_cmp_le_i32_e32 vcc, s1, v2
	v_add_u32_e32 v1, s79, v1
	s_mov_b64 s[34:35], 0
	s_orn2_b64 s[30:31], vcc, exec
	s_branch .LBB19_102
.LBB19_107:                             ;   in Loop: Header=BB19_16 Depth=1
	s_or_b64 exec, exec, s[24:25]
	s_andn2_b64 s[0:1], s[26:27], exec
	s_and_b64 s[24:25], s[28:29], exec
	s_or_b64 s[26:27], s[0:1], s[24:25]
.LBB19_108:                             ;   in Loop: Header=BB19_16 Depth=1
	s_or_b64 exec, exec, s[22:23]
	s_mov_b64 s[22:23], 0
	s_mov_b64 s[24:25], -1
.LBB19_109:                             ;   in Loop: Header=BB19_16 Depth=1
	s_orn2_b64 s[26:27], s[26:27], exec
.LBB19_110:                             ;   in Loop: Header=BB19_16 Depth=1
	s_or_b64 exec, exec, s[6:7]
	s_andn2_b64 s[0:1], s[68:69], exec
	s_and_b64 s[6:7], s[24:25], exec
	s_or_b64 s[68:69], s[0:1], s[6:7]
	s_andn2_b64 s[0:1], s[94:95], exec
	s_and_b64 s[6:7], s[22:23], exec
	s_andn2_b64 s[92:93], s[92:93], exec
	s_or_b64 s[94:95], s[0:1], s[6:7]
                                        ; implicit-def: $vgpr15
	s_and_saveexec_b64 s[6:7], s[26:27]
	s_cbranch_execz .LBB19_15
; %bb.111:                              ;   in Loop: Header=BB19_16 Depth=1
	s_xor_b64 s[0:1], s[8:9], -1
	s_mov_b64 s[22:23], 0
	v_mov_b32_e32 v15, 1
	v_mov_b32_e32 v4, 1
	s_and_saveexec_b64 s[8:9], s[0:1]
	s_cbranch_execz .LBB19_120
; %bb.112:                              ;   in Loop: Header=BB19_16 Depth=1
	v_cmp_ge_i32_e32 vcc, s40, v39
	s_and_saveexec_b64 s[0:1], vcc
	s_xor_b64 s[20:21], exec, s[0:1]
	s_cbranch_execz .LBB19_117
; %bb.113:                              ;   in Loop: Header=BB19_16 Depth=1
	ds_read_b32 v1, v7 offset:4096
	v_and_b32_e32 v30, v30, v6
	v_or_b32_e32 v38, v38, v3
	s_waitcnt lgkmcnt(0)
	v_cmp_ne_u32_e32 vcc, 0, v1
	s_cbranch_vccnz .LBB19_117
; %bb.114:                              ;   in Loop: Header=BB19_16 Depth=1
	s_mov_b64 s[22:23], exec
	v_readlane_b32 s0, v48, 5
	v_readlane_b32 s1, v48, 6
	s_and_b64 s[0:1], s[22:23], s[0:1]
	s_mov_b64 exec, s[0:1]
; %bb.115:                              ;   in Loop: Header=BB19_16 Depth=1
	v_mov_b32_e32 v1, s40
	ds_write_b32 v7, v1 offset:4100
; %bb.116:                              ;   in Loop: Header=BB19_16 Depth=1
	s_or_b64 exec, exec, s[22:23]
	s_waitcnt lgkmcnt(0)
	s_barrier
.LBB19_117:                             ;   in Loop: Header=BB19_16 Depth=1
	s_or_saveexec_b64 s[20:21], s[20:21]
	s_mov_b64 s[22:23], 0
	v_mov_b32_e32 v4, 8
	s_xor_b64 exec, exec, s[20:21]
; %bb.118:                              ;   in Loop: Header=BB19_16 Depth=1
	s_mov_b64 s[22:23], exec
	v_subrev_u32_e32 v39, s40, v39
	v_mov_b32_e32 v4, 0
; %bb.119:                              ;   in Loop: Header=BB19_16 Depth=1
	s_or_b64 exec, exec, s[20:21]
	s_and_b64 s[22:23], s[22:23], exec
	v_mov_b32_e32 v15, v39
.LBB19_120:                             ;   in Loop: Header=BB19_16 Depth=1
	s_or_b64 exec, exec, s[8:9]
	s_mov_b64 s[20:21], -1
	s_mov_b64 s[8:9], -1
                                        ; implicit-def: $sgpr24_sgpr25
                                        ; implicit-def: $sgpr26_sgpr27
	s_and_saveexec_b64 s[0:1], s[22:23]
	s_xor_b64 s[22:23], exec, s[0:1]
	s_cbranch_execz .LBB19_237
; %bb.121:                              ;   in Loop: Header=BB19_16 Depth=1
	s_cmp_eq_u32 s44, 1
	s_cselect_b64 s[0:1], -1, 0
	v_cmp_eq_u32_e32 vcc, 1, v15
	s_and_b64 s[8:9], s[0:1], vcc
	s_mov_b64 s[30:31], -1
                                        ; implicit-def: $sgpr26_sgpr27
                                        ; implicit-def: $sgpr24_sgpr25
	s_and_saveexec_b64 s[28:29], s[8:9]
	s_cbranch_execz .LBB19_147
; %bb.122:                              ;   in Loop: Header=BB19_16 Depth=1
	ds_read_b32 v1, v7 offset:4096
	s_waitcnt lgkmcnt(0)
	s_barrier
	v_readfirstlane_b32 s0, v1
	s_and_saveexec_b64 s[24:25], s[4:5]
; %bb.123:                              ;   in Loop: Header=BB19_16 Depth=1
	ds_write_b32 v21, v7
; %bb.124:                              ;   in Loop: Header=BB19_16 Depth=1
	s_or_b64 exec, exec, s[24:25]
	v_and_b32_e32 v1, v30, v6
	v_lshl_or_b32 v30, 1, v36, v1
	v_or_b32_e32 v38, v38, v3
	s_mov_b64 s[24:25], -1
	s_mov_b64 s[26:27], 0
	s_cmp_gt_i32 s0, 0
	s_mov_b64 s[30:31], 0
	s_mov_b64 s[34:35], -1
	s_waitcnt lgkmcnt(0)
	s_barrier
                                        ; implicit-def: $vgpr14
	s_cbranch_scc1 .LBB19_135
; %bb.125:                              ;   in Loop: Header=BB19_16 Depth=1
	s_mov_b64 s[34:35], 0
                                        ; implicit-def: $vgpr14
	s_mov_b64 s[36:37], exec
	v_readlane_b32 s38, v48, 23
	v_readlane_b32 s39, v48, 24
	s_and_b64 s[38:39], s[36:37], s[38:39]
	s_mov_b64 exec, s[38:39]
	s_cbranch_execz .LBB19_134
; %bb.126:                              ;   in Loop: Header=BB19_16 Depth=1
	v_mov_b32_e32 v1, v5
	v_mov_b32_e32 v16, v0
                                        ; implicit-def: $sgpr38_sgpr39
	s_branch .LBB19_129
.LBB19_127:                             ;   in Loop: Header=BB19_129 Depth=2
	s_or_b64 exec, exec, s[40:41]
	s_waitcnt lgkmcnt(0)
	s_barrier
	ds_read_b64 v[13:14], v7 offset:3072
	s_mov_b64 s[40:41], -1
	s_mov_b64 s[42:43], -1
	s_waitcnt lgkmcnt(0)
	s_barrier
	v_cmp_ne_u32_e32 vcc, 0, v13
	s_cbranch_vccz .LBB19_132
.LBB19_128:                             ;   in Loop: Header=BB19_129 Depth=2
	s_and_b64 s[40:41], exec, s[40:41]
	s_or_b64 s[30:31], s[40:41], s[30:31]
	s_andn2_b64 s[38:39], s[38:39], exec
	s_and_b64 s[40:41], s[42:43], exec
	s_or_b64 s[38:39], s[38:39], s[40:41]
	s_andn2_b64 exec, exec, s[30:31]
	s_cbranch_execz .LBB19_133
.LBB19_129:                             ;   Parent Loop BB19_16 Depth=1
                                        ; =>  This Inner Loop Header: Depth=2
	v_cmp_gt_i32_e32 vcc, s60, v16
	s_and_saveexec_b64 s[40:41], vcc
	s_cbranch_execz .LBB19_127
; %bb.130:                              ;   in Loop: Header=BB19_129 Depth=2
	v_ashrrev_i32_e32 v2, 31, v1
	v_lshlrev_b64 v[13:14], 2, v[1:2]
	v_mov_b32_e32 v2, s78
	v_add_co_u32_e32 v13, vcc, s64, v13
	v_addc_co_u32_e32 v14, vcc, v2, v14, vcc
	global_load_dword v13, v[13:14], off
	s_waitcnt vmcnt(0)
	v_xor_b32_e32 v2, 0x80000000, v13
	v_and_b32_e32 v2, v2, v38
	v_cmp_eq_u32_e32 vcc, v2, v30
	s_and_b64 exec, exec, vcc
	s_cbranch_execz .LBB19_127
; %bb.131:                              ;   in Loop: Header=BB19_129 Depth=2
	ds_write_b64 v7, v[12:13] offset:3072
	s_branch .LBB19_127
.LBB19_132:                             ;   in Loop: Header=BB19_129 Depth=2
	v_add_u32_e32 v16, s66, v16
	v_cmp_le_i32_e32 vcc, s81, v16
	v_add_u32_e32 v1, s80, v1
	s_mov_b64 s[42:43], 0
	s_orn2_b64 s[40:41], vcc, exec
	s_branch .LBB19_128
.LBB19_133:                             ;   in Loop: Header=BB19_16 Depth=1
	s_or_b64 exec, exec, s[30:31]
	s_and_b64 s[30:31], s[38:39], exec
.LBB19_134:                             ;   in Loop: Header=BB19_16 Depth=1
	s_or_b64 exec, exec, s[36:37]
.LBB19_135:                             ;   in Loop: Header=BB19_16 Depth=1
	s_and_b64 vcc, exec, s[34:35]
	s_cbranch_vccz .LBB19_146
; %bb.136:                              ;   in Loop: Header=BB19_16 Depth=1
	v_readlane_b32 s1, v48, 8
	s_add_i32 s1, s0, s1
	s_abs_i32 s25, s1
	v_readlane_b32 s26, v48, 22
	s_mul_hi_u32 s26, s25, s26
	s_mul_i32 s26, s26, s66
	s_sub_i32 s25, s25, s26
	s_ashr_i32 s24, s1, 31
	s_sub_i32 s26, s25, s66
	s_cmp_ge_u32 s25, s66
	s_cselect_b32 s25, s26, s25
	s_sub_i32 s26, s25, s66
	s_cmp_ge_u32 s25, s66
	s_cselect_b32 s25, s26, s25
	s_xor_b32 s25, s25, s24
	s_sub_i32 s24, s24, s25
	s_add_i32 s1, s1, s24
	v_cmp_gt_i32_e32 vcc, s1, v0
                                        ; implicit-def: $vgpr14
	s_and_saveexec_b64 s[24:25], vcc
	s_cbranch_execz .LBB19_145
; %bb.137:                              ;   in Loop: Header=BB19_16 Depth=1
	s_mov_b64 s[26:27], 0
	v_mov_b32_e32 v1, v19
	v_mov_b32_e32 v2, v0
                                        ; implicit-def: $sgpr34_sgpr35
	s_branch .LBB19_140
.LBB19_138:                             ;   in Loop: Header=BB19_140 Depth=2
	s_or_b64 exec, exec, s[36:37]
	s_waitcnt lgkmcnt(0)
	s_barrier
	ds_read_b64 v[13:14], v7 offset:3072
	s_mov_b64 s[36:37], -1
	s_mov_b64 s[38:39], -1
	s_waitcnt lgkmcnt(0)
	s_barrier
	v_cmp_eq_u32_e32 vcc, 0, v13
	s_cbranch_vccnz .LBB19_143
.LBB19_139:                             ;   in Loop: Header=BB19_140 Depth=2
	s_and_b64 s[36:37], exec, s[36:37]
	s_or_b64 s[26:27], s[36:37], s[26:27]
	s_andn2_b64 s[34:35], s[34:35], exec
	s_and_b64 s[36:37], s[38:39], exec
	s_or_b64 s[34:35], s[34:35], s[36:37]
	s_andn2_b64 exec, exec, s[26:27]
	s_cbranch_execz .LBB19_144
.LBB19_140:                             ;   Parent Loop BB19_16 Depth=1
                                        ; =>  This Inner Loop Header: Depth=2
	v_cmp_gt_i32_e32 vcc, s0, v2
	s_and_saveexec_b64 s[36:37], vcc
	s_cbranch_execz .LBB19_138
; %bb.141:                              ;   in Loop: Header=BB19_140 Depth=2
	ds_read_b32 v13, v1
	s_waitcnt lgkmcnt(0)
	v_xor_b32_e32 v14, 0x80000000, v13
	v_and_b32_e32 v14, v14, v38
	v_cmp_eq_u32_e32 vcc, v14, v30
	s_and_b64 exec, exec, vcc
	s_cbranch_execz .LBB19_138
; %bb.142:                              ;   in Loop: Header=BB19_140 Depth=2
	ds_write_b64 v7, v[12:13] offset:3072
	s_branch .LBB19_138
.LBB19_143:                             ;   in Loop: Header=BB19_140 Depth=2
	v_add_u32_e32 v2, s66, v2
	v_cmp_le_i32_e32 vcc, s1, v2
	v_add_u32_e32 v1, s79, v1
	s_mov_b64 s[38:39], 0
	s_orn2_b64 s[36:37], vcc, exec
	s_branch .LBB19_139
.LBB19_144:                             ;   in Loop: Header=BB19_16 Depth=1
	s_or_b64 exec, exec, s[26:27]
	s_andn2_b64 s[0:1], s[30:31], exec
	s_and_b64 s[26:27], s[34:35], exec
	s_or_b64 s[30:31], s[0:1], s[26:27]
.LBB19_145:                             ;   in Loop: Header=BB19_16 Depth=1
	s_or_b64 exec, exec, s[24:25]
	s_mov_b64 s[24:25], 0
	s_mov_b64 s[26:27], -1
.LBB19_146:                             ;   in Loop: Header=BB19_16 Depth=1
	s_orn2_b64 s[30:31], s[30:31], exec
.LBB19_147:                             ;   in Loop: Header=BB19_16 Depth=1
	s_or_b64 exec, exec, s[28:29]
	s_mov_b64 s[34:35], 0
	s_and_saveexec_b64 s[28:29], s[30:31]
	s_cbranch_execz .LBB19_236
; %bb.148:                              ;   in Loop: Header=BB19_16 Depth=1
	s_xor_b64 s[0:1], s[8:9], -1
	s_mov_b64 s[38:39], 0
	v_mov_b32_e32 v16, 1
	v_mov_b32_e32 v4, 1
	s_and_saveexec_b64 s[8:9], s[0:1]
	s_cbranch_execz .LBB19_157
; %bb.149:                              ;   in Loop: Header=BB19_16 Depth=1
	v_cmp_ge_i32_e32 vcc, s44, v15
	s_and_saveexec_b64 s[0:1], vcc
	s_xor_b64 s[30:31], exec, s[0:1]
	s_cbranch_execz .LBB19_154
; %bb.150:                              ;   in Loop: Header=BB19_16 Depth=1
	ds_read_b32 v1, v7 offset:4096
	v_and_b32_e32 v2, v30, v6
	v_lshl_or_b32 v30, 1, v36, v2
	v_or_b32_e32 v38, v38, v3
	s_waitcnt lgkmcnt(0)
	v_cmp_ne_u32_e32 vcc, 0, v1
	s_cbranch_vccnz .LBB19_154
; %bb.151:                              ;   in Loop: Header=BB19_16 Depth=1
	s_mov_b64 s[34:35], exec
	v_readlane_b32 s0, v48, 5
	v_readlane_b32 s1, v48, 6
	s_and_b64 s[0:1], s[34:35], s[0:1]
	s_mov_b64 exec, s[0:1]
; %bb.152:                              ;   in Loop: Header=BB19_16 Depth=1
	v_mov_b32_e32 v1, s44
	ds_write_b32 v7, v1 offset:4100
; %bb.153:                              ;   in Loop: Header=BB19_16 Depth=1
	s_or_b64 exec, exec, s[34:35]
	s_waitcnt lgkmcnt(0)
	s_barrier
.LBB19_154:                             ;   in Loop: Header=BB19_16 Depth=1
	s_or_saveexec_b64 s[30:31], s[30:31]
	s_mov_b64 s[34:35], 0
	v_mov_b32_e32 v4, 8
	s_xor_b64 exec, exec, s[30:31]
; %bb.155:                              ;   in Loop: Header=BB19_16 Depth=1
	s_mov_b64 s[34:35], exec
	v_subrev_u32_e32 v15, s44, v15
	v_mov_b32_e32 v4, 0
; %bb.156:                              ;   in Loop: Header=BB19_16 Depth=1
	s_or_b64 exec, exec, s[30:31]
	s_and_b64 s[38:39], s[34:35], exec
	v_mov_b32_e32 v16, v15
.LBB19_157:                             ;   in Loop: Header=BB19_16 Depth=1
	s_or_b64 exec, exec, s[8:9]
	s_mov_b64 s[8:9], -1
                                        ; implicit-def: $sgpr34_sgpr35
                                        ; implicit-def: $sgpr36_sgpr37
	s_and_saveexec_b64 s[30:31], s[38:39]
	s_cbranch_execz .LBB19_235
; %bb.158:                              ;   in Loop: Header=BB19_16 Depth=1
	s_cmp_eq_u32 s52, 1
	s_cselect_b64 s[0:1], -1, 0
	v_cmp_eq_u32_e32 vcc, 1, v16
	s_and_b64 s[8:9], s[0:1], vcc
	s_mov_b64 s[40:41], -1
                                        ; implicit-def: $sgpr36_sgpr37
                                        ; implicit-def: $sgpr34_sgpr35
	s_and_saveexec_b64 s[38:39], s[8:9]
	s_cbranch_execz .LBB19_184
; %bb.159:                              ;   in Loop: Header=BB19_16 Depth=1
	ds_read_b32 v1, v7 offset:4096
	s_waitcnt lgkmcnt(0)
	s_barrier
	v_readfirstlane_b32 s0, v1
	s_and_saveexec_b64 s[34:35], s[4:5]
; %bb.160:                              ;   in Loop: Header=BB19_16 Depth=1
	ds_write_b32 v21, v7
; %bb.161:                              ;   in Loop: Header=BB19_16 Depth=1
	s_or_b64 exec, exec, s[34:35]
	v_and_b32_e32 v1, v30, v6
	v_lshl_or_b32 v30, 2, v36, v1
	v_or_b32_e32 v38, v38, v3
	s_mov_b64 s[34:35], -1
	s_mov_b64 s[36:37], 0
	s_cmp_gt_i32 s0, 0
	s_mov_b64 s[40:41], 0
	s_mov_b64 s[42:43], -1
	s_waitcnt lgkmcnt(0)
	s_barrier
                                        ; implicit-def: $vgpr14
	s_cbranch_scc1 .LBB19_172
; %bb.162:                              ;   in Loop: Header=BB19_16 Depth=1
	s_mov_b64 s[42:43], 0
                                        ; implicit-def: $vgpr14
	s_mov_b64 s[44:45], exec
	v_readlane_b32 s46, v48, 23
	v_readlane_b32 s47, v48, 24
	s_and_b64 s[46:47], s[44:45], s[46:47]
	s_mov_b64 exec, s[46:47]
	s_cbranch_execz .LBB19_171
; %bb.163:                              ;   in Loop: Header=BB19_16 Depth=1
	v_mov_b32_e32 v1, v5
	v_mov_b32_e32 v15, v0
                                        ; implicit-def: $sgpr46_sgpr47
	s_branch .LBB19_166
.LBB19_164:                             ;   in Loop: Header=BB19_166 Depth=2
	s_or_b64 exec, exec, s[48:49]
	s_waitcnt lgkmcnt(0)
	s_barrier
	ds_read_b64 v[13:14], v7 offset:3072
	s_mov_b64 s[48:49], -1
	s_mov_b64 s[50:51], -1
	s_waitcnt lgkmcnt(0)
	s_barrier
	v_cmp_ne_u32_e32 vcc, 0, v13
	s_cbranch_vccz .LBB19_169
.LBB19_165:                             ;   in Loop: Header=BB19_166 Depth=2
	s_and_b64 s[48:49], exec, s[48:49]
	s_or_b64 s[40:41], s[48:49], s[40:41]
	s_andn2_b64 s[46:47], s[46:47], exec
	s_and_b64 s[48:49], s[50:51], exec
	s_or_b64 s[46:47], s[46:47], s[48:49]
	s_andn2_b64 exec, exec, s[40:41]
	s_cbranch_execz .LBB19_170
.LBB19_166:                             ;   Parent Loop BB19_16 Depth=1
                                        ; =>  This Inner Loop Header: Depth=2
	v_cmp_gt_i32_e32 vcc, s60, v15
	s_and_saveexec_b64 s[48:49], vcc
	s_cbranch_execz .LBB19_164
; %bb.167:                              ;   in Loop: Header=BB19_166 Depth=2
	v_ashrrev_i32_e32 v2, 31, v1
	v_lshlrev_b64 v[13:14], 2, v[1:2]
	v_mov_b32_e32 v2, s78
	v_add_co_u32_e32 v13, vcc, s64, v13
	v_addc_co_u32_e32 v14, vcc, v2, v14, vcc
	global_load_dword v13, v[13:14], off
	s_waitcnt vmcnt(0)
	v_xor_b32_e32 v2, 0x80000000, v13
	v_and_b32_e32 v2, v2, v38
	v_cmp_eq_u32_e32 vcc, v2, v30
	s_and_b64 exec, exec, vcc
	s_cbranch_execz .LBB19_164
; %bb.168:                              ;   in Loop: Header=BB19_166 Depth=2
	ds_write_b64 v7, v[12:13] offset:3072
	s_branch .LBB19_164
.LBB19_169:                             ;   in Loop: Header=BB19_166 Depth=2
	v_add_u32_e32 v15, s66, v15
	v_cmp_le_i32_e32 vcc, s81, v15
	v_add_u32_e32 v1, s80, v1
	s_mov_b64 s[50:51], 0
	s_orn2_b64 s[48:49], vcc, exec
	s_branch .LBB19_165
.LBB19_170:                             ;   in Loop: Header=BB19_16 Depth=1
	s_or_b64 exec, exec, s[40:41]
	s_and_b64 s[40:41], s[46:47], exec
.LBB19_171:                             ;   in Loop: Header=BB19_16 Depth=1
	s_or_b64 exec, exec, s[44:45]
.LBB19_172:                             ;   in Loop: Header=BB19_16 Depth=1
	s_and_b64 vcc, exec, s[42:43]
	s_cbranch_vccz .LBB19_183
; %bb.173:                              ;   in Loop: Header=BB19_16 Depth=1
	v_readlane_b32 s1, v48, 8
	s_add_i32 s1, s0, s1
	s_abs_i32 s35, s1
	v_readlane_b32 s36, v48, 22
	s_mul_hi_u32 s36, s35, s36
	s_mul_i32 s36, s36, s66
	s_sub_i32 s35, s35, s36
	s_ashr_i32 s34, s1, 31
	s_sub_i32 s36, s35, s66
	s_cmp_ge_u32 s35, s66
	s_cselect_b32 s35, s36, s35
	s_sub_i32 s36, s35, s66
	s_cmp_ge_u32 s35, s66
	s_cselect_b32 s35, s36, s35
	s_xor_b32 s35, s35, s34
	s_sub_i32 s34, s34, s35
	s_add_i32 s1, s1, s34
	v_cmp_gt_i32_e32 vcc, s1, v0
                                        ; implicit-def: $vgpr14
	s_and_saveexec_b64 s[34:35], vcc
	s_cbranch_execz .LBB19_182
; %bb.174:                              ;   in Loop: Header=BB19_16 Depth=1
	s_mov_b64 s[36:37], 0
	v_mov_b32_e32 v1, v19
	v_mov_b32_e32 v2, v0
                                        ; implicit-def: $sgpr42_sgpr43
	s_branch .LBB19_177
.LBB19_175:                             ;   in Loop: Header=BB19_177 Depth=2
	s_or_b64 exec, exec, s[44:45]
	s_waitcnt lgkmcnt(0)
	s_barrier
	ds_read_b64 v[13:14], v7 offset:3072
	s_mov_b64 s[44:45], -1
	s_mov_b64 s[46:47], -1
	s_waitcnt lgkmcnt(0)
	s_barrier
	v_cmp_eq_u32_e32 vcc, 0, v13
	s_cbranch_vccnz .LBB19_180
.LBB19_176:                             ;   in Loop: Header=BB19_177 Depth=2
	s_and_b64 s[44:45], exec, s[44:45]
	s_or_b64 s[36:37], s[44:45], s[36:37]
	s_andn2_b64 s[42:43], s[42:43], exec
	s_and_b64 s[44:45], s[46:47], exec
	s_or_b64 s[42:43], s[42:43], s[44:45]
	s_andn2_b64 exec, exec, s[36:37]
	s_cbranch_execz .LBB19_181
.LBB19_177:                             ;   Parent Loop BB19_16 Depth=1
                                        ; =>  This Inner Loop Header: Depth=2
	v_cmp_gt_i32_e32 vcc, s0, v2
	s_and_saveexec_b64 s[44:45], vcc
	s_cbranch_execz .LBB19_175
; %bb.178:                              ;   in Loop: Header=BB19_177 Depth=2
	ds_read_b32 v13, v1
	s_waitcnt lgkmcnt(0)
	v_xor_b32_e32 v14, 0x80000000, v13
	v_and_b32_e32 v14, v14, v38
	v_cmp_eq_u32_e32 vcc, v14, v30
	s_and_b64 exec, exec, vcc
	s_cbranch_execz .LBB19_175
; %bb.179:                              ;   in Loop: Header=BB19_177 Depth=2
	ds_write_b64 v7, v[12:13] offset:3072
	s_branch .LBB19_175
.LBB19_180:                             ;   in Loop: Header=BB19_177 Depth=2
	v_add_u32_e32 v2, s66, v2
	v_cmp_le_i32_e32 vcc, s1, v2
	v_add_u32_e32 v1, s79, v1
	s_mov_b64 s[46:47], 0
	s_orn2_b64 s[44:45], vcc, exec
	s_branch .LBB19_176
.LBB19_181:                             ;   in Loop: Header=BB19_16 Depth=1
	s_or_b64 exec, exec, s[36:37]
	s_andn2_b64 s[0:1], s[40:41], exec
	s_and_b64 s[36:37], s[42:43], exec
	s_or_b64 s[40:41], s[0:1], s[36:37]
.LBB19_182:                             ;   in Loop: Header=BB19_16 Depth=1
	s_or_b64 exec, exec, s[34:35]
	s_mov_b64 s[34:35], 0
	s_mov_b64 s[36:37], -1
.LBB19_183:                             ;   in Loop: Header=BB19_16 Depth=1
	s_orn2_b64 s[40:41], s[40:41], exec
.LBB19_184:                             ;   in Loop: Header=BB19_16 Depth=1
	s_or_b64 exec, exec, s[38:39]
	s_mov_b64 s[42:43], 0
	s_and_saveexec_b64 s[38:39], s[40:41]
	s_cbranch_execz .LBB19_234
; %bb.185:                              ;   in Loop: Header=BB19_16 Depth=1
	s_xor_b64 s[0:1], s[8:9], -1
	s_mov_b64 s[46:47], 0
	v_mov_b32_e32 v15, 1
	v_mov_b32_e32 v4, 1
	s_and_saveexec_b64 s[8:9], s[0:1]
	s_cbranch_execz .LBB19_194
; %bb.186:                              ;   in Loop: Header=BB19_16 Depth=1
	v_cmp_ge_i32_e32 vcc, s52, v16
	s_and_saveexec_b64 s[0:1], vcc
	s_xor_b64 s[40:41], exec, s[0:1]
	s_cbranch_execz .LBB19_191
; %bb.187:                              ;   in Loop: Header=BB19_16 Depth=1
	ds_read_b32 v1, v7 offset:4096
	v_and_b32_e32 v2, v30, v6
	v_lshl_or_b32 v30, 2, v36, v2
	v_or_b32_e32 v38, v38, v3
	s_waitcnt lgkmcnt(0)
	v_cmp_ne_u32_e32 vcc, 0, v1
	s_cbranch_vccnz .LBB19_191
; %bb.188:                              ;   in Loop: Header=BB19_16 Depth=1
	s_mov_b64 s[42:43], exec
	v_readlane_b32 s0, v48, 5
	v_readlane_b32 s1, v48, 6
	s_and_b64 s[0:1], s[42:43], s[0:1]
	s_mov_b64 exec, s[0:1]
; %bb.189:                              ;   in Loop: Header=BB19_16 Depth=1
	v_mov_b32_e32 v1, s52
	ds_write_b32 v7, v1 offset:4100
; %bb.190:                              ;   in Loop: Header=BB19_16 Depth=1
	s_or_b64 exec, exec, s[42:43]
	s_waitcnt lgkmcnt(0)
	s_barrier
.LBB19_191:                             ;   in Loop: Header=BB19_16 Depth=1
	s_or_saveexec_b64 s[40:41], s[40:41]
	s_mov_b64 s[42:43], 0
	v_mov_b32_e32 v4, 8
	s_xor_b64 exec, exec, s[40:41]
; %bb.192:                              ;   in Loop: Header=BB19_16 Depth=1
	s_mov_b64 s[42:43], exec
	v_subrev_u32_e32 v16, s52, v16
	v_mov_b32_e32 v4, 0
; %bb.193:                              ;   in Loop: Header=BB19_16 Depth=1
	s_or_b64 exec, exec, s[40:41]
	s_and_b64 s[46:47], s[42:43], exec
	v_mov_b32_e32 v15, v16
.LBB19_194:                             ;   in Loop: Header=BB19_16 Depth=1
	s_or_b64 exec, exec, s[8:9]
	s_mov_b64 s[8:9], -1
                                        ; implicit-def: $sgpr44_sgpr45
                                        ; implicit-def: $sgpr42_sgpr43
	s_and_saveexec_b64 s[40:41], s[46:47]
	s_cbranch_execz .LBB19_233
; %bb.195:                              ;   in Loop: Header=BB19_16 Depth=1
	s_cmp_eq_u32 s19, 1
	s_cselect_b64 s[0:1], -1, 0
	v_cmp_eq_u32_e32 vcc, 1, v15
	s_and_b64 s[8:9], s[0:1], vcc
	s_mov_b64 s[48:49], -1
                                        ; implicit-def: $sgpr44_sgpr45
                                        ; implicit-def: $sgpr42_sgpr43
	s_and_saveexec_b64 s[46:47], s[8:9]
	s_cbranch_execz .LBB19_221
; %bb.196:                              ;   in Loop: Header=BB19_16 Depth=1
	ds_read_b32 v1, v7 offset:4096
	s_waitcnt lgkmcnt(0)
	s_barrier
	v_readfirstlane_b32 s0, v1
	s_and_saveexec_b64 s[42:43], s[4:5]
; %bb.197:                              ;   in Loop: Header=BB19_16 Depth=1
	ds_write_b32 v21, v7
; %bb.198:                              ;   in Loop: Header=BB19_16 Depth=1
	s_or_b64 exec, exec, s[42:43]
	v_or_b32_e32 v30, v30, v3
	v_or_b32_e32 v38, v38, v3
	s_mov_b64 s[42:43], -1
	s_mov_b64 s[44:45], 0
	s_cmp_gt_i32 s0, 0
	s_mov_b64 s[48:49], 0
	s_mov_b64 s[50:51], -1
	s_waitcnt lgkmcnt(0)
	s_barrier
                                        ; implicit-def: $vgpr14
	s_cbranch_scc1 .LBB19_209
; %bb.199:                              ;   in Loop: Header=BB19_16 Depth=1
	s_mov_b64 s[50:51], 0
                                        ; implicit-def: $vgpr14
	s_mov_b64 s[52:53], exec
	v_readlane_b32 s54, v48, 23
	v_readlane_b32 s55, v48, 24
	s_and_b64 s[54:55], s[52:53], s[54:55]
	s_mov_b64 exec, s[54:55]
	s_cbranch_execz .LBB19_208
; %bb.200:                              ;   in Loop: Header=BB19_16 Depth=1
	v_mov_b32_e32 v1, v5
	v_mov_b32_e32 v6, v0
                                        ; implicit-def: $sgpr54_sgpr55
	s_branch .LBB19_203
.LBB19_201:                             ;   in Loop: Header=BB19_203 Depth=2
	s_or_b64 exec, exec, s[56:57]
	s_waitcnt lgkmcnt(0)
	s_barrier
	ds_read_b64 v[13:14], v7 offset:3072
	s_mov_b64 s[56:57], -1
	s_mov_b64 s[58:59], -1
	s_waitcnt lgkmcnt(0)
	s_barrier
	v_cmp_ne_u32_e32 vcc, 0, v13
	s_cbranch_vccz .LBB19_206
.LBB19_202:                             ;   in Loop: Header=BB19_203 Depth=2
	s_and_b64 s[56:57], exec, s[56:57]
	s_or_b64 s[48:49], s[56:57], s[48:49]
	s_andn2_b64 s[54:55], s[54:55], exec
	s_and_b64 s[56:57], s[58:59], exec
	s_or_b64 s[54:55], s[54:55], s[56:57]
	s_andn2_b64 exec, exec, s[48:49]
	s_cbranch_execz .LBB19_207
.LBB19_203:                             ;   Parent Loop BB19_16 Depth=1
                                        ; =>  This Inner Loop Header: Depth=2
	v_cmp_gt_i32_e32 vcc, s60, v6
	s_and_saveexec_b64 s[56:57], vcc
	s_cbranch_execz .LBB19_201
; %bb.204:                              ;   in Loop: Header=BB19_203 Depth=2
	v_ashrrev_i32_e32 v2, 31, v1
	v_lshlrev_b64 v[13:14], 2, v[1:2]
	v_mov_b32_e32 v2, s78
	v_add_co_u32_e32 v13, vcc, s64, v13
	v_addc_co_u32_e32 v14, vcc, v2, v14, vcc
	global_load_dword v13, v[13:14], off
	s_waitcnt vmcnt(0)
	v_xor_b32_e32 v2, 0x80000000, v13
	v_and_b32_e32 v2, v2, v38
	v_cmp_eq_u32_e32 vcc, v2, v30
	s_and_b64 exec, exec, vcc
	s_cbranch_execz .LBB19_201
; %bb.205:                              ;   in Loop: Header=BB19_203 Depth=2
	ds_write_b64 v7, v[12:13] offset:3072
	s_branch .LBB19_201
.LBB19_206:                             ;   in Loop: Header=BB19_203 Depth=2
	v_add_u32_e32 v6, s66, v6
	v_cmp_le_i32_e32 vcc, s81, v6
	v_add_u32_e32 v1, s80, v1
	s_mov_b64 s[58:59], 0
	s_orn2_b64 s[56:57], vcc, exec
	s_branch .LBB19_202
.LBB19_207:                             ;   in Loop: Header=BB19_16 Depth=1
	s_or_b64 exec, exec, s[48:49]
	s_and_b64 s[48:49], s[54:55], exec
.LBB19_208:                             ;   in Loop: Header=BB19_16 Depth=1
	s_or_b64 exec, exec, s[52:53]
.LBB19_209:                             ;   in Loop: Header=BB19_16 Depth=1
	s_and_b64 vcc, exec, s[50:51]
	s_cbranch_vccz .LBB19_220
; %bb.210:                              ;   in Loop: Header=BB19_16 Depth=1
	v_readlane_b32 s1, v48, 8
	s_add_i32 s1, s0, s1
	s_abs_i32 s43, s1
	v_readlane_b32 s44, v48, 22
	s_mul_hi_u32 s44, s43, s44
	s_mul_i32 s44, s44, s66
	s_sub_i32 s43, s43, s44
	s_ashr_i32 s42, s1, 31
	s_sub_i32 s44, s43, s66
	s_cmp_ge_u32 s43, s66
	s_cselect_b32 s43, s44, s43
	s_sub_i32 s44, s43, s66
	s_cmp_ge_u32 s43, s66
	s_cselect_b32 s43, s44, s43
	s_xor_b32 s43, s43, s42
	s_sub_i32 s42, s42, s43
	s_add_i32 s1, s1, s42
	v_cmp_gt_i32_e32 vcc, s1, v0
                                        ; implicit-def: $vgpr14
	s_and_saveexec_b64 s[42:43], vcc
	s_cbranch_execz .LBB19_219
; %bb.211:                              ;   in Loop: Header=BB19_16 Depth=1
	s_mov_b64 s[44:45], 0
	v_mov_b32_e32 v1, v19
	v_mov_b32_e32 v2, v0
                                        ; implicit-def: $sgpr50_sgpr51
	s_branch .LBB19_214
.LBB19_212:                             ;   in Loop: Header=BB19_214 Depth=2
	s_or_b64 exec, exec, s[52:53]
	s_waitcnt lgkmcnt(0)
	s_barrier
	ds_read_b64 v[13:14], v7 offset:3072
	s_mov_b64 s[52:53], -1
	s_mov_b64 s[54:55], -1
	s_waitcnt lgkmcnt(0)
	s_barrier
	v_cmp_eq_u32_e32 vcc, 0, v13
	s_cbranch_vccnz .LBB19_217
.LBB19_213:                             ;   in Loop: Header=BB19_214 Depth=2
	s_and_b64 s[52:53], exec, s[52:53]
	s_or_b64 s[44:45], s[52:53], s[44:45]
	s_andn2_b64 s[50:51], s[50:51], exec
	s_and_b64 s[52:53], s[54:55], exec
	s_or_b64 s[50:51], s[50:51], s[52:53]
	s_andn2_b64 exec, exec, s[44:45]
	s_cbranch_execz .LBB19_218
.LBB19_214:                             ;   Parent Loop BB19_16 Depth=1
                                        ; =>  This Inner Loop Header: Depth=2
	v_cmp_gt_i32_e32 vcc, s0, v2
	s_and_saveexec_b64 s[52:53], vcc
	s_cbranch_execz .LBB19_212
; %bb.215:                              ;   in Loop: Header=BB19_214 Depth=2
	ds_read_b32 v13, v1
	s_waitcnt lgkmcnt(0)
	v_xor_b32_e32 v6, 0x80000000, v13
	v_and_b32_e32 v6, v6, v38
	v_cmp_eq_u32_e32 vcc, v6, v30
	s_and_b64 exec, exec, vcc
	s_cbranch_execz .LBB19_212
; %bb.216:                              ;   in Loop: Header=BB19_214 Depth=2
	ds_write_b64 v7, v[12:13] offset:3072
	s_branch .LBB19_212
.LBB19_217:                             ;   in Loop: Header=BB19_214 Depth=2
	v_add_u32_e32 v2, s66, v2
	v_cmp_le_i32_e32 vcc, s1, v2
	v_add_u32_e32 v1, s79, v1
	s_mov_b64 s[54:55], 0
	s_orn2_b64 s[52:53], vcc, exec
	s_branch .LBB19_213
.LBB19_218:                             ;   in Loop: Header=BB19_16 Depth=1
	s_or_b64 exec, exec, s[44:45]
	s_andn2_b64 s[0:1], s[48:49], exec
	s_and_b64 s[44:45], s[50:51], exec
	s_or_b64 s[48:49], s[0:1], s[44:45]
.LBB19_219:                             ;   in Loop: Header=BB19_16 Depth=1
	s_or_b64 exec, exec, s[42:43]
	s_mov_b64 s[42:43], 0
	s_mov_b64 s[44:45], -1
.LBB19_220:                             ;   in Loop: Header=BB19_16 Depth=1
	s_orn2_b64 s[48:49], s[48:49], exec
.LBB19_221:                             ;   in Loop: Header=BB19_16 Depth=1
	s_or_b64 exec, exec, s[46:47]
	s_mov_b64 s[50:51], 0
	s_and_saveexec_b64 s[46:47], s[48:49]
	s_cbranch_execz .LBB19_232
; %bb.222:                              ;   in Loop: Header=BB19_16 Depth=1
	s_xor_b64 s[0:1], s[8:9], -1
	v_mov_b32_e32 v4, 1
	v_mov_b32_e32 v1, 1
	s_and_saveexec_b64 s[8:9], s[0:1]
	s_cbranch_execz .LBB19_231
; %bb.223:                              ;   in Loop: Header=BB19_16 Depth=1
	v_cmp_ge_i32_e32 vcc, s19, v15
	s_and_saveexec_b64 s[0:1], vcc
	s_xor_b64 s[48:49], exec, s[0:1]
	s_cbranch_execz .LBB19_228
; %bb.224:                              ;   in Loop: Header=BB19_16 Depth=1
	ds_read_b32 v1, v7 offset:4096
	v_or_b32_e32 v30, v30, v3
	v_or_b32_e32 v38, v38, v3
	s_waitcnt lgkmcnt(0)
	v_cmp_ne_u32_e32 vcc, 0, v1
	s_cbranch_vccnz .LBB19_228
; %bb.225:                              ;   in Loop: Header=BB19_16 Depth=1
	s_mov_b64 s[50:51], exec
	v_readlane_b32 s0, v48, 5
	v_readlane_b32 s1, v48, 6
	s_and_b64 s[0:1], s[50:51], s[0:1]
	s_mov_b64 exec, s[0:1]
; %bb.226:                              ;   in Loop: Header=BB19_16 Depth=1
	v_mov_b32_e32 v1, s19
	ds_write_b32 v7, v1 offset:4100
; %bb.227:                              ;   in Loop: Header=BB19_16 Depth=1
	s_or_b64 exec, exec, s[50:51]
	s_waitcnt lgkmcnt(0)
	s_barrier
.LBB19_228:                             ;   in Loop: Header=BB19_16 Depth=1
	s_andn2_saveexec_b64 s[48:49], s[48:49]
; %bb.229:                              ;   in Loop: Header=BB19_16 Depth=1
	v_subrev_u32_e32 v15, s19, v15
; %bb.230:                              ;   in Loop: Header=BB19_16 Depth=1
	s_or_b64 exec, exec, s[48:49]
	v_mov_b32_e32 v4, 8
	v_mov_b32_e32 v1, v15
.LBB19_231:                             ;   in Loop: Header=BB19_16 Depth=1
	s_or_b64 exec, exec, s[8:9]
	s_mov_b64 s[50:51], exec
	v_mov_b32_e32 v15, v1
.LBB19_232:                             ;   in Loop: Header=BB19_16 Depth=1
	s_or_b64 exec, exec, s[46:47]
	s_orn2_b64 s[8:9], s[50:51], exec
.LBB19_233:                             ;   in Loop: Header=BB19_16 Depth=1
	s_or_b64 exec, exec, s[40:41]
	s_andn2_b64 s[0:1], s[36:37], exec
	s_and_b64 s[36:37], s[44:45], exec
	s_or_b64 s[36:37], s[0:1], s[36:37]
	s_andn2_b64 s[0:1], s[34:35], exec
	s_and_b64 s[34:35], s[42:43], exec
	s_or_b64 s[34:35], s[0:1], s[34:35]
	s_and_b64 s[42:43], s[8:9], exec
	v_mov_b32_e32 v16, v15
.LBB19_234:                             ;   in Loop: Header=BB19_16 Depth=1
	s_or_b64 exec, exec, s[38:39]
	s_orn2_b64 s[8:9], s[42:43], exec
.LBB19_235:                             ;   in Loop: Header=BB19_16 Depth=1
	s_or_b64 exec, exec, s[30:31]
	s_andn2_b64 s[0:1], s[26:27], exec
	s_and_b64 s[26:27], s[36:37], exec
	s_or_b64 s[26:27], s[0:1], s[26:27]
	s_andn2_b64 s[0:1], s[24:25], exec
	s_and_b64 s[24:25], s[34:35], exec
	s_or_b64 s[24:25], s[0:1], s[24:25]
	s_and_b64 s[34:35], s[8:9], exec
	v_mov_b32_e32 v15, v16
.LBB19_236:                             ;   in Loop: Header=BB19_16 Depth=1
	s_or_b64 exec, exec, s[28:29]
	s_orn2_b64 s[8:9], s[34:35], exec
.LBB19_237:                             ;   in Loop: Header=BB19_16 Depth=1
	s_or_b64 exec, exec, s[22:23]
	s_mov_b64 s[22:23], 0
	s_and_saveexec_b64 s[0:1], s[8:9]
	s_xor_b64 s[8:9], exec, s[0:1]
	s_cbranch_execz .LBB19_14
; %bb.238:                              ;   in Loop: Header=BB19_16 Depth=1
	v_and_b32_e32 v1, 7, v4
	v_cmp_eq_u32_e32 vcc, 0, v1
	s_mov_b64 s[20:21], -1
	s_mov_b64 s[22:23], -1
	s_and_saveexec_b64 s[28:29], vcc
	s_cbranch_execz .LBB19_13
; %bb.239:                              ;   in Loop: Header=BB19_16 Depth=1
	v_add_u32_e32 v1, -2, v36
	v_cmp_eq_u32_e32 vcc, 0, v36
	v_xor_b32_e32 v37, 1, v37
	s_xor_b64 s[22:23], exec, -1
	s_orn2_b64 s[20:21], vcc, exec
	v_mov_b32_e32 v36, v1
	s_branch .LBB19_13
.LBB19_240:
	s_or_b64 exec, exec, s[84:85]
	s_xor_b64 s[8:9], s[90:91], -1
	s_xor_b64 s[0:1], s[86:87], -1
	;; [unrolled: 1-line block ×3, first 2 shown]
	s_mov_b64 s[4:5], 0
	s_and_saveexec_b64 s[2:3], s[0:1]
	s_xor_b64 s[2:3], exec, s[2:3]
	s_cbranch_execnz .LBB19_245
; %bb.241:
	s_andn2_saveexec_b64 s[0:1], s[2:3]
	s_cbranch_execnz .LBB19_265
.LBB19_242:
	s_or_b64 exec, exec, s[0:1]
	s_and_saveexec_b64 s[0:1], s[4:5]
.LBB19_243:
	; divergent unreachable
.LBB19_244:
	s_endpgm
.LBB19_245:
	s_and_saveexec_b64 s[0:1], s[8:9]
	s_xor_b64 s[4:5], exec, s[0:1]
	s_cbranch_execz .LBB19_263
; %bb.246:
	s_and_saveexec_b64 s[0:1], s[6:7]
	s_xor_b64 s[6:7], exec, s[0:1]
; %bb.247:
	v_xor_b32_e32 v14, 0x80000000, v30
; %bb.248:
	s_or_b64 exec, exec, s[6:7]
	s_mov_b64 s[6:7], exec
	v_readlane_b32 s0, v48, 5
	v_readlane_b32 s1, v48, 6
	s_and_b64 s[0:1], s[6:7], s[0:1]
	s_mov_b64 exec, s[0:1]
; %bb.249:
	v_mov_b32_e32 v1, 0
	v_mov_b32_e32 v2, s60
	ds_write_b32 v1, v2 offset:4108
; %bb.250:
	s_or_b64 exec, exec, s[6:7]
	v_mov_b32_e32 v1, 0
	s_waitcnt lgkmcnt(0)
	s_barrier
	ds_read_b32 v1, v1 offset:4108
	s_waitcnt lgkmcnt(0)
	v_min_i32_e32 v1, s60, v1
	v_cmp_lt_i32_e32 vcc, v0, v1
	s_and_saveexec_b64 s[6:7], vcc
	s_cbranch_execz .LBB19_260
; %bb.251:
	s_mov_b64 s[8:9], 0
	v_mov_b32_e32 v3, s78
                                        ; implicit-def: $sgpr10_sgpr11
                                        ; implicit-def: $sgpr14_sgpr15
                                        ; implicit-def: $sgpr12_sgpr13
	s_branch .LBB19_253
.LBB19_252:                             ;   in Loop: Header=BB19_253 Depth=1
	s_or_b64 exec, exec, s[16:17]
	s_and_b64 s[0:1], exec, s[14:15]
	s_or_b64 s[8:9], s[0:1], s[8:9]
	s_andn2_b64 s[0:1], s[10:11], exec
	s_and_b64 s[10:11], s[12:13], exec
	s_or_b64 s[10:11], s[0:1], s[10:11]
	s_andn2_b64 exec, exec, s[8:9]
	s_cbranch_execz .LBB19_255
.LBB19_253:                             ; =>This Inner Loop Header: Depth=1
	v_ashrrev_i32_e32 v6, 31, v5
	v_lshlrev_b64 v[6:7], 2, v[5:6]
	v_mov_b32_e32 v2, v0
	v_add_co_u32_e32 v6, vcc, s64, v6
	v_addc_co_u32_e32 v7, vcc, v3, v7, vcc
	global_load_dword v4, v[6:7], off
	s_or_b64 s[12:13], s[12:13], exec
	s_or_b64 s[14:15], s[14:15], exec
                                        ; implicit-def: $vgpr0
	s_waitcnt vmcnt(0)
	v_cmp_ne_u32_e32 vcc, v4, v14
	s_and_saveexec_b64 s[16:17], vcc
	s_cbranch_execz .LBB19_252
; %bb.254:                              ;   in Loop: Header=BB19_253 Depth=1
	v_add_u32_e32 v0, s66, v2
	v_cmp_ge_i32_e32 vcc, v0, v1
	s_andn2_b64 s[0:1], s[14:15], exec
	s_and_b64 s[14:15], vcc, exec
	v_add_u32_e32 v5, s80, v5
	s_andn2_b64 s[12:13], s[12:13], exec
	s_or_b64 s[14:15], s[0:1], s[14:15]
	s_branch .LBB19_252
.LBB19_255:
	s_or_b64 exec, exec, s[8:9]
	s_and_saveexec_b64 s[0:1], s[10:11]
	s_xor_b64 s[0:1], exec, s[0:1]
	s_cbranch_execz .LBB19_260
; %bb.256:
	s_mov_b64 s[8:9], exec
	s_brev_b32 s0, -2
.LBB19_257:                             ; =>This Inner Loop Header: Depth=1
	s_ff1_i32_b64 s1, s[8:9]
	v_readlane_b32 s12, v2, s1
	s_lshl_b64 s[10:11], 1, s1
	s_min_i32 s0, s0, s12
	s_andn2_b64 s[8:9], s[8:9], s[10:11]
	s_cmp_lg_u64 s[8:9], 0
	s_cbranch_scc1 .LBB19_257
; %bb.258:
	v_mbcnt_lo_u32_b32 v0, exec_lo, 0
	v_mbcnt_hi_u32_b32 v0, exec_hi, v0
	v_cmp_eq_u32_e32 vcc, 0, v0
	s_and_saveexec_b64 s[8:9], vcc
	s_xor_b64 s[8:9], exec, s[8:9]
; %bb.259:
	v_mov_b32_e32 v0, 0
	v_mov_b32_e32 v1, s0
	ds_min_i32 v0, v1 offset:4108
.LBB19_260:
	s_or_b64 exec, exec, s[6:7]
	s_waitcnt lgkmcnt(0)
	s_barrier
	s_mov_b64 s[6:7], exec
	v_readlane_b32 s0, v48, 5
	v_readlane_b32 s1, v48, 6
	s_and_b64 s[0:1], s[6:7], s[0:1]
	s_mov_b64 exec, s[0:1]
	s_cbranch_execz .LBB19_262
; %bb.261:
	v_readlane_b32 s0, v48, 0
	s_mul_i32 s0, s0, s62
	v_readlane_b32 s1, v48, 7
	s_add_i32 s0, s0, s65
	s_mul_i32 s1, s1, s33
	s_add_i32 s8, s1, s67
	s_ashr_i32 s1, s0, 31
	v_mov_b32_e32 v2, 0
	s_lshl_b64 s[0:1], s[0:1], 2
	v_readlane_b32 s10, v48, 1
	ds_read_b32 v0, v2 offset:4108
	v_readlane_b32 s11, v48, 2
	s_add_u32 s0, s10, s0
	s_addc_u32 s1, s11, s1
	s_ashr_i32 s9, s8, 31
	s_lshl_b64 s[8:9], s[8:9], 3
	v_readlane_b32 s10, v48, 3
	v_readlane_b32 s11, v48, 4
	s_add_u32 s8, s10, s8
	s_addc_u32 s9, s11, s9
	s_waitcnt lgkmcnt(0)
	v_ashrrev_i32_e32 v1, 31, v0
	global_store_dwordx2 v2, v[0:1], s[8:9]
	global_store_dword v2, v14, s[0:1]
.LBB19_262:
	s_or_b64 exec, exec, s[6:7]
.LBB19_263:
	s_or_saveexec_b64 s[0:1], s[4:5]
	s_mov_b64 s[4:5], 0
	s_xor_b64 exec, exec, s[0:1]
	s_cbranch_execnz .LBB19_266
.LBB19_264:
	s_or_b64 exec, exec, s[0:1]
	s_and_b64 s[4:5], s[4:5], exec
	s_andn2_saveexec_b64 s[0:1], s[2:3]
	s_cbranch_execz .LBB19_242
.LBB19_265:
	s_or_b64 s[4:5], s[4:5], exec
	s_trap 2
	s_or_b64 exec, exec, s[0:1]
	s_and_saveexec_b64 s[0:1], s[4:5]
	s_cbranch_execnz .LBB19_243
	s_branch .LBB19_244
.LBB19_266:
	s_mov_b64 s[4:5], exec
	s_trap 2
	s_branch .LBB19_264
	.section	.rodata,"a",@progbits
	.p2align	6, 0x0
	.amdhsa_kernel _ZN2at6native12_GLOBAL__N_114gatherKthValueIiiLin1EEEvNS_4cuda6detail10TensorInfoIKT_T0_EES8_S8_S8_S8_NS5_IS6_S8_EENS5_IlS8_EE
		.amdhsa_group_segment_fixed_size 4112
		.amdhsa_private_segment_fixed_size 0
		.amdhsa_kernarg_size 920
		.amdhsa_user_sgpr_count 6
		.amdhsa_user_sgpr_private_segment_buffer 1
		.amdhsa_user_sgpr_dispatch_ptr 0
		.amdhsa_user_sgpr_queue_ptr 0
		.amdhsa_user_sgpr_kernarg_segment_ptr 1
		.amdhsa_user_sgpr_dispatch_id 0
		.amdhsa_user_sgpr_flat_scratch_init 0
		.amdhsa_user_sgpr_private_segment_size 0
		.amdhsa_uses_dynamic_stack 0
		.amdhsa_system_sgpr_private_segment_wavefront_offset 0
		.amdhsa_system_sgpr_workgroup_id_x 1
		.amdhsa_system_sgpr_workgroup_id_y 1
		.amdhsa_system_sgpr_workgroup_id_z 1
		.amdhsa_system_sgpr_workgroup_info 0
		.amdhsa_system_vgpr_workitem_id 0
		.amdhsa_next_free_vgpr 49
		.amdhsa_next_free_sgpr 96
		.amdhsa_reserve_vcc 1
		.amdhsa_reserve_flat_scratch 0
		.amdhsa_float_round_mode_32 0
		.amdhsa_float_round_mode_16_64 0
		.amdhsa_float_denorm_mode_32 3
		.amdhsa_float_denorm_mode_16_64 3
		.amdhsa_dx10_clamp 1
		.amdhsa_ieee_mode 1
		.amdhsa_fp16_overflow 0
		.amdhsa_exception_fp_ieee_invalid_op 0
		.amdhsa_exception_fp_denorm_src 0
		.amdhsa_exception_fp_ieee_div_zero 0
		.amdhsa_exception_fp_ieee_overflow 0
		.amdhsa_exception_fp_ieee_underflow 0
		.amdhsa_exception_fp_ieee_inexact 0
		.amdhsa_exception_int_div_zero 0
	.end_amdhsa_kernel
	.section	.text._ZN2at6native12_GLOBAL__N_114gatherKthValueIiiLin1EEEvNS_4cuda6detail10TensorInfoIKT_T0_EES8_S8_S8_S8_NS5_IS6_S8_EENS5_IlS8_EE,"axG",@progbits,_ZN2at6native12_GLOBAL__N_114gatherKthValueIiiLin1EEEvNS_4cuda6detail10TensorInfoIKT_T0_EES8_S8_S8_S8_NS5_IS6_S8_EENS5_IlS8_EE,comdat
.Lfunc_end19:
	.size	_ZN2at6native12_GLOBAL__N_114gatherKthValueIiiLin1EEEvNS_4cuda6detail10TensorInfoIKT_T0_EES8_S8_S8_S8_NS5_IS6_S8_EENS5_IlS8_EE, .Lfunc_end19-_ZN2at6native12_GLOBAL__N_114gatherKthValueIiiLin1EEEvNS_4cuda6detail10TensorInfoIKT_T0_EES8_S8_S8_S8_NS5_IS6_S8_EENS5_IlS8_EE
                                        ; -- End function
	.set _ZN2at6native12_GLOBAL__N_114gatherKthValueIiiLin1EEEvNS_4cuda6detail10TensorInfoIKT_T0_EES8_S8_S8_S8_NS5_IS6_S8_EENS5_IlS8_EE.num_vgpr, 49
	.set _ZN2at6native12_GLOBAL__N_114gatherKthValueIiiLin1EEEvNS_4cuda6detail10TensorInfoIKT_T0_EES8_S8_S8_S8_NS5_IS6_S8_EENS5_IlS8_EE.num_agpr, 0
	.set _ZN2at6native12_GLOBAL__N_114gatherKthValueIiiLin1EEEvNS_4cuda6detail10TensorInfoIKT_T0_EES8_S8_S8_S8_NS5_IS6_S8_EENS5_IlS8_EE.numbered_sgpr, 96
	.set _ZN2at6native12_GLOBAL__N_114gatherKthValueIiiLin1EEEvNS_4cuda6detail10TensorInfoIKT_T0_EES8_S8_S8_S8_NS5_IS6_S8_EENS5_IlS8_EE.num_named_barrier, 0
	.set _ZN2at6native12_GLOBAL__N_114gatherKthValueIiiLin1EEEvNS_4cuda6detail10TensorInfoIKT_T0_EES8_S8_S8_S8_NS5_IS6_S8_EENS5_IlS8_EE.private_seg_size, 0
	.set _ZN2at6native12_GLOBAL__N_114gatherKthValueIiiLin1EEEvNS_4cuda6detail10TensorInfoIKT_T0_EES8_S8_S8_S8_NS5_IS6_S8_EENS5_IlS8_EE.uses_vcc, 1
	.set _ZN2at6native12_GLOBAL__N_114gatherKthValueIiiLin1EEEvNS_4cuda6detail10TensorInfoIKT_T0_EES8_S8_S8_S8_NS5_IS6_S8_EENS5_IlS8_EE.uses_flat_scratch, 0
	.set _ZN2at6native12_GLOBAL__N_114gatherKthValueIiiLin1EEEvNS_4cuda6detail10TensorInfoIKT_T0_EES8_S8_S8_S8_NS5_IS6_S8_EENS5_IlS8_EE.has_dyn_sized_stack, 0
	.set _ZN2at6native12_GLOBAL__N_114gatherKthValueIiiLin1EEEvNS_4cuda6detail10TensorInfoIKT_T0_EES8_S8_S8_S8_NS5_IS6_S8_EENS5_IlS8_EE.has_recursion, 0
	.set _ZN2at6native12_GLOBAL__N_114gatherKthValueIiiLin1EEEvNS_4cuda6detail10TensorInfoIKT_T0_EES8_S8_S8_S8_NS5_IS6_S8_EENS5_IlS8_EE.has_indirect_call, 0
	.section	.AMDGPU.csdata,"",@progbits
; Kernel info:
; codeLenInByte = 9776
; TotalNumSgprs: 100
; NumVgprs: 49
; ScratchSize: 0
; MemoryBound: 0
; FloatMode: 240
; IeeeMode: 1
; LDSByteSize: 4112 bytes/workgroup (compile time only)
; SGPRBlocks: 12
; VGPRBlocks: 12
; NumSGPRsForWavesPerEU: 100
; NumVGPRsForWavesPerEU: 49
; Occupancy: 4
; WaveLimiterHint : 1
; COMPUTE_PGM_RSRC2:SCRATCH_EN: 0
; COMPUTE_PGM_RSRC2:USER_SGPR: 6
; COMPUTE_PGM_RSRC2:TRAP_HANDLER: 0
; COMPUTE_PGM_RSRC2:TGID_X_EN: 1
; COMPUTE_PGM_RSRC2:TGID_Y_EN: 1
; COMPUTE_PGM_RSRC2:TGID_Z_EN: 1
; COMPUTE_PGM_RSRC2:TIDIG_COMP_CNT: 0
	.section	.text._ZN2at6native12_GLOBAL__N_114gatherKthValueIilLi1EEEvNS_4cuda6detail10TensorInfoIKT_T0_EES8_S8_S8_S8_NS5_IS6_S8_EENS5_IlS8_EE,"axG",@progbits,_ZN2at6native12_GLOBAL__N_114gatherKthValueIilLi1EEEvNS_4cuda6detail10TensorInfoIKT_T0_EES8_S8_S8_S8_NS5_IS6_S8_EENS5_IlS8_EE,comdat
	.globl	_ZN2at6native12_GLOBAL__N_114gatherKthValueIilLi1EEEvNS_4cuda6detail10TensorInfoIKT_T0_EES8_S8_S8_S8_NS5_IS6_S8_EENS5_IlS8_EE ; -- Begin function _ZN2at6native12_GLOBAL__N_114gatherKthValueIilLi1EEEvNS_4cuda6detail10TensorInfoIKT_T0_EES8_S8_S8_S8_NS5_IS6_S8_EENS5_IlS8_EE
	.p2align	8
	.type	_ZN2at6native12_GLOBAL__N_114gatherKthValueIilLi1EEEvNS_4cuda6detail10TensorInfoIKT_T0_EES8_S8_S8_S8_NS5_IS6_S8_EENS5_IlS8_EE,@function
_ZN2at6native12_GLOBAL__N_114gatherKthValueIilLi1EEEvNS_4cuda6detail10TensorInfoIKT_T0_EES8_S8_S8_S8_NS5_IS6_S8_EENS5_IlS8_EE: ; @_ZN2at6native12_GLOBAL__N_114gatherKthValueIilLi1EEEvNS_4cuda6detail10TensorInfoIKT_T0_EES8_S8_S8_S8_NS5_IS6_S8_EENS5_IlS8_EE
; %bb.0:
	s_load_dwordx2 s[12:13], s[4:5], 0x500
	s_load_dwordx8 s[56:63], s[4:5], 0x1a0
	s_add_u32 s10, s4, 0x500
	s_addc_u32 s11, s5, 0
	s_mov_b32 s15, 0
	s_waitcnt lgkmcnt(0)
	s_mul_i32 s0, s13, s8
	s_add_i32 s0, s0, s7
	s_mul_i32 s0, s0, s12
	s_add_i32 s14, s0, s6
	v_mov_b32_e32 v1, s14
	v_mov_b32_e32 v2, s15
	v_cmp_le_i64_e32 vcc, s[60:61], v[1:2]
	s_cbranch_vccnz .LBB20_269
; %bb.1:
	s_load_dwordx2 s[0:1], s[4:5], 0x430
                                        ; implicit-def: $vgpr54 : SGPR spill to VGPR lane
	v_cmp_eq_u32_e64 s[8:9], 0, v0
	s_waitcnt lgkmcnt(0)
	v_writelane_b32 v54, s0, 0
	v_writelane_b32 v54, s1, 1
	s_load_dwordx2 s[0:1], s[4:5], 0x360
	s_waitcnt lgkmcnt(0)
	v_writelane_b32 v54, s0, 2
	v_writelane_b32 v54, s1, 3
	s_load_dwordx2 s[0:1], s[4:5], 0x290
	s_waitcnt lgkmcnt(0)
	v_writelane_b32 v54, s0, 4
	v_writelane_b32 v54, s1, 5
	s_load_dwordx2 s[0:1], s[4:5], 0x1c0
	s_waitcnt lgkmcnt(0)
	v_writelane_b32 v54, s0, 6
	v_writelane_b32 v54, s1, 7
	s_load_dwordx2 s[2:3], s[4:5], 0xd0
	s_load_dwordx2 s[0:1], s[4:5], 0x0
	s_mov_b64 s[4:5], exec
	v_writelane_b32 v54, s8, 8
	v_writelane_b32 v54, s9, 9
	s_and_b64 s[8:9], s[4:5], s[8:9]
	s_mov_b64 exec, s[8:9]
	s_cbranch_execz .LBB20_3
; %bb.2:
	v_mov_b32_e32 v1, 0
	v_mov_b32_e32 v3, s56
	;; [unrolled: 1-line block ×4, first 2 shown]
	ds_write_b32 v1, v1 offset:5136
	ds_write_b128 v1, v[1:4] offset:5120
.LBB20_3:
	s_or_b64 exec, exec, s[4:5]
	s_waitcnt lgkmcnt(0)
	s_mul_i32 s3, s3, s14
	s_mul_hi_u32 s4, s2, s14
	s_add_i32 s3, s4, s3
	s_mul_i32 s2, s2, s14
	s_mov_b32 s4, s14
	s_lshl_b64 s[2:3], s[2:3], 2
	v_writelane_b32 v54, s4, 10
	s_add_u32 s8, s0, s2
	v_writelane_b32 v54, s5, 11
	s_addc_u32 s9, s1, s3
	v_cmp_gt_u32_e64 s[0:1], 2, v0
	v_writelane_b32 v54, s0, 12
	v_writelane_b32 v54, s1, 13
	v_mad_u64_u32 v[2:3], s[0:1], s62, v0, 0
	v_mov_b32_e32 v4, 0x300
	v_mov_b32_e32 v5, 0
	v_mad_u64_u32 v[6:7], s[0:1], s63, v0, v[3:4]
	v_cmp_gt_i64_e64 s[0:1], s[56:57], v[4:5]
	v_mbcnt_lo_u32_b32 v1, -1, 0
	v_mov_b32_e32 v13, 0
	v_mbcnt_hi_u32_b32 v31, -1, v1
	v_mov_b32_e32 v1, v13
	v_writelane_b32 v54, s0, 14
	v_writelane_b32 v54, s1, 15
	v_cmp_gt_u64_e64 s[0:1], s[56:57], v[0:1]
	v_mov_b32_e32 v3, v6
	v_writelane_b32 v54, s0, 16
	v_writelane_b32 v54, s1, 17
	v_mov_b32_e32 v6, s9
	v_writelane_b32 v54, s8, 18
	v_cmp_gt_i64_e64 s[0:1], s[56:57], v[0:1]
	v_writelane_b32 v54, s9, 19
	v_writelane_b32 v54, s0, 20
	s_barrier
	v_writelane_b32 v54, s1, 21
	s_load_dword s0, s[10:11], 0xc
	v_lshlrev_b64 v[4:5], 2, v[2:3]
	v_cmp_gt_u32_e32 vcc, 64, v0
	v_cmp_gt_i32_e64 s[2:3], 4, v31
	s_and_b64 s[76:77], vcc, s[2:3]
	v_add_co_u32_e32 v10, vcc, s8, v4
	s_waitcnt lgkmcnt(0)
	s_and_b32 s33, s0, 0xffff
	s_bfe_u32 s2, s0, 0xa0006
	v_addc_co_u32_e32 v11, vcc, v6, v5, vcc
	v_lshlrev_b64 v[4:5], v31, -1
	s_cmp_gt_u32 s33, 63
	s_cselect_b64 s[0:1], -1, 0
	v_lshlrev_b32_e32 v35, 4, v0
	v_not_b32_e32 v33, v5
	v_writelane_b32 v54, s0, 22
	v_or_b32_e32 v5, 12, v35
	v_writelane_b32 v54, s1, 23
	v_mad_u64_u32 v[16:17], s[0:1], s62, v5, 0
	s_add_u32 s3, s33, -1
	v_lshlrev_b32_e32 v6, 2, v31
	s_addc_u32 s0, 0, -1
	v_and_b32_e32 v32, 0x100, v6
	v_writelane_b32 v54, s3, 24
	s_add_u32 s83, s3, s56
	v_or_b32_e32 v6, 8, v35
	v_not_b32_e32 v34, v4
	v_writelane_b32 v54, s0, 25
	s_addc_u32 s73, s0, s57
	v_mov_b32_e32 v4, v17
	v_mad_u64_u32 v[17:18], s[0:1], s62, v6, 0
	v_or_b32_e32 v7, 4, v35
	v_mad_u64_u32 v[19:20], s[0:1], s62, v7, 0
	v_mad_u64_u32 v[4:5], s[0:1], s63, v5, v[4:5]
	v_mov_b32_e32 v5, v18
	v_mad_u64_u32 v[5:6], s[0:1], s63, v6, v[5:6]
	v_mov_b32_e32 v6, v20
	v_mad_u64_u32 v[6:7], s[0:1], s63, v7, v[6:7]
	s_cmp_lt_u32 s6, s12
	s_cselect_b32 s0, 12, 18
	s_add_u32 s78, s10, s0
	s_addc_u32 s79, s11, 0
	s_add_i32 s0, s2, -1
	s_bfe_u32 s88, s33, 0x30006
	s_and_b32 s0, s0, 0xffff
	s_cmp_gt_u32 s0, 6
	s_cselect_b64 s[0:1], -1, 0
	v_writelane_b32 v54, s0, 26
	v_writelane_b32 v54, s1, 27
	s_and_b32 s0, s2, 0x3f8
	s_cmp_lg_u32 s88, 0
	s_cselect_b64 s[2:3], -1, 0
	v_writelane_b32 v54, s2, 28
	v_writelane_b32 v54, s3, 29
	s_lshl_b64 s[2:3], s[62:63], 2
	v_writelane_b32 v54, s2, 30
	v_writelane_b32 v54, s3, 31
	v_lshrrev_b32_e32 v7, 1, v0
	v_lshlrev_b64 v[20:21], 4, v[2:3]
	v_mov_b32_e32 v2, s57
	v_add_co_u32_e32 v39, vcc, s56, v0
	s_mul_i32 s1, s63, s33
	s_mul_hi_u32 s2, s62, s33
	v_writelane_b32 v54, s76, 32
	v_lshlrev_b32_e32 v14, 2, v0
	v_and_b32_e32 v7, 0x1e0, v7
	v_addc_co_u32_e32 v40, vcc, 0, v2, vcc
	v_mov_b32_e32 v2, 0xc00
	s_add_i32 s3, s2, s1
	s_mul_i32 s2, s62, s33
	v_mov_b32_e32 v25, s58
	v_writelane_b32 v54, s77, 33
	s_mov_b32 s85, 0
	v_cmp_eq_u32_e64 s[4:5], 0, v31
	v_mov_b32_e32 v15, v13
	v_or_b32_e32 v18, 0xc00, v7
	v_mov_b32_e32 v36, v4
	s_lshl_b64 s[90:91], s[62:63], 4
	v_mov_b32_e32 v37, v5
	v_mov_b32_e32 v38, v6
	v_lshl_or_b32 v41, v31, 3, v2
	s_lshl_b64 s[70:71], s[2:3], 2
	s_lshl_b32 s1, s33, 2
	s_mov_b32 s82, 30
	s_mov_b64 s[92:93], 0
	v_add_u32_e32 v43, 0xc00, v14
	v_mov_b32_e32 v44, 0
	v_mov_b32_e32 v42, 0
	;; [unrolled: 1-line block ×6, first 2 shown]
	v_writelane_b32 v54, s78, 34
                                        ; implicit-def: $sgpr94_sgpr95
                                        ; implicit-def: $sgpr60_sgpr61
                                        ; implicit-def: $sgpr54_sgpr55
                                        ; implicit-def: $sgpr68_sgpr69
                                        ; implicit-def: $sgpr10_sgpr11
                                        ; implicit-def: $sgpr66_sgpr67
	v_writelane_b32 v54, s79, 35
	s_branch .LBB20_7
.LBB20_4:                               ;   in Loop: Header=BB20_7 Depth=1
	s_or_b64 exec, exec, s[16:17]
	s_and_b64 s[8:9], s[8:9], exec
	s_andn2_b64 s[22:23], s[22:23], exec
	s_andn2_b64 s[6:7], s[6:7], exec
	s_orn2_b64 s[16:17], s[12:13], exec
.LBB20_5:                               ;   in Loop: Header=BB20_7 Depth=1
	s_or_b64 exec, exec, s[2:3]
	s_andn2_b64 s[2:3], s[66:67], exec
	s_and_b64 s[8:9], s[8:9], exec
	s_or_b64 s[66:67], s[2:3], s[8:9]
	s_andn2_b64 s[2:3], s[10:11], exec
	s_and_b64 s[8:9], s[22:23], exec
	s_or_b64 s[10:11], s[2:3], s[8:9]
	;; [unrolled: 3-line block ×3, first 2 shown]
	s_orn2_b64 s[6:7], s[16:17], exec
.LBB20_6:                               ;   in Loop: Header=BB20_7 Depth=1
	s_or_b64 exec, exec, s[14:15]
	s_and_b64 s[2:3], exec, s[6:7]
	s_or_b64 s[92:93], s[2:3], s[92:93]
	s_andn2_b64 s[2:3], s[54:55], exec
	s_and_b64 s[6:7], s[66:67], exec
	s_or_b64 s[54:55], s[2:3], s[6:7]
	s_andn2_b64 s[2:3], s[60:61], exec
	s_and_b64 s[6:7], s[10:11], exec
	;; [unrolled: 3-line block ×3, first 2 shown]
	v_mov_b32_e32 v26, v7
	s_or_b64 s[94:95], s[2:3], s[6:7]
	v_mov_b32_e32 v25, v6
	s_andn2_b64 exec, exec, s[92:93]
	s_cbranch_execz .LBB20_265
.LBB20_7:                               ; =>This Loop Header: Depth=1
                                        ;     Child Loop BB20_13 Depth 2
                                        ;     Child Loop BB20_26 Depth 2
	;; [unrolled: 1-line block ×16, first 2 shown]
	ds_read_b128 v[2:5], v13 offset:5120
	s_waitcnt lgkmcnt(0)
	v_readfirstlane_b32 s59, v3
	v_readfirstlane_b32 s58, v2
	v_cmp_gt_i64_e64 s[2:3], s[58:59], 0
	s_and_b64 vcc, exec, s[2:3]
	s_cbranch_vccnz .LBB20_34
; %bb.8:                                ;   in Loop: Header=BB20_7 Depth=1
	v_readlane_b32 s2, v54, 14
	v_readlane_b32 s3, v54, 15
	s_and_b64 vcc, exec, s[2:3]
	s_cbranch_vccz .LBB20_21
; %bb.9:                                ;   in Loop: Header=BB20_7 Depth=1
	s_mov_b64 s[2:3], 0x301
	v_cmp_gt_i64_e32 vcc, s[2:3], v[4:5]
	s_mov_b64 s[2:3], 0
	s_mov_b64 s[6:7], 0
	s_cbranch_vccz .LBB20_22
; %bb.10:                               ;   in Loop: Header=BB20_7 Depth=1
	s_mov_b64 s[8:9], exec
	v_readlane_b32 s6, v54, 16
	v_readlane_b32 s7, v54, 17
	s_and_b64 s[6:7], s[8:9], s[6:7]
	s_mov_b64 exec, s[6:7]
	s_cbranch_execz .LBB20_68
; %bb.11:                               ;   in Loop: Header=BB20_7 Depth=1
	global_load_ushort v6, v13, s[78:79]
	global_load_dword v7, v[10:11], off
	v_readlane_b32 s6, v54, 18
	v_readlane_b32 s7, v54, 19
	v_mov_b32_e32 v2, s6
	v_mov_b32_e32 v3, s7
	v_readlane_b32 s16, v54, 30
	v_readlane_b32 s17, v54, 31
	s_mov_b64 s[14:15], 0
	s_waitcnt vmcnt(1)
	v_readfirstlane_b32 s6, v6
	s_and_b32 s12, 0xffff, s6
	v_add_u32_e32 v4, s12, v0
	v_mad_u64_u32 v[2:3], s[6:7], s16, v4, v[2:3]
	s_mul_i32 s13, s17, s12
	s_mul_i32 s22, s16, s12
	v_mad_u64_u32 v[3:4], s[6:7], s17, v4, v[3:4]
	s_mul_hi_u32 s6, s16, s12
	v_mov_b32_e32 v5, v1
	s_add_i32 s23, s6, s13
	v_mov_b32_e32 v4, v0
	s_branch .LBB20_13
.LBB20_12:                              ;   in Loop: Header=BB20_13 Depth=2
	s_or_b64 exec, exec, s[6:7]
	v_mov_b32_e32 v7, s23
	v_add_co_u32_e32 v2, vcc, s22, v2
	v_addc_co_u32_e32 v3, vcc, v3, v7, vcc
	v_mov_b32_e32 v7, v8
	s_andn2_b64 exec, exec, s[14:15]
	s_cbranch_execz .LBB20_68
.LBB20_13:                              ;   Parent Loop BB20_7 Depth=1
                                        ; =>  This Inner Loop Header: Depth=2
	v_add_co_u32_sdwa v4, vcc, v4, v6 dst_sel:DWORD dst_unused:UNUSED_PAD src0_sel:DWORD src1_sel:WORD_0
	v_addc_co_u32_e32 v5, vcc, 0, v5, vcc
	v_cmp_gt_i64_e64 s[6:7], s[56:57], v[4:5]
	v_cmp_le_i64_e32 vcc, s[56:57], v[4:5]
	s_waitcnt lgkmcnt(0)
	v_mov_b32_e32 v9, 0
	v_mov_b32_e32 v8, 0
	s_and_saveexec_b64 s[12:13], s[6:7]
	s_cbranch_execz .LBB20_15
; %bb.14:                               ;   in Loop: Header=BB20_13 Depth=2
	global_load_dword v8, v[2:3], off
.LBB20_15:                              ;   in Loop: Header=BB20_13 Depth=2
	s_or_b64 exec, exec, s[12:13]
	s_waitcnt vmcnt(0)
	v_xor_b32_e32 v12, 0x80000000, v7
	v_and_b32_e32 v12, v12, v45
	v_cmp_eq_u32_e64 s[12:13], v12, v42
	s_cmp_lg_u64 s[12:13], 0
	s_cselect_b64 s[6:7], -1, 0
	s_and_b64 s[6:7], s[4:5], s[6:7]
	s_and_saveexec_b64 s[16:17], s[6:7]
	s_cbranch_execz .LBB20_19
; %bb.16:                               ;   in Loop: Header=BB20_13 Depth=2
	s_mov_b64 s[20:21], exec
	v_mbcnt_lo_u32_b32 v9, s20, 0
	v_mbcnt_hi_u32_b32 v9, s21, v9
	s_bcnt1_i32_b64 s24, s[12:13]
	v_cmp_eq_u32_e64 s[6:7], 0, v9
                                        ; implicit-def: $vgpr12
	s_and_saveexec_b64 s[18:19], s[6:7]
; %bb.17:                               ;   in Loop: Header=BB20_13 Depth=2
	s_bcnt1_i32_b64 s6, s[20:21]
	s_mul_i32 s6, s24, s6
	v_mov_b32_e32 v12, s6
	ds_add_rtn_u32 v12, v13, v12 offset:5136
; %bb.18:                               ;   in Loop: Header=BB20_13 Depth=2
	s_or_b64 exec, exec, s[18:19]
	s_waitcnt lgkmcnt(0)
	v_readfirstlane_b32 s6, v12
	v_mov_b32_e32 v12, s6
	v_mad_u32_u24 v9, s24, v9, v12
.LBB20_19:                              ;   in Loop: Header=BB20_13 Depth=2
	s_or_b64 exec, exec, s[16:17]
	ds_bpermute_b32 v9, v32, v9
	s_and_b64 s[6:7], exec, vcc
	s_or_b64 s[14:15], s[6:7], s[14:15]
	s_and_saveexec_b64 s[6:7], s[12:13]
	s_cbranch_execz .LBB20_12
; %bb.20:                               ;   in Loop: Header=BB20_13 Depth=2
	v_and_b32_e32 v23, s12, v34
	v_and_b32_e32 v12, s13, v33
	v_bcnt_u32_b32 v23, v23, 0
	v_bcnt_u32_b32 v12, v12, v23
	v_lshlrev_b32_e32 v12, 2, v12
	s_waitcnt lgkmcnt(0)
	v_lshl_add_u32 v9, v9, 2, v12
	ds_write_b32 v9, v7
	s_branch .LBB20_12
.LBB20_21:                              ;   in Loop: Header=BB20_7 Depth=1
	s_mov_b64 s[2:3], -1
	s_mov_b64 s[6:7], 0
.LBB20_22:                              ;   in Loop: Header=BB20_7 Depth=1
	s_and_b64 vcc, exec, s[2:3]
	s_cbranch_vccz .LBB20_32
.LBB20_23:                              ;   in Loop: Header=BB20_7 Depth=1
	s_mov_b64 s[2:3], exec
	v_readlane_b32 s6, v54, 20
	v_readlane_b32 s7, v54, 21
	s_and_b64 s[6:7], s[2:3], s[6:7]
	s_mov_b64 exec, s[6:7]
	s_cbranch_execz .LBB20_29
; %bb.24:                               ;   in Loop: Header=BB20_7 Depth=1
	global_load_ushort v2, v13, s[78:79]
	global_load_dword v8, v[10:11], off
	s_waitcnt vmcnt(1)
	v_add_u32_sdwa v12, v2, v0 dst_sel:DWORD dst_unused:UNUSED_PAD src0_sel:WORD_0 src1_sel:DWORD
	v_cmp_gt_i64_e32 vcc, s[56:57], v[12:13]
	v_readfirstlane_b32 s6, v2
	v_mov_b32_e32 v2, v0
	s_and_saveexec_b64 s[8:9], vcc
	s_cbranch_execz .LBB20_28
; %bb.25:                               ;   in Loop: Header=BB20_7 Depth=1
	v_readlane_b32 s12, v54, 18
	v_readlane_b32 s13, v54, 19
	v_mov_b32_e32 v2, s12
	v_mov_b32_e32 v3, s13
	v_readlane_b32 s16, v54, 30
	v_mad_u64_u32 v[2:3], s[12:13], s16, v12, v[2:3]
	v_readlane_b32 s17, v54, 31
	s_and_b32 s14, s6, 0xffff
	v_mad_u64_u32 v[3:4], s[6:7], s17, v12, v[3:4]
	s_mul_i32 s6, s17, s14
	s_mul_hi_u32 s7, s16, s14
	v_mov_b32_e32 v4, v12
	v_mov_b32_e32 v7, v1
	s_add_i32 s15, s7, s6
	s_mul_i32 s16, s16, s14
	s_mov_b64 s[12:13], 0
	v_mov_b32_e32 v5, v13
	v_mov_b32_e32 v6, v0
.LBB20_26:                              ;   Parent Loop BB20_7 Depth=1
                                        ; =>  This Inner Loop Header: Depth=2
	global_load_dword v9, v[2:3], off
	v_mov_b32_e32 v28, v5
	v_mov_b32_e32 v27, v4
	v_lshlrev_b32_e32 v4, 2, v6
	v_mov_b32_e32 v6, s15
	v_add_co_u32_e32 v2, vcc, s16, v2
	s_waitcnt vmcnt(1)
	ds_write_b32 v4, v8
	v_add_co_u32_e64 v4, s[6:7], s14, v27
	v_addc_co_u32_e64 v5, s[6:7], 0, v28, s[6:7]
	v_addc_co_u32_e32 v3, vcc, v3, v6, vcc
	v_cmp_le_i64_e32 vcc, s[56:57], v[4:5]
	v_mov_b32_e32 v6, v27
	s_or_b64 s[12:13], vcc, s[12:13]
	v_mov_b32_e32 v7, v28
	s_waitcnt vmcnt(0)
	v_mov_b32_e32 v8, v9
	s_andn2_b64 exec, exec, s[12:13]
	s_cbranch_execnz .LBB20_26
; %bb.27:                               ;   in Loop: Header=BB20_7 Depth=1
	s_or_b64 exec, exec, s[12:13]
	v_subrev_u32_e32 v2, s14, v4
	v_mov_b32_e32 v8, v9
.LBB20_28:                              ;   in Loop: Header=BB20_7 Depth=1
	s_or_b64 exec, exec, s[8:9]
	v_lshlrev_b32_e32 v2, 2, v2
	s_waitcnt vmcnt(0)
	ds_write_b32 v2, v8
.LBB20_29:                              ;   in Loop: Header=BB20_7 Depth=1
	s_or_b64 exec, exec, s[2:3]
	s_waitcnt lgkmcnt(0)
	s_barrier
	s_mov_b64 s[2:3], exec
	v_readlane_b32 s6, v54, 8
	v_readlane_b32 s7, v54, 9
	s_and_b64 s[6:7], s[2:3], s[6:7]
	s_mov_b64 exec, s[6:7]
; %bb.30:                               ;   in Loop: Header=BB20_7 Depth=1
	v_mov_b32_e32 v2, s56
	v_mov_b32_e32 v3, s57
	ds_write_b64 v13, v[2:3] offset:5120
; %bb.31:                               ;   in Loop: Header=BB20_7 Depth=1
	s_or_b64 exec, exec, s[2:3]
	s_mov_b64 s[6:7], -1
	s_waitcnt lgkmcnt(0)
	s_barrier
.LBB20_32:                              ;   in Loop: Header=BB20_7 Depth=1
	s_and_b64 vcc, exec, s[6:7]
	s_cbranch_vccz .LBB20_34
; %bb.33:                               ;   in Loop: Header=BB20_7 Depth=1
	ds_read_b64 v[2:3], v13 offset:5120
	s_waitcnt lgkmcnt(0)
	v_readfirstlane_b32 s58, v2
.LBB20_34:                              ;   in Loop: Header=BB20_7 Depth=1
	s_cmp_lt_i32 s58, 1
	s_mov_b64 s[2:3], -1
                                        ; implicit-def: $vgpr2_vgpr3
                                        ; implicit-def: $vgpr6_vgpr7
	s_cbranch_scc1 .LBB20_44
; %bb.35:                               ;   in Loop: Header=BB20_7 Depth=1
	s_and_b64 vcc, exec, s[2:3]
	s_cbranch_vccnz .LBB20_58
.LBB20_36:                              ;   in Loop: Header=BB20_7 Depth=1
	v_lshlrev_b32_e32 v12, 6, v44
	s_and_saveexec_b64 s[2:3], s[4:5]
	s_cbranch_execz .LBB20_38
.LBB20_37:                              ;   in Loop: Header=BB20_7 Depth=1
	v_lshl_add_u32 v23, v12, 3, v18
	ds_write_b128 v23, v[2:5]
	ds_write_b128 v23, v[6:9] offset:16
.LBB20_38:                              ;   in Loop: Header=BB20_7 Depth=1
	s_or_b64 exec, exec, s[2:3]
	s_waitcnt lgkmcnt(0)
	s_barrier
	s_and_saveexec_b64 s[2:3], s[76:77]
	s_cbranch_execz .LBB20_76
; %bb.39:                               ;   in Loop: Header=BB20_7 Depth=1
	v_readlane_b32 s6, v54, 22
	v_mov_b32_e32 v2, 0
	v_readlane_b32 s7, v54, 23
	v_mov_b32_e32 v3, 0
	s_andn2_b64 vcc, exec, s[6:7]
	s_cbranch_vccnz .LBB20_75
; %bb.40:                               ;   in Loop: Header=BB20_7 Depth=1
	v_readlane_b32 s6, v54, 26
	v_readlane_b32 s7, v54, 27
	s_andn2_b64 vcc, exec, s[6:7]
	s_cbranch_vccnz .LBB20_71
; %bb.41:                               ;   in Loop: Header=BB20_7 Depth=1
	v_mov_b32_e32 v2, 0
	v_lshl_add_u32 v4, v44, 9, v41
	v_mov_b32_e32 v3, 0
	s_mov_b32 s6, 0
.LBB20_42:                              ;   Parent Loop BB20_7 Depth=1
                                        ; =>  This Inner Loop Header: Depth=2
	ds_read2_b64 v[5:8], v4 offset1:4
	ds_read2_b64 v[27:30], v4 offset0:8 offset1:12
	ds_read2_b64 v[46:49], v4 offset0:16 offset1:20
	;; [unrolled: 1-line block ×3, first 2 shown]
	s_add_i32 s6, s6, 8
	s_waitcnt lgkmcnt(3)
	v_add_co_u32_e32 v2, vcc, v5, v2
	v_addc_co_u32_e32 v3, vcc, v6, v3, vcc
	v_add_co_u32_e32 v2, vcc, v7, v2
	v_addc_co_u32_e32 v3, vcc, v8, v3, vcc
	s_waitcnt lgkmcnt(2)
	v_add_co_u32_e32 v2, vcc, v27, v2
	v_addc_co_u32_e32 v3, vcc, v28, v3, vcc
	v_add_co_u32_e32 v2, vcc, v29, v2
	v_addc_co_u32_e32 v3, vcc, v30, v3, vcc
	;; [unrolled: 5-line block ×3, first 2 shown]
	s_waitcnt lgkmcnt(0)
	v_add_co_u32_e32 v2, vcc, v50, v2
	v_addc_co_u32_e32 v3, vcc, v51, v3, vcc
	v_add_co_u32_e32 v2, vcc, v52, v2
	v_add_u32_e32 v4, 0x100, v4
	s_cmp_eq_u32 s0, s6
	v_addc_co_u32_e32 v3, vcc, v53, v3, vcc
	s_cbranch_scc0 .LBB20_42
; %bb.43:                               ;   in Loop: Header=BB20_7 Depth=1
	s_mov_b32 s6, s0
	s_branch .LBB20_72
.LBB20_44:                              ;   in Loop: Header=BB20_7 Depth=1
	global_load_ushort v2, v13, s[78:79]
	s_mov_b32 s2, s85
	s_waitcnt vmcnt(0)
	v_readfirstlane_b32 s3, v2
	s_and_b32 s59, s3, 0xffff
	s_lshl_b32 s80, s59, 2
	s_mov_b32 s3, s57
	s_cmp_lg_u64 s[2:3], 0
	s_cbranch_scc0 .LBB20_67
; %bb.45:                               ;   in Loop: Header=BB20_7 Depth=1
	s_add_u32 s2, s80, 0
	s_addc_u32 s3, 0, 0
	s_xor_b64 s[2:3], s[2:3], 0
	v_cvt_f32_u32_e32 v2, s2
	v_cvt_f32_u32_e32 v3, s3
	s_sub_u32 s8, 0, s2
	s_subb_u32 s9, 0, s3
	v_mac_f32_e32 v2, 0x4f800000, v3
	v_rcp_f32_e32 v2, v2
	v_mul_f32_e32 v2, 0x5f7ffffc, v2
	v_mul_f32_e32 v3, 0x2f800000, v2
	v_trunc_f32_e32 v3, v3
	v_mac_f32_e32 v2, 0xcf800000, v3
	v_cvt_u32_f32_e32 v3, v3
	v_cvt_u32_f32_e32 v2, v2
	v_readfirstlane_b32 s12, v3
	v_readfirstlane_b32 s6, v2
	s_mul_i32 s7, s8, s12
	s_mul_hi_u32 s14, s8, s6
	s_mul_i32 s13, s9, s6
	s_add_i32 s7, s14, s7
	s_mul_i32 s15, s8, s6
	s_add_i32 s7, s7, s13
	s_mul_i32 s14, s6, s7
	s_mul_hi_u32 s16, s6, s15
	s_mul_hi_u32 s13, s6, s7
	s_add_u32 s14, s16, s14
	s_addc_u32 s13, 0, s13
	s_mul_hi_u32 s17, s12, s15
	s_mul_i32 s15, s12, s15
	s_add_u32 s14, s14, s15
	s_mul_hi_u32 s16, s12, s7
	s_addc_u32 s13, s13, s17
	s_addc_u32 s14, s16, 0
	s_mul_i32 s7, s12, s7
	s_add_u32 s7, s13, s7
	s_addc_u32 s13, 0, s14
	s_add_u32 s14, s6, s7
	s_cselect_b64 s[6:7], -1, 0
	s_cmp_lg_u64 s[6:7], 0
	s_addc_u32 s12, s12, s13
	s_mul_i32 s6, s8, s12
	s_mul_hi_u32 s7, s8, s14
	s_add_i32 s6, s7, s6
	s_mul_i32 s9, s9, s14
	s_add_i32 s6, s6, s9
	s_mul_i32 s8, s8, s14
	s_mul_hi_u32 s9, s12, s8
	s_mul_i32 s13, s12, s8
	s_mul_i32 s16, s14, s6
	s_mul_hi_u32 s8, s14, s8
	s_mul_hi_u32 s15, s14, s6
	s_add_u32 s8, s8, s16
	s_addc_u32 s15, 0, s15
	s_add_u32 s8, s8, s13
	s_mul_hi_u32 s7, s12, s6
	s_addc_u32 s8, s15, s9
	s_addc_u32 s7, s7, 0
	s_mul_i32 s6, s12, s6
	s_add_u32 s6, s8, s6
	s_addc_u32 s8, 0, s7
	s_add_u32 s13, s14, s6
	s_cselect_b64 s[6:7], -1, 0
	s_cmp_lg_u64 s[6:7], 0
	s_addc_u32 s12, s12, s8
	s_ashr_i32 s6, s57, 31
	s_add_u32 s8, s56, s6
	s_mov_b32 s7, s6
	s_addc_u32 s9, s57, s6
	s_xor_b64 s[8:9], s[8:9], s[6:7]
	s_mul_i32 s15, s8, s12
	s_mul_hi_u32 s16, s8, s13
	s_mul_hi_u32 s14, s8, s12
	s_add_u32 s15, s16, s15
	s_addc_u32 s14, 0, s14
	s_mul_hi_u32 s17, s9, s13
	s_mul_i32 s13, s9, s13
	s_add_u32 s13, s15, s13
	s_mul_hi_u32 s16, s9, s12
	s_addc_u32 s13, s14, s17
	s_addc_u32 s14, s16, 0
	s_mul_i32 s12, s9, s12
	s_add_u32 s12, s13, s12
	s_addc_u32 s13, 0, s14
	s_mul_i32 s13, s2, s13
	s_mul_hi_u32 s14, s2, s12
	s_add_i32 s13, s14, s13
	s_mul_i32 s14, s3, s12
	s_add_i32 s16, s13, s14
	s_sub_i32 s14, s9, s16
	s_mul_i32 s12, s2, s12
	s_sub_u32 s8, s8, s12
	s_cselect_b64 s[12:13], -1, 0
	s_cmp_lg_u64 s[12:13], 0
	s_subb_u32 s17, s14, s3
	s_sub_u32 s18, s8, s2
	s_cselect_b64 s[14:15], -1, 0
	s_cmp_lg_u64 s[14:15], 0
	s_subb_u32 s19, s17, 0
	s_cmp_ge_u32 s19, s3
	s_cselect_b32 s20, -1, 0
	s_cmp_ge_u32 s18, s2
	s_cselect_b32 s21, -1, 0
	s_cmp_eq_u32 s19, s3
	s_cselect_b32 s20, s21, s20
	s_cmp_lg_u64 s[14:15], 0
	s_subb_u32 s17, s17, s3
	s_sub_u32 s21, s18, s2
	s_cselect_b64 s[14:15], -1, 0
	s_cmp_lg_u64 s[14:15], 0
	s_subb_u32 s14, s17, 0
	s_cmp_lg_u32 s20, 0
	s_cselect_b32 s15, s21, s18
	s_cselect_b32 s14, s14, s19
	s_cmp_lg_u64 s[12:13], 0
	s_subb_u32 s9, s9, s16
	s_cmp_ge_u32 s9, s3
	s_cselect_b32 s12, -1, 0
	s_cmp_ge_u32 s8, s2
	s_cselect_b32 s2, -1, 0
	s_cmp_eq_u32 s9, s3
	s_cselect_b32 s2, s2, s12
	s_cmp_lg_u32 s2, 0
	s_cselect_b32 s3, s14, s9
	s_cselect_b32 s2, s15, s8
	s_xor_b64 s[2:3], s[2:3], s[6:7]
	s_sub_u32 s74, s2, s6
	s_subb_u32 s75, s3, s6
	s_cbranch_execnz .LBB20_47
.LBB20_46:                              ;   in Loop: Header=BB20_7 Depth=1
	v_cvt_f32_u32_e32 v2, s80
	s_sub_i32 s2, 0, s80
	v_rcp_iflag_f32_e32 v2, v2
	v_mul_f32_e32 v2, 0x4f7ffffe, v2
	v_cvt_u32_f32_e32 v2, v2
	v_readfirstlane_b32 s3, v2
	s_mul_i32 s2, s2, s3
	s_mul_hi_u32 s2, s3, s2
	s_add_i32 s3, s3, s2
	s_mul_hi_u32 s2, s56, s3
	s_mul_i32 s2, s2, s80
	s_sub_i32 s2, s56, s2
	s_sub_i32 s3, s2, s80
	s_cmp_ge_u32 s2, s80
	s_cselect_b32 s2, s3, s2
	s_sub_i32 s3, s2, s80
	s_cmp_ge_u32 s2, s80
	s_cselect_b32 s84, s3, s2
	s_mov_b64 s[74:75], s[84:85]
.LBB20_47:                              ;   in Loop: Header=BB20_7 Depth=1
	s_sub_u32 s86, s56, s74
	s_subb_u32 s87, s57, s75
	v_cmp_gt_i64_e32 vcc, s[86:87], v[14:15]
	v_mov_b32_e32 v2, 0
	v_mov_b32_e32 v4, 0
	;; [unrolled: 1-line block ×8, first 2 shown]
	s_and_saveexec_b64 s[2:3], vcc
	s_cbranch_execz .LBB20_51
; %bb.48:                               ;   in Loop: Header=BB20_7 Depth=1
	s_mov_b32 s89, s73
	s_mul_i32 s6, s91, s59
	s_mul_hi_u32 s7, s90, s59
	v_readlane_b32 s72, v54, 18
	v_mov_b32_e32 v28, v15
	s_mov_b32 s81, s83
	s_add_i32 s83, s7, s6
	s_mov_b64 s[64:65], 0
	v_readlane_b32 s73, v54, 19
	s_mov_b64 s[8:9], 0
	s_mov_b64 s[78:79], 0
	;; [unrolled: 1-line block ×4, first 2 shown]
	v_mov_b32_e32 v27, v14
.LBB20_49:                              ;   Parent Loop BB20_7 Depth=1
                                        ; =>  This Inner Loop Header: Depth=2
	v_add_co_u32_e64 v27, s[6:7], s80, v27
	v_addc_co_u32_e64 v28, s[6:7], 0, v28, s[6:7]
	v_mov_b32_e32 v7, s73
	v_add_co_u32_e32 v2, vcc, s72, v19
	v_add_co_u32_e64 v8, s[6:7], s72, v20
	v_add_co_u32_e64 v4, s[12:13], s72, v17
	;; [unrolled: 1-line block ×3, first 2 shown]
	v_addc_co_u32_e64 v9, s[6:7], v7, v21, s[6:7]
	v_addc_co_u32_e32 v3, vcc, v7, v38, vcc
	v_addc_co_u32_e64 v5, vcc, v7, v37, s[12:13]
	v_addc_co_u32_e64 v7, vcc, v7, v36, s[14:15]
	global_load_dword v8, v[8:9], off
	s_nop 0
	global_load_dword v2, v[2:3], off
	s_nop 0
	global_load_dword v3, v[4:5], off
	s_nop 0
	global_load_dword v4, v[6:7], off
	s_mul_i32 s84, s90, s59
	v_cmp_le_i64_e32 vcc, s[86:87], v[27:28]
	s_waitcnt vmcnt(3)
	v_xor_b32_e32 v5, 0x80000000, v8
	s_waitcnt vmcnt(2)
	v_xor_b32_e32 v2, 0x80000000, v2
	v_and_b32_e32 v6, v5, v45
	v_bfe_u32 v5, v5, s82, 2
	s_waitcnt vmcnt(1)
	v_xor_b32_e32 v3, 0x80000000, v3
	v_and_b32_e32 v7, v2, v45
	v_bfe_u32 v2, v2, s82, 2
	v_cmp_eq_u32_e64 s[6:7], v6, v42
	v_cmp_eq_u32_e64 s[18:19], 0, v5
	s_waitcnt vmcnt(0)
	v_xor_b32_e32 v4, 0x80000000, v4
	v_and_b32_e32 v8, v3, v45
	v_bfe_u32 v3, v3, s82, 2
	v_cmp_eq_u32_e64 s[14:15], v7, v42
	v_cmp_eq_u32_e64 s[20:21], 0, v2
	s_and_b64 s[18:19], s[6:7], s[18:19]
	v_and_b32_e32 v9, v4, v45
	v_bfe_u32 v4, v4, s82, 2
	v_cmp_eq_u32_e64 s[16:17], v8, v42
	v_cmp_eq_u32_e64 s[22:23], 0, v3
	;; [unrolled: 1-line block ×5, first 2 shown]
	v_cndmask_b32_e64 v2, 0, 1, s[18:19]
	s_and_b64 s[18:19], s[14:15], s[20:21]
	v_cmp_eq_u32_e64 s[12:13], v9, v42
	v_cmp_eq_u32_e64 s[24:25], 0, v4
	;; [unrolled: 1-line block ×5, first 2 shown]
	v_cndmask_b32_e64 v3, 0, 1, s[18:19]
	s_and_b64 s[18:19], s[16:17], s[22:23]
	v_cmp_eq_u32_e64 s[36:37], 1, v4
	v_cmp_eq_u32_e64 s[44:45], 2, v4
	;; [unrolled: 1-line block ×3, first 2 shown]
	v_cndmask_b32_e64 v4, 0, 1, s[18:19]
	s_and_b64 s[18:19], s[12:13], s[24:25]
	v_cmp_eq_u32_e64 s[26:27], 1, v5
	v_cmp_eq_u32_e64 s[38:39], 2, v5
	;; [unrolled: 1-line block ×3, first 2 shown]
	v_cndmask_b32_e64 v5, 0, 1, s[18:19]
	v_cmp_ne_u32_e64 s[18:19], 0, v2
	v_cmp_ne_u32_e64 s[20:21], 0, v3
	v_cmp_ne_u32_e64 s[22:23], 0, v4
	v_cmp_ne_u32_e64 s[24:25], 0, v5
	s_bcnt1_i32_b64 s18, s[18:19]
	s_bcnt1_i32_b64 s19, s[20:21]
	s_bcnt1_i32_b64 s20, s[22:23]
	s_bcnt1_i32_b64 s21, s[24:25]
	s_add_u32 s18, s18, s76
	s_addc_u32 s22, 0, s77
	s_add_u32 s18, s18, s19
	s_addc_u32 s19, s22, 0
	s_add_u32 s18, s18, s20
	s_addc_u32 s19, s19, 0
	s_add_u32 s76, s18, s21
	s_addc_u32 s77, s19, 0
	s_and_b64 s[18:19], s[6:7], s[26:27]
	v_cndmask_b32_e64 v4, 0, 1, s[18:19]
	s_and_b64 s[18:19], s[14:15], s[30:31]
	v_cndmask_b32_e64 v5, 0, 1, s[18:19]
	s_and_b64 s[18:19], s[16:17], s[34:35]
	v_cndmask_b32_e64 v6, 0, 1, s[18:19]
	s_and_b64 s[18:19], s[12:13], s[36:37]
	v_cndmask_b32_e64 v7, 0, 1, s[18:19]
	v_cmp_ne_u32_e64 s[18:19], 0, v4
	v_cmp_ne_u32_e64 s[20:21], 0, v5
	v_cmp_ne_u32_e64 s[22:23], 0, v6
	v_cmp_ne_u32_e64 s[24:25], 0, v7
	s_bcnt1_i32_b64 s18, s[18:19]
	s_bcnt1_i32_b64 s19, s[20:21]
	s_bcnt1_i32_b64 s20, s[22:23]
	s_bcnt1_i32_b64 s21, s[24:25]
	s_add_u32 s18, s18, s28
	s_addc_u32 s22, 0, s29
	s_add_u32 s18, s18, s19
	s_addc_u32 s19, s22, 0
	s_add_u32 s18, s18, s20
	s_addc_u32 s19, s19, 0
	s_add_u32 s28, s18, s21
	s_addc_u32 s29, s19, 0
	s_and_b64 s[18:19], s[6:7], s[38:39]
	v_cndmask_b32_e64 v6, 0, 1, s[18:19]
	s_and_b64 s[18:19], s[14:15], s[40:41]
	v_cndmask_b32_e64 v7, 0, 1, s[18:19]
	s_and_b64 s[18:19], s[16:17], s[42:43]
	v_cndmask_b32_e64 v8, 0, 1, s[18:19]
	s_and_b64 s[18:19], s[12:13], s[44:45]
	;; [unrolled: 24-line block ×3, first 2 shown]
	v_cndmask_b32_e64 v23, 0, 1, s[6:7]
	v_cmp_ne_u32_e64 s[6:7], 0, v8
	v_cmp_ne_u32_e64 s[12:13], 0, v9
	;; [unrolled: 1-line block ×4, first 2 shown]
	s_bcnt1_i32_b64 s6, s[6:7]
	s_bcnt1_i32_b64 s7, s[12:13]
	;; [unrolled: 1-line block ×4, first 2 shown]
	s_add_u32 s6, s6, s8
	s_addc_u32 s8, 0, s9
	s_add_u32 s6, s6, s7
	s_addc_u32 s7, s8, 0
	;; [unrolled: 2-line block ×4, first 2 shown]
	s_add_u32 s72, s72, s84
	v_mov_b32_e32 v2, s76
	v_mov_b32_e32 v4, s28
	;; [unrolled: 1-line block ×3, first 2 shown]
	s_addc_u32 s73, s73, s83
	v_mov_b32_e32 v8, s8
	v_mov_b32_e32 v3, s77
	;; [unrolled: 1-line block ×4, first 2 shown]
	s_or_b64 s[64:65], vcc, s[64:65]
	v_mov_b32_e32 v9, s9
	s_andn2_b64 exec, exec, s[64:65]
	s_cbranch_execnz .LBB20_49
; %bb.50:                               ;   in Loop: Header=BB20_7 Depth=1
	s_or_b64 exec, exec, s[64:65]
	v_readlane_b32 s76, v54, 32
	v_readlane_b32 s78, v54, 34
	;; [unrolled: 1-line block ×3, first 2 shown]
	s_mov_b32 s83, s81
	s_mov_b32 s73, s89
	v_readlane_b32 s79, v54, 35
.LBB20_51:                              ;   in Loop: Header=BB20_7 Depth=1
	s_or_b64 exec, exec, s[2:3]
	v_mov_b32_e32 v12, s87
	v_add_co_u32_e32 v27, vcc, s86, v0
	v_addc_co_u32_e32 v28, vcc, 0, v12, vcc
	v_cmp_gt_i64_e32 vcc, s[56:57], v[27:28]
	s_and_saveexec_b64 s[2:3], vcc
	s_cbranch_execz .LBB20_57
; %bb.52:                               ;   in Loop: Header=BB20_7 Depth=1
	v_mul_lo_u32 v12, v28, s62
	v_mul_lo_u32 v23, v27, s63
	v_mad_u64_u32 v[29:30], s[6:7], v27, s62, 0
	v_readlane_b32 s6, v54, 18
	v_readlane_b32 s7, v54, 19
	v_add3_u32 v30, v30, v23, v12
	v_lshlrev_b64 v[29:30], 2, v[29:30]
	v_mov_b32_e32 v12, s7
	v_add_co_u32_e32 v29, vcc, s6, v29
	v_addc_co_u32_e32 v30, vcc, v12, v30, vcc
	global_load_dword v12, v[29:30], off
	v_add_co_u32_e32 v23, vcc, s59, v39
	v_addc_co_u32_e32 v29, vcc, 0, v40, vcc
	v_mov_b32_e32 v30, s75
	v_subrev_co_u32_e32 v23, vcc, s74, v23
	v_subb_co_u32_e32 v29, vcc, v29, v30, vcc
	v_readlane_b32 s8, v54, 30
	v_mul_lo_u32 v46, s8, v29
	v_mov_b32_e32 v30, s7
	v_readlane_b32 s9, v54, 31
	v_mov_b32_e32 v29, s6
	v_mul_lo_u32 v47, s9, v23
	v_mad_u64_u32 v[29:30], s[6:7], s8, v23, v[29:30]
	s_mul_i32 s6, s9, s59
	s_mul_hi_u32 s7, s8, s59
	v_add3_u32 v30, v47, v30, v46
	s_add_i32 s14, s7, s6
	s_mul_i32 s15, s8, s59
	s_mov_b64 s[8:9], 0
	s_branch .LBB20_54
.LBB20_53:                              ;   in Loop: Header=BB20_54 Depth=2
	s_or_b64 exec, exec, s[12:13]
	s_waitcnt vmcnt(0)
	v_xor_b32_e32 v12, 0x80000000, v12
	s_and_b64 s[6:7], exec, vcc
	v_and_b32_e32 v46, v12, v45
	v_bfe_u32 v12, v12, s82, 2
	s_or_b64 s[8:9], s[6:7], s[8:9]
	v_cmp_eq_u32_e32 vcc, v46, v42
	v_cmp_eq_u32_e64 s[6:7], 0, v12
	s_and_b64 s[6:7], vcc, s[6:7]
	v_cndmask_b32_e64 v46, 0, 1, s[6:7]
	v_cmp_ne_u32_e64 s[6:7], 0, v46
	s_bcnt1_i32_b64 s6, s[6:7]
	v_add_co_u32_e64 v2, s[6:7], s6, v2
	v_addc_co_u32_e64 v3, s[6:7], 0, v3, s[6:7]
	v_cmp_eq_u32_e64 s[6:7], 1, v12
	s_and_b64 s[6:7], vcc, s[6:7]
	v_cndmask_b32_e64 v46, 0, 1, s[6:7]
	v_cmp_ne_u32_e64 s[6:7], 0, v46
	s_bcnt1_i32_b64 s6, s[6:7]
	v_add_co_u32_e64 v4, s[6:7], s6, v4
	v_addc_co_u32_e64 v5, s[6:7], 0, v5, s[6:7]
	v_cmp_eq_u32_e64 s[6:7], 2, v12
	s_and_b64 s[6:7], vcc, s[6:7]
	v_cndmask_b32_e64 v46, 0, 1, s[6:7]
	v_cmp_ne_u32_e64 s[6:7], 0, v46
	s_bcnt1_i32_b64 s6, s[6:7]
	v_add_co_u32_e64 v6, s[6:7], s6, v6
	v_addc_co_u32_e64 v7, s[6:7], 0, v7, s[6:7]
	v_cmp_eq_u32_e64 s[6:7], 3, v12
	s_and_b64 s[6:7], vcc, s[6:7]
	v_cndmask_b32_e64 v12, 0, 1, s[6:7]
	v_cmp_ne_u32_e32 vcc, 0, v12
	s_bcnt1_i32_b64 s6, vcc
	v_add_co_u32_e32 v8, vcc, s6, v8
	v_addc_co_u32_e32 v9, vcc, 0, v9, vcc
	v_mov_b32_e32 v12, s14
	v_add_co_u32_e32 v29, vcc, s15, v29
	v_addc_co_u32_e32 v30, vcc, v30, v12, vcc
	v_mov_b32_e32 v12, v23
	s_andn2_b64 exec, exec, s[8:9]
	s_cbranch_execz .LBB20_56
.LBB20_54:                              ;   Parent Loop BB20_7 Depth=1
                                        ; =>  This Inner Loop Header: Depth=2
	v_add_co_u32_e32 v27, vcc, s59, v27
	v_addc_co_u32_e32 v28, vcc, 0, v28, vcc
	v_cmp_gt_i64_e64 s[6:7], s[56:57], v[27:28]
	v_cmp_le_i64_e32 vcc, s[56:57], v[27:28]
	v_mov_b32_e32 v23, 0
	s_and_saveexec_b64 s[12:13], s[6:7]
	s_cbranch_execz .LBB20_53
; %bb.55:                               ;   in Loop: Header=BB20_54 Depth=2
	global_load_dword v23, v[29:30], off
	s_branch .LBB20_53
.LBB20_56:                              ;   in Loop: Header=BB20_7 Depth=1
	s_or_b64 exec, exec, s[8:9]
.LBB20_57:                              ;   in Loop: Header=BB20_7 Depth=1
	s_or_b64 exec, exec, s[2:3]
	s_branch .LBB20_36
.LBB20_58:                              ;   in Loop: Header=BB20_7 Depth=1
	global_load_ushort v12, v13, s[78:79]
	v_mov_b32_e32 v6, 0
	v_mov_b32_e32 v7, 0
	s_waitcnt vmcnt(0)
	v_readfirstlane_b32 s2, v12
	s_and_b32 s6, 0xffff, s2
	s_lshl_b32 s59, s6, 2
	v_cvt_f32_u32_e32 v2, s59
	s_sub_i32 s2, 0, s59
	v_rcp_iflag_f32_e32 v4, v2
	v_mov_b32_e32 v2, 0
	v_mov_b32_e32 v3, 0
	v_mul_f32_e32 v4, 0x4f7ffffe, v4
	v_cvt_u32_f32_e32 v8, v4
	v_mov_b32_e32 v4, 0
	v_mov_b32_e32 v5, 0
	v_readfirstlane_b32 s3, v8
	s_mul_i32 s2, s2, s3
	s_mul_hi_u32 s2, s3, s2
	s_add_i32 s3, s3, s2
	s_mul_hi_u32 s2, s58, s3
	s_mul_i32 s3, s2, s59
	s_sub_i32 s3, s58, s3
	s_add_i32 s7, s2, 1
	s_sub_i32 s8, s3, s59
	s_cmp_ge_u32 s3, s59
	s_cselect_b32 s2, s7, s2
	s_cselect_b32 s3, s8, s3
	s_add_i32 s7, s2, 1
	s_cmp_ge_u32 s3, s59
	s_cselect_b32 s2, s7, s2
	s_mul_hi_u32 s3, s6, s2
	s_mul_i32 s2, s6, s2
	s_lshl_b64 s[8:9], s[2:3], 2
	v_cmp_gt_u64_e32 vcc, s[8:9], v[14:15]
	v_mov_b32_e32 v8, 0
	v_mov_b32_e32 v9, 0
	s_and_saveexec_b64 s[28:29], vcc
	s_cbranch_execz .LBB20_62
; %bb.59:                               ;   in Loop: Header=BB20_7 Depth=1
	v_mov_b32_e32 v28, v15
	s_mov_b32 s81, s73
	s_lshl_b32 s3, s6, 4
	s_mov_b64 s[64:65], 0
	v_mov_b32_e32 v23, v35
	s_mov_b64 s[72:73], 0
	s_mov_b64 s[74:75], 0
	;; [unrolled: 1-line block ×4, first 2 shown]
	v_mov_b32_e32 v27, v14
.LBB20_60:                              ;   Parent Loop BB20_7 Depth=1
                                        ; =>  This Inner Loop Header: Depth=2
	ds_read_b128 v[2:5], v23
	v_add_co_u32_e32 v27, vcc, s59, v27
	v_addc_co_u32_e32 v28, vcc, 0, v28, vcc
	s_waitcnt lgkmcnt(0)
	v_xor_b32_e32 v2, 0x80000000, v2
	v_xor_b32_e32 v3, 0x80000000, v3
	v_and_b32_e32 v6, v2, v45
	v_bfe_u32 v2, v2, s82, 2
	v_xor_b32_e32 v4, 0x80000000, v4
	v_and_b32_e32 v7, v3, v45
	v_bfe_u32 v3, v3, s82, 2
	v_cmp_eq_u32_e64 s[18:19], v6, v42
	v_cmp_eq_u32_e64 s[6:7], 0, v2
	v_xor_b32_e32 v5, 0x80000000, v5
	v_and_b32_e32 v8, v4, v45
	v_bfe_u32 v4, v4, s82, 2
	v_cmp_eq_u32_e64 s[16:17], v7, v42
	v_cmp_eq_u32_e64 s[30:31], 0, v3
	s_and_b64 s[6:7], s[18:19], s[6:7]
	v_and_b32_e32 v9, v5, v45
	v_bfe_u32 v5, v5, s82, 2
	v_cmp_eq_u32_e64 s[14:15], v8, v42
	v_cmp_eq_u32_e64 s[34:35], 0, v4
	;; [unrolled: 1-line block ×5, first 2 shown]
	v_cndmask_b32_e64 v2, 0, 1, s[6:7]
	s_and_b64 s[6:7], s[16:17], s[30:31]
	v_cmp_eq_u32_e64 s[12:13], v9, v42
	v_cmp_eq_u32_e64 s[36:37], 0, v5
	;; [unrolled: 1-line block ×5, first 2 shown]
	v_cndmask_b32_e64 v3, 0, 1, s[6:7]
	s_and_b64 s[6:7], s[14:15], s[34:35]
	v_cmp_eq_u32_e64 s[42:43], 1, v4
	v_cmp_eq_u32_e64 s[50:51], 2, v4
	;; [unrolled: 1-line block ×3, first 2 shown]
	v_cndmask_b32_e64 v4, 0, 1, s[6:7]
	s_and_b64 s[6:7], s[12:13], s[36:37]
	v_cmp_eq_u32_e64 s[44:45], 1, v5
	v_cmp_eq_u32_e64 s[52:53], 2, v5
	;; [unrolled: 1-line block ×3, first 2 shown]
	v_cndmask_b32_e64 v5, 0, 1, s[6:7]
	v_cmp_ne_u32_e64 s[6:7], 0, v2
	v_cmp_ne_u32_e64 s[30:31], 0, v3
	v_cmp_ne_u32_e64 s[34:35], 0, v4
	v_cmp_ne_u32_e64 s[36:37], 0, v5
	s_bcnt1_i32_b64 s6, s[6:7]
	s_bcnt1_i32_b64 s7, s[30:31]
	s_bcnt1_i32_b64 s30, s[34:35]
	s_bcnt1_i32_b64 s31, s[36:37]
	s_add_u32 s6, s6, s78
	s_addc_u32 s34, 0, s79
	s_add_u32 s6, s6, s7
	s_addc_u32 s7, s34, 0
	s_add_u32 s6, s6, s30
	s_addc_u32 s7, s7, 0
	s_add_u32 s78, s6, s31
	s_addc_u32 s79, s7, 0
	s_and_b64 s[6:7], s[18:19], s[38:39]
	v_cndmask_b32_e64 v4, 0, 1, s[6:7]
	s_and_b64 s[6:7], s[16:17], s[40:41]
	v_cndmask_b32_e64 v5, 0, 1, s[6:7]
	s_and_b64 s[6:7], s[14:15], s[42:43]
	v_cndmask_b32_e64 v6, 0, 1, s[6:7]
	s_and_b64 s[6:7], s[12:13], s[44:45]
	v_cndmask_b32_e64 v7, 0, 1, s[6:7]
	v_cmp_ne_u32_e64 s[6:7], 0, v4
	v_cmp_ne_u32_e64 s[30:31], 0, v5
	v_cmp_ne_u32_e64 s[34:35], 0, v6
	v_cmp_ne_u32_e64 s[36:37], 0, v7
	s_bcnt1_i32_b64 s6, s[6:7]
	s_bcnt1_i32_b64 s7, s[30:31]
	s_bcnt1_i32_b64 s30, s[34:35]
	s_bcnt1_i32_b64 s31, s[36:37]
	s_add_u32 s6, s6, s76
	s_addc_u32 s34, 0, s77
	s_add_u32 s6, s6, s7
	s_addc_u32 s7, s34, 0
	s_add_u32 s6, s6, s30
	s_addc_u32 s7, s7, 0
	s_add_u32 s76, s6, s31
	s_addc_u32 s77, s7, 0
	s_and_b64 s[6:7], s[18:19], s[46:47]
	v_cndmask_b32_e64 v6, 0, 1, s[6:7]
	s_and_b64 s[6:7], s[16:17], s[48:49]
	v_cndmask_b32_e64 v7, 0, 1, s[6:7]
	s_and_b64 s[6:7], s[14:15], s[50:51]
	v_cndmask_b32_e64 v8, 0, 1, s[6:7]
	s_and_b64 s[6:7], s[12:13], s[52:53]
	;; [unrolled: 24-line block ×3, first 2 shown]
	v_cndmask_b32_e64 v30, 0, 1, s[6:7]
	v_cmp_ne_u32_e64 s[6:7], 0, v8
	v_cmp_ne_u32_e64 s[12:13], 0, v9
	;; [unrolled: 1-line block ×4, first 2 shown]
	s_bcnt1_i32_b64 s6, s[6:7]
	s_bcnt1_i32_b64 s7, s[12:13]
	;; [unrolled: 1-line block ×4, first 2 shown]
	s_add_u32 s6, s6, s72
	s_addc_u32 s14, 0, s73
	s_add_u32 s6, s6, s7
	s_addc_u32 s7, s14, 0
	;; [unrolled: 2-line block ×3, first 2 shown]
	v_cmp_le_u64_e32 vcc, s[8:9], v[27:28]
	s_add_u32 s72, s6, s13
	v_mov_b32_e32 v2, s78
	v_mov_b32_e32 v4, s76
	;; [unrolled: 1-line block ×3, first 2 shown]
	s_addc_u32 s73, s7, 0
	v_mov_b32_e32 v8, s72
	v_add_u32_e32 v23, s3, v23
	v_mov_b32_e32 v3, s79
	v_mov_b32_e32 v5, s77
	;; [unrolled: 1-line block ×3, first 2 shown]
	s_or_b64 s[64:65], vcc, s[64:65]
	v_mov_b32_e32 v9, s73
	s_andn2_b64 exec, exec, s[64:65]
	s_cbranch_execnz .LBB20_60
; %bb.61:                               ;   in Loop: Header=BB20_7 Depth=1
	s_or_b64 exec, exec, s[64:65]
	v_readlane_b32 s76, v54, 32
	v_readlane_b32 s78, v54, 34
	;; [unrolled: 1-line block ×3, first 2 shown]
	s_mov_b32 s73, s81
	v_readlane_b32 s79, v54, 35
.LBB20_62:                              ;   in Loop: Header=BB20_7 Depth=1
	s_or_b64 exec, exec, s[28:29]
	v_mov_b32_e32 v23, s9
	v_add_co_u32_e32 v27, vcc, s8, v0
	s_and_b32 s84, s58, 0x7fffffff
	v_addc_co_u32_e32 v28, vcc, 0, v23, vcc
	v_cmp_gt_u64_e32 vcc, s[84:85], v[27:28]
	s_and_saveexec_b64 s[8:9], vcc
	s_cbranch_execz .LBB20_66
; %bb.63:                               ;   in Loop: Header=BB20_7 Depth=1
	v_lshl_add_u32 v23, s2, 4, v14
	s_mov_b64 s[2:3], 0
.LBB20_64:                              ;   Parent Loop BB20_7 Depth=1
                                        ; =>  This Inner Loop Header: Depth=2
	ds_read_b32 v29, v23
	v_add_co_u32_sdwa v27, vcc, v27, v12 dst_sel:DWORD dst_unused:UNUSED_PAD src0_sel:DWORD src1_sel:WORD_0
	v_addc_co_u32_e32 v28, vcc, 0, v28, vcc
	s_waitcnt lgkmcnt(0)
	v_xor_b32_e32 v29, 0x80000000, v29
	v_and_b32_e32 v30, v29, v45
	v_bfe_u32 v29, v29, s82, 2
	v_cmp_eq_u32_e64 s[6:7], v30, v42
	v_cmp_eq_u32_e64 s[12:13], 0, v29
	;; [unrolled: 1-line block ×3, first 2 shown]
	s_and_b64 s[12:13], s[6:7], s[12:13]
	v_cmp_eq_u32_e64 s[16:17], 2, v29
	v_cmp_eq_u32_e64 s[18:19], 3, v29
	v_cndmask_b32_e64 v29, 0, 1, s[12:13]
	s_and_b64 s[12:13], s[6:7], s[14:15]
	v_cndmask_b32_e64 v30, 0, 1, s[12:13]
	s_and_b64 s[12:13], s[6:7], s[16:17]
	s_and_b64 s[6:7], s[6:7], s[18:19]
	v_cndmask_b32_e64 v47, 0, 1, s[6:7]
	v_cmp_ne_u32_e64 s[6:7], 0, v29
	s_bcnt1_i32_b64 s6, s[6:7]
	v_cndmask_b32_e64 v46, 0, 1, s[12:13]
	v_cmp_ne_u32_e64 s[12:13], 0, v30
	v_add_co_u32_e64 v2, s[6:7], s6, v2
	s_bcnt1_i32_b64 s12, s[12:13]
	v_addc_co_u32_e64 v3, s[6:7], 0, v3, s[6:7]
	v_cmp_le_u64_e32 vcc, s[84:85], v[27:28]
	v_cmp_ne_u32_e64 s[14:15], 0, v46
	v_cmp_ne_u32_e64 s[16:17], 0, v47
	v_add_co_u32_e64 v4, s[6:7], s12, v4
	s_bcnt1_i32_b64 s13, s[14:15]
	s_bcnt1_i32_b64 s14, s[16:17]
	v_addc_co_u32_e64 v5, s[6:7], 0, v5, s[6:7]
	v_add_co_u32_e64 v6, s[6:7], s13, v6
	s_or_b64 s[2:3], vcc, s[2:3]
	v_add_co_u32_e32 v8, vcc, s14, v8
	v_add_u32_e32 v23, s59, v23
	v_addc_co_u32_e64 v7, s[6:7], 0, v7, s[6:7]
	v_addc_co_u32_e32 v9, vcc, 0, v9, vcc
	s_andn2_b64 exec, exec, s[2:3]
	s_cbranch_execnz .LBB20_64
; %bb.65:                               ;   in Loop: Header=BB20_7 Depth=1
	s_or_b64 exec, exec, s[2:3]
.LBB20_66:                              ;   in Loop: Header=BB20_7 Depth=1
	s_or_b64 exec, exec, s[8:9]
	v_lshlrev_b32_e32 v12, 6, v44
	s_and_saveexec_b64 s[2:3], s[4:5]
	s_cbranch_execnz .LBB20_37
	s_branch .LBB20_38
.LBB20_67:                              ;   in Loop: Header=BB20_7 Depth=1
                                        ; implicit-def: $sgpr74_sgpr75
	s_branch .LBB20_46
.LBB20_68:                              ;   in Loop: Header=BB20_7 Depth=1
	s_or_b64 exec, exec, s[8:9]
	s_waitcnt lgkmcnt(0)
	s_barrier
	s_mov_b64 s[6:7], exec
	v_readlane_b32 s8, v54, 8
	v_readlane_b32 s9, v54, 9
	s_and_b64 s[8:9], s[6:7], s[8:9]
	s_mov_b64 exec, s[8:9]
	s_cbranch_execz .LBB20_70
; %bb.69:                               ;   in Loop: Header=BB20_7 Depth=1
	ds_read_b32 v2, v13 offset:5136
	s_waitcnt lgkmcnt(0)
	v_ashrrev_i32_e32 v3, 31, v2
	ds_write_b64 v13, v[2:3] offset:5120
.LBB20_70:                              ;   in Loop: Header=BB20_7 Depth=1
	s_or_b64 exec, exec, s[6:7]
	s_waitcnt lgkmcnt(0)
	s_barrier
	s_mov_b64 s[6:7], -1
	s_and_b64 vcc, exec, s[2:3]
	s_cbranch_vccnz .LBB20_23
	s_branch .LBB20_32
.LBB20_71:                              ;   in Loop: Header=BB20_7 Depth=1
	v_mov_b32_e32 v2, 0
	v_mov_b32_e32 v3, 0
	s_mov_b32 s6, 0
.LBB20_72:                              ;   in Loop: Header=BB20_7 Depth=1
	v_readlane_b32 s8, v54, 28
	v_readlane_b32 s9, v54, 29
	s_andn2_b64 vcc, exec, s[8:9]
	s_cbranch_vccnz .LBB20_75
; %bb.73:                               ;   in Loop: Header=BB20_7 Depth=1
	v_lshlrev_b32_e32 v4, 9, v44
	s_lshl_b32 s6, s6, 5
	v_add_u32_e32 v4, s6, v4
	v_add_u32_e32 v4, v41, v4
	s_mov_b32 s6, s88
.LBB20_74:                              ;   Parent Loop BB20_7 Depth=1
                                        ; =>  This Inner Loop Header: Depth=2
	ds_read_b64 v[5:6], v4
	s_add_i32 s6, s6, -1
	v_add_u32_e32 v4, 32, v4
	s_cmp_lg_u32 s6, 0
	s_waitcnt lgkmcnt(0)
	v_add_co_u32_e32 v2, vcc, v5, v2
	v_addc_co_u32_e32 v3, vcc, v6, v3, vcc
	s_cbranch_scc1 .LBB20_74
.LBB20_75:                              ;   in Loop: Header=BB20_7 Depth=1
	v_add_lshl_u32 v4, v12, v31, 3
	ds_write_b64 v4, v[2:3] offset:3072
.LBB20_76:                              ;   in Loop: Header=BB20_7 Depth=1
	s_or_b64 exec, exec, s[2:3]
	v_lshlrev_b32_e32 v2, 3, v12
	s_waitcnt lgkmcnt(0)
	s_barrier
	ds_read_b128 v[6:9], v2 offset:3088
	ds_read_b128 v[2:5], v2 offset:3072
	v_cmp_eq_u64_e64 s[6:7], 1, v[25:26]
	s_lshl_b32 s64, 3, s82
	s_not_b32 s50, s64
	s_waitcnt lgkmcnt(1)
	v_readfirstlane_b32 s20, v6
	s_waitcnt lgkmcnt(0)
	v_cmp_eq_u64_e32 vcc, 1, v[2:3]
	v_readfirstlane_b32 s21, v7
	v_readfirstlane_b32 s12, v8
	;; [unrolled: 1-line block ×3, first 2 shown]
	s_and_b64 s[16:17], vcc, s[6:7]
	s_mov_b64 s[6:7], -1
	s_mov_b64 s[18:19], -1
                                        ; implicit-def: $sgpr8_sgpr9
                                        ; implicit-def: $sgpr2_sgpr3
	s_and_saveexec_b64 s[14:15], s[16:17]
	s_cbranch_execz .LBB20_108
; %bb.77:                               ;   in Loop: Header=BB20_7 Depth=1
	ds_read_b64 v[6:7], v13 offset:5120
	s_waitcnt lgkmcnt(0)
	s_barrier
	v_readfirstlane_b32 s18, v6
	v_readfirstlane_b32 s19, v7
	s_mov_b64 s[2:3], exec
	v_readlane_b32 s8, v54, 12
	v_readlane_b32 s9, v54, 13
	s_and_b64 s[8:9], s[2:3], s[8:9]
	s_mov_b64 exec, s[8:9]
; %bb.78:                               ;   in Loop: Header=BB20_7 Depth=1
	ds_write_b32 v43, v13
; %bb.79:                               ;   in Loop: Header=BB20_7 Depth=1
	s_or_b64 exec, exec, s[2:3]
	v_cmp_lt_i64_e64 s[22:23], s[18:19], 1
	v_and_b32_e32 v42, s50, v42
	v_or_b32_e32 v45, s64, v45
	s_mov_b64 s[2:3], -1
	s_mov_b64 s[8:9], 0
	s_and_b64 vcc, exec, s[22:23]
	s_mov_b64 s[22:23], 0
	s_mov_b64 s[24:25], -1
	s_waitcnt lgkmcnt(0)
	s_barrier
                                        ; implicit-def: $vgpr24
	s_cbranch_vccz .LBB20_93
; %bb.80:                               ;   in Loop: Header=BB20_7 Depth=1
	s_mov_b32 s72, s85
	s_cmp_lg_u64 s[72:73], 0
	s_cbranch_scc0 .LBB20_134
; %bb.81:                               ;   in Loop: Header=BB20_7 Depth=1
	s_add_u32 s22, s33, 0
	s_addc_u32 s23, 0, 0
	s_xor_b64 s[22:23], s[22:23], 0
	v_cvt_f32_u32_e32 v6, s22
	v_cvt_f32_u32_e32 v7, s23
	s_sub_u32 s26, 0, s22
	s_subb_u32 s27, 0, s23
	v_mac_f32_e32 v6, 0x4f800000, v7
	v_rcp_f32_e32 v6, v6
	v_mul_f32_e32 v6, 0x5f7ffffc, v6
	v_mul_f32_e32 v7, 0x2f800000, v6
	v_trunc_f32_e32 v7, v7
	v_mac_f32_e32 v6, 0xcf800000, v7
	v_cvt_u32_f32_e32 v7, v7
	v_cvt_u32_f32_e32 v6, v6
	v_readfirstlane_b32 s28, v7
	v_readfirstlane_b32 s24, v6
	s_mul_i32 s25, s26, s28
	s_mul_hi_u32 s30, s26, s24
	s_mul_i32 s29, s27, s24
	s_add_i32 s25, s30, s25
	s_mul_i32 s31, s26, s24
	s_add_i32 s25, s25, s29
	s_mul_i32 s30, s24, s25
	s_mul_hi_u32 s34, s24, s31
	s_mul_hi_u32 s29, s24, s25
	s_add_u32 s30, s34, s30
	s_addc_u32 s29, 0, s29
	s_mul_hi_u32 s35, s28, s31
	s_mul_i32 s31, s28, s31
	s_add_u32 s30, s30, s31
	s_mul_hi_u32 s34, s28, s25
	s_addc_u32 s29, s29, s35
	s_addc_u32 s30, s34, 0
	s_mul_i32 s25, s28, s25
	s_add_u32 s25, s29, s25
	s_addc_u32 s29, 0, s30
	s_add_u32 s30, s24, s25
	s_cselect_b64 s[24:25], -1, 0
	s_cmp_lg_u64 s[24:25], 0
	s_addc_u32 s28, s28, s29
	s_mul_i32 s24, s26, s28
	s_mul_hi_u32 s25, s26, s30
	s_add_i32 s24, s25, s24
	s_mul_i32 s27, s27, s30
	s_add_i32 s24, s24, s27
	s_mul_i32 s26, s26, s30
	s_mul_hi_u32 s27, s28, s26
	s_mul_i32 s29, s28, s26
	s_mul_i32 s34, s30, s24
	s_mul_hi_u32 s26, s30, s26
	s_mul_hi_u32 s31, s30, s24
	s_add_u32 s26, s26, s34
	s_addc_u32 s31, 0, s31
	s_add_u32 s26, s26, s29
	s_mul_hi_u32 s25, s28, s24
	s_addc_u32 s26, s31, s27
	s_addc_u32 s25, s25, 0
	s_mul_i32 s24, s28, s24
	s_add_u32 s24, s26, s24
	s_addc_u32 s26, 0, s25
	s_add_u32 s29, s30, s24
	s_cselect_b64 s[24:25], -1, 0
	s_cmp_lg_u64 s[24:25], 0
	s_addc_u32 s28, s28, s26
	s_ashr_i32 s24, s73, 31
	s_add_u32 s26, s83, s24
	s_mov_b32 s25, s24
	s_addc_u32 s27, s73, s24
	s_xor_b64 s[26:27], s[26:27], s[24:25]
	s_mul_i32 s31, s26, s28
	s_mul_hi_u32 s34, s26, s29
	s_mul_hi_u32 s30, s26, s28
	s_add_u32 s31, s34, s31
	s_addc_u32 s30, 0, s30
	s_mul_hi_u32 s35, s27, s29
	s_mul_i32 s29, s27, s29
	s_add_u32 s29, s31, s29
	s_mul_hi_u32 s34, s27, s28
	s_addc_u32 s29, s30, s35
	s_addc_u32 s30, s34, 0
	s_mul_i32 s28, s27, s28
	s_add_u32 s28, s29, s28
	s_addc_u32 s29, 0, s30
	s_mul_i32 s29, s22, s29
	s_mul_hi_u32 s30, s22, s28
	s_add_i32 s29, s30, s29
	s_mul_i32 s30, s23, s28
	s_add_i32 s34, s29, s30
	s_sub_i32 s30, s27, s34
	s_mul_i32 s28, s22, s28
	s_sub_u32 s26, s26, s28
	s_cselect_b64 s[28:29], -1, 0
	s_cmp_lg_u64 s[28:29], 0
	s_subb_u32 s35, s30, s23
	s_sub_u32 s36, s26, s22
	s_cselect_b64 s[30:31], -1, 0
	s_cmp_lg_u64 s[30:31], 0
	s_subb_u32 s37, s35, 0
	s_cmp_ge_u32 s37, s23
	s_cselect_b32 s38, -1, 0
	s_cmp_ge_u32 s36, s22
	s_cselect_b32 s39, -1, 0
	s_cmp_eq_u32 s37, s23
	s_cselect_b32 s38, s39, s38
	s_cmp_lg_u64 s[30:31], 0
	s_subb_u32 s35, s35, s23
	s_sub_u32 s39, s36, s22
	s_cselect_b64 s[30:31], -1, 0
	s_cmp_lg_u64 s[30:31], 0
	s_subb_u32 s30, s35, 0
	s_cmp_lg_u32 s38, 0
	s_cselect_b32 s31, s39, s36
	s_cselect_b32 s30, s30, s37
	s_cmp_lg_u64 s[28:29], 0
	s_subb_u32 s27, s27, s34
	s_cmp_ge_u32 s27, s23
	s_cselect_b32 s28, -1, 0
	s_cmp_ge_u32 s26, s22
	s_cselect_b32 s22, -1, 0
	s_cmp_eq_u32 s27, s23
	s_cselect_b32 s22, s22, s28
	s_cmp_lg_u32 s22, 0
	s_cselect_b32 s23, s30, s27
	s_cselect_b32 s22, s31, s26
	s_xor_b64 s[22:23], s[22:23], s[24:25]
	s_sub_u32 s22, s22, s24
	s_subb_u32 s23, s23, s24
	s_cbranch_execnz .LBB20_83
.LBB20_82:                              ;   in Loop: Header=BB20_7 Depth=1
	v_cvt_f32_u32_e32 v6, s33
	s_sub_i32 s22, 0, s33
	v_rcp_iflag_f32_e32 v6, v6
	v_mul_f32_e32 v6, 0x4f7ffffe, v6
	v_cvt_u32_f32_e32 v6, v6
	v_readfirstlane_b32 s23, v6
	s_mul_i32 s22, s22, s23
	s_mul_hi_u32 s22, s23, s22
	s_add_i32 s23, s23, s22
	s_mul_hi_u32 s22, s83, s23
	s_mul_i32 s22, s22, s33
	s_sub_i32 s22, s83, s22
	s_sub_i32 s23, s22, s33
	s_cmp_ge_u32 s22, s33
	s_cselect_b32 s22, s23, s22
	s_sub_i32 s23, s22, s33
	s_cmp_ge_u32 s22, s33
	s_cselect_b32 s84, s23, s22
	s_mov_b64 s[22:23], s[84:85]
.LBB20_83:                              ;   in Loop: Header=BB20_7 Depth=1
	s_sub_u32 s28, s83, s22
	s_subb_u32 s29, s73, s23
	v_cmp_gt_i64_e32 vcc, s[28:29], v[0:1]
	s_mov_b64 s[24:25], 0
	s_mov_b64 s[22:23], 0
                                        ; implicit-def: $vgpr24
	s_and_saveexec_b64 s[26:27], vcc
	s_cbranch_execz .LBB20_92
; %bb.84:                               ;   in Loop: Header=BB20_7 Depth=1
	v_mov_b32_e32 v6, v10
	v_mov_b32_e32 v9, v1
	;; [unrolled: 1-line block ×4, first 2 shown]
                                        ; implicit-def: $sgpr30_sgpr31
	s_branch .LBB20_87
.LBB20_85:                              ;   in Loop: Header=BB20_87 Depth=2
	s_or_b64 exec, exec, s[34:35]
	s_waitcnt lgkmcnt(0)
	s_barrier
	ds_read_b64 v[23:24], v13 offset:3072
	s_mov_b64 s[34:35], -1
	s_mov_b64 s[36:37], -1
	s_waitcnt lgkmcnt(0)
	s_barrier
	v_cmp_ne_u32_e32 vcc, 0, v23
	s_cbranch_vccz .LBB20_90
.LBB20_86:                              ;   in Loop: Header=BB20_87 Depth=2
	s_and_b64 s[34:35], exec, s[34:35]
	s_or_b64 s[22:23], s[34:35], s[22:23]
	s_andn2_b64 s[30:31], s[30:31], exec
	s_and_b64 s[34:35], s[36:37], exec
	s_or_b64 s[30:31], s[30:31], s[34:35]
	s_andn2_b64 exec, exec, s[22:23]
	s_cbranch_execz .LBB20_91
.LBB20_87:                              ;   Parent Loop BB20_7 Depth=1
                                        ; =>  This Inner Loop Header: Depth=2
	v_cmp_gt_i64_e32 vcc, s[56:57], v[8:9]
	s_and_saveexec_b64 s[34:35], vcc
	s_cbranch_execz .LBB20_85
; %bb.88:                               ;   in Loop: Header=BB20_87 Depth=2
	global_load_dword v23, v[6:7], off
	s_waitcnt vmcnt(0)
	v_xor_b32_e32 v12, 0x80000000, v23
	v_and_b32_e32 v12, v12, v45
	v_cmp_eq_u32_e32 vcc, v12, v42
	s_and_b64 exec, exec, vcc
	s_cbranch_execz .LBB20_85
; %bb.89:                               ;   in Loop: Header=BB20_87 Depth=2
	ds_write_b64 v13, v[22:23] offset:3072
	s_branch .LBB20_85
.LBB20_90:                              ;   in Loop: Header=BB20_87 Depth=2
	v_add_co_u32_e32 v8, vcc, s33, v8
	v_addc_co_u32_e32 v9, vcc, 0, v9, vcc
	v_mov_b32_e32 v12, s71
	v_add_co_u32_e32 v6, vcc, s70, v6
	v_addc_co_u32_e32 v7, vcc, v7, v12, vcc
	v_cmp_le_i64_e32 vcc, s[28:29], v[8:9]
	s_mov_b64 s[36:37], 0
	s_orn2_b64 s[34:35], vcc, exec
	s_branch .LBB20_86
.LBB20_91:                              ;   in Loop: Header=BB20_7 Depth=1
	s_or_b64 exec, exec, s[22:23]
	s_and_b64 s[22:23], s[30:31], exec
.LBB20_92:                              ;   in Loop: Header=BB20_7 Depth=1
	s_or_b64 exec, exec, s[26:27]
.LBB20_93:                              ;   in Loop: Header=BB20_7 Depth=1
	s_and_b64 vcc, exec, s[24:25]
	s_cbranch_vccz .LBB20_107
; %bb.94:                               ;   in Loop: Header=BB20_7 Depth=1
	v_readlane_b32 s2, v54, 24
	s_add_u32 s26, s18, s2
	v_readlane_b32 s2, v54, 25
	s_addc_u32 s3, s19, s2
	s_mov_b32 s2, s85
	s_cmp_lg_u64 s[2:3], 0
	s_cbranch_scc0 .LBB20_135
; %bb.95:                               ;   in Loop: Header=BB20_7 Depth=1
	s_add_u32 s8, s33, 0
	s_addc_u32 s9, 0, 0
	s_xor_b64 s[8:9], s[8:9], 0
	v_cvt_f32_u32_e32 v6, s8
	v_cvt_f32_u32_e32 v7, s9
	s_sub_u32 s2, 0, s8
	s_subb_u32 s27, 0, s9
	v_mac_f32_e32 v6, 0x4f800000, v7
	v_rcp_f32_e32 v6, v6
	v_mul_f32_e32 v6, 0x5f7ffffc, v6
	v_mul_f32_e32 v7, 0x2f800000, v6
	v_trunc_f32_e32 v7, v7
	v_mac_f32_e32 v6, 0xcf800000, v7
	v_cvt_u32_f32_e32 v7, v7
	v_cvt_u32_f32_e32 v6, v6
	v_readfirstlane_b32 s28, v7
	v_readfirstlane_b32 s24, v6
	s_mul_i32 s25, s2, s28
	s_mul_hi_u32 s30, s2, s24
	s_mul_i32 s29, s27, s24
	s_add_i32 s25, s30, s25
	s_mul_i32 s31, s2, s24
	s_add_i32 s25, s25, s29
	s_mul_i32 s30, s24, s25
	s_mul_hi_u32 s34, s24, s31
	s_mul_hi_u32 s29, s24, s25
	s_add_u32 s30, s34, s30
	s_addc_u32 s29, 0, s29
	s_mul_hi_u32 s35, s28, s31
	s_mul_i32 s31, s28, s31
	s_add_u32 s30, s30, s31
	s_mul_hi_u32 s34, s28, s25
	s_addc_u32 s29, s29, s35
	s_addc_u32 s30, s34, 0
	s_mul_i32 s25, s28, s25
	s_add_u32 s25, s29, s25
	s_addc_u32 s29, 0, s30
	s_add_u32 s30, s24, s25
	s_cselect_b64 s[24:25], -1, 0
	s_cmp_lg_u64 s[24:25], 0
	s_addc_u32 s28, s28, s29
	s_mul_i32 s24, s2, s28
	s_mul_hi_u32 s25, s2, s30
	s_add_i32 s24, s25, s24
	s_mul_i32 s27, s27, s30
	s_add_i32 s24, s24, s27
	s_mul_i32 s2, s2, s30
	s_mul_hi_u32 s27, s28, s2
	s_mul_i32 s29, s28, s2
	s_mul_i32 s34, s30, s24
	s_mul_hi_u32 s2, s30, s2
	s_mul_hi_u32 s31, s30, s24
	s_add_u32 s2, s2, s34
	s_addc_u32 s31, 0, s31
	s_add_u32 s2, s2, s29
	s_mul_hi_u32 s25, s28, s24
	s_addc_u32 s2, s31, s27
	s_addc_u32 s25, s25, 0
	s_mul_i32 s24, s28, s24
	s_add_u32 s2, s2, s24
	s_addc_u32 s27, 0, s25
	s_add_u32 s2, s30, s2
	s_cselect_b64 s[24:25], -1, 0
	s_cmp_lg_u64 s[24:25], 0
	s_addc_u32 s27, s28, s27
	s_ashr_i32 s24, s3, 31
	s_add_u32 s28, s26, s24
	s_mov_b32 s25, s24
	s_addc_u32 s29, s3, s24
	s_xor_b64 s[28:29], s[28:29], s[24:25]
	s_mul_i32 s31, s28, s27
	s_mul_hi_u32 s34, s28, s2
	s_mul_hi_u32 s30, s28, s27
	s_add_u32 s31, s34, s31
	s_addc_u32 s30, 0, s30
	s_mul_hi_u32 s35, s29, s2
	s_mul_i32 s2, s29, s2
	s_add_u32 s2, s31, s2
	s_mul_hi_u32 s34, s29, s27
	s_addc_u32 s2, s30, s35
	s_addc_u32 s30, s34, 0
	s_mul_i32 s27, s29, s27
	s_add_u32 s2, s2, s27
	s_addc_u32 s27, 0, s30
	s_mul_i32 s27, s8, s27
	s_mul_hi_u32 s30, s8, s2
	s_add_i32 s27, s30, s27
	s_mul_i32 s30, s9, s2
	s_add_i32 s27, s27, s30
	s_sub_i32 s34, s29, s27
	s_mul_i32 s2, s8, s2
	s_sub_u32 s2, s28, s2
	s_cselect_b64 s[30:31], -1, 0
	s_cmp_lg_u64 s[30:31], 0
	s_subb_u32 s28, s34, s9
	s_sub_u32 s36, s2, s8
	s_cselect_b64 s[34:35], -1, 0
	s_cmp_lg_u64 s[34:35], 0
	s_subb_u32 s37, s28, 0
	s_cmp_ge_u32 s37, s9
	s_cselect_b32 s38, -1, 0
	s_cmp_ge_u32 s36, s8
	s_cselect_b32 s39, -1, 0
	s_cmp_eq_u32 s37, s9
	s_cselect_b32 s38, s39, s38
	s_cmp_lg_u64 s[34:35], 0
	s_subb_u32 s28, s28, s9
	s_sub_u32 s39, s36, s8
	s_cselect_b64 s[34:35], -1, 0
	s_cmp_lg_u64 s[34:35], 0
	s_subb_u32 s28, s28, 0
	s_cmp_lg_u32 s38, 0
	s_cselect_b32 s34, s39, s36
	s_cselect_b32 s28, s28, s37
	s_cmp_lg_u64 s[30:31], 0
	s_subb_u32 s27, s29, s27
	s_cmp_ge_u32 s27, s9
	s_cselect_b32 s29, -1, 0
	s_cmp_ge_u32 s2, s8
	s_cselect_b32 s8, -1, 0
	s_cmp_eq_u32 s27, s9
	s_cselect_b32 s8, s8, s29
	s_cmp_lg_u32 s8, 0
	s_cselect_b32 s9, s28, s27
	s_cselect_b32 s8, s34, s2
	s_xor_b64 s[8:9], s[8:9], s[24:25]
	s_sub_u32 s8, s8, s24
	s_subb_u32 s9, s9, s24
	s_cbranch_execnz .LBB20_97
.LBB20_96:                              ;   in Loop: Header=BB20_7 Depth=1
	v_cvt_f32_u32_e32 v6, s33
	s_sub_i32 s2, 0, s33
	v_rcp_iflag_f32_e32 v6, v6
	v_mul_f32_e32 v6, 0x4f7ffffe, v6
	v_cvt_u32_f32_e32 v6, v6
	v_readfirstlane_b32 s8, v6
	s_mul_i32 s2, s2, s8
	s_mul_hi_u32 s2, s8, s2
	s_add_i32 s8, s8, s2
	s_mul_hi_u32 s2, s26, s8
	s_mul_i32 s2, s2, s33
	s_sub_i32 s2, s26, s2
	s_sub_i32 s8, s2, s33
	s_cmp_ge_u32 s2, s33
	s_cselect_b32 s2, s8, s2
	s_sub_i32 s8, s2, s33
	s_cmp_ge_u32 s2, s33
	s_cselect_b32 s84, s8, s2
	s_mov_b64 s[8:9], s[84:85]
.LBB20_97:                              ;   in Loop: Header=BB20_7 Depth=1
	s_sub_u32 s8, s26, s8
	s_subb_u32 s9, s3, s9
	v_cmp_gt_i64_e32 vcc, s[8:9], v[0:1]
                                        ; implicit-def: $vgpr24
	s_and_saveexec_b64 s[2:3], vcc
	s_cbranch_execz .LBB20_106
; %bb.98:                               ;   in Loop: Header=BB20_7 Depth=1
	v_mov_b32_e32 v7, v1
	s_mov_b64 s[24:25], 0
	v_mov_b32_e32 v8, v14
	v_mov_b32_e32 v6, v0
                                        ; implicit-def: $sgpr26_sgpr27
	s_branch .LBB20_101
.LBB20_99:                              ;   in Loop: Header=BB20_101 Depth=2
	s_or_b64 exec, exec, s[28:29]
	s_waitcnt lgkmcnt(0)
	s_barrier
	ds_read_b64 v[23:24], v13 offset:3072
	s_mov_b64 s[28:29], -1
	s_mov_b64 s[30:31], -1
	s_waitcnt lgkmcnt(0)
	s_barrier
	v_cmp_ne_u32_e32 vcc, 0, v23
	s_cbranch_vccz .LBB20_104
.LBB20_100:                             ;   in Loop: Header=BB20_101 Depth=2
	s_and_b64 s[28:29], exec, s[28:29]
	s_or_b64 s[24:25], s[28:29], s[24:25]
	s_andn2_b64 s[26:27], s[26:27], exec
	s_and_b64 s[28:29], s[30:31], exec
	s_or_b64 s[26:27], s[26:27], s[28:29]
	s_andn2_b64 exec, exec, s[24:25]
	s_cbranch_execz .LBB20_105
.LBB20_101:                             ;   Parent Loop BB20_7 Depth=1
                                        ; =>  This Inner Loop Header: Depth=2
	v_cmp_gt_u64_e32 vcc, s[18:19], v[6:7]
	s_and_saveexec_b64 s[28:29], vcc
	s_cbranch_execz .LBB20_99
; %bb.102:                              ;   in Loop: Header=BB20_101 Depth=2
	ds_read_b32 v23, v8
	s_waitcnt lgkmcnt(0)
	v_xor_b32_e32 v9, 0x80000000, v23
	v_and_b32_e32 v9, v9, v45
	v_cmp_eq_u32_e32 vcc, v9, v42
	s_and_b64 exec, exec, vcc
	s_cbranch_execz .LBB20_99
; %bb.103:                              ;   in Loop: Header=BB20_101 Depth=2
	ds_write_b64 v13, v[22:23] offset:3072
	s_branch .LBB20_99
.LBB20_104:                             ;   in Loop: Header=BB20_101 Depth=2
	v_add_co_u32_e32 v6, vcc, s33, v6
	v_addc_co_u32_e32 v7, vcc, 0, v7, vcc
	v_cmp_le_i64_e32 vcc, s[8:9], v[6:7]
	v_add_u32_e32 v8, s1, v8
	s_mov_b64 s[30:31], 0
	s_orn2_b64 s[28:29], vcc, exec
	s_branch .LBB20_100
.LBB20_105:                             ;   in Loop: Header=BB20_7 Depth=1
	s_or_b64 exec, exec, s[24:25]
	s_andn2_b64 s[8:9], s[22:23], exec
	s_and_b64 s[18:19], s[26:27], exec
	s_or_b64 s[22:23], s[8:9], s[18:19]
.LBB20_106:                             ;   in Loop: Header=BB20_7 Depth=1
	s_or_b64 exec, exec, s[2:3]
	s_mov_b64 s[2:3], 0
	s_mov_b64 s[8:9], -1
.LBB20_107:                             ;   in Loop: Header=BB20_7 Depth=1
	s_orn2_b64 s[18:19], s[22:23], exec
.LBB20_108:                             ;   in Loop: Header=BB20_7 Depth=1
	s_or_b64 exec, exec, s[14:15]
	s_andn2_b64 s[10:11], s[10:11], exec
	s_and_b64 s[8:9], s[8:9], exec
	s_or_b64 s[10:11], s[10:11], s[8:9]
	s_andn2_b64 s[8:9], s[68:69], exec
	s_and_b64 s[2:3], s[2:3], exec
	s_andn2_b64 s[66:67], s[66:67], exec
	s_or_b64 s[68:69], s[8:9], s[2:3]
                                        ; implicit-def: $vgpr6_vgpr7
	s_and_saveexec_b64 s[14:15], s[18:19]
	s_cbranch_execz .LBB20_6
; %bb.109:                              ;   in Loop: Header=BB20_7 Depth=1
	v_mov_b32_e32 v6, 1
	s_xor_b64 s[6:7], s[16:17], -1
	v_mov_b32_e32 v12, 1
	v_mov_b32_e32 v7, 0
	s_mov_b64 s[8:9], 0
	s_and_saveexec_b64 s[2:3], s[6:7]
	s_cbranch_execz .LBB20_118
; %bb.110:                              ;   in Loop: Header=BB20_7 Depth=1
	v_cmp_le_i64_e32 vcc, v[25:26], v[2:3]
	s_and_saveexec_b64 s[6:7], vcc
	s_xor_b64 s[6:7], exec, s[6:7]
	s_cbranch_execz .LBB20_115
; %bb.111:                              ;   in Loop: Header=BB20_7 Depth=1
	ds_read_b64 v[6:7], v13 offset:5120
	v_and_b32_e32 v42, s50, v42
	v_or_b32_e32 v45, s64, v45
	s_waitcnt lgkmcnt(0)
	v_cmp_ne_u64_e32 vcc, 0, v[6:7]
	s_cbranch_vccnz .LBB20_115
; %bb.112:                              ;   in Loop: Header=BB20_7 Depth=1
	s_mov_b64 s[8:9], exec
	v_readlane_b32 s16, v54, 8
	v_readlane_b32 s17, v54, 9
	s_and_b64 s[16:17], s[8:9], s[16:17]
	s_mov_b64 exec, s[16:17]
; %bb.113:                              ;   in Loop: Header=BB20_7 Depth=1
	ds_write_b64 v13, v[2:3] offset:5128
; %bb.114:                              ;   in Loop: Header=BB20_7 Depth=1
	s_or_b64 exec, exec, s[8:9]
	s_waitcnt lgkmcnt(0)
	s_barrier
.LBB20_115:                             ;   in Loop: Header=BB20_7 Depth=1
	s_or_saveexec_b64 s[6:7], s[6:7]
	s_mov_b64 s[8:9], 0
	v_mov_b32_e32 v12, 8
	s_xor_b64 exec, exec, s[6:7]
; %bb.116:                              ;   in Loop: Header=BB20_7 Depth=1
	v_sub_co_u32_e32 v25, vcc, v25, v2
	s_mov_b64 s[8:9], exec
	v_subb_co_u32_e32 v26, vcc, v26, v3, vcc
	v_mov_b32_e32 v12, 0
; %bb.117:                              ;   in Loop: Header=BB20_7 Depth=1
	s_or_b64 exec, exec, s[6:7]
	v_mov_b32_e32 v6, v25
	s_and_b64 s[8:9], s[8:9], exec
	v_mov_b32_e32 v7, v26
.LBB20_118:                             ;   in Loop: Header=BB20_7 Depth=1
	s_or_b64 exec, exec, s[2:3]
	s_mov_b64 s[16:17], -1
	s_mov_b64 s[2:3], -1
                                        ; implicit-def: $sgpr6_sgpr7
                                        ; implicit-def: $sgpr22_sgpr23
	s_and_saveexec_b64 s[18:19], s[8:9]
	s_xor_b64 s[18:19], exec, s[18:19]
	s_cbranch_execz .LBB20_260
; %bb.119:                              ;   in Loop: Header=BB20_7 Depth=1
	v_cmp_eq_u64_e32 vcc, 1, v[4:5]
	v_cmp_eq_u64_e64 s[6:7], 1, v[6:7]
                                        ; implicit-def: $sgpr22_sgpr23
	s_and_b64 s[26:27], vcc, s[6:7]
                                        ; implicit-def: $sgpr6_sgpr7
	s_and_saveexec_b64 s[24:25], s[26:27]
	s_cbranch_execz .LBB20_153
; %bb.120:                              ;   in Loop: Header=BB20_7 Depth=1
	ds_read_b64 v[2:3], v13 offset:5120
	s_waitcnt lgkmcnt(0)
	s_barrier
	v_readfirstlane_b32 s30, v2
	v_readfirstlane_b32 s31, v3
	s_mov_b64 s[2:3], exec
	v_readlane_b32 s6, v54, 12
	v_readlane_b32 s7, v54, 13
	s_and_b64 s[6:7], s[2:3], s[6:7]
	s_mov_b64 exec, s[6:7]
; %bb.121:                              ;   in Loop: Header=BB20_7 Depth=1
	ds_write_b32 v43, v13
; %bb.122:                              ;   in Loop: Header=BB20_7 Depth=1
	s_or_b64 exec, exec, s[2:3]
	v_cmp_gt_i64_e64 s[2:3], s[30:31], 0
	v_and_b32_e32 v2, s50, v42
	v_lshl_or_b32 v42, 1, s82, v2
	v_or_b32_e32 v45, s64, v45
	s_mov_b64 s[6:7], -1
	s_mov_b64 s[22:23], 0
	s_and_b64 vcc, exec, s[2:3]
	s_mov_b64 s[2:3], 0
	s_mov_b64 s[8:9], -1
	s_waitcnt lgkmcnt(0)
	s_barrier
                                        ; implicit-def: $vgpr24
	s_cbranch_vccnz .LBB20_138
; %bb.123:                              ;   in Loop: Header=BB20_7 Depth=1
	s_mov_b32 s72, s85
	s_cmp_lg_u64 s[72:73], 0
	s_cbranch_scc0 .LBB20_180
; %bb.124:                              ;   in Loop: Header=BB20_7 Depth=1
	s_add_u32 s2, s33, 0
	s_addc_u32 s3, 0, 0
	s_xor_b64 s[2:3], s[2:3], 0
	v_cvt_f32_u32_e32 v2, s2
	v_cvt_f32_u32_e32 v3, s3
	s_sub_u32 s28, 0, s2
	s_subb_u32 s29, 0, s3
	v_mac_f32_e32 v2, 0x4f800000, v3
	v_rcp_f32_e32 v2, v2
	v_mul_f32_e32 v2, 0x5f7ffffc, v2
	v_mul_f32_e32 v3, 0x2f800000, v2
	v_trunc_f32_e32 v3, v3
	v_mac_f32_e32 v2, 0xcf800000, v3
	v_cvt_u32_f32_e32 v3, v3
	v_cvt_u32_f32_e32 v2, v2
	v_readfirstlane_b32 s34, v3
	v_readfirstlane_b32 s8, v2
	s_mul_i32 s9, s28, s34
	s_mul_hi_u32 s36, s28, s8
	s_mul_i32 s35, s29, s8
	s_add_i32 s9, s36, s9
	s_mul_i32 s37, s28, s8
	s_add_i32 s9, s9, s35
	s_mul_i32 s36, s8, s9
	s_mul_hi_u32 s38, s8, s37
	s_mul_hi_u32 s35, s8, s9
	s_add_u32 s36, s38, s36
	s_addc_u32 s35, 0, s35
	s_mul_hi_u32 s39, s34, s37
	s_mul_i32 s37, s34, s37
	s_add_u32 s36, s36, s37
	s_mul_hi_u32 s38, s34, s9
	s_addc_u32 s35, s35, s39
	s_addc_u32 s36, s38, 0
	s_mul_i32 s9, s34, s9
	s_add_u32 s9, s35, s9
	s_addc_u32 s35, 0, s36
	s_add_u32 s36, s8, s9
	s_cselect_b64 s[8:9], -1, 0
	s_cmp_lg_u64 s[8:9], 0
	s_addc_u32 s34, s34, s35
	s_mul_i32 s8, s28, s34
	s_mul_hi_u32 s9, s28, s36
	s_add_i32 s8, s9, s8
	s_mul_i32 s29, s29, s36
	s_add_i32 s8, s8, s29
	s_mul_i32 s28, s28, s36
	s_mul_hi_u32 s29, s34, s28
	s_mul_i32 s35, s34, s28
	s_mul_i32 s38, s36, s8
	s_mul_hi_u32 s28, s36, s28
	s_mul_hi_u32 s37, s36, s8
	s_add_u32 s28, s28, s38
	s_addc_u32 s37, 0, s37
	s_add_u32 s28, s28, s35
	s_mul_hi_u32 s9, s34, s8
	s_addc_u32 s28, s37, s29
	s_addc_u32 s9, s9, 0
	s_mul_i32 s8, s34, s8
	s_add_u32 s8, s28, s8
	s_addc_u32 s28, 0, s9
	s_add_u32 s35, s36, s8
	s_cselect_b64 s[8:9], -1, 0
	s_cmp_lg_u64 s[8:9], 0
	s_addc_u32 s34, s34, s28
	s_ashr_i32 s8, s73, 31
	s_add_u32 s28, s83, s8
	s_mov_b32 s9, s8
	s_addc_u32 s29, s73, s8
	s_xor_b64 s[28:29], s[28:29], s[8:9]
	s_mul_i32 s37, s28, s34
	s_mul_hi_u32 s38, s28, s35
	s_mul_hi_u32 s36, s28, s34
	s_add_u32 s37, s38, s37
	s_addc_u32 s36, 0, s36
	s_mul_hi_u32 s39, s29, s35
	s_mul_i32 s35, s29, s35
	s_add_u32 s35, s37, s35
	s_mul_hi_u32 s38, s29, s34
	s_addc_u32 s35, s36, s39
	s_addc_u32 s36, s38, 0
	s_mul_i32 s34, s29, s34
	s_add_u32 s34, s35, s34
	s_addc_u32 s35, 0, s36
	s_mul_i32 s35, s2, s35
	s_mul_hi_u32 s36, s2, s34
	s_add_i32 s35, s36, s35
	s_mul_i32 s36, s3, s34
	s_add_i32 s38, s35, s36
	s_sub_i32 s36, s29, s38
	s_mul_i32 s34, s2, s34
	s_sub_u32 s28, s28, s34
	s_cselect_b64 s[34:35], -1, 0
	s_cmp_lg_u64 s[34:35], 0
	s_subb_u32 s39, s36, s3
	s_sub_u32 s40, s28, s2
	s_cselect_b64 s[36:37], -1, 0
	s_cmp_lg_u64 s[36:37], 0
	s_subb_u32 s41, s39, 0
	s_cmp_ge_u32 s41, s3
	s_cselect_b32 s42, -1, 0
	s_cmp_ge_u32 s40, s2
	s_cselect_b32 s43, -1, 0
	s_cmp_eq_u32 s41, s3
	s_cselect_b32 s42, s43, s42
	s_cmp_lg_u64 s[36:37], 0
	s_subb_u32 s39, s39, s3
	s_sub_u32 s43, s40, s2
	s_cselect_b64 s[36:37], -1, 0
	s_cmp_lg_u64 s[36:37], 0
	s_subb_u32 s36, s39, 0
	s_cmp_lg_u32 s42, 0
	s_cselect_b32 s37, s43, s40
	s_cselect_b32 s36, s36, s41
	s_cmp_lg_u64 s[34:35], 0
	s_subb_u32 s29, s29, s38
	s_cmp_ge_u32 s29, s3
	s_cselect_b32 s34, -1, 0
	s_cmp_ge_u32 s28, s2
	s_cselect_b32 s2, -1, 0
	s_cmp_eq_u32 s29, s3
	s_cselect_b32 s2, s2, s34
	s_cmp_lg_u32 s2, 0
	s_cselect_b32 s3, s36, s29
	s_cselect_b32 s2, s37, s28
	s_xor_b64 s[2:3], s[2:3], s[8:9]
	s_sub_u32 s2, s2, s8
	s_subb_u32 s3, s3, s8
	s_cbranch_execnz .LBB20_126
.LBB20_125:                             ;   in Loop: Header=BB20_7 Depth=1
	v_cvt_f32_u32_e32 v2, s33
	s_sub_i32 s2, 0, s33
	v_rcp_iflag_f32_e32 v2, v2
	v_mul_f32_e32 v2, 0x4f7ffffe, v2
	v_cvt_u32_f32_e32 v2, v2
	v_readfirstlane_b32 s3, v2
	s_mul_i32 s2, s2, s3
	s_mul_hi_u32 s2, s3, s2
	s_add_i32 s3, s3, s2
	s_mul_hi_u32 s2, s83, s3
	s_mul_i32 s2, s2, s33
	s_sub_i32 s2, s83, s2
	s_sub_i32 s3, s2, s33
	s_cmp_ge_u32 s2, s33
	s_cselect_b32 s2, s3, s2
	s_sub_i32 s3, s2, s33
	s_cmp_ge_u32 s2, s33
	s_cselect_b32 s84, s3, s2
	s_mov_b64 s[2:3], s[84:85]
.LBB20_126:                             ;   in Loop: Header=BB20_7 Depth=1
	s_sub_u32 s34, s83, s2
	s_subb_u32 s35, s73, s3
	v_cmp_gt_i64_e32 vcc, s[34:35], v[0:1]
	s_mov_b64 s[8:9], 0
	s_mov_b64 s[2:3], 0
                                        ; implicit-def: $vgpr24
	s_and_saveexec_b64 s[28:29], vcc
	s_cbranch_execz .LBB20_137
; %bb.127:                              ;   in Loop: Header=BB20_7 Depth=1
	v_mov_b32_e32 v2, v10
	v_mov_b32_e32 v9, v1
	;; [unrolled: 1-line block ×4, first 2 shown]
                                        ; implicit-def: $sgpr36_sgpr37
	s_branch .LBB20_130
.LBB20_128:                             ;   in Loop: Header=BB20_130 Depth=2
	s_or_b64 exec, exec, s[38:39]
	s_waitcnt lgkmcnt(0)
	s_barrier
	ds_read_b64 v[23:24], v13 offset:3072
	s_mov_b64 s[38:39], -1
	s_mov_b64 s[40:41], -1
	s_waitcnt lgkmcnt(0)
	s_barrier
	v_cmp_ne_u32_e32 vcc, 0, v23
	s_cbranch_vccz .LBB20_133
.LBB20_129:                             ;   in Loop: Header=BB20_130 Depth=2
	s_and_b64 s[38:39], exec, s[38:39]
	s_or_b64 s[2:3], s[38:39], s[2:3]
	s_andn2_b64 s[36:37], s[36:37], exec
	s_and_b64 s[38:39], s[40:41], exec
	s_or_b64 s[36:37], s[36:37], s[38:39]
	s_andn2_b64 exec, exec, s[2:3]
	s_cbranch_execz .LBB20_136
.LBB20_130:                             ;   Parent Loop BB20_7 Depth=1
                                        ; =>  This Inner Loop Header: Depth=2
	v_cmp_gt_i64_e32 vcc, s[56:57], v[8:9]
	s_and_saveexec_b64 s[38:39], vcc
	s_cbranch_execz .LBB20_128
; %bb.131:                              ;   in Loop: Header=BB20_130 Depth=2
	global_load_dword v23, v[2:3], off
	s_waitcnt vmcnt(0)
	v_xor_b32_e32 v24, 0x80000000, v23
	v_and_b32_e32 v24, v24, v45
	v_cmp_eq_u32_e32 vcc, v24, v42
	s_and_b64 exec, exec, vcc
	s_cbranch_execz .LBB20_128
; %bb.132:                              ;   in Loop: Header=BB20_130 Depth=2
	ds_write_b64 v13, v[22:23] offset:3072
	s_branch .LBB20_128
.LBB20_133:                             ;   in Loop: Header=BB20_130 Depth=2
	v_add_co_u32_e32 v8, vcc, s33, v8
	v_addc_co_u32_e32 v9, vcc, 0, v9, vcc
	v_mov_b32_e32 v23, s71
	v_add_co_u32_e32 v2, vcc, s70, v2
	v_addc_co_u32_e32 v3, vcc, v3, v23, vcc
	v_cmp_le_i64_e32 vcc, s[34:35], v[8:9]
	s_mov_b64 s[40:41], 0
	s_orn2_b64 s[38:39], vcc, exec
	s_branch .LBB20_129
.LBB20_134:                             ;   in Loop: Header=BB20_7 Depth=1
                                        ; implicit-def: $sgpr22_sgpr23
	s_andn2_b64 vcc, exec, s[24:25]
	s_cbranch_vccz .LBB20_82
	s_branch .LBB20_83
.LBB20_135:                             ;   in Loop: Header=BB20_7 Depth=1
                                        ; implicit-def: $sgpr8_sgpr9
	s_branch .LBB20_96
.LBB20_136:                             ;   in Loop: Header=BB20_7 Depth=1
	s_or_b64 exec, exec, s[2:3]
	s_and_b64 s[2:3], s[36:37], exec
.LBB20_137:                             ;   in Loop: Header=BB20_7 Depth=1
	s_or_b64 exec, exec, s[28:29]
.LBB20_138:                             ;   in Loop: Header=BB20_7 Depth=1
	s_and_b64 vcc, exec, s[8:9]
	s_cbranch_vccz .LBB20_152
; %bb.139:                              ;   in Loop: Header=BB20_7 Depth=1
	v_readlane_b32 s6, v54, 24
	s_add_u32 s28, s30, s6
	v_readlane_b32 s6, v54, 25
	s_addc_u32 s7, s31, s6
	s_mov_b32 s6, s85
	s_cmp_lg_u64 s[6:7], 0
	s_cbranch_scc0 .LBB20_181
; %bb.140:                              ;   in Loop: Header=BB20_7 Depth=1
	s_add_u32 s8, s33, 0
	s_addc_u32 s9, 0, 0
	s_xor_b64 s[8:9], s[8:9], 0
	v_cvt_f32_u32_e32 v2, s8
	v_cvt_f32_u32_e32 v3, s9
	s_sub_u32 s6, 0, s8
	s_subb_u32 s29, 0, s9
	v_mac_f32_e32 v2, 0x4f800000, v3
	v_rcp_f32_e32 v2, v2
	v_mul_f32_e32 v2, 0x5f7ffffc, v2
	v_mul_f32_e32 v3, 0x2f800000, v2
	v_trunc_f32_e32 v3, v3
	v_mac_f32_e32 v2, 0xcf800000, v3
	v_cvt_u32_f32_e32 v3, v3
	v_cvt_u32_f32_e32 v2, v2
	v_readfirstlane_b32 s34, v3
	v_readfirstlane_b32 s22, v2
	s_mul_i32 s23, s6, s34
	s_mul_hi_u32 s36, s6, s22
	s_mul_i32 s35, s29, s22
	s_add_i32 s23, s36, s23
	s_mul_i32 s37, s6, s22
	s_add_i32 s23, s23, s35
	s_mul_i32 s36, s22, s23
	s_mul_hi_u32 s38, s22, s37
	s_mul_hi_u32 s35, s22, s23
	s_add_u32 s36, s38, s36
	s_addc_u32 s35, 0, s35
	s_mul_hi_u32 s39, s34, s37
	s_mul_i32 s37, s34, s37
	s_add_u32 s36, s36, s37
	s_mul_hi_u32 s38, s34, s23
	s_addc_u32 s35, s35, s39
	s_addc_u32 s36, s38, 0
	s_mul_i32 s23, s34, s23
	s_add_u32 s23, s35, s23
	s_addc_u32 s35, 0, s36
	s_add_u32 s36, s22, s23
	s_cselect_b64 s[22:23], -1, 0
	s_cmp_lg_u64 s[22:23], 0
	s_addc_u32 s34, s34, s35
	s_mul_i32 s22, s6, s34
	s_mul_hi_u32 s23, s6, s36
	s_add_i32 s22, s23, s22
	s_mul_i32 s29, s29, s36
	s_add_i32 s22, s22, s29
	s_mul_i32 s6, s6, s36
	s_mul_hi_u32 s29, s34, s6
	s_mul_i32 s35, s34, s6
	s_mul_i32 s38, s36, s22
	s_mul_hi_u32 s6, s36, s6
	s_mul_hi_u32 s37, s36, s22
	s_add_u32 s6, s6, s38
	s_addc_u32 s37, 0, s37
	s_add_u32 s6, s6, s35
	s_mul_hi_u32 s23, s34, s22
	s_addc_u32 s6, s37, s29
	s_addc_u32 s23, s23, 0
	s_mul_i32 s22, s34, s22
	s_add_u32 s6, s6, s22
	s_addc_u32 s29, 0, s23
	s_add_u32 s6, s36, s6
	s_cselect_b64 s[22:23], -1, 0
	s_cmp_lg_u64 s[22:23], 0
	s_addc_u32 s29, s34, s29
	s_ashr_i32 s22, s7, 31
	s_add_u32 s34, s28, s22
	s_mov_b32 s23, s22
	s_addc_u32 s35, s7, s22
	s_xor_b64 s[34:35], s[34:35], s[22:23]
	s_mul_i32 s37, s34, s29
	s_mul_hi_u32 s38, s34, s6
	s_mul_hi_u32 s36, s34, s29
	s_add_u32 s37, s38, s37
	s_addc_u32 s36, 0, s36
	s_mul_hi_u32 s39, s35, s6
	s_mul_i32 s6, s35, s6
	s_add_u32 s6, s37, s6
	s_mul_hi_u32 s38, s35, s29
	s_addc_u32 s6, s36, s39
	s_addc_u32 s36, s38, 0
	s_mul_i32 s29, s35, s29
	s_add_u32 s6, s6, s29
	s_addc_u32 s29, 0, s36
	s_mul_i32 s29, s8, s29
	s_mul_hi_u32 s36, s8, s6
	s_add_i32 s29, s36, s29
	s_mul_i32 s36, s9, s6
	s_add_i32 s29, s29, s36
	s_sub_i32 s38, s35, s29
	s_mul_i32 s6, s8, s6
	s_sub_u32 s6, s34, s6
	s_cselect_b64 s[36:37], -1, 0
	s_cmp_lg_u64 s[36:37], 0
	s_subb_u32 s34, s38, s9
	s_sub_u32 s40, s6, s8
	s_cselect_b64 s[38:39], -1, 0
	s_cmp_lg_u64 s[38:39], 0
	s_subb_u32 s41, s34, 0
	s_cmp_ge_u32 s41, s9
	s_cselect_b32 s42, -1, 0
	s_cmp_ge_u32 s40, s8
	s_cselect_b32 s43, -1, 0
	s_cmp_eq_u32 s41, s9
	s_cselect_b32 s42, s43, s42
	s_cmp_lg_u64 s[38:39], 0
	s_subb_u32 s34, s34, s9
	s_sub_u32 s43, s40, s8
	s_cselect_b64 s[38:39], -1, 0
	s_cmp_lg_u64 s[38:39], 0
	s_subb_u32 s34, s34, 0
	s_cmp_lg_u32 s42, 0
	s_cselect_b32 s38, s43, s40
	s_cselect_b32 s34, s34, s41
	s_cmp_lg_u64 s[36:37], 0
	s_subb_u32 s29, s35, s29
	s_cmp_ge_u32 s29, s9
	s_cselect_b32 s35, -1, 0
	s_cmp_ge_u32 s6, s8
	s_cselect_b32 s8, -1, 0
	s_cmp_eq_u32 s29, s9
	s_cselect_b32 s8, s8, s35
	s_cmp_lg_u32 s8, 0
	s_cselect_b32 s9, s34, s29
	s_cselect_b32 s8, s38, s6
	s_xor_b64 s[8:9], s[8:9], s[22:23]
	s_sub_u32 s8, s8, s22
	s_subb_u32 s9, s9, s22
	s_cbranch_execnz .LBB20_142
.LBB20_141:                             ;   in Loop: Header=BB20_7 Depth=1
	v_cvt_f32_u32_e32 v2, s33
	s_sub_i32 s6, 0, s33
	v_rcp_iflag_f32_e32 v2, v2
	v_mul_f32_e32 v2, 0x4f7ffffe, v2
	v_cvt_u32_f32_e32 v2, v2
	v_readfirstlane_b32 s8, v2
	s_mul_i32 s6, s6, s8
	s_mul_hi_u32 s6, s8, s6
	s_add_i32 s8, s8, s6
	s_mul_hi_u32 s6, s28, s8
	s_mul_i32 s6, s6, s33
	s_sub_i32 s6, s28, s6
	s_sub_i32 s8, s6, s33
	s_cmp_ge_u32 s6, s33
	s_cselect_b32 s6, s8, s6
	s_sub_i32 s8, s6, s33
	s_cmp_ge_u32 s6, s33
	s_cselect_b32 s84, s8, s6
	s_mov_b64 s[8:9], s[84:85]
.LBB20_142:                             ;   in Loop: Header=BB20_7 Depth=1
	s_sub_u32 s8, s28, s8
	s_subb_u32 s9, s7, s9
	v_cmp_gt_i64_e32 vcc, s[8:9], v[0:1]
                                        ; implicit-def: $vgpr24
	s_and_saveexec_b64 s[6:7], vcc
	s_cbranch_execz .LBB20_151
; %bb.143:                              ;   in Loop: Header=BB20_7 Depth=1
	v_mov_b32_e32 v3, v1
	s_mov_b64 s[22:23], 0
	v_mov_b32_e32 v8, v14
	v_mov_b32_e32 v2, v0
                                        ; implicit-def: $sgpr28_sgpr29
	s_branch .LBB20_146
.LBB20_144:                             ;   in Loop: Header=BB20_146 Depth=2
	s_or_b64 exec, exec, s[34:35]
	s_waitcnt lgkmcnt(0)
	s_barrier
	ds_read_b64 v[23:24], v13 offset:3072
	s_mov_b64 s[34:35], -1
	s_mov_b64 s[36:37], -1
	s_waitcnt lgkmcnt(0)
	s_barrier
	v_cmp_eq_u32_e32 vcc, 0, v23
	s_cbranch_vccnz .LBB20_149
.LBB20_145:                             ;   in Loop: Header=BB20_146 Depth=2
	s_and_b64 s[34:35], exec, s[34:35]
	s_or_b64 s[22:23], s[34:35], s[22:23]
	s_andn2_b64 s[28:29], s[28:29], exec
	s_and_b64 s[34:35], s[36:37], exec
	s_or_b64 s[28:29], s[28:29], s[34:35]
	s_andn2_b64 exec, exec, s[22:23]
	s_cbranch_execz .LBB20_150
.LBB20_146:                             ;   Parent Loop BB20_7 Depth=1
                                        ; =>  This Inner Loop Header: Depth=2
	v_cmp_gt_u64_e32 vcc, s[30:31], v[2:3]
	s_and_saveexec_b64 s[34:35], vcc
	s_cbranch_execz .LBB20_144
; %bb.147:                              ;   in Loop: Header=BB20_146 Depth=2
	ds_read_b32 v23, v8
	s_waitcnt lgkmcnt(0)
	v_xor_b32_e32 v9, 0x80000000, v23
	v_and_b32_e32 v9, v9, v45
	v_cmp_eq_u32_e32 vcc, v9, v42
	s_and_b64 exec, exec, vcc
	s_cbranch_execz .LBB20_144
; %bb.148:                              ;   in Loop: Header=BB20_146 Depth=2
	ds_write_b64 v13, v[22:23] offset:3072
	s_branch .LBB20_144
.LBB20_149:                             ;   in Loop: Header=BB20_146 Depth=2
	v_add_co_u32_e32 v2, vcc, s33, v2
	v_addc_co_u32_e32 v3, vcc, 0, v3, vcc
	v_cmp_le_i64_e32 vcc, s[8:9], v[2:3]
	v_add_u32_e32 v8, s1, v8
	s_mov_b64 s[36:37], 0
	s_orn2_b64 s[34:35], vcc, exec
	s_branch .LBB20_145
.LBB20_150:                             ;   in Loop: Header=BB20_7 Depth=1
	s_or_b64 exec, exec, s[22:23]
	s_andn2_b64 s[2:3], s[2:3], exec
	s_and_b64 s[8:9], s[28:29], exec
	s_or_b64 s[2:3], s[2:3], s[8:9]
.LBB20_151:                             ;   in Loop: Header=BB20_7 Depth=1
	s_or_b64 exec, exec, s[6:7]
	s_mov_b64 s[6:7], 0
	s_mov_b64 s[22:23], -1
.LBB20_152:                             ;   in Loop: Header=BB20_7 Depth=1
	s_orn2_b64 s[2:3], s[2:3], exec
.LBB20_153:                             ;   in Loop: Header=BB20_7 Depth=1
	s_or_b64 exec, exec, s[24:25]
	s_mov_b64 s[8:9], 0
	s_and_saveexec_b64 s[24:25], s[2:3]
	s_cbranch_execz .LBB20_259
; %bb.154:                              ;   in Loop: Header=BB20_7 Depth=1
	v_mov_b32_e32 v2, 1
	s_xor_b64 s[26:27], s[26:27], -1
	v_mov_b32_e32 v12, 1
	v_mov_b32_e32 v3, 0
	s_and_saveexec_b64 s[2:3], s[26:27]
	s_cbranch_execz .LBB20_164
; %bb.155:                              ;   in Loop: Header=BB20_7 Depth=1
	v_cmp_le_i64_e32 vcc, v[6:7], v[4:5]
	s_and_saveexec_b64 s[8:9], vcc
	s_xor_b64 s[8:9], exec, s[8:9]
	s_cbranch_execz .LBB20_161
; %bb.156:                              ;   in Loop: Header=BB20_7 Depth=1
	ds_read_b64 v[2:3], v13 offset:5120
	v_and_b32_e32 v8, s50, v42
	v_lshl_or_b32 v42, 1, s82, v8
	v_or_b32_e32 v45, s64, v45
	s_waitcnt lgkmcnt(0)
	v_cmp_ne_u64_e32 vcc, 0, v[2:3]
	s_cbranch_vccnz .LBB20_160
; %bb.157:                              ;   in Loop: Header=BB20_7 Depth=1
	s_mov_b64 s[26:27], exec
	v_readlane_b32 s28, v54, 8
	v_readlane_b32 s29, v54, 9
	s_and_b64 s[28:29], s[26:27], s[28:29]
	s_mov_b64 exec, s[28:29]
; %bb.158:                              ;   in Loop: Header=BB20_7 Depth=1
	ds_write_b64 v13, v[4:5] offset:5128
; %bb.159:                              ;   in Loop: Header=BB20_7 Depth=1
	s_or_b64 exec, exec, s[26:27]
	s_waitcnt lgkmcnt(0)
	s_barrier
.LBB20_160:                             ;   in Loop: Header=BB20_7 Depth=1
                                        ; implicit-def: $vgpr2_vgpr3_vgpr4_vgpr5
.LBB20_161:                             ;   in Loop: Header=BB20_7 Depth=1
	s_or_saveexec_b64 s[8:9], s[8:9]
	s_mov_b64 s[26:27], 0
	v_mov_b32_e32 v12, 8
	s_xor_b64 exec, exec, s[8:9]
; %bb.162:                              ;   in Loop: Header=BB20_7 Depth=1
	v_sub_co_u32_e32 v6, vcc, v6, v4
	s_mov_b64 s[26:27], exec
	v_subb_co_u32_e32 v7, vcc, v7, v5, vcc
	v_mov_b32_e32 v12, 0
; %bb.163:                              ;   in Loop: Header=BB20_7 Depth=1
	s_or_b64 exec, exec, s[8:9]
	v_mov_b32_e32 v2, v6
	s_and_b64 s[8:9], s[26:27], exec
	v_mov_b32_e32 v3, v7
.LBB20_164:                             ;   in Loop: Header=BB20_7 Depth=1
	s_or_b64 exec, exec, s[2:3]
	s_mov_b64 s[2:3], -1
                                        ; implicit-def: $sgpr30_sgpr31
                                        ; implicit-def: $sgpr34_sgpr35
	s_and_saveexec_b64 s[26:27], s[8:9]
	s_cbranch_execz .LBB20_258
; %bb.165:                              ;   in Loop: Header=BB20_7 Depth=1
	s_cmp_eq_u64 s[20:21], 1
	v_cmp_eq_u64_e32 vcc, 1, v[2:3]
	s_cselect_b64 s[2:3], -1, 0
	s_and_b64 s[38:39], s[2:3], vcc
	s_mov_b64 s[2:3], -1
                                        ; implicit-def: $sgpr34_sgpr35
                                        ; implicit-def: $sgpr30_sgpr31
	s_and_saveexec_b64 s[36:37], s[38:39]
	s_cbranch_execz .LBB20_199
; %bb.166:                              ;   in Loop: Header=BB20_7 Depth=1
	ds_read_b64 v[4:5], v13 offset:5120
	s_waitcnt lgkmcnt(0)
	s_barrier
	v_readfirstlane_b32 s40, v4
	v_readfirstlane_b32 s41, v5
	s_mov_b64 s[2:3], exec
	v_readlane_b32 s8, v54, 12
	v_readlane_b32 s9, v54, 13
	s_and_b64 s[8:9], s[2:3], s[8:9]
	s_mov_b64 exec, s[8:9]
; %bb.167:                              ;   in Loop: Header=BB20_7 Depth=1
	ds_write_b32 v43, v13
; %bb.168:                              ;   in Loop: Header=BB20_7 Depth=1
	s_or_b64 exec, exec, s[2:3]
	v_cmp_gt_i64_e64 s[2:3], s[40:41], 0
	v_and_b32_e32 v4, s50, v42
	v_lshl_or_b32 v42, 2, s82, v4
	v_or_b32_e32 v45, s64, v45
	s_mov_b64 s[30:31], -1
	s_mov_b64 s[34:35], 0
	s_and_b64 vcc, exec, s[2:3]
	s_mov_b64 s[2:3], 0
	s_mov_b64 s[8:9], -1
	s_waitcnt lgkmcnt(0)
	s_barrier
                                        ; implicit-def: $vgpr24
	s_cbranch_vccnz .LBB20_184
; %bb.169:                              ;   in Loop: Header=BB20_7 Depth=1
	s_mov_b32 s72, s85
	s_cmp_lg_u64 s[72:73], 0
	s_cbranch_scc0 .LBB20_225
; %bb.170:                              ;   in Loop: Header=BB20_7 Depth=1
	s_add_u32 s2, s33, 0
	s_addc_u32 s3, 0, 0
	s_xor_b64 s[2:3], s[2:3], 0
	v_cvt_f32_u32_e32 v4, s2
	v_cvt_f32_u32_e32 v5, s3
	s_sub_u32 s28, 0, s2
	s_subb_u32 s29, 0, s3
	v_mac_f32_e32 v4, 0x4f800000, v5
	v_rcp_f32_e32 v4, v4
	v_mul_f32_e32 v4, 0x5f7ffffc, v4
	v_mul_f32_e32 v5, 0x2f800000, v4
	v_trunc_f32_e32 v5, v5
	v_mac_f32_e32 v4, 0xcf800000, v5
	v_cvt_u32_f32_e32 v5, v5
	v_cvt_u32_f32_e32 v4, v4
	v_readfirstlane_b32 s42, v5
	v_readfirstlane_b32 s8, v4
	s_mul_i32 s9, s28, s42
	s_mul_hi_u32 s44, s28, s8
	s_mul_i32 s43, s29, s8
	s_add_i32 s9, s44, s9
	s_mul_i32 s45, s28, s8
	s_add_i32 s9, s9, s43
	s_mul_i32 s44, s8, s9
	s_mul_hi_u32 s46, s8, s45
	s_mul_hi_u32 s43, s8, s9
	s_add_u32 s44, s46, s44
	s_addc_u32 s43, 0, s43
	s_mul_hi_u32 s47, s42, s45
	s_mul_i32 s45, s42, s45
	s_add_u32 s44, s44, s45
	s_mul_hi_u32 s46, s42, s9
	s_addc_u32 s43, s43, s47
	s_addc_u32 s44, s46, 0
	s_mul_i32 s9, s42, s9
	s_add_u32 s9, s43, s9
	s_addc_u32 s43, 0, s44
	s_add_u32 s44, s8, s9
	s_cselect_b64 s[8:9], -1, 0
	s_cmp_lg_u64 s[8:9], 0
	s_addc_u32 s42, s42, s43
	s_mul_i32 s8, s28, s42
	s_mul_hi_u32 s9, s28, s44
	s_add_i32 s8, s9, s8
	s_mul_i32 s29, s29, s44
	s_add_i32 s8, s8, s29
	s_mul_i32 s28, s28, s44
	s_mul_hi_u32 s29, s42, s28
	s_mul_i32 s43, s42, s28
	s_mul_i32 s46, s44, s8
	s_mul_hi_u32 s28, s44, s28
	s_mul_hi_u32 s45, s44, s8
	s_add_u32 s28, s28, s46
	s_addc_u32 s45, 0, s45
	s_add_u32 s28, s28, s43
	s_mul_hi_u32 s9, s42, s8
	s_addc_u32 s28, s45, s29
	s_addc_u32 s9, s9, 0
	s_mul_i32 s8, s42, s8
	s_add_u32 s8, s28, s8
	s_addc_u32 s28, 0, s9
	s_add_u32 s43, s44, s8
	s_cselect_b64 s[8:9], -1, 0
	s_cmp_lg_u64 s[8:9], 0
	s_addc_u32 s42, s42, s28
	s_ashr_i32 s8, s73, 31
	s_add_u32 s28, s83, s8
	s_mov_b32 s9, s8
	s_addc_u32 s29, s73, s8
	s_xor_b64 s[28:29], s[28:29], s[8:9]
	s_mul_i32 s45, s28, s42
	s_mul_hi_u32 s46, s28, s43
	s_mul_hi_u32 s44, s28, s42
	s_add_u32 s45, s46, s45
	s_addc_u32 s44, 0, s44
	s_mul_hi_u32 s47, s29, s43
	s_mul_i32 s43, s29, s43
	s_add_u32 s43, s45, s43
	s_mul_hi_u32 s46, s29, s42
	s_addc_u32 s43, s44, s47
	s_addc_u32 s44, s46, 0
	s_mul_i32 s42, s29, s42
	s_add_u32 s42, s43, s42
	s_addc_u32 s43, 0, s44
	s_mul_i32 s43, s2, s43
	s_mul_hi_u32 s44, s2, s42
	s_add_i32 s43, s44, s43
	s_mul_i32 s44, s3, s42
	s_add_i32 s46, s43, s44
	s_sub_i32 s44, s29, s46
	s_mul_i32 s42, s2, s42
	s_sub_u32 s28, s28, s42
	s_cselect_b64 s[42:43], -1, 0
	s_cmp_lg_u64 s[42:43], 0
	s_subb_u32 s47, s44, s3
	s_sub_u32 s48, s28, s2
	s_cselect_b64 s[44:45], -1, 0
	s_cmp_lg_u64 s[44:45], 0
	s_subb_u32 s49, s47, 0
	s_cmp_ge_u32 s49, s3
	s_cselect_b32 s51, -1, 0
	s_cmp_ge_u32 s48, s2
	s_cselect_b32 s52, -1, 0
	s_cmp_eq_u32 s49, s3
	s_cselect_b32 s51, s52, s51
	s_cmp_lg_u64 s[44:45], 0
	s_subb_u32 s47, s47, s3
	s_sub_u32 s52, s48, s2
	s_cselect_b64 s[44:45], -1, 0
	s_cmp_lg_u64 s[44:45], 0
	s_subb_u32 s44, s47, 0
	s_cmp_lg_u32 s51, 0
	s_cselect_b32 s45, s52, s48
	s_cselect_b32 s44, s44, s49
	s_cmp_lg_u64 s[42:43], 0
	s_subb_u32 s29, s29, s46
	s_cmp_ge_u32 s29, s3
	s_cselect_b32 s42, -1, 0
	s_cmp_ge_u32 s28, s2
	s_cselect_b32 s2, -1, 0
	s_cmp_eq_u32 s29, s3
	s_cselect_b32 s2, s2, s42
	s_cmp_lg_u32 s2, 0
	s_cselect_b32 s3, s44, s29
	s_cselect_b32 s2, s45, s28
	s_xor_b64 s[2:3], s[2:3], s[8:9]
	s_sub_u32 s2, s2, s8
	s_subb_u32 s3, s3, s8
	s_cbranch_execnz .LBB20_172
.LBB20_171:                             ;   in Loop: Header=BB20_7 Depth=1
	v_cvt_f32_u32_e32 v4, s33
	s_sub_i32 s2, 0, s33
	v_rcp_iflag_f32_e32 v4, v4
	v_mul_f32_e32 v4, 0x4f7ffffe, v4
	v_cvt_u32_f32_e32 v4, v4
	v_readfirstlane_b32 s3, v4
	s_mul_i32 s2, s2, s3
	s_mul_hi_u32 s2, s3, s2
	s_add_i32 s3, s3, s2
	s_mul_hi_u32 s2, s83, s3
	s_mul_i32 s2, s2, s33
	s_sub_i32 s2, s83, s2
	s_sub_i32 s3, s2, s33
	s_cmp_ge_u32 s2, s33
	s_cselect_b32 s2, s3, s2
	s_sub_i32 s3, s2, s33
	s_cmp_ge_u32 s2, s33
	s_cselect_b32 s84, s3, s2
	s_mov_b64 s[2:3], s[84:85]
.LBB20_172:                             ;   in Loop: Header=BB20_7 Depth=1
	s_sub_u32 s42, s83, s2
	s_subb_u32 s43, s73, s3
	v_cmp_gt_i64_e32 vcc, s[42:43], v[0:1]
	s_mov_b64 s[8:9], 0
	s_mov_b64 s[2:3], 0
                                        ; implicit-def: $vgpr24
	s_and_saveexec_b64 s[28:29], vcc
	s_cbranch_execz .LBB20_183
; %bb.173:                              ;   in Loop: Header=BB20_7 Depth=1
	v_mov_b32_e32 v4, v10
	v_mov_b32_e32 v7, v1
	v_mov_b32_e32 v5, v11
	v_mov_b32_e32 v6, v0
                                        ; implicit-def: $sgpr44_sgpr45
	s_branch .LBB20_176
.LBB20_174:                             ;   in Loop: Header=BB20_176 Depth=2
	s_or_b64 exec, exec, s[46:47]
	s_waitcnt lgkmcnt(0)
	s_barrier
	ds_read_b64 v[23:24], v13 offset:3072
	s_mov_b64 s[46:47], -1
	s_mov_b64 s[48:49], -1
	s_waitcnt lgkmcnt(0)
	s_barrier
	v_cmp_ne_u32_e32 vcc, 0, v23
	s_cbranch_vccz .LBB20_179
.LBB20_175:                             ;   in Loop: Header=BB20_176 Depth=2
	s_and_b64 s[46:47], exec, s[46:47]
	s_or_b64 s[2:3], s[46:47], s[2:3]
	s_andn2_b64 s[44:45], s[44:45], exec
	s_and_b64 s[46:47], s[48:49], exec
	s_or_b64 s[44:45], s[44:45], s[46:47]
	s_andn2_b64 exec, exec, s[2:3]
	s_cbranch_execz .LBB20_182
.LBB20_176:                             ;   Parent Loop BB20_7 Depth=1
                                        ; =>  This Inner Loop Header: Depth=2
	v_cmp_gt_i64_e32 vcc, s[56:57], v[6:7]
	s_and_saveexec_b64 s[46:47], vcc
	s_cbranch_execz .LBB20_174
; %bb.177:                              ;   in Loop: Header=BB20_176 Depth=2
	global_load_dword v23, v[4:5], off
	s_waitcnt vmcnt(0)
	v_xor_b32_e32 v8, 0x80000000, v23
	v_and_b32_e32 v8, v8, v45
	v_cmp_eq_u32_e32 vcc, v8, v42
	s_and_b64 exec, exec, vcc
	s_cbranch_execz .LBB20_174
; %bb.178:                              ;   in Loop: Header=BB20_176 Depth=2
	ds_write_b64 v13, v[22:23] offset:3072
	s_branch .LBB20_174
.LBB20_179:                             ;   in Loop: Header=BB20_176 Depth=2
	v_add_co_u32_e32 v6, vcc, s33, v6
	v_addc_co_u32_e32 v7, vcc, 0, v7, vcc
	v_mov_b32_e32 v8, s71
	v_add_co_u32_e32 v4, vcc, s70, v4
	v_addc_co_u32_e32 v5, vcc, v5, v8, vcc
	v_cmp_le_i64_e32 vcc, s[42:43], v[6:7]
	s_mov_b64 s[48:49], 0
	s_orn2_b64 s[46:47], vcc, exec
	s_branch .LBB20_175
.LBB20_180:                             ;   in Loop: Header=BB20_7 Depth=1
                                        ; implicit-def: $sgpr2_sgpr3
	s_andn2_b64 vcc, exec, s[8:9]
	s_cbranch_vccz .LBB20_125
	s_branch .LBB20_126
.LBB20_181:                             ;   in Loop: Header=BB20_7 Depth=1
                                        ; implicit-def: $sgpr8_sgpr9
	s_branch .LBB20_141
.LBB20_182:                             ;   in Loop: Header=BB20_7 Depth=1
	s_or_b64 exec, exec, s[2:3]
	s_and_b64 s[2:3], s[44:45], exec
.LBB20_183:                             ;   in Loop: Header=BB20_7 Depth=1
	s_or_b64 exec, exec, s[28:29]
.LBB20_184:                             ;   in Loop: Header=BB20_7 Depth=1
	s_and_b64 vcc, exec, s[8:9]
	s_cbranch_vccz .LBB20_198
; %bb.185:                              ;   in Loop: Header=BB20_7 Depth=1
	v_readlane_b32 s8, v54, 24
	s_add_u32 s34, s40, s8
	v_readlane_b32 s8, v54, 25
	s_addc_u32 s9, s41, s8
	s_mov_b32 s8, s85
	s_cmp_lg_u64 s[8:9], 0
	s_cbranch_scc0 .LBB20_226
; %bb.186:                              ;   in Loop: Header=BB20_7 Depth=1
	s_add_u32 s28, s33, 0
	s_addc_u32 s29, 0, 0
	s_xor_b64 s[28:29], s[28:29], 0
	v_cvt_f32_u32_e32 v4, s28
	v_cvt_f32_u32_e32 v5, s29
	s_sub_u32 s8, 0, s28
	s_subb_u32 s35, 0, s29
	v_mac_f32_e32 v4, 0x4f800000, v5
	v_rcp_f32_e32 v4, v4
	v_mul_f32_e32 v4, 0x5f7ffffc, v4
	v_mul_f32_e32 v5, 0x2f800000, v4
	v_trunc_f32_e32 v5, v5
	v_mac_f32_e32 v4, 0xcf800000, v5
	v_cvt_u32_f32_e32 v5, v5
	v_cvt_u32_f32_e32 v4, v4
	v_readfirstlane_b32 s42, v5
	v_readfirstlane_b32 s30, v4
	s_mul_i32 s31, s8, s42
	s_mul_hi_u32 s44, s8, s30
	s_mul_i32 s43, s35, s30
	s_add_i32 s31, s44, s31
	s_mul_i32 s45, s8, s30
	s_add_i32 s31, s31, s43
	s_mul_i32 s44, s30, s31
	s_mul_hi_u32 s46, s30, s45
	s_mul_hi_u32 s43, s30, s31
	s_add_u32 s44, s46, s44
	s_addc_u32 s43, 0, s43
	s_mul_hi_u32 s47, s42, s45
	s_mul_i32 s45, s42, s45
	s_add_u32 s44, s44, s45
	s_mul_hi_u32 s46, s42, s31
	s_addc_u32 s43, s43, s47
	s_addc_u32 s44, s46, 0
	s_mul_i32 s31, s42, s31
	s_add_u32 s31, s43, s31
	s_addc_u32 s43, 0, s44
	s_add_u32 s44, s30, s31
	s_cselect_b64 s[30:31], -1, 0
	s_cmp_lg_u64 s[30:31], 0
	s_addc_u32 s42, s42, s43
	s_mul_i32 s30, s8, s42
	s_mul_hi_u32 s31, s8, s44
	s_add_i32 s30, s31, s30
	s_mul_i32 s35, s35, s44
	s_add_i32 s30, s30, s35
	s_mul_i32 s8, s8, s44
	s_mul_hi_u32 s35, s42, s8
	s_mul_i32 s43, s42, s8
	s_mul_i32 s46, s44, s30
	s_mul_hi_u32 s8, s44, s8
	s_mul_hi_u32 s45, s44, s30
	s_add_u32 s8, s8, s46
	s_addc_u32 s45, 0, s45
	s_add_u32 s8, s8, s43
	s_mul_hi_u32 s31, s42, s30
	s_addc_u32 s8, s45, s35
	s_addc_u32 s31, s31, 0
	s_mul_i32 s30, s42, s30
	s_add_u32 s8, s8, s30
	s_addc_u32 s35, 0, s31
	s_add_u32 s8, s44, s8
	s_cselect_b64 s[30:31], -1, 0
	s_cmp_lg_u64 s[30:31], 0
	s_addc_u32 s35, s42, s35
	s_ashr_i32 s30, s9, 31
	s_add_u32 s42, s34, s30
	s_mov_b32 s31, s30
	s_addc_u32 s43, s9, s30
	s_xor_b64 s[42:43], s[42:43], s[30:31]
	s_mul_i32 s45, s42, s35
	s_mul_hi_u32 s46, s42, s8
	s_mul_hi_u32 s44, s42, s35
	s_add_u32 s45, s46, s45
	s_addc_u32 s44, 0, s44
	s_mul_hi_u32 s47, s43, s8
	s_mul_i32 s8, s43, s8
	s_add_u32 s8, s45, s8
	s_mul_hi_u32 s46, s43, s35
	s_addc_u32 s8, s44, s47
	s_addc_u32 s44, s46, 0
	s_mul_i32 s35, s43, s35
	s_add_u32 s8, s8, s35
	s_addc_u32 s35, 0, s44
	s_mul_i32 s35, s28, s35
	s_mul_hi_u32 s44, s28, s8
	s_add_i32 s35, s44, s35
	s_mul_i32 s44, s29, s8
	s_add_i32 s35, s35, s44
	s_sub_i32 s46, s43, s35
	s_mul_i32 s8, s28, s8
	s_sub_u32 s8, s42, s8
	s_cselect_b64 s[44:45], -1, 0
	s_cmp_lg_u64 s[44:45], 0
	s_subb_u32 s42, s46, s29
	s_sub_u32 s48, s8, s28
	s_cselect_b64 s[46:47], -1, 0
	s_cmp_lg_u64 s[46:47], 0
	s_subb_u32 s49, s42, 0
	s_cmp_ge_u32 s49, s29
	s_cselect_b32 s51, -1, 0
	s_cmp_ge_u32 s48, s28
	s_cselect_b32 s52, -1, 0
	s_cmp_eq_u32 s49, s29
	s_cselect_b32 s51, s52, s51
	s_cmp_lg_u64 s[46:47], 0
	s_subb_u32 s42, s42, s29
	s_sub_u32 s52, s48, s28
	s_cselect_b64 s[46:47], -1, 0
	s_cmp_lg_u64 s[46:47], 0
	s_subb_u32 s42, s42, 0
	s_cmp_lg_u32 s51, 0
	s_cselect_b32 s46, s52, s48
	s_cselect_b32 s42, s42, s49
	s_cmp_lg_u64 s[44:45], 0
	s_subb_u32 s35, s43, s35
	s_cmp_ge_u32 s35, s29
	s_cselect_b32 s43, -1, 0
	s_cmp_ge_u32 s8, s28
	s_cselect_b32 s28, -1, 0
	s_cmp_eq_u32 s35, s29
	s_cselect_b32 s28, s28, s43
	s_cmp_lg_u32 s28, 0
	s_cselect_b32 s29, s42, s35
	s_cselect_b32 s28, s46, s8
	s_xor_b64 s[28:29], s[28:29], s[30:31]
	s_sub_u32 s28, s28, s30
	s_subb_u32 s29, s29, s30
	s_cbranch_execnz .LBB20_188
.LBB20_187:                             ;   in Loop: Header=BB20_7 Depth=1
	v_cvt_f32_u32_e32 v4, s33
	s_sub_i32 s8, 0, s33
	v_rcp_iflag_f32_e32 v4, v4
	v_mul_f32_e32 v4, 0x4f7ffffe, v4
	v_cvt_u32_f32_e32 v4, v4
	v_readfirstlane_b32 s28, v4
	s_mul_i32 s8, s8, s28
	s_mul_hi_u32 s8, s28, s8
	s_add_i32 s28, s28, s8
	s_mul_hi_u32 s8, s34, s28
	s_mul_i32 s8, s8, s33
	s_sub_i32 s8, s34, s8
	s_sub_i32 s28, s8, s33
	s_cmp_ge_u32 s8, s33
	s_cselect_b32 s8, s28, s8
	s_sub_i32 s28, s8, s33
	s_cmp_ge_u32 s8, s33
	s_cselect_b32 s84, s28, s8
	s_mov_b64 s[28:29], s[84:85]
.LBB20_188:                             ;   in Loop: Header=BB20_7 Depth=1
	s_sub_u32 s28, s34, s28
	s_subb_u32 s29, s9, s29
	v_cmp_gt_i64_e32 vcc, s[28:29], v[0:1]
                                        ; implicit-def: $vgpr24
	s_and_saveexec_b64 s[8:9], vcc
	s_cbranch_execz .LBB20_197
; %bb.189:                              ;   in Loop: Header=BB20_7 Depth=1
	v_mov_b32_e32 v5, v1
	s_mov_b64 s[30:31], 0
	v_mov_b32_e32 v6, v14
	v_mov_b32_e32 v4, v0
                                        ; implicit-def: $sgpr34_sgpr35
	s_branch .LBB20_192
.LBB20_190:                             ;   in Loop: Header=BB20_192 Depth=2
	s_or_b64 exec, exec, s[42:43]
	s_waitcnt lgkmcnt(0)
	s_barrier
	ds_read_b64 v[23:24], v13 offset:3072
	s_mov_b64 s[42:43], -1
	s_mov_b64 s[44:45], -1
	s_waitcnt lgkmcnt(0)
	s_barrier
	v_cmp_eq_u32_e32 vcc, 0, v23
	s_cbranch_vccnz .LBB20_195
.LBB20_191:                             ;   in Loop: Header=BB20_192 Depth=2
	s_and_b64 s[42:43], exec, s[42:43]
	s_or_b64 s[30:31], s[42:43], s[30:31]
	s_andn2_b64 s[34:35], s[34:35], exec
	s_and_b64 s[42:43], s[44:45], exec
	s_or_b64 s[34:35], s[34:35], s[42:43]
	s_andn2_b64 exec, exec, s[30:31]
	s_cbranch_execz .LBB20_196
.LBB20_192:                             ;   Parent Loop BB20_7 Depth=1
                                        ; =>  This Inner Loop Header: Depth=2
	v_cmp_gt_u64_e32 vcc, s[40:41], v[4:5]
	s_and_saveexec_b64 s[42:43], vcc
	s_cbranch_execz .LBB20_190
; %bb.193:                              ;   in Loop: Header=BB20_192 Depth=2
	ds_read_b32 v23, v6
	s_waitcnt lgkmcnt(0)
	v_xor_b32_e32 v7, 0x80000000, v23
	v_and_b32_e32 v7, v7, v45
	v_cmp_eq_u32_e32 vcc, v7, v42
	s_and_b64 exec, exec, vcc
	s_cbranch_execz .LBB20_190
; %bb.194:                              ;   in Loop: Header=BB20_192 Depth=2
	ds_write_b64 v13, v[22:23] offset:3072
	s_branch .LBB20_190
.LBB20_195:                             ;   in Loop: Header=BB20_192 Depth=2
	v_add_co_u32_e32 v4, vcc, s33, v4
	v_addc_co_u32_e32 v5, vcc, 0, v5, vcc
	v_cmp_le_i64_e32 vcc, s[28:29], v[4:5]
	v_add_u32_e32 v6, s1, v6
	s_mov_b64 s[44:45], 0
	s_orn2_b64 s[42:43], vcc, exec
	s_branch .LBB20_191
.LBB20_196:                             ;   in Loop: Header=BB20_7 Depth=1
	s_or_b64 exec, exec, s[30:31]
	s_andn2_b64 s[2:3], s[2:3], exec
	s_and_b64 s[28:29], s[34:35], exec
	s_or_b64 s[2:3], s[2:3], s[28:29]
.LBB20_197:                             ;   in Loop: Header=BB20_7 Depth=1
	s_or_b64 exec, exec, s[8:9]
	s_mov_b64 s[30:31], 0
	s_mov_b64 s[34:35], -1
.LBB20_198:                             ;   in Loop: Header=BB20_7 Depth=1
	s_orn2_b64 s[2:3], s[2:3], exec
.LBB20_199:                             ;   in Loop: Header=BB20_7 Depth=1
	s_or_b64 exec, exec, s[36:37]
	s_mov_b64 s[8:9], 0
	s_and_saveexec_b64 s[36:37], s[2:3]
	s_cbranch_execz .LBB20_257
; %bb.200:                              ;   in Loop: Header=BB20_7 Depth=1
	v_mov_b32_e32 v4, 1
	s_xor_b64 s[28:29], s[38:39], -1
	v_mov_b32_e32 v12, 1
	v_mov_b32_e32 v5, 0
	s_and_saveexec_b64 s[2:3], s[28:29]
	s_cbranch_execz .LBB20_209
; %bb.201:                              ;   in Loop: Header=BB20_7 Depth=1
	v_cmp_ge_i64_e32 vcc, s[20:21], v[2:3]
	s_and_saveexec_b64 s[8:9], vcc
	s_xor_b64 s[8:9], exec, s[8:9]
	s_cbranch_execz .LBB20_206
; %bb.202:                              ;   in Loop: Header=BB20_7 Depth=1
	ds_read_b64 v[4:5], v13 offset:5120
	v_and_b32_e32 v6, s50, v42
	v_lshl_or_b32 v42, 2, s82, v6
	v_or_b32_e32 v45, s64, v45
	s_waitcnt lgkmcnt(0)
	v_cmp_ne_u64_e32 vcc, 0, v[4:5]
	s_cbranch_vccnz .LBB20_206
; %bb.203:                              ;   in Loop: Header=BB20_7 Depth=1
	s_mov_b64 s[28:29], exec
	v_readlane_b32 s38, v54, 8
	v_readlane_b32 s39, v54, 9
	s_and_b64 s[38:39], s[28:29], s[38:39]
	s_mov_b64 exec, s[38:39]
; %bb.204:                              ;   in Loop: Header=BB20_7 Depth=1
	v_mov_b32_e32 v4, s20
	v_mov_b32_e32 v5, s21
	ds_write_b64 v13, v[4:5] offset:5128
; %bb.205:                              ;   in Loop: Header=BB20_7 Depth=1
	s_or_b64 exec, exec, s[28:29]
	s_waitcnt lgkmcnt(0)
	s_barrier
.LBB20_206:                             ;   in Loop: Header=BB20_7 Depth=1
	s_or_saveexec_b64 s[8:9], s[8:9]
	s_mov_b64 s[28:29], 0
	v_mov_b32_e32 v12, 8
	s_xor_b64 exec, exec, s[8:9]
; %bb.207:                              ;   in Loop: Header=BB20_7 Depth=1
	v_mov_b32_e32 v4, s21
	v_subrev_co_u32_e32 v2, vcc, s20, v2
	s_mov_b64 s[28:29], exec
	v_subb_co_u32_e32 v3, vcc, v3, v4, vcc
	v_mov_b32_e32 v12, 0
; %bb.208:                              ;   in Loop: Header=BB20_7 Depth=1
	s_or_b64 exec, exec, s[8:9]
	v_mov_b32_e32 v5, v3
	s_and_b64 s[8:9], s[28:29], exec
	v_mov_b32_e32 v4, v2
.LBB20_209:                             ;   in Loop: Header=BB20_7 Depth=1
	s_or_b64 exec, exec, s[2:3]
	s_mov_b64 s[2:3], -1
                                        ; implicit-def: $sgpr46_sgpr47
                                        ; implicit-def: $sgpr44_sgpr45
	s_and_saveexec_b64 s[20:21], s[8:9]
	s_cbranch_execz .LBB20_256
; %bb.210:                              ;   in Loop: Header=BB20_7 Depth=1
	s_cmp_eq_u64 s[12:13], 1
	v_cmp_eq_u64_e32 vcc, 1, v[4:5]
	s_cselect_b64 s[2:3], -1, 0
	s_and_b64 s[38:39], s[2:3], vcc
	s_mov_b64 s[8:9], -1
                                        ; implicit-def: $sgpr46_sgpr47
                                        ; implicit-def: $sgpr44_sgpr45
	s_and_saveexec_b64 s[40:41], s[38:39]
	s_cbranch_execz .LBB20_244
; %bb.211:                              ;   in Loop: Header=BB20_7 Depth=1
	ds_read_b64 v[2:3], v13 offset:5120
	s_waitcnt lgkmcnt(0)
	s_barrier
	v_readfirstlane_b32 s42, v2
	v_readfirstlane_b32 s43, v3
	s_mov_b64 s[2:3], exec
	v_readlane_b32 s8, v54, 12
	v_readlane_b32 s9, v54, 13
	s_and_b64 s[8:9], s[2:3], s[8:9]
	s_mov_b64 exec, s[8:9]
; %bb.212:                              ;   in Loop: Header=BB20_7 Depth=1
	ds_write_b32 v43, v13
; %bb.213:                              ;   in Loop: Header=BB20_7 Depth=1
	s_or_b64 exec, exec, s[2:3]
	v_cmp_gt_i64_e64 s[2:3], s[42:43], 0
	v_or_b32_e32 v42, s64, v42
	v_or_b32_e32 v45, s64, v45
	s_mov_b64 s[44:45], -1
	s_mov_b64 s[46:47], 0
	s_and_b64 vcc, exec, s[2:3]
	s_mov_b64 s[2:3], 0
	s_mov_b64 s[8:9], -1
	s_waitcnt lgkmcnt(0)
	s_barrier
                                        ; implicit-def: $vgpr24
	s_cbranch_vccnz .LBB20_229
; %bb.214:                              ;   in Loop: Header=BB20_7 Depth=1
	s_mov_b32 s72, s85
	s_cmp_lg_u64 s[72:73], 0
	s_cbranch_scc0 .LBB20_263
; %bb.215:                              ;   in Loop: Header=BB20_7 Depth=1
	s_add_u32 s2, s33, 0
	s_addc_u32 s3, 0, 0
	s_xor_b64 s[2:3], s[2:3], 0
	v_cvt_f32_u32_e32 v2, s2
	v_cvt_f32_u32_e32 v3, s3
	s_sub_u32 s28, 0, s2
	s_subb_u32 s29, 0, s3
	v_mac_f32_e32 v2, 0x4f800000, v3
	v_rcp_f32_e32 v2, v2
	v_mul_f32_e32 v2, 0x5f7ffffc, v2
	v_mul_f32_e32 v3, 0x2f800000, v2
	v_trunc_f32_e32 v3, v3
	v_mac_f32_e32 v2, 0xcf800000, v3
	v_cvt_u32_f32_e32 v3, v3
	v_cvt_u32_f32_e32 v2, v2
	v_readfirstlane_b32 s48, v3
	v_readfirstlane_b32 s8, v2
	s_mul_i32 s9, s28, s48
	s_mul_hi_u32 s50, s28, s8
	s_mul_i32 s49, s29, s8
	s_add_i32 s9, s50, s9
	s_mul_i32 s51, s28, s8
	s_add_i32 s9, s9, s49
	s_mul_i32 s50, s8, s9
	s_mul_hi_u32 s52, s8, s51
	s_mul_hi_u32 s49, s8, s9
	s_add_u32 s50, s52, s50
	s_addc_u32 s49, 0, s49
	s_mul_hi_u32 s53, s48, s51
	s_mul_i32 s51, s48, s51
	s_add_u32 s50, s50, s51
	s_mul_hi_u32 s52, s48, s9
	s_addc_u32 s49, s49, s53
	s_addc_u32 s50, s52, 0
	s_mul_i32 s9, s48, s9
	s_add_u32 s9, s49, s9
	s_addc_u32 s49, 0, s50
	s_add_u32 s50, s8, s9
	s_cselect_b64 s[8:9], -1, 0
	s_cmp_lg_u64 s[8:9], 0
	s_addc_u32 s48, s48, s49
	s_mul_i32 s8, s28, s48
	s_mul_hi_u32 s9, s28, s50
	s_add_i32 s8, s9, s8
	s_mul_i32 s29, s29, s50
	s_add_i32 s8, s8, s29
	s_mul_i32 s28, s28, s50
	s_mul_hi_u32 s29, s48, s28
	s_mul_i32 s49, s48, s28
	s_mul_i32 s52, s50, s8
	s_mul_hi_u32 s28, s50, s28
	s_mul_hi_u32 s51, s50, s8
	s_add_u32 s28, s28, s52
	s_addc_u32 s51, 0, s51
	s_add_u32 s28, s28, s49
	s_mul_hi_u32 s9, s48, s8
	s_addc_u32 s28, s51, s29
	s_addc_u32 s9, s9, 0
	s_mul_i32 s8, s48, s8
	s_add_u32 s8, s28, s8
	s_addc_u32 s28, 0, s9
	s_add_u32 s49, s50, s8
	s_cselect_b64 s[8:9], -1, 0
	s_cmp_lg_u64 s[8:9], 0
	s_addc_u32 s48, s48, s28
	s_ashr_i32 s8, s73, 31
	s_add_u32 s28, s83, s8
	s_mov_b32 s9, s8
	s_addc_u32 s29, s73, s8
	s_xor_b64 s[28:29], s[28:29], s[8:9]
	s_mul_i32 s51, s28, s48
	s_mul_hi_u32 s52, s28, s49
	s_mul_hi_u32 s50, s28, s48
	s_add_u32 s51, s52, s51
	s_addc_u32 s50, 0, s50
	s_mul_hi_u32 s53, s29, s49
	s_mul_i32 s49, s29, s49
	s_add_u32 s49, s51, s49
	s_mul_hi_u32 s52, s29, s48
	s_addc_u32 s49, s50, s53
	s_addc_u32 s50, s52, 0
	s_mul_i32 s48, s29, s48
	s_add_u32 s48, s49, s48
	s_addc_u32 s49, 0, s50
	s_mul_i32 s49, s2, s49
	s_mul_hi_u32 s50, s2, s48
	s_add_i32 s49, s50, s49
	s_mul_i32 s50, s3, s48
	s_add_i32 s52, s49, s50
	s_sub_i32 s50, s29, s52
	s_mul_i32 s48, s2, s48
	s_sub_u32 s28, s28, s48
	s_cselect_b64 s[48:49], -1, 0
	s_cmp_lg_u64 s[48:49], 0
	s_subb_u32 s53, s50, s3
	s_sub_u32 s58, s28, s2
	s_cselect_b64 s[50:51], -1, 0
	s_cmp_lg_u64 s[50:51], 0
	s_subb_u32 s59, s53, 0
	s_cmp_ge_u32 s59, s3
	s_cselect_b32 s65, -1, 0
	s_cmp_ge_u32 s58, s2
	s_cselect_b32 s72, -1, 0
	s_cmp_eq_u32 s59, s3
	s_cselect_b32 s65, s72, s65
	s_cmp_lg_u64 s[50:51], 0
	s_subb_u32 s53, s53, s3
	s_sub_u32 s72, s58, s2
	s_cselect_b64 s[50:51], -1, 0
	s_cmp_lg_u64 s[50:51], 0
	s_subb_u32 s50, s53, 0
	s_cmp_lg_u32 s65, 0
	s_cselect_b32 s51, s72, s58
	s_cselect_b32 s50, s50, s59
	s_cmp_lg_u64 s[48:49], 0
	s_subb_u32 s29, s29, s52
	s_cmp_ge_u32 s29, s3
	s_cselect_b32 s48, -1, 0
	s_cmp_ge_u32 s28, s2
	s_cselect_b32 s2, -1, 0
	s_cmp_eq_u32 s29, s3
	s_cselect_b32 s2, s2, s48
	s_cmp_lg_u32 s2, 0
	s_cselect_b32 s3, s50, s29
	s_cselect_b32 s2, s51, s28
	s_xor_b64 s[2:3], s[2:3], s[8:9]
	s_sub_u32 s2, s2, s8
	s_subb_u32 s3, s3, s8
	s_cbranch_execnz .LBB20_217
.LBB20_216:                             ;   in Loop: Header=BB20_7 Depth=1
	v_cvt_f32_u32_e32 v2, s33
	s_sub_i32 s2, 0, s33
	v_rcp_iflag_f32_e32 v2, v2
	v_mul_f32_e32 v2, 0x4f7ffffe, v2
	v_cvt_u32_f32_e32 v2, v2
	v_readfirstlane_b32 s3, v2
	s_mul_i32 s2, s2, s3
	s_mul_hi_u32 s2, s3, s2
	s_add_i32 s3, s3, s2
	s_mul_hi_u32 s2, s83, s3
	s_mul_i32 s2, s2, s33
	s_sub_i32 s2, s83, s2
	s_sub_i32 s3, s2, s33
	s_cmp_ge_u32 s2, s33
	s_cselect_b32 s2, s3, s2
	s_sub_i32 s3, s2, s33
	s_cmp_ge_u32 s2, s33
	s_cselect_b32 s84, s3, s2
	s_mov_b64 s[2:3], s[84:85]
.LBB20_217:                             ;   in Loop: Header=BB20_7 Depth=1
	s_sub_u32 s48, s83, s2
	s_subb_u32 s49, s73, s3
	v_cmp_gt_i64_e32 vcc, s[48:49], v[0:1]
	s_mov_b64 s[8:9], 0
	s_mov_b64 s[2:3], 0
                                        ; implicit-def: $vgpr24
	s_and_saveexec_b64 s[28:29], vcc
	s_cbranch_execz .LBB20_228
; %bb.218:                              ;   in Loop: Header=BB20_7 Depth=1
	v_mov_b32_e32 v2, v10
	v_mov_b32_e32 v7, v1
	v_mov_b32_e32 v3, v11
	v_mov_b32_e32 v6, v0
                                        ; implicit-def: $sgpr50_sgpr51
	s_branch .LBB20_221
.LBB20_219:                             ;   in Loop: Header=BB20_221 Depth=2
	s_or_b64 exec, exec, s[52:53]
	s_waitcnt lgkmcnt(0)
	s_barrier
	ds_read_b64 v[23:24], v13 offset:3072
	s_mov_b64 s[52:53], -1
	s_mov_b64 s[58:59], -1
	s_waitcnt lgkmcnt(0)
	s_barrier
	v_cmp_ne_u32_e32 vcc, 0, v23
	s_cbranch_vccz .LBB20_224
.LBB20_220:                             ;   in Loop: Header=BB20_221 Depth=2
	s_and_b64 s[52:53], exec, s[52:53]
	s_or_b64 s[2:3], s[52:53], s[2:3]
	s_andn2_b64 s[50:51], s[50:51], exec
	s_and_b64 s[52:53], s[58:59], exec
	s_or_b64 s[50:51], s[50:51], s[52:53]
	s_andn2_b64 exec, exec, s[2:3]
	s_cbranch_execz .LBB20_227
.LBB20_221:                             ;   Parent Loop BB20_7 Depth=1
                                        ; =>  This Inner Loop Header: Depth=2
	v_cmp_gt_i64_e32 vcc, s[56:57], v[6:7]
	s_and_saveexec_b64 s[52:53], vcc
	s_cbranch_execz .LBB20_219
; %bb.222:                              ;   in Loop: Header=BB20_221 Depth=2
	global_load_dword v23, v[2:3], off
	s_waitcnt vmcnt(0)
	v_xor_b32_e32 v8, 0x80000000, v23
	v_and_b32_e32 v8, v8, v45
	v_cmp_eq_u32_e32 vcc, v8, v42
	s_and_b64 exec, exec, vcc
	s_cbranch_execz .LBB20_219
; %bb.223:                              ;   in Loop: Header=BB20_221 Depth=2
	ds_write_b64 v13, v[22:23] offset:3072
	s_branch .LBB20_219
.LBB20_224:                             ;   in Loop: Header=BB20_221 Depth=2
	v_add_co_u32_e32 v6, vcc, s33, v6
	v_addc_co_u32_e32 v7, vcc, 0, v7, vcc
	v_mov_b32_e32 v8, s71
	v_add_co_u32_e32 v2, vcc, s70, v2
	v_addc_co_u32_e32 v3, vcc, v3, v8, vcc
	v_cmp_le_i64_e32 vcc, s[48:49], v[6:7]
	s_mov_b64 s[58:59], 0
	s_orn2_b64 s[52:53], vcc, exec
	s_branch .LBB20_220
.LBB20_225:                             ;   in Loop: Header=BB20_7 Depth=1
                                        ; implicit-def: $sgpr2_sgpr3
	s_andn2_b64 vcc, exec, s[8:9]
	s_cbranch_vccz .LBB20_171
	s_branch .LBB20_172
.LBB20_226:                             ;   in Loop: Header=BB20_7 Depth=1
                                        ; implicit-def: $sgpr28_sgpr29
	s_branch .LBB20_187
.LBB20_227:                             ;   in Loop: Header=BB20_7 Depth=1
	s_or_b64 exec, exec, s[2:3]
	s_and_b64 s[2:3], s[50:51], exec
.LBB20_228:                             ;   in Loop: Header=BB20_7 Depth=1
	s_or_b64 exec, exec, s[28:29]
.LBB20_229:                             ;   in Loop: Header=BB20_7 Depth=1
	s_and_b64 vcc, exec, s[8:9]
	s_cbranch_vccz .LBB20_243
; %bb.230:                              ;   in Loop: Header=BB20_7 Depth=1
	v_readlane_b32 s8, v54, 24
	s_add_u32 s46, s42, s8
	v_readlane_b32 s8, v54, 25
	s_addc_u32 s9, s43, s8
	s_mov_b32 s8, s85
	s_cmp_lg_u64 s[8:9], 0
	s_cbranch_scc0 .LBB20_264
; %bb.231:                              ;   in Loop: Header=BB20_7 Depth=1
	s_add_u32 s28, s33, 0
	s_addc_u32 s29, 0, 0
	s_xor_b64 s[28:29], s[28:29], 0
	v_cvt_f32_u32_e32 v2, s28
	v_cvt_f32_u32_e32 v3, s29
	s_sub_u32 s8, 0, s28
	s_subb_u32 s47, 0, s29
	v_mac_f32_e32 v2, 0x4f800000, v3
	v_rcp_f32_e32 v2, v2
	v_mul_f32_e32 v2, 0x5f7ffffc, v2
	v_mul_f32_e32 v3, 0x2f800000, v2
	v_trunc_f32_e32 v3, v3
	v_mac_f32_e32 v2, 0xcf800000, v3
	v_cvt_u32_f32_e32 v3, v3
	v_cvt_u32_f32_e32 v2, v2
	v_readfirstlane_b32 s48, v3
	v_readfirstlane_b32 s44, v2
	s_mul_i32 s45, s8, s48
	s_mul_hi_u32 s50, s8, s44
	s_mul_i32 s49, s47, s44
	s_add_i32 s45, s50, s45
	s_mul_i32 s51, s8, s44
	s_add_i32 s45, s45, s49
	s_mul_i32 s50, s44, s45
	s_mul_hi_u32 s52, s44, s51
	s_mul_hi_u32 s49, s44, s45
	s_add_u32 s50, s52, s50
	s_addc_u32 s49, 0, s49
	s_mul_hi_u32 s53, s48, s51
	s_mul_i32 s51, s48, s51
	s_add_u32 s50, s50, s51
	s_mul_hi_u32 s52, s48, s45
	s_addc_u32 s49, s49, s53
	s_addc_u32 s50, s52, 0
	s_mul_i32 s45, s48, s45
	s_add_u32 s45, s49, s45
	s_addc_u32 s49, 0, s50
	s_add_u32 s50, s44, s45
	s_cselect_b64 s[44:45], -1, 0
	s_cmp_lg_u64 s[44:45], 0
	s_addc_u32 s48, s48, s49
	s_mul_i32 s44, s8, s48
	s_mul_hi_u32 s45, s8, s50
	s_add_i32 s44, s45, s44
	s_mul_i32 s47, s47, s50
	s_add_i32 s44, s44, s47
	s_mul_i32 s8, s8, s50
	s_mul_hi_u32 s47, s48, s8
	s_mul_i32 s49, s48, s8
	s_mul_i32 s52, s50, s44
	s_mul_hi_u32 s8, s50, s8
	s_mul_hi_u32 s51, s50, s44
	s_add_u32 s8, s8, s52
	s_addc_u32 s51, 0, s51
	s_add_u32 s8, s8, s49
	s_mul_hi_u32 s45, s48, s44
	s_addc_u32 s8, s51, s47
	s_addc_u32 s45, s45, 0
	s_mul_i32 s44, s48, s44
	s_add_u32 s8, s8, s44
	s_addc_u32 s47, 0, s45
	s_add_u32 s8, s50, s8
	s_cselect_b64 s[44:45], -1, 0
	s_cmp_lg_u64 s[44:45], 0
	s_addc_u32 s47, s48, s47
	s_ashr_i32 s44, s9, 31
	s_add_u32 s48, s46, s44
	s_mov_b32 s45, s44
	s_addc_u32 s49, s9, s44
	s_xor_b64 s[48:49], s[48:49], s[44:45]
	s_mul_i32 s51, s48, s47
	s_mul_hi_u32 s52, s48, s8
	s_mul_hi_u32 s50, s48, s47
	s_add_u32 s51, s52, s51
	s_addc_u32 s50, 0, s50
	s_mul_hi_u32 s53, s49, s8
	s_mul_i32 s8, s49, s8
	s_add_u32 s8, s51, s8
	s_mul_hi_u32 s52, s49, s47
	s_addc_u32 s8, s50, s53
	s_addc_u32 s50, s52, 0
	s_mul_i32 s47, s49, s47
	s_add_u32 s8, s8, s47
	s_addc_u32 s47, 0, s50
	s_mul_i32 s47, s28, s47
	s_mul_hi_u32 s50, s28, s8
	s_add_i32 s47, s50, s47
	s_mul_i32 s50, s29, s8
	s_add_i32 s47, s47, s50
	s_sub_i32 s52, s49, s47
	s_mul_i32 s8, s28, s8
	s_sub_u32 s8, s48, s8
	s_cselect_b64 s[50:51], -1, 0
	s_cmp_lg_u64 s[50:51], 0
	s_subb_u32 s48, s52, s29
	s_sub_u32 s58, s8, s28
	s_cselect_b64 s[52:53], -1, 0
	s_cmp_lg_u64 s[52:53], 0
	s_subb_u32 s59, s48, 0
	s_cmp_ge_u32 s59, s29
	s_cselect_b32 s65, -1, 0
	s_cmp_ge_u32 s58, s28
	s_cselect_b32 s72, -1, 0
	s_cmp_eq_u32 s59, s29
	s_cselect_b32 s65, s72, s65
	s_cmp_lg_u64 s[52:53], 0
	s_subb_u32 s48, s48, s29
	s_sub_u32 s72, s58, s28
	s_cselect_b64 s[52:53], -1, 0
	s_cmp_lg_u64 s[52:53], 0
	s_subb_u32 s48, s48, 0
	s_cmp_lg_u32 s65, 0
	s_cselect_b32 s52, s72, s58
	s_cselect_b32 s48, s48, s59
	s_cmp_lg_u64 s[50:51], 0
	s_subb_u32 s47, s49, s47
	s_cmp_ge_u32 s47, s29
	s_cselect_b32 s49, -1, 0
	s_cmp_ge_u32 s8, s28
	s_cselect_b32 s28, -1, 0
	s_cmp_eq_u32 s47, s29
	s_cselect_b32 s28, s28, s49
	s_cmp_lg_u32 s28, 0
	s_cselect_b32 s29, s48, s47
	s_cselect_b32 s28, s52, s8
	s_xor_b64 s[28:29], s[28:29], s[44:45]
	s_sub_u32 s28, s28, s44
	s_subb_u32 s29, s29, s44
	s_cbranch_execnz .LBB20_233
.LBB20_232:                             ;   in Loop: Header=BB20_7 Depth=1
	v_cvt_f32_u32_e32 v2, s33
	s_sub_i32 s8, 0, s33
	v_rcp_iflag_f32_e32 v2, v2
	v_mul_f32_e32 v2, 0x4f7ffffe, v2
	v_cvt_u32_f32_e32 v2, v2
	v_readfirstlane_b32 s28, v2
	s_mul_i32 s8, s8, s28
	s_mul_hi_u32 s8, s28, s8
	s_add_i32 s28, s28, s8
	s_mul_hi_u32 s8, s46, s28
	s_mul_i32 s8, s8, s33
	s_sub_i32 s8, s46, s8
	s_sub_i32 s28, s8, s33
	s_cmp_ge_u32 s8, s33
	s_cselect_b32 s8, s28, s8
	s_sub_i32 s28, s8, s33
	s_cmp_ge_u32 s8, s33
	s_cselect_b32 s84, s28, s8
	s_mov_b64 s[28:29], s[84:85]
.LBB20_233:                             ;   in Loop: Header=BB20_7 Depth=1
	s_sub_u32 s28, s46, s28
	s_subb_u32 s29, s9, s29
	v_cmp_gt_i64_e32 vcc, s[28:29], v[0:1]
                                        ; implicit-def: $vgpr24
	s_and_saveexec_b64 s[8:9], vcc
	s_cbranch_execz .LBB20_242
; %bb.234:                              ;   in Loop: Header=BB20_7 Depth=1
	v_mov_b32_e32 v3, v1
	s_mov_b64 s[44:45], 0
	v_mov_b32_e32 v6, v14
	v_mov_b32_e32 v2, v0
                                        ; implicit-def: $sgpr46_sgpr47
	s_branch .LBB20_237
.LBB20_235:                             ;   in Loop: Header=BB20_237 Depth=2
	s_or_b64 exec, exec, s[48:49]
	s_waitcnt lgkmcnt(0)
	s_barrier
	ds_read_b64 v[23:24], v13 offset:3072
	s_mov_b64 s[48:49], -1
	s_mov_b64 s[50:51], -1
	s_waitcnt lgkmcnt(0)
	s_barrier
	v_cmp_eq_u32_e32 vcc, 0, v23
	s_cbranch_vccnz .LBB20_240
.LBB20_236:                             ;   in Loop: Header=BB20_237 Depth=2
	s_and_b64 s[48:49], exec, s[48:49]
	s_or_b64 s[44:45], s[48:49], s[44:45]
	s_andn2_b64 s[46:47], s[46:47], exec
	s_and_b64 s[48:49], s[50:51], exec
	s_or_b64 s[46:47], s[46:47], s[48:49]
	s_andn2_b64 exec, exec, s[44:45]
	s_cbranch_execz .LBB20_241
.LBB20_237:                             ;   Parent Loop BB20_7 Depth=1
                                        ; =>  This Inner Loop Header: Depth=2
	v_cmp_gt_u64_e32 vcc, s[42:43], v[2:3]
	s_and_saveexec_b64 s[48:49], vcc
	s_cbranch_execz .LBB20_235
; %bb.238:                              ;   in Loop: Header=BB20_237 Depth=2
	ds_read_b32 v23, v6
	s_waitcnt lgkmcnt(0)
	v_xor_b32_e32 v7, 0x80000000, v23
	v_and_b32_e32 v7, v7, v45
	v_cmp_eq_u32_e32 vcc, v7, v42
	s_and_b64 exec, exec, vcc
	s_cbranch_execz .LBB20_235
; %bb.239:                              ;   in Loop: Header=BB20_237 Depth=2
	ds_write_b64 v13, v[22:23] offset:3072
	s_branch .LBB20_235
.LBB20_240:                             ;   in Loop: Header=BB20_237 Depth=2
	v_add_co_u32_e32 v2, vcc, s33, v2
	v_addc_co_u32_e32 v3, vcc, 0, v3, vcc
	v_cmp_le_i64_e32 vcc, s[28:29], v[2:3]
	v_add_u32_e32 v6, s1, v6
	s_mov_b64 s[50:51], 0
	s_orn2_b64 s[48:49], vcc, exec
	s_branch .LBB20_236
.LBB20_241:                             ;   in Loop: Header=BB20_7 Depth=1
	s_or_b64 exec, exec, s[44:45]
	s_andn2_b64 s[2:3], s[2:3], exec
	s_and_b64 s[28:29], s[46:47], exec
	s_or_b64 s[2:3], s[2:3], s[28:29]
.LBB20_242:                             ;   in Loop: Header=BB20_7 Depth=1
	s_or_b64 exec, exec, s[8:9]
	s_mov_b64 s[44:45], 0
	s_mov_b64 s[46:47], -1
.LBB20_243:                             ;   in Loop: Header=BB20_7 Depth=1
	s_orn2_b64 s[8:9], s[2:3], exec
.LBB20_244:                             ;   in Loop: Header=BB20_7 Depth=1
	s_or_b64 exec, exec, s[40:41]
	s_mov_b64 s[28:29], 0
	s_and_saveexec_b64 s[2:3], s[8:9]
	s_cbranch_execz .LBB20_255
; %bb.245:                              ;   in Loop: Header=BB20_7 Depth=1
	v_mov_b32_e32 v2, 1
	s_xor_b64 s[28:29], s[38:39], -1
	v_mov_b32_e32 v3, 0
	v_mov_b32_e32 v12, 1
	s_and_saveexec_b64 s[8:9], s[28:29]
	s_cbranch_execz .LBB20_254
; %bb.246:                              ;   in Loop: Header=BB20_7 Depth=1
	v_cmp_ge_i64_e32 vcc, s[12:13], v[4:5]
	s_and_saveexec_b64 s[28:29], vcc
	s_xor_b64 s[28:29], exec, s[28:29]
	s_cbranch_execz .LBB20_251
; %bb.247:                              ;   in Loop: Header=BB20_7 Depth=1
	ds_read_b64 v[2:3], v13 offset:5120
	v_or_b32_e32 v42, s64, v42
	v_or_b32_e32 v45, s64, v45
	s_waitcnt lgkmcnt(0)
	v_cmp_ne_u64_e32 vcc, 0, v[2:3]
	s_cbranch_vccnz .LBB20_251
; %bb.248:                              ;   in Loop: Header=BB20_7 Depth=1
	s_mov_b64 s[38:39], exec
	v_readlane_b32 s40, v54, 8
	v_readlane_b32 s41, v54, 9
	s_and_b64 s[40:41], s[38:39], s[40:41]
	s_mov_b64 exec, s[40:41]
; %bb.249:                              ;   in Loop: Header=BB20_7 Depth=1
	v_mov_b32_e32 v2, s12
	v_mov_b32_e32 v3, s13
	ds_write_b64 v13, v[2:3] offset:5128
; %bb.250:                              ;   in Loop: Header=BB20_7 Depth=1
	s_or_b64 exec, exec, s[38:39]
	s_waitcnt lgkmcnt(0)
	s_barrier
.LBB20_251:                             ;   in Loop: Header=BB20_7 Depth=1
	s_andn2_saveexec_b64 s[28:29], s[28:29]
; %bb.252:                              ;   in Loop: Header=BB20_7 Depth=1
	v_mov_b32_e32 v2, s13
	v_subrev_co_u32_e32 v4, vcc, s12, v4
	v_subb_co_u32_e32 v5, vcc, v5, v2, vcc
; %bb.253:                              ;   in Loop: Header=BB20_7 Depth=1
	s_or_b64 exec, exec, s[28:29]
	v_mov_b32_e32 v2, v4
	v_mov_b32_e32 v12, 8
	;; [unrolled: 1-line block ×3, first 2 shown]
.LBB20_254:                             ;   in Loop: Header=BB20_7 Depth=1
	s_or_b64 exec, exec, s[8:9]
	v_mov_b32_e32 v5, v3
	s_mov_b64 s[28:29], exec
	v_mov_b32_e32 v4, v2
.LBB20_255:                             ;   in Loop: Header=BB20_7 Depth=1
	s_or_b64 exec, exec, s[2:3]
	s_orn2_b64 s[2:3], s[28:29], exec
.LBB20_256:                             ;   in Loop: Header=BB20_7 Depth=1
	s_or_b64 exec, exec, s[20:21]
	s_andn2_b64 s[8:9], s[34:35], exec
	s_and_b64 s[12:13], s[46:47], exec
	s_or_b64 s[34:35], s[8:9], s[12:13]
	s_andn2_b64 s[8:9], s[30:31], exec
	s_and_b64 s[12:13], s[44:45], exec
	v_mov_b32_e32 v2, v4
	s_or_b64 s[30:31], s[8:9], s[12:13]
	s_and_b64 s[8:9], s[2:3], exec
	v_mov_b32_e32 v3, v5
.LBB20_257:                             ;   in Loop: Header=BB20_7 Depth=1
	s_or_b64 exec, exec, s[36:37]
	s_orn2_b64 s[2:3], s[8:9], exec
.LBB20_258:                             ;   in Loop: Header=BB20_7 Depth=1
	s_or_b64 exec, exec, s[26:27]
	s_andn2_b64 s[8:9], s[22:23], exec
	s_and_b64 s[12:13], s[34:35], exec
	s_or_b64 s[22:23], s[8:9], s[12:13]
	s_andn2_b64 s[6:7], s[6:7], exec
	s_and_b64 s[8:9], s[30:31], exec
	v_mov_b32_e32 v7, v3
	s_or_b64 s[6:7], s[6:7], s[8:9]
	s_and_b64 s[8:9], s[2:3], exec
	v_mov_b32_e32 v6, v2
.LBB20_259:                             ;   in Loop: Header=BB20_7 Depth=1
	s_or_b64 exec, exec, s[24:25]
	s_orn2_b64 s[2:3], s[8:9], exec
.LBB20_260:                             ;   in Loop: Header=BB20_7 Depth=1
	s_or_b64 exec, exec, s[18:19]
	s_mov_b64 s[8:9], 0
	s_and_saveexec_b64 s[12:13], s[2:3]
	s_xor_b64 s[2:3], exec, s[12:13]
	s_cbranch_execz .LBB20_5
; %bb.261:                              ;   in Loop: Header=BB20_7 Depth=1
	v_and_b32_e32 v2, 7, v12
	v_cmp_eq_u32_e32 vcc, 0, v2
	s_mov_b64 s[12:13], -1
	s_mov_b64 s[8:9], -1
	s_and_saveexec_b64 s[16:17], vcc
	s_cbranch_execz .LBB20_4
; %bb.262:                              ;   in Loop: Header=BB20_7 Depth=1
	s_add_i32 s18, s82, -2
	s_cmp_eq_u32 s82, 0
	s_cselect_b64 s[12:13], -1, 0
	v_xor_b32_e32 v44, 1, v44
	s_xor_b64 s[8:9], exec, -1
	s_orn2_b64 s[12:13], s[12:13], exec
	s_mov_b32 s82, s18
	s_branch .LBB20_4
.LBB20_263:                             ;   in Loop: Header=BB20_7 Depth=1
                                        ; implicit-def: $sgpr2_sgpr3
	s_andn2_b64 vcc, exec, s[8:9]
	s_cbranch_vccz .LBB20_216
	s_branch .LBB20_217
.LBB20_264:                             ;   in Loop: Header=BB20_7 Depth=1
                                        ; implicit-def: $sgpr28_sgpr29
	s_branch .LBB20_232
.LBB20_265:
	s_or_b64 exec, exec, s[92:93]
	s_xor_b64 s[4:5], s[60:61], -1
	s_xor_b64 s[0:1], s[94:95], -1
	;; [unrolled: 1-line block ×3, first 2 shown]
	s_mov_b64 s[2:3], 0
	s_and_saveexec_b64 s[8:9], s[0:1]
	s_xor_b64 s[0:1], exec, s[8:9]
	s_cbranch_execnz .LBB20_270
; %bb.266:
	s_andn2_saveexec_b64 s[0:1], s[0:1]
	s_cbranch_execnz .LBB20_292
.LBB20_267:
	s_or_b64 exec, exec, s[0:1]
	s_and_saveexec_b64 s[0:1], s[2:3]
.LBB20_268:
	; divergent unreachable
.LBB20_269:
	s_endpgm
.LBB20_270:
	s_and_saveexec_b64 s[2:3], s[4:5]
	s_xor_b64 s[4:5], exec, s[2:3]
	s_cbranch_execz .LBB20_290
; %bb.271:
	s_and_saveexec_b64 s[2:3], s[6:7]
	s_xor_b64 s[2:3], exec, s[2:3]
; %bb.272:
	v_xor_b32_e32 v24, 0x80000000, v42
; %bb.273:
	s_or_b64 exec, exec, s[2:3]
	s_mov_b64 s[2:3], exec
	v_readlane_b32 s6, v54, 8
	v_readlane_b32 s7, v54, 9
	s_and_b64 s[6:7], s[2:3], s[6:7]
	v_readlane_b32 s24, v54, 10
	v_readlane_b32 s25, v54, 11
	s_mov_b64 exec, s[6:7]
; %bb.274:
	v_mov_b32_e32 v2, 0
	v_mov_b32_e32 v3, s56
	ds_write_b32 v2, v3 offset:5140
; %bb.275:
	s_or_b64 exec, exec, s[2:3]
	s_waitcnt lgkmcnt(0)
	s_barrier
	s_mov_b64 s[6:7], exec
	v_readlane_b32 s2, v54, 20
	v_readlane_b32 s3, v54, 21
	s_and_b64 s[2:3], s[6:7], s[2:3]
	s_mov_b64 exec, s[2:3]
	s_cbranch_execz .LBB20_287
; %bb.276:
	v_mov_b32_e32 v2, 0
	ds_read_b32 v4, v2 offset:5140
	s_mov_b64 s[8:9], 0
                                        ; implicit-def: $sgpr10_sgpr11
                                        ; implicit-def: $sgpr12_sgpr13
                                        ; implicit-def: $sgpr14_sgpr15
	s_waitcnt lgkmcnt(0)
	v_ashrrev_i32_e32 v5, 31, v4
	s_branch .LBB20_279
.LBB20_277:                             ;   in Loop: Header=BB20_279 Depth=1
	s_or_b64 exec, exec, s[20:21]
	s_andn2_b64 s[14:15], s[14:15], exec
	s_and_b64 s[18:19], s[18:19], exec
	s_andn2_b64 s[12:13], s[12:13], exec
	s_and_b64 s[2:3], s[2:3], exec
	s_or_b64 s[14:15], s[14:15], s[18:19]
	s_or_b64 s[12:13], s[12:13], s[2:3]
.LBB20_278:                             ;   in Loop: Header=BB20_279 Depth=1
	s_or_b64 exec, exec, s[16:17]
	s_and_b64 s[2:3], exec, s[12:13]
	s_or_b64 s[8:9], s[2:3], s[8:9]
	s_andn2_b64 s[2:3], s[10:11], exec
	s_and_b64 s[10:11], s[14:15], exec
	s_or_b64 s[10:11], s[2:3], s[10:11]
	s_andn2_b64 exec, exec, s[8:9]
	s_cbranch_execz .LBB20_282
.LBB20_279:                             ; =>This Inner Loop Header: Depth=1
	v_mov_b32_e32 v3, v1
	v_mov_b32_e32 v2, v0
	v_cmp_lt_i64_e32 vcc, v[2:3], v[4:5]
	s_or_b64 s[14:15], s[14:15], exec
	s_or_b64 s[12:13], s[12:13], exec
                                        ; implicit-def: $vgpr0_vgpr1
	s_and_saveexec_b64 s[16:17], vcc
	s_cbranch_execz .LBB20_278
; %bb.280:                              ;   in Loop: Header=BB20_279 Depth=1
	global_load_dword v0, v[10:11], off
	s_mov_b64 s[2:3], -1
	s_mov_b64 s[18:19], 0
	s_waitcnt vmcnt(0)
	v_cmp_ne_u32_e32 vcc, v0, v24
                                        ; implicit-def: $vgpr0_vgpr1
	s_and_saveexec_b64 s[20:21], vcc
	s_cbranch_execz .LBB20_277
; %bb.281:                              ;   in Loop: Header=BB20_279 Depth=1
	v_add_co_u32_e32 v0, vcc, s33, v2
	v_addc_co_u32_e32 v1, vcc, 0, v3, vcc
	v_mov_b32_e32 v3, s71
	v_cmp_le_i64_e32 vcc, s[56:57], v[0:1]
	v_add_co_u32_e64 v10, s[2:3], s70, v10
	v_addc_co_u32_e64 v11, s[2:3], v11, v3, s[2:3]
	s_mov_b64 s[18:19], exec
	s_orn2_b64 s[2:3], vcc, exec
	s_branch .LBB20_277
.LBB20_282:
	s_or_b64 exec, exec, s[8:9]
	s_xor_b64 s[2:3], s[10:11], -1
	s_and_saveexec_b64 s[8:9], s[2:3]
	s_xor_b64 s[8:9], exec, s[8:9]
	s_cbranch_execz .LBB20_287
; %bb.283:
	s_mov_b64 s[2:3], exec
	s_brev_b32 s8, -2
.LBB20_284:                             ; =>This Inner Loop Header: Depth=1
	s_ff1_i32_b64 s9, s[2:3]
	v_readlane_b32 s12, v2, s9
	s_lshl_b64 s[10:11], 1, s9
	s_min_i32 s8, s8, s12
	s_andn2_b64 s[2:3], s[2:3], s[10:11]
	s_cmp_lg_u64 s[2:3], 0
	s_cbranch_scc1 .LBB20_284
; %bb.285:
	v_mbcnt_lo_u32_b32 v0, exec_lo, 0
	v_mbcnt_hi_u32_b32 v0, exec_hi, v0
	v_cmp_eq_u32_e32 vcc, 0, v0
	s_and_saveexec_b64 s[2:3], vcc
	s_xor_b64 s[2:3], exec, s[2:3]
; %bb.286:
	v_mov_b32_e32 v0, 0
	v_mov_b32_e32 v1, s8
	ds_min_i32 v0, v1 offset:5140
.LBB20_287:
	s_or_b64 exec, exec, s[6:7]
	s_waitcnt lgkmcnt(0)
	s_barrier
	s_mov_b64 s[2:3], exec
	v_readlane_b32 s6, v54, 8
	v_readlane_b32 s7, v54, 9
	s_and_b64 s[6:7], s[2:3], s[6:7]
	s_mov_b64 exec, s[6:7]
	s_cbranch_execz .LBB20_289
; %bb.288:
	v_readlane_b32 s8, v54, 4
	v_readlane_b32 s9, v54, 5
	;; [unrolled: 1-line block ×3, first 2 shown]
	s_mul_i32 s6, s9, s24
	s_mul_hi_u32 s7, s8, s24
	v_readlane_b32 s11, v54, 1
	v_mov_b32_e32 v2, 0
	s_add_i32 s7, s7, s6
	s_mul_i32 s6, s8, s24
	s_mul_i32 s8, s11, s24
	s_mul_hi_u32 s9, s10, s24
	ds_read_b32 v0, v2 offset:5140
	s_add_i32 s9, s9, s8
	s_mul_i32 s8, s10, s24
	s_lshl_b64 s[6:7], s[6:7], 2
	v_readlane_b32 s10, v54, 6
	v_readlane_b32 s11, v54, 7
	s_add_u32 s6, s10, s6
	s_addc_u32 s7, s11, s7
	s_lshl_b64 s[8:9], s[8:9], 3
	v_readlane_b32 s10, v54, 2
	v_readlane_b32 s11, v54, 3
	s_add_u32 s8, s10, s8
	s_addc_u32 s9, s11, s9
	s_waitcnt lgkmcnt(0)
	v_ashrrev_i32_e32 v1, 31, v0
	global_store_dwordx2 v2, v[0:1], s[8:9]
	global_store_dword v2, v24, s[6:7]
.LBB20_289:
	s_or_b64 exec, exec, s[2:3]
.LBB20_290:
	s_or_saveexec_b64 s[2:3], s[4:5]
	s_mov_b64 s[4:5], 0
	s_xor_b64 exec, exec, s[2:3]
	s_cbranch_execnz .LBB20_293
.LBB20_291:
	s_or_b64 exec, exec, s[2:3]
	s_and_b64 s[2:3], s[4:5], exec
	s_andn2_saveexec_b64 s[0:1], s[0:1]
	s_cbranch_execz .LBB20_267
.LBB20_292:
	s_or_b64 s[2:3], s[2:3], exec
	s_trap 2
	s_or_b64 exec, exec, s[0:1]
	s_and_saveexec_b64 s[0:1], s[2:3]
	s_cbranch_execnz .LBB20_268
	s_branch .LBB20_269
.LBB20_293:
	s_mov_b64 s[4:5], exec
	s_trap 2
	s_branch .LBB20_291
	.section	.rodata,"a",@progbits
	.p2align	6, 0x0
	.amdhsa_kernel _ZN2at6native12_GLOBAL__N_114gatherKthValueIilLi1EEEvNS_4cuda6detail10TensorInfoIKT_T0_EES8_S8_S8_S8_NS5_IS6_S8_EENS5_IlS8_EE
		.amdhsa_group_segment_fixed_size 5144
		.amdhsa_private_segment_fixed_size 0
		.amdhsa_kernarg_size 1536
		.amdhsa_user_sgpr_count 6
		.amdhsa_user_sgpr_private_segment_buffer 1
		.amdhsa_user_sgpr_dispatch_ptr 0
		.amdhsa_user_sgpr_queue_ptr 0
		.amdhsa_user_sgpr_kernarg_segment_ptr 1
		.amdhsa_user_sgpr_dispatch_id 0
		.amdhsa_user_sgpr_flat_scratch_init 0
		.amdhsa_user_sgpr_private_segment_size 0
		.amdhsa_uses_dynamic_stack 0
		.amdhsa_system_sgpr_private_segment_wavefront_offset 0
		.amdhsa_system_sgpr_workgroup_id_x 1
		.amdhsa_system_sgpr_workgroup_id_y 1
		.amdhsa_system_sgpr_workgroup_id_z 1
		.amdhsa_system_sgpr_workgroup_info 0
		.amdhsa_system_vgpr_workitem_id 0
		.amdhsa_next_free_vgpr 55
		.amdhsa_next_free_sgpr 96
		.amdhsa_reserve_vcc 1
		.amdhsa_reserve_flat_scratch 0
		.amdhsa_float_round_mode_32 0
		.amdhsa_float_round_mode_16_64 0
		.amdhsa_float_denorm_mode_32 3
		.amdhsa_float_denorm_mode_16_64 3
		.amdhsa_dx10_clamp 1
		.amdhsa_ieee_mode 1
		.amdhsa_fp16_overflow 0
		.amdhsa_exception_fp_ieee_invalid_op 0
		.amdhsa_exception_fp_denorm_src 0
		.amdhsa_exception_fp_ieee_div_zero 0
		.amdhsa_exception_fp_ieee_overflow 0
		.amdhsa_exception_fp_ieee_underflow 0
		.amdhsa_exception_fp_ieee_inexact 0
		.amdhsa_exception_int_div_zero 0
	.end_amdhsa_kernel
	.section	.text._ZN2at6native12_GLOBAL__N_114gatherKthValueIilLi1EEEvNS_4cuda6detail10TensorInfoIKT_T0_EES8_S8_S8_S8_NS5_IS6_S8_EENS5_IlS8_EE,"axG",@progbits,_ZN2at6native12_GLOBAL__N_114gatherKthValueIilLi1EEEvNS_4cuda6detail10TensorInfoIKT_T0_EES8_S8_S8_S8_NS5_IS6_S8_EENS5_IlS8_EE,comdat
.Lfunc_end20:
	.size	_ZN2at6native12_GLOBAL__N_114gatherKthValueIilLi1EEEvNS_4cuda6detail10TensorInfoIKT_T0_EES8_S8_S8_S8_NS5_IS6_S8_EENS5_IlS8_EE, .Lfunc_end20-_ZN2at6native12_GLOBAL__N_114gatherKthValueIilLi1EEEvNS_4cuda6detail10TensorInfoIKT_T0_EES8_S8_S8_S8_NS5_IS6_S8_EENS5_IlS8_EE
                                        ; -- End function
	.set _ZN2at6native12_GLOBAL__N_114gatherKthValueIilLi1EEEvNS_4cuda6detail10TensorInfoIKT_T0_EES8_S8_S8_S8_NS5_IS6_S8_EENS5_IlS8_EE.num_vgpr, 55
	.set _ZN2at6native12_GLOBAL__N_114gatherKthValueIilLi1EEEvNS_4cuda6detail10TensorInfoIKT_T0_EES8_S8_S8_S8_NS5_IS6_S8_EENS5_IlS8_EE.num_agpr, 0
	.set _ZN2at6native12_GLOBAL__N_114gatherKthValueIilLi1EEEvNS_4cuda6detail10TensorInfoIKT_T0_EES8_S8_S8_S8_NS5_IS6_S8_EENS5_IlS8_EE.numbered_sgpr, 96
	.set _ZN2at6native12_GLOBAL__N_114gatherKthValueIilLi1EEEvNS_4cuda6detail10TensorInfoIKT_T0_EES8_S8_S8_S8_NS5_IS6_S8_EENS5_IlS8_EE.num_named_barrier, 0
	.set _ZN2at6native12_GLOBAL__N_114gatherKthValueIilLi1EEEvNS_4cuda6detail10TensorInfoIKT_T0_EES8_S8_S8_S8_NS5_IS6_S8_EENS5_IlS8_EE.private_seg_size, 0
	.set _ZN2at6native12_GLOBAL__N_114gatherKthValueIilLi1EEEvNS_4cuda6detail10TensorInfoIKT_T0_EES8_S8_S8_S8_NS5_IS6_S8_EENS5_IlS8_EE.uses_vcc, 1
	.set _ZN2at6native12_GLOBAL__N_114gatherKthValueIilLi1EEEvNS_4cuda6detail10TensorInfoIKT_T0_EES8_S8_S8_S8_NS5_IS6_S8_EENS5_IlS8_EE.uses_flat_scratch, 0
	.set _ZN2at6native12_GLOBAL__N_114gatherKthValueIilLi1EEEvNS_4cuda6detail10TensorInfoIKT_T0_EES8_S8_S8_S8_NS5_IS6_S8_EENS5_IlS8_EE.has_dyn_sized_stack, 0
	.set _ZN2at6native12_GLOBAL__N_114gatherKthValueIilLi1EEEvNS_4cuda6detail10TensorInfoIKT_T0_EES8_S8_S8_S8_NS5_IS6_S8_EENS5_IlS8_EE.has_recursion, 0
	.set _ZN2at6native12_GLOBAL__N_114gatherKthValueIilLi1EEEvNS_4cuda6detail10TensorInfoIKT_T0_EES8_S8_S8_S8_NS5_IS6_S8_EENS5_IlS8_EE.has_indirect_call, 0
	.section	.AMDGPU.csdata,"",@progbits
; Kernel info:
; codeLenInByte = 15708
; TotalNumSgprs: 100
; NumVgprs: 55
; ScratchSize: 0
; MemoryBound: 0
; FloatMode: 240
; IeeeMode: 1
; LDSByteSize: 5144 bytes/workgroup (compile time only)
; SGPRBlocks: 12
; VGPRBlocks: 13
; NumSGPRsForWavesPerEU: 100
; NumVGPRsForWavesPerEU: 55
; Occupancy: 4
; WaveLimiterHint : 1
; COMPUTE_PGM_RSRC2:SCRATCH_EN: 0
; COMPUTE_PGM_RSRC2:USER_SGPR: 6
; COMPUTE_PGM_RSRC2:TRAP_HANDLER: 0
; COMPUTE_PGM_RSRC2:TGID_X_EN: 1
; COMPUTE_PGM_RSRC2:TGID_Y_EN: 1
; COMPUTE_PGM_RSRC2:TGID_Z_EN: 1
; COMPUTE_PGM_RSRC2:TIDIG_COMP_CNT: 0
	.section	.text._ZN2at6native12_GLOBAL__N_114gatherKthValueIilLi2EEEvNS_4cuda6detail10TensorInfoIKT_T0_EES8_S8_S8_S8_NS5_IS6_S8_EENS5_IlS8_EE,"axG",@progbits,_ZN2at6native12_GLOBAL__N_114gatherKthValueIilLi2EEEvNS_4cuda6detail10TensorInfoIKT_T0_EES8_S8_S8_S8_NS5_IS6_S8_EENS5_IlS8_EE,comdat
	.globl	_ZN2at6native12_GLOBAL__N_114gatherKthValueIilLi2EEEvNS_4cuda6detail10TensorInfoIKT_T0_EES8_S8_S8_S8_NS5_IS6_S8_EENS5_IlS8_EE ; -- Begin function _ZN2at6native12_GLOBAL__N_114gatherKthValueIilLi2EEEvNS_4cuda6detail10TensorInfoIKT_T0_EES8_S8_S8_S8_NS5_IS6_S8_EENS5_IlS8_EE
	.p2align	8
	.type	_ZN2at6native12_GLOBAL__N_114gatherKthValueIilLi2EEEvNS_4cuda6detail10TensorInfoIKT_T0_EES8_S8_S8_S8_NS5_IS6_S8_EENS5_IlS8_EE,@function
_ZN2at6native12_GLOBAL__N_114gatherKthValueIilLi2EEEvNS_4cuda6detail10TensorInfoIKT_T0_EES8_S8_S8_S8_NS5_IS6_S8_EENS5_IlS8_EE: ; @_ZN2at6native12_GLOBAL__N_114gatherKthValueIilLi2EEEvNS_4cuda6detail10TensorInfoIKT_T0_EES8_S8_S8_S8_NS5_IS6_S8_EENS5_IlS8_EE
; %bb.0:
	s_load_dwordx2 s[14:15], s[4:5], 0x500
	s_load_dwordx8 s[56:63], s[4:5], 0x1a0
	s_add_u32 s12, s4, 0x500
	s_addc_u32 s13, s5, 0
	s_mov_b32 s29, 0
	s_waitcnt lgkmcnt(0)
	s_mul_i32 s0, s15, s8
	s_add_i32 s0, s0, s7
	s_mul_i32 s0, s0, s14
	s_add_i32 s28, s0, s6
	v_mov_b32_e32 v1, s28
	v_mov_b32_e32 v2, s29
	v_cmp_le_i64_e32 vcc, s[60:61], v[1:2]
	s_cbranch_vccnz .LBB21_278
; %bb.1:
	s_load_dwordx2 s[2:3], s[4:5], 0x10
	s_load_dwordx2 s[24:25], s[4:5], 0x1d0
	s_mov_b32 s0, s29
                                        ; implicit-def: $vgpr56 : SGPR spill to VGPR lane
	s_waitcnt lgkmcnt(0)
	s_mov_b32 s1, s3
	s_cmp_lg_u64 s[0:1], 0
	v_writelane_b32 v56, s24, 0
	v_writelane_b32 v56, s25, 1
	s_cbranch_scc0 .LBB21_291
; %bb.2:
	s_ashr_i32 s0, s3, 31
	s_add_u32 s8, s2, s0
	s_mov_b32 s1, s0
	s_addc_u32 s9, s3, s0
	s_xor_b64 s[10:11], s[8:9], s[0:1]
	v_cvt_f32_u32_e32 v1, s10
	v_cvt_f32_u32_e32 v2, s11
	s_sub_u32 s7, 0, s10
	s_subb_u32 s15, 0, s11
	v_madmk_f32 v1, v2, 0x4f800000, v1
	v_rcp_f32_e32 v1, v1
	v_mul_f32_e32 v1, 0x5f7ffffc, v1
	v_mul_f32_e32 v2, 0x2f800000, v1
	v_trunc_f32_e32 v2, v2
	v_madmk_f32 v1, v2, 0xcf800000, v1
	v_cvt_u32_f32_e32 v2, v2
	v_cvt_u32_f32_e32 v1, v1
	v_readfirstlane_b32 s18, v2
	v_readfirstlane_b32 s16, v1
	s_mul_i32 s17, s7, s18
	s_mul_hi_u32 s20, s7, s16
	s_mul_i32 s19, s15, s16
	s_add_i32 s17, s20, s17
	s_add_i32 s17, s17, s19
	s_mul_i32 s21, s7, s16
	s_mul_i32 s20, s16, s17
	s_mul_hi_u32 s22, s16, s21
	s_mul_hi_u32 s19, s16, s17
	s_add_u32 s20, s22, s20
	s_addc_u32 s19, 0, s19
	s_mul_hi_u32 s23, s18, s21
	s_mul_i32 s21, s18, s21
	s_add_u32 s20, s20, s21
	s_mul_hi_u32 s22, s18, s17
	s_addc_u32 s19, s19, s23
	s_addc_u32 s20, s22, 0
	s_mul_i32 s17, s18, s17
	s_add_u32 s17, s19, s17
	s_addc_u32 s19, 0, s20
	s_add_u32 s20, s16, s17
	s_cselect_b64 s[16:17], -1, 0
	s_cmp_lg_u64 s[16:17], 0
	s_addc_u32 s18, s18, s19
	s_mul_i32 s16, s7, s18
	s_mul_hi_u32 s17, s7, s20
	s_add_i32 s16, s17, s16
	s_mul_i32 s15, s15, s20
	s_add_i32 s16, s16, s15
	s_mul_i32 s7, s7, s20
	s_mul_hi_u32 s17, s18, s7
	s_mul_i32 s19, s18, s7
	s_mul_i32 s22, s20, s16
	s_mul_hi_u32 s7, s20, s7
	s_mul_hi_u32 s21, s20, s16
	s_add_u32 s7, s7, s22
	s_addc_u32 s21, 0, s21
	s_add_u32 s7, s7, s19
	s_mul_hi_u32 s15, s18, s16
	s_addc_u32 s7, s21, s17
	s_addc_u32 s15, s15, 0
	s_mul_i32 s16, s18, s16
	s_add_u32 s7, s7, s16
	s_addc_u32 s15, 0, s15
	s_add_u32 s7, s20, s7
	s_cselect_b64 s[16:17], -1, 0
	s_cmp_lg_u64 s[16:17], 0
	s_addc_u32 s15, s18, s15
	s_add_u32 s16, s28, 0
	s_addc_u32 s17, 0, 0
	s_xor_b64 s[16:17], s[16:17], 0
	s_mul_i32 s19, s16, s15
	s_mul_hi_u32 s20, s16, s7
	s_mul_hi_u32 s18, s16, s15
	s_add_u32 s19, s20, s19
	s_addc_u32 s18, 0, s18
	s_mul_hi_u32 s21, s17, s7
	s_mul_i32 s7, s17, s7
	s_add_u32 s7, s19, s7
	s_mul_hi_u32 s20, s17, s15
	s_addc_u32 s7, s18, s21
	s_addc_u32 s18, s20, 0
	s_mul_i32 s15, s17, s15
	s_add_u32 s7, s7, s15
	s_addc_u32 s15, 0, s18
	s_mul_i32 s18, s10, s15
	s_mul_hi_u32 s19, s10, s7
	s_add_i32 s18, s19, s18
	s_mul_i32 s19, s11, s7
	s_add_i32 s22, s18, s19
	s_sub_i32 s20, s17, s22
	s_mul_i32 s18, s10, s7
	s_sub_u32 s16, s16, s18
	s_cselect_b64 s[18:19], -1, 0
	s_cmp_lg_u64 s[18:19], 0
	s_subb_u32 s23, s20, s11
	s_sub_u32 s24, s16, s10
	s_cselect_b64 s[20:21], -1, 0
	s_cmp_lg_u64 s[20:21], 0
	s_subb_u32 s20, s23, 0
	s_cmp_ge_u32 s20, s11
	s_cselect_b32 s21, -1, 0
	s_cmp_ge_u32 s24, s10
	s_cselect_b32 s23, -1, 0
	s_cmp_eq_u32 s20, s11
	s_cselect_b32 s20, s23, s21
	s_add_u32 s21, s7, 1
	s_addc_u32 s23, s15, 0
	s_add_u32 s24, s7, 2
	s_addc_u32 s25, s15, 0
	s_cmp_lg_u32 s20, 0
	s_cselect_b32 s20, s24, s21
	s_cselect_b32 s21, s25, s23
	s_cmp_lg_u64 s[18:19], 0
	s_subb_u32 s17, s17, s22
	s_cmp_ge_u32 s17, s11
	s_cselect_b32 s18, -1, 0
	s_cmp_ge_u32 s16, s10
	s_cselect_b32 s10, -1, 0
	s_cmp_eq_u32 s17, s11
	s_cselect_b32 s10, s10, s18
	s_load_dwordx2 s[24:25], s[4:5], 0x1d0
	s_cmp_lg_u32 s10, 0
	s_cselect_b32 s11, s21, s15
	s_cselect_b32 s10, s20, s7
	s_xor_b64 s[0:1], 0, s[0:1]
	s_xor_b64 s[10:11], s[10:11], s[0:1]
	s_sub_u32 s16, s10, s0
	s_subb_u32 s17, s11, s1
	s_cbranch_execnz .LBB21_4
.LBB21_3:
	v_cvt_f32_u32_e32 v1, s2
	s_sub_i32 s0, 0, s2
	s_mov_b32 s17, 0
	v_rcp_iflag_f32_e32 v1, v1
	v_mul_f32_e32 v1, 0x4f7ffffe, v1
	v_cvt_u32_f32_e32 v1, v1
	v_readfirstlane_b32 s1, v1
	s_mul_i32 s0, s0, s1
	s_mul_hi_u32 s0, s1, s0
	s_add_i32 s1, s1, s0
	s_mul_hi_u32 s0, s28, s1
	s_mul_i32 s7, s0, s2
	s_sub_i32 s7, s28, s7
	s_add_i32 s1, s0, 1
	s_sub_i32 s8, s7, s2
	s_cmp_ge_u32 s7, s2
	s_cselect_b32 s0, s1, s0
	s_cselect_b32 s7, s8, s7
	s_add_i32 s1, s0, 1
	s_cmp_ge_u32 s7, s2
	s_cselect_b32 s16, s1, s0
.LBB21_4:
	s_load_dwordx2 s[0:1], s[4:5], 0x370
	s_waitcnt lgkmcnt(0)
	v_writelane_b32 v56, s0, 2
	v_writelane_b32 v56, s1, 3
	s_mov_b32 s0, 0
	s_mov_b32 s1, s25
	s_cmp_lg_u64 s[0:1], 0
	s_cbranch_scc0 .LBB21_292
; %bb.5:
	s_ashr_i32 s0, s25, 31
	s_add_u32 s8, s24, s0
	s_mov_b32 s1, s0
	s_addc_u32 s9, s25, s0
	s_xor_b64 s[10:11], s[8:9], s[0:1]
	v_cvt_f32_u32_e32 v1, s10
	v_cvt_f32_u32_e32 v2, s11
	s_sub_u32 s7, 0, s10
	s_subb_u32 s15, 0, s11
	v_madmk_f32 v1, v2, 0x4f800000, v1
	v_rcp_f32_e32 v1, v1
	v_mul_f32_e32 v1, 0x5f7ffffc, v1
	v_mul_f32_e32 v2, 0x2f800000, v1
	v_trunc_f32_e32 v2, v2
	v_madmk_f32 v1, v2, 0xcf800000, v1
	v_cvt_u32_f32_e32 v2, v2
	v_cvt_u32_f32_e32 v1, v1
	v_readfirstlane_b32 s20, v2
	v_readfirstlane_b32 s18, v1
	s_mul_i32 s19, s7, s20
	s_mul_hi_u32 s22, s7, s18
	s_mul_i32 s21, s15, s18
	s_add_i32 s19, s22, s19
	s_add_i32 s19, s19, s21
	s_mul_i32 s23, s7, s18
	s_mul_i32 s22, s18, s19
	s_mul_hi_u32 s24, s18, s23
	s_mul_hi_u32 s21, s18, s19
	s_add_u32 s22, s24, s22
	s_addc_u32 s21, 0, s21
	s_mul_hi_u32 s25, s20, s23
	s_mul_i32 s23, s20, s23
	s_add_u32 s22, s22, s23
	s_mul_hi_u32 s24, s20, s19
	s_addc_u32 s21, s21, s25
	s_addc_u32 s22, s24, 0
	s_mul_i32 s19, s20, s19
	s_add_u32 s19, s21, s19
	s_addc_u32 s21, 0, s22
	s_add_u32 s22, s18, s19
	s_cselect_b64 s[18:19], -1, 0
	s_cmp_lg_u64 s[18:19], 0
	s_addc_u32 s20, s20, s21
	s_mul_i32 s18, s7, s20
	s_mul_hi_u32 s19, s7, s22
	s_add_i32 s18, s19, s18
	s_mul_i32 s15, s15, s22
	s_add_i32 s18, s18, s15
	s_mul_i32 s7, s7, s22
	s_mul_hi_u32 s19, s20, s7
	s_mul_i32 s21, s20, s7
	s_mul_i32 s24, s22, s18
	s_mul_hi_u32 s7, s22, s7
	s_mul_hi_u32 s23, s22, s18
	s_add_u32 s7, s7, s24
	s_addc_u32 s23, 0, s23
	s_add_u32 s7, s7, s21
	s_mul_hi_u32 s15, s20, s18
	s_addc_u32 s7, s23, s19
	s_addc_u32 s15, s15, 0
	s_mul_i32 s18, s20, s18
	s_add_u32 s7, s7, s18
	s_addc_u32 s15, 0, s15
	s_add_u32 s7, s22, s7
	s_cselect_b64 s[18:19], -1, 0
	s_cmp_lg_u64 s[18:19], 0
	s_addc_u32 s15, s20, s15
	s_add_u32 s18, s28, 0
	s_addc_u32 s19, 0, 0
	s_xor_b64 s[18:19], s[18:19], 0
	s_mul_i32 s21, s18, s15
	s_mul_hi_u32 s22, s18, s7
	s_mul_hi_u32 s20, s18, s15
	s_add_u32 s21, s22, s21
	s_addc_u32 s20, 0, s20
	s_mul_hi_u32 s23, s19, s7
	s_mul_i32 s7, s19, s7
	s_add_u32 s7, s21, s7
	s_mul_hi_u32 s22, s19, s15
	s_addc_u32 s7, s20, s23
	s_addc_u32 s20, s22, 0
	s_mul_i32 s15, s19, s15
	s_add_u32 s7, s7, s15
	s_addc_u32 s15, 0, s20
	s_mul_i32 s20, s10, s15
	s_mul_hi_u32 s21, s10, s7
	s_add_i32 s20, s21, s20
	s_mul_i32 s21, s11, s7
	s_add_i32 s24, s20, s21
	s_sub_i32 s22, s19, s24
	s_mul_i32 s20, s10, s7
	s_sub_u32 s18, s18, s20
	s_cselect_b64 s[20:21], -1, 0
	s_cmp_lg_u64 s[20:21], 0
	s_subb_u32 s25, s22, s11
	s_sub_u32 s26, s18, s10
	s_cselect_b64 s[22:23], -1, 0
	s_cmp_lg_u64 s[22:23], 0
	s_subb_u32 s22, s25, 0
	s_cmp_ge_u32 s22, s11
	s_cselect_b32 s23, -1, 0
	s_cmp_ge_u32 s26, s10
	s_cselect_b32 s25, -1, 0
	s_cmp_eq_u32 s22, s11
	s_cselect_b32 s22, s25, s23
	s_add_u32 s23, s7, 1
	s_addc_u32 s25, s15, 0
	s_add_u32 s26, s7, 2
	s_addc_u32 s27, s15, 0
	s_cmp_lg_u32 s22, 0
	s_cselect_b32 s22, s26, s23
	s_cselect_b32 s23, s27, s25
	s_cmp_lg_u64 s[20:21], 0
	s_subb_u32 s19, s19, s24
	s_cmp_ge_u32 s19, s11
	s_cselect_b32 s20, -1, 0
	s_cmp_ge_u32 s18, s10
	s_cselect_b32 s10, -1, 0
	s_cmp_eq_u32 s19, s11
	s_cselect_b32 s10, s10, s20
	s_cmp_lg_u32 s10, 0
	s_cselect_b32 s11, s23, s15
	s_cselect_b32 s10, s22, s7
	s_xor_b64 s[0:1], 0, s[0:1]
	s_load_dwordx2 s[24:25], s[4:5], 0x1d0
	s_xor_b64 s[10:11], s[10:11], s[0:1]
	s_sub_u32 s0, s10, s0
	s_subb_u32 s1, s11, s1
	v_writelane_b32 v56, s0, 4
	v_writelane_b32 v56, s1, 5
	s_cbranch_execnz .LBB21_7
.LBB21_6:
	s_waitcnt lgkmcnt(0)
	v_cvt_f32_u32_e32 v1, s24
	s_sub_i32 s0, 0, s24
	s_mov_b32 s9, 0
	v_rcp_iflag_f32_e32 v1, v1
	v_mul_f32_e32 v1, 0x4f7ffffe, v1
	v_cvt_u32_f32_e32 v1, v1
	v_readfirstlane_b32 s1, v1
	s_mul_i32 s0, s0, s1
	s_mul_hi_u32 s0, s1, s0
	s_add_i32 s1, s1, s0
	s_mul_hi_u32 s0, s28, s1
	s_mul_i32 s7, s0, s24
	s_sub_i32 s7, s28, s7
	s_add_i32 s1, s0, 1
	s_sub_i32 s8, s7, s24
	s_cmp_ge_u32 s7, s24
	s_cselect_b32 s0, s1, s0
	s_cselect_b32 s7, s8, s7
	s_add_i32 s1, s0, 1
	s_cmp_ge_u32 s7, s24
	s_cselect_b32 s8, s1, s0
	v_writelane_b32 v56, s8, 4
	v_writelane_b32 v56, s9, 5
.LBB21_7:
	s_load_dwordx2 s[8:9], s[4:5], 0x370
	s_mov_b32 s0, 0
	s_waitcnt lgkmcnt(0)
	s_mov_b32 s1, s9
	s_cmp_lg_u64 s[0:1], 0
	s_cbranch_scc0 .LBB21_293
; %bb.8:
	s_ashr_i32 s0, s9, 31
	s_add_u32 s8, s8, s0
	s_mov_b32 s1, s0
	s_addc_u32 s9, s9, s0
	s_xor_b64 s[10:11], s[8:9], s[0:1]
	v_cvt_f32_u32_e32 v1, s10
	v_cvt_f32_u32_e32 v2, s11
	s_sub_u32 s7, 0, s10
	s_subb_u32 s15, 0, s11
	v_madmk_f32 v1, v2, 0x4f800000, v1
	v_rcp_f32_e32 v1, v1
	v_mul_f32_e32 v1, 0x5f7ffffc, v1
	v_mul_f32_e32 v2, 0x2f800000, v1
	v_trunc_f32_e32 v2, v2
	v_madmk_f32 v1, v2, 0xcf800000, v1
	v_cvt_u32_f32_e32 v2, v2
	v_cvt_u32_f32_e32 v1, v1
	v_readfirstlane_b32 s20, v2
	v_readfirstlane_b32 s18, v1
	s_mul_i32 s19, s7, s20
	s_mul_hi_u32 s22, s7, s18
	s_mul_i32 s21, s15, s18
	s_add_i32 s19, s22, s19
	s_add_i32 s19, s19, s21
	s_mul_i32 s23, s7, s18
	s_mul_i32 s22, s18, s19
	s_mul_hi_u32 s24, s18, s23
	s_mul_hi_u32 s21, s18, s19
	s_add_u32 s22, s24, s22
	s_addc_u32 s21, 0, s21
	s_mul_hi_u32 s25, s20, s23
	s_mul_i32 s23, s20, s23
	s_add_u32 s22, s22, s23
	s_mul_hi_u32 s24, s20, s19
	s_addc_u32 s21, s21, s25
	s_addc_u32 s22, s24, 0
	s_mul_i32 s19, s20, s19
	s_add_u32 s19, s21, s19
	s_addc_u32 s21, 0, s22
	s_add_u32 s22, s18, s19
	s_cselect_b64 s[18:19], -1, 0
	s_cmp_lg_u64 s[18:19], 0
	s_addc_u32 s20, s20, s21
	s_mul_i32 s18, s7, s20
	s_mul_hi_u32 s19, s7, s22
	s_add_i32 s18, s19, s18
	s_mul_i32 s15, s15, s22
	s_add_i32 s18, s18, s15
	s_mul_i32 s7, s7, s22
	s_mul_hi_u32 s19, s20, s7
	s_mul_i32 s21, s20, s7
	s_mul_i32 s24, s22, s18
	s_mul_hi_u32 s7, s22, s7
	s_mul_hi_u32 s23, s22, s18
	s_add_u32 s7, s7, s24
	s_addc_u32 s23, 0, s23
	s_add_u32 s7, s7, s21
	s_mul_hi_u32 s15, s20, s18
	s_addc_u32 s7, s23, s19
	s_addc_u32 s15, s15, 0
	s_mul_i32 s18, s20, s18
	s_add_u32 s7, s7, s18
	s_addc_u32 s15, 0, s15
	s_add_u32 s7, s22, s7
	s_cselect_b64 s[18:19], -1, 0
	s_cmp_lg_u64 s[18:19], 0
	s_addc_u32 s15, s20, s15
	s_add_u32 s18, s28, 0
	s_addc_u32 s19, 0, 0
	s_xor_b64 s[18:19], s[18:19], 0
	s_mul_i32 s21, s18, s15
	s_mul_hi_u32 s22, s18, s7
	s_mul_hi_u32 s20, s18, s15
	s_add_u32 s21, s22, s21
	s_addc_u32 s20, 0, s20
	s_mul_hi_u32 s23, s19, s7
	s_mul_i32 s7, s19, s7
	s_add_u32 s7, s21, s7
	s_mul_hi_u32 s22, s19, s15
	s_addc_u32 s7, s20, s23
	s_addc_u32 s20, s22, 0
	s_mul_i32 s15, s19, s15
	s_add_u32 s7, s7, s15
	s_addc_u32 s15, 0, s20
	s_mul_i32 s20, s10, s15
	s_mul_hi_u32 s21, s10, s7
	s_add_i32 s20, s21, s20
	s_mul_i32 s21, s11, s7
	s_add_i32 s24, s20, s21
	s_sub_i32 s22, s19, s24
	s_mul_i32 s20, s10, s7
	s_sub_u32 s18, s18, s20
	s_cselect_b64 s[20:21], -1, 0
	s_cmp_lg_u64 s[20:21], 0
	s_subb_u32 s25, s22, s11
	s_sub_u32 s26, s18, s10
	s_cselect_b64 s[22:23], -1, 0
	s_cmp_lg_u64 s[22:23], 0
	s_subb_u32 s22, s25, 0
	s_cmp_ge_u32 s22, s11
	s_cselect_b32 s23, -1, 0
	s_cmp_ge_u32 s26, s10
	s_cselect_b32 s25, -1, 0
	s_cmp_eq_u32 s22, s11
	s_cselect_b32 s22, s25, s23
	s_add_u32 s23, s7, 1
	s_addc_u32 s25, s15, 0
	s_add_u32 s26, s7, 2
	s_addc_u32 s27, s15, 0
	s_cmp_lg_u32 s22, 0
	s_cselect_b32 s22, s26, s23
	s_cselect_b32 s23, s27, s25
	s_cmp_lg_u64 s[20:21], 0
	s_subb_u32 s19, s19, s24
	s_cmp_ge_u32 s19, s11
	s_cselect_b32 s20, -1, 0
	s_cmp_ge_u32 s18, s10
	s_cselect_b32 s10, -1, 0
	s_cmp_eq_u32 s19, s11
	s_cselect_b32 s10, s10, s20
	s_cmp_lg_u32 s10, 0
	s_cselect_b32 s11, s23, s15
	s_cselect_b32 s10, s22, s7
	s_xor_b64 s[0:1], 0, s[0:1]
	s_xor_b64 s[10:11], s[10:11], s[0:1]
	s_sub_u32 s0, s10, s0
	s_subb_u32 s1, s11, s1
	v_writelane_b32 v56, s0, 6
	v_writelane_b32 v56, s1, 7
	s_load_dwordx2 s[0:1], s[4:5], 0x0
	s_cbranch_execnz .LBB21_10
.LBB21_9:
	s_load_dwordx2 s[18:19], s[4:5], 0x370
	s_mov_b32 s11, 0
	s_waitcnt lgkmcnt(0)
	v_cvt_f32_u32_e32 v1, s18
	s_sub_i32 s7, 0, s18
	v_rcp_iflag_f32_e32 v1, v1
	v_mul_f32_e32 v1, 0x4f7ffffe, v1
	v_cvt_u32_f32_e32 v1, v1
	v_readfirstlane_b32 s8, v1
	s_mul_i32 s7, s7, s8
	s_mul_hi_u32 s7, s8, s7
	s_add_i32 s8, s8, s7
	s_mul_hi_u32 s7, s28, s8
	s_mul_i32 s9, s7, s18
	s_sub_i32 s9, s28, s9
	s_add_i32 s8, s7, 1
	s_sub_i32 s10, s9, s18
	s_cmp_ge_u32 s9, s18
	s_cselect_b32 s7, s8, s7
	s_cselect_b32 s9, s10, s9
	s_add_i32 s8, s7, 1
	s_cmp_ge_u32 s9, s18
	s_cselect_b32 s10, s8, s7
	v_writelane_b32 v56, s10, 6
	v_writelane_b32 v56, s11, 7
.LBB21_10:
	s_load_dwordx2 s[8:9], s[4:5], 0x360
	s_mov_b32 s83, 0
	v_cmp_eq_u32_e64 s[20:21], 0, v0
	s_waitcnt lgkmcnt(0)
	v_writelane_b32 v56, s8, 8
	v_writelane_b32 v56, s9, 9
	s_load_dwordx2 s[8:9], s[4:5], 0x1c0
	s_waitcnt lgkmcnt(0)
	v_writelane_b32 v56, s8, 10
	v_writelane_b32 v56, s9, 11
	s_load_dwordx4 s[8:11], s[4:5], 0xd0
	s_mov_b64 s[18:19], exec
	v_writelane_b32 v56, s20, 12
	v_writelane_b32 v56, s21, 13
	s_and_b64 s[20:21], s[18:19], s[20:21]
	s_mov_b64 exec, s[20:21]
	s_cbranch_execz .LBB21_12
; %bb.11:
	v_mov_b32_e32 v1, 0
	v_mov_b32_e32 v3, s56
	;; [unrolled: 1-line block ×4, first 2 shown]
	ds_write_b32 v1, v1 offset:5136
	ds_write_b128 v1, v[1:4] offset:5120
.LBB21_12:
	s_or_b64 exec, exec, s[18:19]
	s_load_dwordx4 s[20:23], s[4:5], 0x430
                                        ; kill: killed $sgpr4 killed $sgpr5
	s_mul_i32 s3, s16, s3
	v_mbcnt_lo_u32_b32 v1, -1, 0
	v_mbcnt_hi_u32_b32 v33, -1, v1
	v_cmp_gt_u32_e32 vcc, 64, v0
	s_waitcnt lgkmcnt(0)
	v_writelane_b32 v56, s20, 14
	v_writelane_b32 v56, s21, 15
	;; [unrolled: 1-line block ×4, first 2 shown]
	s_load_dwordx4 s[20:23], s[4:5], 0x290
	s_mul_hi_u32 s4, s16, s2
	s_add_i32 s3, s4, s3
	s_mul_i32 s4, s17, s2
	s_add_i32 s3, s3, s4
	s_waitcnt lgkmcnt(0)
	v_writelane_b32 v56, s20, 18
	v_writelane_b32 v56, s21, 19
	;; [unrolled: 1-line block ×4, first 2 shown]
	s_mul_i32 s2, s16, s2
	s_mov_b32 s4, s28
	v_writelane_b32 v56, s4, 22
	s_sub_u32 s2, s28, s2
	v_writelane_b32 v56, s5, 23
	s_subb_u32 s3, 0, s3
	s_mul_i32 s4, s2, s11
	s_mul_hi_u32 s5, s2, s10
	s_add_i32 s4, s5, s4
	s_mul_i32 s3, s3, s10
	s_add_i32 s3, s4, s3
	s_mul_i32 s4, s16, s9
	s_mul_hi_u32 s5, s16, s8
	s_add_i32 s4, s5, s4
	s_mul_i32 s5, s17, s8
	s_add_i32 s5, s4, s5
	s_mul_i32 s4, s16, s8
	s_lshl_b64 s[8:9], s[4:5], 2
	s_mul_i32 s2, s2, s10
	s_add_u32 s4, s0, s8
	s_addc_u32 s5, s1, s9
	s_lshl_b64 s[10:11], s[2:3], 2
	s_add_u32 s94, s4, s10
	v_cmp_gt_i32_e64 s[2:3], 4, v33
	s_addc_u32 s95, s5, s11
	s_and_b64 s[92:93], vcc, s[2:3]
	v_mad_u64_u32 v[2:3], s[2:3], s62, v0, 0
	v_mov_b32_e32 v4, 0x300
	v_mov_b32_e32 v5, 0
	v_mad_u64_u32 v[6:7], s[2:3], s63, v0, v[3:4]
	v_cmp_gt_i64_e64 s[2:3], s[56:57], v[4:5]
	v_mov_b32_e32 v13, 0
	v_mov_b32_e32 v1, v13
	v_writelane_b32 v56, s2, 24
	v_writelane_b32 v56, s3, 25
	v_cmp_gt_u64_e64 s[2:3], s[56:57], v[0:1]
	v_writelane_b32 v56, s2, 26
	v_writelane_b32 v56, s3, 27
	v_cmp_gt_i64_e64 s[2:3], s[56:57], v[0:1]
	s_barrier
	v_writelane_b32 v56, s2, 28
	v_writelane_b32 v56, s3, 29
	s_load_dword s2, s[12:13], 0xc
	v_mov_b32_e32 v3, v6
	v_lshlrev_b64 v[4:5], 2, v[2:3]
	v_mov_b32_e32 v6, s95
	v_add_co_u32_e32 v16, vcc, s94, v4
	s_waitcnt lgkmcnt(0)
	s_and_b32 s33, s2, 0xffff
	s_bfe_u32 s2, s2, 0xa0006
	s_cmp_gt_u32 s33, 63
	s_cselect_b64 s[16:17], -1, 0
	s_add_u32 s89, s33, -1
	s_addc_u32 s3, 0, -1
	s_add_u32 s51, s89, s56
	v_writelane_b32 v56, s16, 30
	s_addc_u32 s81, s3, s57
	v_writelane_b32 v56, s17, 31
	s_cmp_lt_u32 s6, s14
	v_writelane_b32 v56, s3, 32
	s_cselect_b32 s3, 12, 18
	s_add_u32 s6, s12, s3
	s_addc_u32 s7, s13, 0
	s_add_i32 s3, s2, -1
	s_bfe_u32 s66, s33, 0x30006
	s_and_b32 s3, s3, 0xffff
	v_writelane_b32 v56, s6, 33
	s_cmp_gt_u32 s3, 6
	v_writelane_b32 v56, s7, 34
	s_cselect_b64 s[6:7], -1, 0
	s_and_b32 s86, s2, 0x3f8
	v_writelane_b32 v56, s6, 35
	s_cmp_lg_u32 s66, 0
	v_writelane_b32 v56, s7, 36
	s_cselect_b64 s[2:3], -1, 0
	v_writelane_b32 v56, s2, 37
	v_addc_co_u32_e32 v17, vcc, v6, v5, vcc
	v_lshlrev_b64 v[6:7], v33, -1
	v_writelane_b32 v56, s3, 38
	s_add_u32 s2, s8, s10
	s_addc_u32 s3, s9, s11
	v_lshlrev_b32_e32 v36, 4, v0
	v_not_b32_e32 v34, v7
	s_add_u32 s2, s0, s2
	v_or_b32_e32 v7, 12, v36
	s_addc_u32 s3, s1, s3
	v_mad_u64_u32 v[18:19], s[0:1], s62, v7, 0
	v_or_b32_e32 v8, 8, v36
	v_mad_u64_u32 v[20:21], s[0:1], s62, v8, 0
	v_not_b32_e32 v35, v6
	v_mov_b32_e32 v6, v19
	v_mad_u64_u32 v[6:7], s[0:1], s63, v7, v[6:7]
	v_mov_b32_e32 v7, v21
	v_mad_u64_u32 v[7:8], s[0:1], s63, v8, v[7:8]
	v_mov_b32_e32 v8, s3
	v_writelane_b32 v56, s2, 39
	v_add_co_u32_e32 v10, vcc, s2, v4
	v_addc_co_u32_e32 v11, vcc, v8, v5, vcc
	v_or_b32_e32 v5, 4, v36
	v_mad_u64_u32 v[21:22], s[0:1], s62, v5, 0
	v_writelane_b32 v56, s3, 40
	v_cmp_gt_u32_e64 s[52:53], 2, v0
	v_mov_b32_e32 v4, v22
	v_mad_u64_u32 v[4:5], s[0:1], s63, v5, v[4:5]
	s_lshl_b64 s[0:1], s[62:63], 2
	v_writelane_b32 v56, s0, 41
	v_lshrrev_b32_e32 v5, 1, v0
	v_writelane_b32 v56, s1, 42
	v_lshlrev_b64 v[22:23], 4, v[2:3]
	v_mov_b32_e32 v2, s57
	v_add_co_u32_e32 v41, vcc, s56, v0
	s_mul_i32 s0, s63, s33
	s_mul_hi_u32 s1, s62, s33
	v_lshlrev_b32_e32 v14, 2, v0
	v_lshlrev_b32_e32 v9, 2, v33
	v_and_b32_e32 v5, 0x1e0, v5
	v_addc_co_u32_e32 v42, vcc, 0, v2, vcc
	v_mov_b32_e32 v2, 0xc00
	s_add_i32 s1, s1, s0
	s_mul_i32 s0, s62, s33
	v_mov_b32_e32 v27, s58
	v_writelane_b32 v56, s52, 43
	v_cmp_eq_u32_e64 s[4:5], 0, v33
	v_mov_b32_e32 v15, v13
	v_and_b32_e32 v19, 0x100, v9
	v_mov_b32_e32 v37, v6
	v_mov_b32_e32 v38, v7
	v_or_b32_e32 v39, 0xc00, v5
	s_lshl_b64 s[68:69], s[62:63], 4
	v_mov_b32_e32 v40, v4
	v_lshl_or_b32 v43, v33, 3, v2
	s_lshl_b64 s[84:85], s[0:1], 2
	s_lshl_b32 s87, s33, 2
	s_mov_b32 s88, 30
	s_mov_b64 s[70:71], 0
	v_add_u32_e32 v45, 0xc00, v14
	v_mov_b32_e32 v46, 0
	v_mov_b32_e32 v44, 0
	v_mov_b32_e32 v47, 0
	v_mov_b32_e32 v26, 0
	v_mov_b32_e32 v28, s59
	v_mov_b32_e32 v24, 1
	v_writelane_b32 v56, s53, 44
                                        ; implicit-def: $sgpr74_sgpr75
                                        ; implicit-def: $sgpr10_sgpr11
                                        ; implicit-def: $sgpr76_sgpr77
                                        ; implicit-def: $sgpr72_sgpr73
                                        ; implicit-def: $sgpr78_sgpr79
                                        ; implicit-def: $sgpr60_sgpr61
	v_writelane_b32 v56, s51, 45
	s_branch .LBB21_16
.LBB21_13:                              ;   in Loop: Header=BB21_16 Depth=1
	s_or_b64 exec, exec, s[12:13]
	s_and_b64 s[2:3], s[2:3], exec
	s_andn2_b64 s[22:23], s[22:23], exec
	s_andn2_b64 s[6:7], s[6:7], exec
	s_orn2_b64 s[16:17], s[8:9], exec
.LBB21_14:                              ;   in Loop: Header=BB21_16 Depth=1
	s_or_b64 exec, exec, s[0:1]
	s_andn2_b64 s[0:1], s[60:61], exec
	s_and_b64 s[2:3], s[2:3], exec
	s_or_b64 s[60:61], s[0:1], s[2:3]
	s_andn2_b64 s[0:1], s[78:79], exec
	s_and_b64 s[2:3], s[22:23], exec
	s_or_b64 s[78:79], s[0:1], s[2:3]
	;; [unrolled: 3-line block ×3, first 2 shown]
	s_orn2_b64 s[6:7], s[16:17], exec
.LBB21_15:                              ;   in Loop: Header=BB21_16 Depth=1
	s_or_b64 exec, exec, s[14:15]
	s_and_b64 s[0:1], exec, s[6:7]
	s_or_b64 s[70:71], s[0:1], s[70:71]
	s_andn2_b64 s[0:1], s[76:77], exec
	s_and_b64 s[2:3], s[60:61], exec
	s_or_b64 s[76:77], s[0:1], s[2:3]
	s_andn2_b64 s[0:1], s[10:11], exec
	s_and_b64 s[2:3], s[78:79], exec
	;; [unrolled: 3-line block ×3, first 2 shown]
	v_mov_b32_e32 v28, v7
	s_or_b64 s[74:75], s[0:1], s[2:3]
	v_mov_b32_e32 v27, v6
	s_andn2_b64 exec, exec, s[70:71]
	s_cbranch_execz .LBB21_274
.LBB21_16:                              ; =>This Loop Header: Depth=1
                                        ;     Child Loop BB21_22 Depth 2
                                        ;     Child Loop BB21_35 Depth 2
	;; [unrolled: 1-line block ×16, first 2 shown]
	ds_read_b128 v[2:5], v13 offset:5120
	s_waitcnt lgkmcnt(0)
	v_readfirstlane_b32 s59, v3
	v_readfirstlane_b32 s58, v2
	v_cmp_gt_i64_e64 s[0:1], s[58:59], 0
	s_and_b64 vcc, exec, s[0:1]
	s_cbranch_vccnz .LBB21_43
; %bb.17:                               ;   in Loop: Header=BB21_16 Depth=1
	v_readlane_b32 s0, v56, 24
	v_readlane_b32 s1, v56, 25
	s_and_b64 vcc, exec, s[0:1]
	s_cbranch_vccz .LBB21_30
; %bb.18:                               ;   in Loop: Header=BB21_16 Depth=1
	s_mov_b64 s[0:1], 0x301
	v_cmp_gt_i64_e32 vcc, s[0:1], v[4:5]
	s_mov_b64 s[0:1], 0
	s_mov_b64 s[2:3], 0
	s_cbranch_vccz .LBB21_31
; %bb.19:                               ;   in Loop: Header=BB21_16 Depth=1
	s_mov_b64 s[2:3], exec
	v_readlane_b32 s6, v56, 26
	v_readlane_b32 s7, v56, 27
	s_and_b64 s[6:7], s[2:3], s[6:7]
	s_mov_b64 exec, s[6:7]
	s_cbranch_execz .LBB21_77
; %bb.20:                               ;   in Loop: Header=BB21_16 Depth=1
	v_readlane_b32 s6, v56, 33
	v_readlane_b32 s7, v56, 34
	s_nop 4
	global_load_ushort v6, v13, s[6:7]
	global_load_dword v7, v[16:17], off
	v_readlane_b32 s6, v56, 39
	v_readlane_b32 s7, v56, 40
	v_mov_b32_e32 v2, s6
	v_mov_b32_e32 v3, s7
	v_readlane_b32 s14, v56, 41
	v_readlane_b32 s15, v56, 42
	s_mov_b64 s[8:9], 0
	s_waitcnt vmcnt(1)
	v_readfirstlane_b32 s6, v6
	s_and_b32 s12, 0xffff, s6
	v_add_u32_e32 v4, s12, v0
	v_mad_u64_u32 v[2:3], s[6:7], s14, v4, v[2:3]
	s_mul_i32 s13, s15, s12
	s_mul_i32 s20, s14, s12
	v_mad_u64_u32 v[3:4], s[6:7], s15, v4, v[3:4]
	s_mul_hi_u32 s6, s14, s12
	v_mov_b32_e32 v5, v1
	s_add_i32 s21, s6, s13
	v_mov_b32_e32 v4, v0
	s_branch .LBB21_22
.LBB21_21:                              ;   in Loop: Header=BB21_22 Depth=2
	s_or_b64 exec, exec, s[6:7]
	v_mov_b32_e32 v7, s21
	v_add_co_u32_e32 v2, vcc, s20, v2
	v_addc_co_u32_e32 v3, vcc, v3, v7, vcc
	v_mov_b32_e32 v7, v8
	s_andn2_b64 exec, exec, s[8:9]
	s_cbranch_execz .LBB21_77
.LBB21_22:                              ;   Parent Loop BB21_16 Depth=1
                                        ; =>  This Inner Loop Header: Depth=2
	v_add_co_u32_sdwa v4, vcc, v4, v6 dst_sel:DWORD dst_unused:UNUSED_PAD src0_sel:DWORD src1_sel:WORD_0
	v_addc_co_u32_e32 v5, vcc, 0, v5, vcc
	v_cmp_gt_i64_e64 s[6:7], s[56:57], v[4:5]
	v_cmp_le_i64_e32 vcc, s[56:57], v[4:5]
	s_waitcnt lgkmcnt(0)
	v_mov_b32_e32 v9, 0
	v_mov_b32_e32 v8, 0
	s_and_saveexec_b64 s[12:13], s[6:7]
	s_cbranch_execz .LBB21_24
; %bb.23:                               ;   in Loop: Header=BB21_22 Depth=2
	global_load_dword v8, v[2:3], off
.LBB21_24:                              ;   in Loop: Header=BB21_22 Depth=2
	s_or_b64 exec, exec, s[12:13]
	s_waitcnt vmcnt(0)
	v_xor_b32_e32 v12, 0x80000000, v7
	v_and_b32_e32 v12, v12, v47
	v_cmp_eq_u32_e64 s[12:13], v12, v44
	s_cmp_lg_u64 s[12:13], 0
	s_cselect_b64 s[6:7], -1, 0
	s_and_b64 s[6:7], s[4:5], s[6:7]
	s_and_saveexec_b64 s[14:15], s[6:7]
	s_cbranch_execz .LBB21_28
; %bb.25:                               ;   in Loop: Header=BB21_22 Depth=2
	s_mov_b64 s[18:19], exec
	v_mbcnt_lo_u32_b32 v9, s18, 0
	v_mbcnt_hi_u32_b32 v9, s19, v9
	s_bcnt1_i32_b64 s22, s[12:13]
	v_cmp_eq_u32_e64 s[6:7], 0, v9
                                        ; implicit-def: $vgpr12
	s_and_saveexec_b64 s[16:17], s[6:7]
; %bb.26:                               ;   in Loop: Header=BB21_22 Depth=2
	s_bcnt1_i32_b64 s6, s[18:19]
	s_mul_i32 s6, s22, s6
	v_mov_b32_e32 v12, s6
	ds_add_rtn_u32 v12, v13, v12 offset:5136
; %bb.27:                               ;   in Loop: Header=BB21_22 Depth=2
	s_or_b64 exec, exec, s[16:17]
	s_waitcnt lgkmcnt(0)
	v_readfirstlane_b32 s6, v12
	v_mov_b32_e32 v12, s6
	v_mad_u32_u24 v9, s22, v9, v12
.LBB21_28:                              ;   in Loop: Header=BB21_22 Depth=2
	s_or_b64 exec, exec, s[14:15]
	ds_bpermute_b32 v9, v19, v9
	s_and_b64 s[6:7], exec, vcc
	s_or_b64 s[8:9], s[6:7], s[8:9]
	s_and_saveexec_b64 s[6:7], s[12:13]
	s_cbranch_execz .LBB21_21
; %bb.29:                               ;   in Loop: Header=BB21_22 Depth=2
	v_and_b32_e32 v25, s12, v35
	v_and_b32_e32 v12, s13, v34
	v_bcnt_u32_b32 v25, v25, 0
	v_bcnt_u32_b32 v12, v12, v25
	v_lshlrev_b32_e32 v12, 2, v12
	s_waitcnt lgkmcnt(0)
	v_lshl_add_u32 v9, v9, 2, v12
	ds_write_b32 v9, v7
	s_branch .LBB21_21
.LBB21_30:                              ;   in Loop: Header=BB21_16 Depth=1
	s_mov_b64 s[0:1], -1
	s_mov_b64 s[2:3], 0
.LBB21_31:                              ;   in Loop: Header=BB21_16 Depth=1
	s_and_b64 vcc, exec, s[0:1]
	s_cbranch_vccz .LBB21_41
.LBB21_32:                              ;   in Loop: Header=BB21_16 Depth=1
	s_mov_b64 s[0:1], exec
	v_readlane_b32 s2, v56, 28
	v_readlane_b32 s3, v56, 29
	s_and_b64 s[2:3], s[0:1], s[2:3]
	s_mov_b64 exec, s[2:3]
	s_cbranch_execz .LBB21_38
; %bb.33:                               ;   in Loop: Header=BB21_16 Depth=1
	v_readlane_b32 s2, v56, 33
	v_readlane_b32 s3, v56, 34
	s_nop 4
	global_load_ushort v2, v13, s[2:3]
	global_load_dword v8, v[16:17], off
	s_waitcnt vmcnt(1)
	v_add_u32_sdwa v12, v2, v0 dst_sel:DWORD dst_unused:UNUSED_PAD src0_sel:WORD_0 src1_sel:DWORD
	v_cmp_gt_i64_e32 vcc, s[56:57], v[12:13]
	v_readfirstlane_b32 s6, v2
	v_mov_b32_e32 v2, v0
	s_and_saveexec_b64 s[2:3], vcc
	s_cbranch_execz .LBB21_37
; %bb.34:                               ;   in Loop: Header=BB21_16 Depth=1
	v_readlane_b32 s8, v56, 39
	v_readlane_b32 s9, v56, 40
	v_mov_b32_e32 v2, s8
	v_mov_b32_e32 v3, s9
	v_readlane_b32 s14, v56, 41
	v_mad_u64_u32 v[2:3], s[8:9], s14, v12, v[2:3]
	v_readlane_b32 s15, v56, 42
	s_and_b32 s12, s6, 0xffff
	v_mad_u64_u32 v[3:4], s[6:7], s15, v12, v[3:4]
	s_mul_i32 s6, s15, s12
	s_mul_hi_u32 s7, s14, s12
	v_mov_b32_e32 v4, v12
	v_mov_b32_e32 v7, v1
	s_add_i32 s13, s7, s6
	s_mul_i32 s14, s14, s12
	s_mov_b64 s[8:9], 0
	v_mov_b32_e32 v5, v13
	v_mov_b32_e32 v6, v0
.LBB21_35:                              ;   Parent Loop BB21_16 Depth=1
                                        ; =>  This Inner Loop Header: Depth=2
	global_load_dword v9, v[2:3], off
	v_mov_b32_e32 v30, v5
	v_mov_b32_e32 v29, v4
	v_lshlrev_b32_e32 v4, 2, v6
	v_mov_b32_e32 v6, s13
	v_add_co_u32_e32 v2, vcc, s14, v2
	s_waitcnt vmcnt(1)
	ds_write_b32 v4, v8
	v_add_co_u32_e64 v4, s[6:7], s12, v29
	v_addc_co_u32_e64 v5, s[6:7], 0, v30, s[6:7]
	v_addc_co_u32_e32 v3, vcc, v3, v6, vcc
	v_cmp_le_i64_e32 vcc, s[56:57], v[4:5]
	v_mov_b32_e32 v6, v29
	s_or_b64 s[8:9], vcc, s[8:9]
	v_mov_b32_e32 v7, v30
	s_waitcnt vmcnt(0)
	v_mov_b32_e32 v8, v9
	s_andn2_b64 exec, exec, s[8:9]
	s_cbranch_execnz .LBB21_35
; %bb.36:                               ;   in Loop: Header=BB21_16 Depth=1
	s_or_b64 exec, exec, s[8:9]
	v_subrev_u32_e32 v2, s12, v4
	v_mov_b32_e32 v8, v9
.LBB21_37:                              ;   in Loop: Header=BB21_16 Depth=1
	s_or_b64 exec, exec, s[2:3]
	v_lshlrev_b32_e32 v2, 2, v2
	s_waitcnt vmcnt(0)
	ds_write_b32 v2, v8
.LBB21_38:                              ;   in Loop: Header=BB21_16 Depth=1
	s_or_b64 exec, exec, s[0:1]
	s_waitcnt lgkmcnt(0)
	s_barrier
	s_mov_b64 s[0:1], exec
	v_readlane_b32 s2, v56, 12
	v_readlane_b32 s3, v56, 13
	s_and_b64 s[2:3], s[0:1], s[2:3]
	s_mov_b64 exec, s[2:3]
; %bb.39:                               ;   in Loop: Header=BB21_16 Depth=1
	v_mov_b32_e32 v2, s56
	v_mov_b32_e32 v3, s57
	ds_write_b64 v13, v[2:3] offset:5120
; %bb.40:                               ;   in Loop: Header=BB21_16 Depth=1
	s_or_b64 exec, exec, s[0:1]
	s_mov_b64 s[2:3], -1
	s_waitcnt lgkmcnt(0)
	s_barrier
.LBB21_41:                              ;   in Loop: Header=BB21_16 Depth=1
	s_and_b64 vcc, exec, s[2:3]
	s_cbranch_vccz .LBB21_43
; %bb.42:                               ;   in Loop: Header=BB21_16 Depth=1
	ds_read_b64 v[2:3], v13 offset:5120
	s_waitcnt lgkmcnt(0)
	v_readfirstlane_b32 s58, v2
.LBB21_43:                              ;   in Loop: Header=BB21_16 Depth=1
	s_cmp_lt_i32 s58, 1
	s_mov_b64 s[0:1], -1
                                        ; implicit-def: $vgpr2_vgpr3
                                        ; implicit-def: $vgpr6_vgpr7
	s_cbranch_scc1 .LBB21_53
; %bb.44:                               ;   in Loop: Header=BB21_16 Depth=1
	s_and_b64 vcc, exec, s[0:1]
	s_cbranch_vccnz .LBB21_67
.LBB21_45:                              ;   in Loop: Header=BB21_16 Depth=1
	v_lshlrev_b32_e32 v12, 6, v46
	s_and_saveexec_b64 s[0:1], s[4:5]
	s_cbranch_execz .LBB21_47
.LBB21_46:                              ;   in Loop: Header=BB21_16 Depth=1
	v_lshl_add_u32 v25, v12, 3, v39
	ds_write_b128 v25, v[2:5]
	ds_write_b128 v25, v[6:9] offset:16
.LBB21_47:                              ;   in Loop: Header=BB21_16 Depth=1
	s_or_b64 exec, exec, s[0:1]
	s_waitcnt lgkmcnt(0)
	s_barrier
	s_and_saveexec_b64 s[0:1], s[92:93]
	s_cbranch_execz .LBB21_85
; %bb.48:                               ;   in Loop: Header=BB21_16 Depth=1
	v_readlane_b32 s2, v56, 30
	v_mov_b32_e32 v2, 0
	v_readlane_b32 s3, v56, 31
	v_mov_b32_e32 v3, 0
	s_andn2_b64 vcc, exec, s[2:3]
	s_cbranch_vccnz .LBB21_84
; %bb.49:                               ;   in Loop: Header=BB21_16 Depth=1
	v_readlane_b32 s2, v56, 35
	v_readlane_b32 s3, v56, 36
	s_andn2_b64 vcc, exec, s[2:3]
	s_cbranch_vccnz .LBB21_80
; %bb.50:                               ;   in Loop: Header=BB21_16 Depth=1
	v_mov_b32_e32 v2, 0
	v_lshl_add_u32 v4, v46, 9, v43
	v_mov_b32_e32 v3, 0
	s_mov_b32 s2, 0
.LBB21_51:                              ;   Parent Loop BB21_16 Depth=1
                                        ; =>  This Inner Loop Header: Depth=2
	ds_read2_b64 v[5:8], v4 offset1:4
	ds_read2_b64 v[29:32], v4 offset0:8 offset1:12
	ds_read2_b64 v[48:51], v4 offset0:16 offset1:20
	;; [unrolled: 1-line block ×3, first 2 shown]
	s_add_i32 s2, s2, 8
	s_waitcnt lgkmcnt(3)
	v_add_co_u32_e32 v2, vcc, v5, v2
	v_addc_co_u32_e32 v3, vcc, v6, v3, vcc
	v_add_co_u32_e32 v2, vcc, v7, v2
	v_addc_co_u32_e32 v3, vcc, v8, v3, vcc
	s_waitcnt lgkmcnt(2)
	v_add_co_u32_e32 v2, vcc, v29, v2
	v_addc_co_u32_e32 v3, vcc, v30, v3, vcc
	v_add_co_u32_e32 v2, vcc, v31, v2
	v_addc_co_u32_e32 v3, vcc, v32, v3, vcc
	;; [unrolled: 5-line block ×3, first 2 shown]
	s_waitcnt lgkmcnt(0)
	v_add_co_u32_e32 v2, vcc, v52, v2
	v_addc_co_u32_e32 v3, vcc, v53, v3, vcc
	v_add_co_u32_e32 v2, vcc, v54, v2
	v_add_u32_e32 v4, 0x100, v4
	s_cmp_eq_u32 s86, s2
	v_addc_co_u32_e32 v3, vcc, v55, v3, vcc
	s_cbranch_scc0 .LBB21_51
; %bb.52:                               ;   in Loop: Header=BB21_16 Depth=1
	s_mov_b32 s2, s86
	s_branch .LBB21_81
.LBB21_53:                              ;   in Loop: Header=BB21_16 Depth=1
	v_readlane_b32 s0, v56, 33
	v_readlane_b32 s1, v56, 34
	s_nop 4
	global_load_ushort v2, v13, s[0:1]
	s_mov_b32 s0, s83
	s_waitcnt vmcnt(0)
	v_readfirstlane_b32 s1, v2
	s_and_b32 s28, s1, 0xffff
	s_lshl_b32 s2, s28, 2
	s_mov_b32 s1, s57
	s_cmp_lg_u64 s[0:1], 0
	s_cbranch_scc0 .LBB21_76
; %bb.54:                               ;   in Loop: Header=BB21_16 Depth=1
	s_add_u32 s0, s2, 0
	s_addc_u32 s1, 0, 0
	s_xor_b64 s[0:1], s[0:1], 0
	v_cvt_f32_u32_e32 v2, s0
	v_cvt_f32_u32_e32 v3, s1
	s_sub_u32 s3, 0, s0
	s_subb_u32 s8, 0, s1
	v_mac_f32_e32 v2, 0x4f800000, v3
	v_rcp_f32_e32 v2, v2
	v_mul_f32_e32 v2, 0x5f7ffffc, v2
	v_mul_f32_e32 v3, 0x2f800000, v2
	v_trunc_f32_e32 v3, v3
	v_mac_f32_e32 v2, 0xcf800000, v3
	v_cvt_u32_f32_e32 v3, v3
	v_cvt_u32_f32_e32 v2, v2
	v_readfirstlane_b32 s9, v3
	v_readfirstlane_b32 s6, v2
	s_mul_i32 s7, s3, s9
	s_mul_hi_u32 s13, s3, s6
	s_mul_i32 s12, s8, s6
	s_add_i32 s7, s13, s7
	s_mul_i32 s14, s3, s6
	s_add_i32 s7, s7, s12
	s_mul_i32 s13, s6, s7
	s_mul_hi_u32 s15, s6, s14
	s_mul_hi_u32 s12, s6, s7
	s_add_u32 s13, s15, s13
	s_addc_u32 s12, 0, s12
	s_mul_hi_u32 s16, s9, s14
	s_mul_i32 s14, s9, s14
	s_add_u32 s13, s13, s14
	s_mul_hi_u32 s15, s9, s7
	s_addc_u32 s12, s12, s16
	s_addc_u32 s13, s15, 0
	s_mul_i32 s7, s9, s7
	s_add_u32 s7, s12, s7
	s_addc_u32 s12, 0, s13
	s_add_u32 s13, s6, s7
	s_cselect_b64 s[6:7], -1, 0
	s_cmp_lg_u64 s[6:7], 0
	s_addc_u32 s9, s9, s12
	s_mul_i32 s6, s3, s9
	s_mul_hi_u32 s7, s3, s13
	s_add_i32 s6, s7, s6
	s_mul_i32 s8, s8, s13
	s_add_i32 s6, s6, s8
	s_mul_i32 s3, s3, s13
	s_mul_hi_u32 s8, s9, s3
	s_mul_i32 s12, s9, s3
	s_mul_i32 s15, s13, s6
	s_mul_hi_u32 s3, s13, s3
	s_mul_hi_u32 s14, s13, s6
	s_add_u32 s3, s3, s15
	s_addc_u32 s14, 0, s14
	s_add_u32 s3, s3, s12
	s_mul_hi_u32 s7, s9, s6
	s_addc_u32 s3, s14, s8
	s_addc_u32 s7, s7, 0
	s_mul_i32 s6, s9, s6
	s_add_u32 s3, s3, s6
	s_addc_u32 s8, 0, s7
	s_add_u32 s3, s13, s3
	s_cselect_b64 s[6:7], -1, 0
	s_cmp_lg_u64 s[6:7], 0
	s_addc_u32 s12, s9, s8
	s_ashr_i32 s6, s57, 31
	s_add_u32 s8, s56, s6
	s_mov_b32 s7, s6
	s_addc_u32 s9, s57, s6
	s_xor_b64 s[8:9], s[8:9], s[6:7]
	s_mul_i32 s14, s8, s12
	s_mul_hi_u32 s15, s8, s3
	s_mul_hi_u32 s13, s8, s12
	s_add_u32 s14, s15, s14
	s_addc_u32 s13, 0, s13
	s_mul_hi_u32 s16, s9, s3
	s_mul_i32 s3, s9, s3
	s_add_u32 s3, s14, s3
	s_mul_hi_u32 s15, s9, s12
	s_addc_u32 s3, s13, s16
	s_addc_u32 s13, s15, 0
	s_mul_i32 s12, s9, s12
	s_add_u32 s3, s3, s12
	s_addc_u32 s12, 0, s13
	s_mul_i32 s12, s0, s12
	s_mul_hi_u32 s13, s0, s3
	s_add_i32 s12, s13, s12
	s_mul_i32 s13, s1, s3
	s_add_i32 s16, s12, s13
	s_sub_i32 s14, s9, s16
	s_mul_i32 s3, s0, s3
	s_sub_u32 s3, s8, s3
	s_cselect_b64 s[12:13], -1, 0
	s_cmp_lg_u64 s[12:13], 0
	s_subb_u32 s8, s14, s1
	s_sub_u32 s17, s3, s0
	s_cselect_b64 s[14:15], -1, 0
	s_cmp_lg_u64 s[14:15], 0
	s_subb_u32 s18, s8, 0
	s_cmp_ge_u32 s18, s1
	s_cselect_b32 s19, -1, 0
	s_cmp_ge_u32 s17, s0
	s_cselect_b32 s20, -1, 0
	s_cmp_eq_u32 s18, s1
	s_cselect_b32 s19, s20, s19
	s_cmp_lg_u64 s[14:15], 0
	s_subb_u32 s8, s8, s1
	s_sub_u32 s20, s17, s0
	s_cselect_b64 s[14:15], -1, 0
	s_cmp_lg_u64 s[14:15], 0
	s_subb_u32 s8, s8, 0
	s_cmp_lg_u32 s19, 0
	s_cselect_b32 s14, s20, s17
	s_cselect_b32 s8, s8, s18
	s_cmp_lg_u64 s[12:13], 0
	s_subb_u32 s9, s9, s16
	s_cmp_ge_u32 s9, s1
	s_cselect_b32 s12, -1, 0
	s_cmp_ge_u32 s3, s0
	s_cselect_b32 s0, -1, 0
	s_cmp_eq_u32 s9, s1
	s_cselect_b32 s0, s0, s12
	s_cmp_lg_u32 s0, 0
	s_cselect_b32 s1, s8, s9
	s_cselect_b32 s0, s14, s3
	s_xor_b64 s[0:1], s[0:1], s[6:7]
	s_sub_u32 s18, s0, s6
	s_subb_u32 s19, s1, s6
	s_cbranch_execnz .LBB21_56
.LBB21_55:                              ;   in Loop: Header=BB21_16 Depth=1
	v_cvt_f32_u32_e32 v2, s2
	s_sub_i32 s0, 0, s2
	v_rcp_iflag_f32_e32 v2, v2
	v_mul_f32_e32 v2, 0x4f7ffffe, v2
	v_cvt_u32_f32_e32 v2, v2
	v_readfirstlane_b32 s1, v2
	s_mul_i32 s0, s0, s1
	s_mul_hi_u32 s0, s1, s0
	s_add_i32 s1, s1, s0
	s_mul_hi_u32 s0, s56, s1
	s_mul_i32 s0, s0, s2
	s_sub_i32 s0, s56, s0
	s_sub_i32 s1, s0, s2
	s_cmp_ge_u32 s0, s2
	s_cselect_b32 s0, s1, s0
	s_sub_i32 s1, s0, s2
	s_cmp_ge_u32 s0, s2
	s_cselect_b32 s82, s1, s0
	s_mov_b64 s[18:19], s[82:83]
.LBB21_56:                              ;   in Loop: Header=BB21_16 Depth=1
	s_sub_u32 s20, s56, s18
	s_subb_u32 s21, s57, s19
	v_cmp_gt_i64_e32 vcc, s[20:21], v[14:15]
	v_mov_b32_e32 v2, 0
	v_mov_b32_e32 v4, 0
	;; [unrolled: 1-line block ×8, first 2 shown]
	s_and_saveexec_b64 s[22:23], vcc
	s_cbranch_execz .LBB21_60
; %bb.57:                               ;   in Loop: Header=BB21_16 Depth=1
	s_mul_i32 s0, s69, s28
	s_mul_hi_u32 s1, s68, s28
	v_mov_b32_e32 v30, v15
	s_add_i32 s0, s1, s0
	s_mov_b64 s[24:25], 0
	s_mov_b64 s[26:27], s[94:95]
	;; [unrolled: 1-line block ×6, first 2 shown]
	v_mov_b32_e32 v29, v14
.LBB21_58:                              ;   Parent Loop BB21_16 Depth=1
                                        ; =>  This Inner Loop Header: Depth=2
	v_add_co_u32_e32 v2, vcc, s26, v22
	v_mov_b32_e32 v4, s27
	v_addc_co_u32_e32 v3, vcc, v4, v23, vcc
	global_load_dword v5, v[2:3], off
	v_add_co_u32_e32 v2, vcc, s26, v21
	v_addc_co_u32_e32 v3, vcc, v4, v40, vcc
	global_load_dword v6, v[2:3], off
	v_add_co_u32_e32 v2, vcc, s26, v20
	;; [unrolled: 3-line block ×3, first 2 shown]
	v_addc_co_u32_e32 v3, vcc, v4, v37, vcc
	global_load_dword v2, v[2:3], off
	s_waitcnt vmcnt(3)
	v_xor_b32_e32 v3, 0x80000000, v5
	s_waitcnt vmcnt(2)
	v_xor_b32_e32 v4, 0x80000000, v6
	v_and_b32_e32 v6, v3, v47
	v_bfe_u32 v3, v3, s88, 2
	v_cmp_eq_u32_e32 vcc, v6, v44
	v_and_b32_e32 v6, v4, v47
	s_waitcnt vmcnt(1)
	v_xor_b32_e32 v5, 0x80000000, v7
	v_bfe_u32 v4, v4, s88, 2
	v_cmp_eq_u32_e64 s[16:17], 0, v3
	v_cmp_eq_u32_e64 s[6:7], v6, v44
	v_and_b32_e32 v6, v5, v47
	s_waitcnt vmcnt(0)
	v_xor_b32_e32 v2, 0x80000000, v2
	v_bfe_u32 v5, v5, s88, 2
	s_and_b64 s[8:9], vcc, s[16:17]
	v_cmp_eq_u32_e64 s[16:17], 0, v4
	v_cmp_eq_u32_e64 s[12:13], v6, v44
	v_and_b32_e32 v6, v2, v47
	v_bfe_u32 v2, v2, s88, 2
	s_and_b64 s[40:41], s[6:7], s[16:17]
	v_cmp_eq_u32_e64 s[16:17], 0, v5
	v_cmp_eq_u32_e64 s[14:15], v6, v44
	s_and_b64 s[42:43], s[12:13], s[16:17]
	v_cmp_eq_u32_e64 s[16:17], 0, v2
	v_cndmask_b32_e64 v6, 0, 1, s[8:9]
	s_and_b64 s[44:45], s[14:15], s[16:17]
	v_cmp_ne_u32_e64 s[16:17], 0, v6
	v_cndmask_b32_e64 v6, 0, 1, s[40:41]
	s_bcnt1_i32_b64 s1, s[16:17]
	v_cmp_ne_u32_e64 s[16:17], 0, v6
	v_cndmask_b32_e64 v6, 0, 1, s[42:43]
	s_bcnt1_i32_b64 s3, s[16:17]
	;; [unrolled: 3-line block ×3, first 2 shown]
	v_cmp_ne_u32_e64 s[16:17], 0, v6
	s_bcnt1_i32_b64 s9, s[16:17]
	s_add_u32 s1, s1, s38
	s_addc_u32 s16, 0, s39
	s_add_u32 s1, s1, s3
	s_addc_u32 s3, s16, 0
	;; [unrolled: 2-line block ×3, first 2 shown]
	s_add_u32 s38, s1, s9
	v_cmp_eq_u32_e64 s[16:17], 1, v3
	s_addc_u32 s39, s3, 0
	s_and_b64 s[8:9], vcc, s[16:17]
	v_cmp_eq_u32_e64 s[16:17], 1, v4
	s_and_b64 s[40:41], s[6:7], s[16:17]
	v_cmp_eq_u32_e64 s[16:17], 1, v5
	s_and_b64 s[42:43], s[12:13], s[16:17]
	v_cmp_eq_u32_e64 s[16:17], 1, v2
	v_cndmask_b32_e64 v6, 0, 1, s[8:9]
	s_and_b64 s[44:45], s[14:15], s[16:17]
	v_cmp_ne_u32_e64 s[16:17], 0, v6
	v_cndmask_b32_e64 v6, 0, 1, s[40:41]
	s_bcnt1_i32_b64 s1, s[16:17]
	v_cmp_ne_u32_e64 s[16:17], 0, v6
	v_cndmask_b32_e64 v6, 0, 1, s[42:43]
	s_bcnt1_i32_b64 s3, s[16:17]
	;; [unrolled: 3-line block ×3, first 2 shown]
	v_cmp_ne_u32_e64 s[16:17], 0, v6
	s_bcnt1_i32_b64 s9, s[16:17]
	s_add_u32 s1, s1, s36
	s_addc_u32 s16, 0, s37
	s_add_u32 s1, s1, s3
	s_addc_u32 s3, s16, 0
	;; [unrolled: 2-line block ×3, first 2 shown]
	s_add_u32 s36, s1, s9
	v_cmp_eq_u32_e64 s[16:17], 2, v3
	s_addc_u32 s37, s3, 0
	s_and_b64 s[8:9], vcc, s[16:17]
	v_cmp_eq_u32_e64 s[16:17], 2, v4
	s_and_b64 s[40:41], s[6:7], s[16:17]
	v_cmp_eq_u32_e64 s[16:17], 2, v5
	s_and_b64 s[42:43], s[12:13], s[16:17]
	v_cmp_eq_u32_e64 s[16:17], 2, v2
	v_cndmask_b32_e64 v6, 0, 1, s[8:9]
	s_and_b64 s[44:45], s[14:15], s[16:17]
	v_cmp_ne_u32_e64 s[16:17], 0, v6
	v_cndmask_b32_e64 v6, 0, 1, s[40:41]
	s_bcnt1_i32_b64 s1, s[16:17]
	v_cmp_ne_u32_e64 s[16:17], 0, v6
	v_cndmask_b32_e64 v6, 0, 1, s[42:43]
	s_bcnt1_i32_b64 s3, s[16:17]
	;; [unrolled: 3-line block ×3, first 2 shown]
	v_cmp_ne_u32_e64 s[16:17], 0, v6
	s_bcnt1_i32_b64 s9, s[16:17]
	s_add_u32 s1, s1, s34
	s_addc_u32 s16, 0, s35
	s_add_u32 s1, s1, s3
	s_addc_u32 s3, s16, 0
	;; [unrolled: 2-line block ×3, first 2 shown]
	s_add_u32 s34, s1, s9
	v_cmp_eq_u32_e64 s[16:17], 3, v3
	s_addc_u32 s35, s3, 0
	s_and_b64 s[8:9], vcc, s[16:17]
	v_cmp_eq_u32_e32 vcc, 3, v4
	s_and_b64 s[6:7], s[6:7], vcc
	v_cmp_eq_u32_e32 vcc, 3, v5
	s_and_b64 s[12:13], s[12:13], vcc
	v_cmp_eq_u32_e32 vcc, 3, v2
	v_cndmask_b32_e64 v2, 0, 1, s[8:9]
	s_and_b64 s[14:15], s[14:15], vcc
	v_cmp_ne_u32_e32 vcc, 0, v2
	v_cndmask_b32_e64 v2, 0, 1, s[6:7]
	s_bcnt1_i32_b64 s1, vcc
	v_cmp_ne_u32_e32 vcc, 0, v2
	v_cndmask_b32_e64 v2, 0, 1, s[12:13]
	s_bcnt1_i32_b64 s3, vcc
	;; [unrolled: 3-line block ×3, first 2 shown]
	v_cmp_ne_u32_e32 vcc, 0, v2
	s_bcnt1_i32_b64 s7, vcc
	s_add_u32 s1, s1, s30
	s_addc_u32 s8, 0, s31
	s_add_u32 s1, s1, s3
	s_addc_u32 s3, s8, 0
	;; [unrolled: 2-line block ×3, first 2 shown]
	s_add_u32 s30, s1, s7
	v_add_co_u32_e32 v29, vcc, s2, v29
	s_addc_u32 s31, s3, 0
	v_addc_co_u32_e32 v30, vcc, 0, v30, vcc
	s_mul_i32 s1, s68, s28
	s_add_u32 s26, s26, s1
	v_cmp_le_i64_e32 vcc, s[20:21], v[29:30]
	s_addc_u32 s27, s27, s0
	v_mov_b32_e32 v2, s38
	v_mov_b32_e32 v4, s36
	;; [unrolled: 1-line block ×4, first 2 shown]
	s_or_b64 s[24:25], vcc, s[24:25]
	v_mov_b32_e32 v3, s39
	v_mov_b32_e32 v5, s37
	;; [unrolled: 1-line block ×4, first 2 shown]
	s_andn2_b64 exec, exec, s[24:25]
	s_cbranch_execnz .LBB21_58
; %bb.59:                               ;   in Loop: Header=BB21_16 Depth=1
	s_or_b64 exec, exec, s[24:25]
.LBB21_60:                              ;   in Loop: Header=BB21_16 Depth=1
	s_or_b64 exec, exec, s[22:23]
	v_mov_b32_e32 v12, s21
	v_add_co_u32_e32 v29, vcc, s20, v0
	v_addc_co_u32_e32 v30, vcc, 0, v12, vcc
	v_cmp_gt_i64_e32 vcc, s[56:57], v[29:30]
	s_and_saveexec_b64 s[0:1], vcc
	s_cbranch_execz .LBB21_66
; %bb.61:                               ;   in Loop: Header=BB21_16 Depth=1
	v_mul_lo_u32 v12, v30, s62
	v_mul_lo_u32 v25, v29, s63
	v_mad_u64_u32 v[31:32], s[2:3], v29, s62, 0
	v_readlane_b32 s2, v56, 39
	v_readlane_b32 s6, v56, 41
	v_add3_u32 v32, v32, v25, v12
	v_lshlrev_b64 v[31:32], 2, v[31:32]
	v_mov_b32_e32 v12, s95
	v_add_co_u32_e32 v31, vcc, s94, v31
	v_addc_co_u32_e32 v32, vcc, v12, v32, vcc
	global_load_dword v12, v[31:32], off
	v_add_co_u32_e32 v25, vcc, s28, v41
	v_addc_co_u32_e32 v31, vcc, 0, v42, vcc
	v_mov_b32_e32 v32, s19
	v_subrev_co_u32_e32 v25, vcc, s18, v25
	v_subb_co_u32_e32 v31, vcc, v31, v32, vcc
	v_readlane_b32 s3, v56, 40
	v_mul_lo_u32 v48, s6, v31
	v_mov_b32_e32 v32, s3
	v_readlane_b32 s7, v56, 42
	v_mov_b32_e32 v31, s2
	v_mul_lo_u32 v49, s7, v25
	v_mad_u64_u32 v[31:32], s[2:3], s6, v25, v[31:32]
	s_mul_i32 s2, s7, s28
	s_mul_hi_u32 s3, s6, s28
	v_add3_u32 v32, v49, v32, v48
	s_add_i32 s12, s3, s2
	s_mul_i32 s13, s6, s28
	s_mov_b64 s[2:3], 0
	s_branch .LBB21_63
.LBB21_62:                              ;   in Loop: Header=BB21_63 Depth=2
	s_or_b64 exec, exec, s[8:9]
	s_waitcnt vmcnt(0)
	v_xor_b32_e32 v12, 0x80000000, v12
	s_and_b64 s[6:7], exec, vcc
	v_and_b32_e32 v48, v12, v47
	v_bfe_u32 v12, v12, s88, 2
	s_or_b64 s[2:3], s[6:7], s[2:3]
	v_cmp_eq_u32_e32 vcc, v48, v44
	v_cmp_eq_u32_e64 s[6:7], 0, v12
	s_and_b64 s[6:7], vcc, s[6:7]
	v_cndmask_b32_e64 v48, 0, 1, s[6:7]
	v_cmp_ne_u32_e64 s[6:7], 0, v48
	s_bcnt1_i32_b64 s6, s[6:7]
	v_add_co_u32_e64 v2, s[6:7], s6, v2
	v_addc_co_u32_e64 v3, s[6:7], 0, v3, s[6:7]
	v_cmp_eq_u32_e64 s[6:7], 1, v12
	s_and_b64 s[6:7], vcc, s[6:7]
	v_cndmask_b32_e64 v48, 0, 1, s[6:7]
	v_cmp_ne_u32_e64 s[6:7], 0, v48
	s_bcnt1_i32_b64 s6, s[6:7]
	v_add_co_u32_e64 v4, s[6:7], s6, v4
	v_addc_co_u32_e64 v5, s[6:7], 0, v5, s[6:7]
	;; [unrolled: 7-line block ×3, first 2 shown]
	v_cmp_eq_u32_e64 s[6:7], 3, v12
	s_and_b64 s[6:7], vcc, s[6:7]
	v_cndmask_b32_e64 v12, 0, 1, s[6:7]
	v_cmp_ne_u32_e32 vcc, 0, v12
	s_bcnt1_i32_b64 s6, vcc
	v_add_co_u32_e32 v8, vcc, s6, v8
	v_addc_co_u32_e32 v9, vcc, 0, v9, vcc
	v_mov_b32_e32 v12, s12
	v_add_co_u32_e32 v31, vcc, s13, v31
	v_addc_co_u32_e32 v32, vcc, v32, v12, vcc
	v_mov_b32_e32 v12, v25
	s_andn2_b64 exec, exec, s[2:3]
	s_cbranch_execz .LBB21_65
.LBB21_63:                              ;   Parent Loop BB21_16 Depth=1
                                        ; =>  This Inner Loop Header: Depth=2
	v_add_co_u32_e32 v29, vcc, s28, v29
	v_addc_co_u32_e32 v30, vcc, 0, v30, vcc
	v_cmp_gt_i64_e64 s[6:7], s[56:57], v[29:30]
	v_cmp_le_i64_e32 vcc, s[56:57], v[29:30]
	v_mov_b32_e32 v25, 0
	s_and_saveexec_b64 s[8:9], s[6:7]
	s_cbranch_execz .LBB21_62
; %bb.64:                               ;   in Loop: Header=BB21_63 Depth=2
	global_load_dword v25, v[31:32], off
	s_branch .LBB21_62
.LBB21_65:                              ;   in Loop: Header=BB21_16 Depth=1
	s_or_b64 exec, exec, s[2:3]
.LBB21_66:                              ;   in Loop: Header=BB21_16 Depth=1
	s_or_b64 exec, exec, s[0:1]
	s_branch .LBB21_45
.LBB21_67:                              ;   in Loop: Header=BB21_16 Depth=1
	v_readlane_b32 s0, v56, 33
	v_readlane_b32 s1, v56, 34
	s_mov_b32 s67, s81
	v_mov_b32_e32 v6, 0
	v_mov_b32_e32 v7, 0
	s_nop 1
	global_load_ushort v12, v13, s[0:1]
	s_waitcnt vmcnt(0)
	v_readfirstlane_b32 s0, v12
	s_and_b32 s0, 0xffff, s0
	s_lshl_b32 s59, s0, 2
	v_cvt_f32_u32_e32 v2, s59
	s_sub_i32 s1, 0, s59
	v_rcp_iflag_f32_e32 v4, v2
	v_mov_b32_e32 v2, 0
	v_mov_b32_e32 v3, 0
	v_mul_f32_e32 v4, 0x4f7ffffe, v4
	v_cvt_u32_f32_e32 v8, v4
	v_mov_b32_e32 v4, 0
	v_mov_b32_e32 v5, 0
	v_readfirstlane_b32 s2, v8
	s_mul_i32 s1, s1, s2
	s_mul_hi_u32 s1, s2, s1
	s_add_i32 s2, s2, s1
	s_mul_hi_u32 s1, s58, s2
	s_mul_i32 s2, s1, s59
	s_sub_i32 s2, s58, s2
	s_add_i32 s3, s1, 1
	s_sub_i32 s6, s2, s59
	s_cmp_ge_u32 s2, s59
	s_cselect_b32 s1, s3, s1
	s_cselect_b32 s2, s6, s2
	s_add_i32 s3, s1, 1
	s_cmp_ge_u32 s2, s59
	s_cselect_b32 s1, s3, s1
	s_mul_hi_u32 s81, s0, s1
	s_mul_i32 s80, s0, s1
	s_lshl_b64 s[2:3], s[80:81], 2
	v_cmp_gt_u64_e32 vcc, s[2:3], v[14:15]
	v_mov_b32_e32 v8, 0
	v_mov_b32_e32 v9, 0
	s_and_saveexec_b64 s[54:55], vcc
	s_cbranch_execz .LBB21_71
; %bb.68:                               ;   in Loop: Header=BB21_16 Depth=1
	v_mov_b32_e32 v30, v15
	s_lshl_b32 s81, s0, 4
	s_mov_b64 s[0:1], 0
	v_mov_b32_e32 v25, v36
	s_mov_b64 s[8:9], 0
	s_mov_b64 s[90:91], 0
	;; [unrolled: 1-line block ×4, first 2 shown]
	v_mov_b32_e32 v29, v14
.LBB21_69:                              ;   Parent Loop BB21_16 Depth=1
                                        ; =>  This Inner Loop Header: Depth=2
	ds_read_b128 v[2:5], v25
	v_add_co_u32_e32 v29, vcc, s59, v29
	v_addc_co_u32_e32 v30, vcc, 0, v30, vcc
	s_waitcnt lgkmcnt(0)
	v_xor_b32_e32 v2, 0x80000000, v2
	v_xor_b32_e32 v3, 0x80000000, v3
	v_and_b32_e32 v6, v2, v47
	v_bfe_u32 v2, v2, s88, 2
	v_xor_b32_e32 v4, 0x80000000, v4
	v_and_b32_e32 v7, v3, v47
	v_bfe_u32 v3, v3, s88, 2
	v_cmp_eq_u32_e64 s[18:19], v6, v44
	v_cmp_eq_u32_e64 s[6:7], 0, v2
	v_xor_b32_e32 v5, 0x80000000, v5
	v_and_b32_e32 v8, v4, v47
	v_bfe_u32 v4, v4, s88, 2
	v_cmp_eq_u32_e64 s[16:17], v7, v44
	v_cmp_eq_u32_e64 s[30:31], 0, v3
	s_and_b64 s[6:7], s[18:19], s[6:7]
	v_and_b32_e32 v9, v5, v47
	v_bfe_u32 v5, v5, s88, 2
	v_cmp_eq_u32_e64 s[14:15], v8, v44
	v_cmp_eq_u32_e64 s[34:35], 0, v4
	;; [unrolled: 1-line block ×5, first 2 shown]
	v_cndmask_b32_e64 v2, 0, 1, s[6:7]
	s_and_b64 s[6:7], s[16:17], s[30:31]
	v_cmp_eq_u32_e64 s[12:13], v9, v44
	v_cmp_eq_u32_e64 s[36:37], 0, v5
	;; [unrolled: 1-line block ×5, first 2 shown]
	v_cndmask_b32_e64 v3, 0, 1, s[6:7]
	s_and_b64 s[6:7], s[14:15], s[34:35]
	v_cmp_eq_u32_e64 s[42:43], 1, v4
	v_cmp_eq_u32_e64 s[50:51], 2, v4
	v_cmp_eq_u32_e64 s[22:23], 3, v4
	v_cndmask_b32_e64 v4, 0, 1, s[6:7]
	s_and_b64 s[6:7], s[12:13], s[36:37]
	v_cmp_eq_u32_e64 s[44:45], 1, v5
	v_cmp_eq_u32_e64 s[52:53], 2, v5
	;; [unrolled: 1-line block ×3, first 2 shown]
	v_cndmask_b32_e64 v5, 0, 1, s[6:7]
	v_cmp_ne_u32_e64 s[6:7], 0, v2
	v_cmp_ne_u32_e64 s[30:31], 0, v3
	v_cmp_ne_u32_e64 s[34:35], 0, v4
	v_cmp_ne_u32_e64 s[36:37], 0, v5
	s_bcnt1_i32_b64 s6, s[6:7]
	s_bcnt1_i32_b64 s7, s[30:31]
	s_bcnt1_i32_b64 s30, s[34:35]
	s_bcnt1_i32_b64 s31, s[36:37]
	s_add_u32 s6, s6, s28
	s_addc_u32 s28, 0, s29
	s_add_u32 s6, s6, s7
	s_addc_u32 s7, s28, 0
	s_add_u32 s6, s6, s30
	s_addc_u32 s7, s7, 0
	s_add_u32 s28, s6, s31
	s_addc_u32 s29, s7, 0
	s_and_b64 s[6:7], s[18:19], s[38:39]
	v_cndmask_b32_e64 v4, 0, 1, s[6:7]
	s_and_b64 s[6:7], s[16:17], s[40:41]
	v_cndmask_b32_e64 v5, 0, 1, s[6:7]
	s_and_b64 s[6:7], s[14:15], s[42:43]
	v_cndmask_b32_e64 v6, 0, 1, s[6:7]
	s_and_b64 s[6:7], s[12:13], s[44:45]
	v_cndmask_b32_e64 v7, 0, 1, s[6:7]
	v_cmp_ne_u32_e64 s[6:7], 0, v4
	v_cmp_ne_u32_e64 s[30:31], 0, v5
	v_cmp_ne_u32_e64 s[34:35], 0, v6
	v_cmp_ne_u32_e64 s[36:37], 0, v7
	s_bcnt1_i32_b64 s6, s[6:7]
	s_bcnt1_i32_b64 s7, s[30:31]
	s_bcnt1_i32_b64 s30, s[34:35]
	s_bcnt1_i32_b64 s31, s[36:37]
	s_add_u32 s6, s6, s64
	s_addc_u32 s34, 0, s65
	s_add_u32 s6, s6, s7
	s_addc_u32 s7, s34, 0
	s_add_u32 s6, s6, s30
	s_addc_u32 s7, s7, 0
	s_add_u32 s64, s6, s31
	s_addc_u32 s65, s7, 0
	s_and_b64 s[6:7], s[18:19], s[46:47]
	v_cndmask_b32_e64 v6, 0, 1, s[6:7]
	s_and_b64 s[6:7], s[16:17], s[48:49]
	v_cndmask_b32_e64 v7, 0, 1, s[6:7]
	s_and_b64 s[6:7], s[14:15], s[50:51]
	v_cndmask_b32_e64 v8, 0, 1, s[6:7]
	s_and_b64 s[6:7], s[12:13], s[52:53]
	;; [unrolled: 24-line block ×3, first 2 shown]
	v_cndmask_b32_e64 v32, 0, 1, s[6:7]
	v_cmp_ne_u32_e64 s[6:7], 0, v8
	v_cmp_ne_u32_e64 s[12:13], 0, v9
	;; [unrolled: 1-line block ×4, first 2 shown]
	s_bcnt1_i32_b64 s6, s[6:7]
	s_bcnt1_i32_b64 s7, s[12:13]
	;; [unrolled: 1-line block ×4, first 2 shown]
	s_add_u32 s6, s6, s8
	s_addc_u32 s8, 0, s9
	s_add_u32 s6, s6, s7
	s_addc_u32 s7, s8, 0
	;; [unrolled: 2-line block ×3, first 2 shown]
	v_cmp_le_u64_e32 vcc, s[2:3], v[29:30]
	s_add_u32 s8, s6, s13
	v_mov_b32_e32 v2, s28
	v_mov_b32_e32 v4, s64
	;; [unrolled: 1-line block ×3, first 2 shown]
	s_addc_u32 s9, s7, 0
	v_mov_b32_e32 v8, s8
	v_add_u32_e32 v25, s81, v25
	v_mov_b32_e32 v3, s29
	v_mov_b32_e32 v5, s65
	;; [unrolled: 1-line block ×3, first 2 shown]
	s_or_b64 s[0:1], vcc, s[0:1]
	v_mov_b32_e32 v9, s9
	s_andn2_b64 exec, exec, s[0:1]
	s_cbranch_execnz .LBB21_69
; %bb.70:                               ;   in Loop: Header=BB21_16 Depth=1
	s_or_b64 exec, exec, s[0:1]
	v_readlane_b32 s52, v56, 43
	v_readlane_b32 s53, v56, 44
	;; [unrolled: 1-line block ×3, first 2 shown]
.LBB21_71:                              ;   in Loop: Header=BB21_16 Depth=1
	s_or_b64 exec, exec, s[54:55]
	v_mov_b32_e32 v25, s3
	v_add_co_u32_e32 v29, vcc, s2, v0
	s_and_b32 s82, s58, 0x7fffffff
	v_addc_co_u32_e32 v30, vcc, 0, v25, vcc
	v_cmp_gt_u64_e32 vcc, s[82:83], v[29:30]
	s_and_saveexec_b64 s[2:3], vcc
	s_cbranch_execz .LBB21_75
; %bb.72:                               ;   in Loop: Header=BB21_16 Depth=1
	v_lshl_add_u32 v25, s80, 4, v14
	s_mov_b64 s[0:1], 0
.LBB21_73:                              ;   Parent Loop BB21_16 Depth=1
                                        ; =>  This Inner Loop Header: Depth=2
	ds_read_b32 v31, v25
	v_add_u32_e32 v25, s59, v25
	s_waitcnt lgkmcnt(0)
	v_xor_b32_e32 v31, 0x80000000, v31
	v_and_b32_e32 v32, v31, v47
	v_bfe_u32 v31, v31, s88, 2
	v_cmp_eq_u32_e32 vcc, v32, v44
	v_cmp_eq_u32_e64 s[6:7], 0, v31
	s_and_b64 s[6:7], vcc, s[6:7]
	v_cndmask_b32_e64 v32, 0, 1, s[6:7]
	v_cmp_ne_u32_e64 s[6:7], 0, v32
	s_bcnt1_i32_b64 s6, s[6:7]
	v_add_co_u32_e64 v2, s[6:7], s6, v2
	v_addc_co_u32_e64 v3, s[6:7], 0, v3, s[6:7]
	v_cmp_eq_u32_e64 s[6:7], 1, v31
	s_and_b64 s[6:7], vcc, s[6:7]
	v_cndmask_b32_e64 v32, 0, 1, s[6:7]
	v_cmp_ne_u32_e64 s[6:7], 0, v32
	s_bcnt1_i32_b64 s6, s[6:7]
	v_add_co_u32_e64 v4, s[6:7], s6, v4
	v_addc_co_u32_e64 v5, s[6:7], 0, v5, s[6:7]
	v_cmp_eq_u32_e64 s[6:7], 2, v31
	s_and_b64 s[6:7], vcc, s[6:7]
	v_cndmask_b32_e64 v32, 0, 1, s[6:7]
	v_cmp_ne_u32_e64 s[6:7], 0, v32
	s_bcnt1_i32_b64 s6, s[6:7]
	v_add_co_u32_e64 v6, s[6:7], s6, v6
	v_addc_co_u32_e64 v7, s[6:7], 0, v7, s[6:7]
	v_cmp_eq_u32_e64 s[6:7], 3, v31
	s_and_b64 s[6:7], vcc, s[6:7]
	v_cndmask_b32_e64 v31, 0, 1, s[6:7]
	v_cmp_ne_u32_e32 vcc, 0, v31
	s_bcnt1_i32_b64 s6, vcc
	v_add_co_u32_e32 v8, vcc, s6, v8
	v_addc_co_u32_e32 v9, vcc, 0, v9, vcc
	v_add_co_u32_sdwa v29, vcc, v29, v12 dst_sel:DWORD dst_unused:UNUSED_PAD src0_sel:DWORD src1_sel:WORD_0
	v_addc_co_u32_e32 v30, vcc, 0, v30, vcc
	v_cmp_le_u64_e32 vcc, s[82:83], v[29:30]
	s_or_b64 s[0:1], vcc, s[0:1]
	s_andn2_b64 exec, exec, s[0:1]
	s_cbranch_execnz .LBB21_73
; %bb.74:                               ;   in Loop: Header=BB21_16 Depth=1
	s_or_b64 exec, exec, s[0:1]
.LBB21_75:                              ;   in Loop: Header=BB21_16 Depth=1
	s_or_b64 exec, exec, s[2:3]
	s_mov_b32 s81, s67
	v_lshlrev_b32_e32 v12, 6, v46
	s_and_saveexec_b64 s[0:1], s[4:5]
	s_cbranch_execnz .LBB21_46
	s_branch .LBB21_47
.LBB21_76:                              ;   in Loop: Header=BB21_16 Depth=1
                                        ; implicit-def: $sgpr18_sgpr19
	s_branch .LBB21_55
.LBB21_77:                              ;   in Loop: Header=BB21_16 Depth=1
	s_or_b64 exec, exec, s[2:3]
	s_waitcnt lgkmcnt(0)
	s_barrier
	s_mov_b64 s[2:3], exec
	v_readlane_b32 s6, v56, 12
	v_readlane_b32 s7, v56, 13
	s_and_b64 s[6:7], s[2:3], s[6:7]
	s_mov_b64 exec, s[6:7]
	s_cbranch_execz .LBB21_79
; %bb.78:                               ;   in Loop: Header=BB21_16 Depth=1
	ds_read_b32 v2, v13 offset:5136
	s_waitcnt lgkmcnt(0)
	v_ashrrev_i32_e32 v3, 31, v2
	ds_write_b64 v13, v[2:3] offset:5120
.LBB21_79:                              ;   in Loop: Header=BB21_16 Depth=1
	s_or_b64 exec, exec, s[2:3]
	s_waitcnt lgkmcnt(0)
	s_barrier
	s_mov_b64 s[2:3], -1
	s_and_b64 vcc, exec, s[0:1]
	s_cbranch_vccnz .LBB21_32
	s_branch .LBB21_41
.LBB21_80:                              ;   in Loop: Header=BB21_16 Depth=1
	v_mov_b32_e32 v2, 0
	v_mov_b32_e32 v3, 0
	s_mov_b32 s2, 0
.LBB21_81:                              ;   in Loop: Header=BB21_16 Depth=1
	v_readlane_b32 s6, v56, 37
	v_readlane_b32 s7, v56, 38
	s_andn2_b64 vcc, exec, s[6:7]
	s_cbranch_vccnz .LBB21_84
; %bb.82:                               ;   in Loop: Header=BB21_16 Depth=1
	v_lshlrev_b32_e32 v4, 9, v46
	s_lshl_b32 s2, s2, 5
	v_add_u32_e32 v4, s2, v4
	v_add_u32_e32 v4, v43, v4
	s_mov_b32 s2, s66
.LBB21_83:                              ;   Parent Loop BB21_16 Depth=1
                                        ; =>  This Inner Loop Header: Depth=2
	ds_read_b64 v[5:6], v4
	s_add_i32 s2, s2, -1
	v_add_u32_e32 v4, 32, v4
	s_cmp_lg_u32 s2, 0
	s_waitcnt lgkmcnt(0)
	v_add_co_u32_e32 v2, vcc, v5, v2
	v_addc_co_u32_e32 v3, vcc, v6, v3, vcc
	s_cbranch_scc1 .LBB21_83
.LBB21_84:                              ;   in Loop: Header=BB21_16 Depth=1
	v_add_lshl_u32 v4, v12, v33, 3
	ds_write_b64 v4, v[2:3] offset:3072
.LBB21_85:                              ;   in Loop: Header=BB21_16 Depth=1
	s_or_b64 exec, exec, s[0:1]
	v_lshlrev_b32_e32 v2, 3, v12
	s_waitcnt lgkmcnt(0)
	s_barrier
	ds_read_b128 v[6:9], v2 offset:3088
	ds_read_b128 v[2:5], v2 offset:3072
	v_cmp_eq_u64_e64 s[6:7], 1, v[27:28]
	s_lshl_b32 s54, 3, s88
	s_not_b32 s48, s54
	s_waitcnt lgkmcnt(1)
	v_readfirstlane_b32 s20, v6
	s_waitcnt lgkmcnt(0)
	v_cmp_eq_u64_e32 vcc, 1, v[2:3]
	v_readfirstlane_b32 s21, v7
	v_readfirstlane_b32 s12, v8
	;; [unrolled: 1-line block ×3, first 2 shown]
	s_and_b64 s[16:17], vcc, s[6:7]
	s_mov_b64 s[6:7], -1
	s_mov_b64 s[0:1], -1
                                        ; implicit-def: $sgpr24_sgpr25
                                        ; implicit-def: $sgpr22_sgpr23
	s_and_saveexec_b64 s[14:15], s[16:17]
	s_cbranch_execz .LBB21_117
; %bb.86:                               ;   in Loop: Header=BB21_16 Depth=1
	ds_read_b64 v[6:7], v13 offset:5120
	s_waitcnt lgkmcnt(0)
	s_barrier
	v_readfirstlane_b32 s18, v6
	v_readfirstlane_b32 s19, v7
	s_and_saveexec_b64 s[0:1], s[52:53]
; %bb.87:                               ;   in Loop: Header=BB21_16 Depth=1
	ds_write_b32 v45, v13
; %bb.88:                               ;   in Loop: Header=BB21_16 Depth=1
	s_or_b64 exec, exec, s[0:1]
	v_cmp_lt_i64_e64 s[0:1], s[18:19], 1
	v_and_b32_e32 v44, s48, v44
	v_or_b32_e32 v47, s54, v47
	s_mov_b64 s[22:23], -1
	s_mov_b64 s[24:25], 0
	s_and_b64 vcc, exec, s[0:1]
	s_mov_b64 s[2:3], 0
	s_mov_b64 s[0:1], -1
	s_waitcnt lgkmcnt(0)
	s_barrier
                                        ; implicit-def: $vgpr26
	s_cbranch_vccz .LBB21_102
; %bb.89:                               ;   in Loop: Header=BB21_16 Depth=1
	s_mov_b32 s80, s83
	s_cmp_lg_u64 s[80:81], 0
	s_cbranch_scc0 .LBB21_143
; %bb.90:                               ;   in Loop: Header=BB21_16 Depth=1
	s_add_u32 s0, s33, 0
	s_addc_u32 s1, 0, 0
	s_xor_b64 s[0:1], s[0:1], 0
	v_cvt_f32_u32_e32 v6, s0
	v_cvt_f32_u32_e32 v7, s1
	s_sub_u32 s8, 0, s0
	s_subb_u32 s9, 0, s1
	v_mac_f32_e32 v6, 0x4f800000, v7
	v_rcp_f32_e32 v6, v6
	v_mul_f32_e32 v6, 0x5f7ffffc, v6
	v_mul_f32_e32 v7, 0x2f800000, v6
	v_trunc_f32_e32 v7, v7
	v_mac_f32_e32 v6, 0xcf800000, v7
	v_cvt_u32_f32_e32 v7, v7
	v_cvt_u32_f32_e32 v6, v6
	v_readfirstlane_b32 s26, v7
	v_readfirstlane_b32 s2, v6
	s_mul_i32 s3, s8, s26
	s_mul_hi_u32 s28, s8, s2
	s_mul_i32 s27, s9, s2
	s_add_i32 s3, s28, s3
	s_mul_i32 s29, s8, s2
	s_add_i32 s3, s3, s27
	s_mul_i32 s28, s2, s3
	s_mul_hi_u32 s30, s2, s29
	s_mul_hi_u32 s27, s2, s3
	s_add_u32 s28, s30, s28
	s_addc_u32 s27, 0, s27
	s_mul_hi_u32 s31, s26, s29
	s_mul_i32 s29, s26, s29
	s_add_u32 s28, s28, s29
	s_mul_hi_u32 s30, s26, s3
	s_addc_u32 s27, s27, s31
	s_addc_u32 s28, s30, 0
	s_mul_i32 s3, s26, s3
	s_add_u32 s3, s27, s3
	s_addc_u32 s27, 0, s28
	s_add_u32 s28, s2, s3
	s_cselect_b64 s[2:3], -1, 0
	s_cmp_lg_u64 s[2:3], 0
	s_addc_u32 s26, s26, s27
	s_mul_i32 s2, s8, s26
	s_mul_hi_u32 s3, s8, s28
	s_add_i32 s2, s3, s2
	s_mul_i32 s9, s9, s28
	s_add_i32 s2, s2, s9
	s_mul_i32 s8, s8, s28
	s_mul_hi_u32 s9, s26, s8
	s_mul_i32 s27, s26, s8
	s_mul_i32 s30, s28, s2
	s_mul_hi_u32 s8, s28, s8
	s_mul_hi_u32 s29, s28, s2
	s_add_u32 s8, s8, s30
	s_addc_u32 s29, 0, s29
	s_add_u32 s8, s8, s27
	s_mul_hi_u32 s3, s26, s2
	s_addc_u32 s8, s29, s9
	s_addc_u32 s3, s3, 0
	s_mul_i32 s2, s26, s2
	s_add_u32 s2, s8, s2
	s_addc_u32 s8, 0, s3
	s_add_u32 s27, s28, s2
	s_cselect_b64 s[2:3], -1, 0
	s_cmp_lg_u64 s[2:3], 0
	s_addc_u32 s26, s26, s8
	s_ashr_i32 s2, s81, 31
	s_add_u32 s8, s51, s2
	s_mov_b32 s3, s2
	s_addc_u32 s9, s81, s2
	s_xor_b64 s[8:9], s[8:9], s[2:3]
	s_mul_i32 s29, s8, s26
	s_mul_hi_u32 s30, s8, s27
	s_mul_hi_u32 s28, s8, s26
	s_add_u32 s29, s30, s29
	s_addc_u32 s28, 0, s28
	s_mul_hi_u32 s31, s9, s27
	s_mul_i32 s27, s9, s27
	s_add_u32 s27, s29, s27
	s_mul_hi_u32 s30, s9, s26
	s_addc_u32 s27, s28, s31
	s_addc_u32 s28, s30, 0
	s_mul_i32 s26, s9, s26
	s_add_u32 s26, s27, s26
	s_addc_u32 s27, 0, s28
	s_mul_i32 s27, s0, s27
	s_mul_hi_u32 s28, s0, s26
	s_add_i32 s27, s28, s27
	s_mul_i32 s28, s1, s26
	s_add_i32 s30, s27, s28
	s_sub_i32 s28, s9, s30
	s_mul_i32 s26, s0, s26
	s_sub_u32 s8, s8, s26
	s_cselect_b64 s[26:27], -1, 0
	s_cmp_lg_u64 s[26:27], 0
	s_subb_u32 s31, s28, s1
	s_sub_u32 s34, s8, s0
	s_cselect_b64 s[28:29], -1, 0
	s_cmp_lg_u64 s[28:29], 0
	s_subb_u32 s35, s31, 0
	s_cmp_ge_u32 s35, s1
	s_cselect_b32 s36, -1, 0
	s_cmp_ge_u32 s34, s0
	s_cselect_b32 s37, -1, 0
	s_cmp_eq_u32 s35, s1
	s_cselect_b32 s36, s37, s36
	s_cmp_lg_u64 s[28:29], 0
	s_subb_u32 s31, s31, s1
	s_sub_u32 s37, s34, s0
	s_cselect_b64 s[28:29], -1, 0
	s_cmp_lg_u64 s[28:29], 0
	s_subb_u32 s28, s31, 0
	s_cmp_lg_u32 s36, 0
	s_cselect_b32 s29, s37, s34
	s_cselect_b32 s28, s28, s35
	s_cmp_lg_u64 s[26:27], 0
	s_subb_u32 s9, s9, s30
	s_cmp_ge_u32 s9, s1
	s_cselect_b32 s26, -1, 0
	s_cmp_ge_u32 s8, s0
	s_cselect_b32 s0, -1, 0
	s_cmp_eq_u32 s9, s1
	s_cselect_b32 s0, s0, s26
	s_cmp_lg_u32 s0, 0
	s_cselect_b32 s1, s28, s9
	s_cselect_b32 s0, s29, s8
	s_xor_b64 s[0:1], s[0:1], s[2:3]
	s_sub_u32 s0, s0, s2
	s_subb_u32 s1, s1, s2
	s_cbranch_execnz .LBB21_92
.LBB21_91:                              ;   in Loop: Header=BB21_16 Depth=1
	v_cvt_f32_u32_e32 v6, s33
	s_sub_i32 s0, 0, s33
	v_rcp_iflag_f32_e32 v6, v6
	v_mul_f32_e32 v6, 0x4f7ffffe, v6
	v_cvt_u32_f32_e32 v6, v6
	v_readfirstlane_b32 s1, v6
	s_mul_i32 s0, s0, s1
	s_mul_hi_u32 s0, s1, s0
	s_add_i32 s1, s1, s0
	s_mul_hi_u32 s0, s51, s1
	s_mul_i32 s0, s0, s33
	s_sub_i32 s0, s51, s0
	s_sub_i32 s1, s0, s33
	s_cmp_ge_u32 s0, s33
	s_cselect_b32 s0, s1, s0
	s_sub_i32 s1, s0, s33
	s_cmp_ge_u32 s0, s33
	s_cselect_b32 s82, s1, s0
	s_mov_b64 s[0:1], s[82:83]
.LBB21_92:                              ;   in Loop: Header=BB21_16 Depth=1
	s_sub_u32 s26, s51, s0
	s_subb_u32 s27, s81, s1
	v_cmp_gt_i64_e32 vcc, s[26:27], v[0:1]
	s_mov_b64 s[0:1], 0
	s_mov_b64 s[2:3], 0
                                        ; implicit-def: $vgpr26
	s_and_saveexec_b64 s[8:9], vcc
	s_cbranch_execz .LBB21_101
; %bb.93:                               ;   in Loop: Header=BB21_16 Depth=1
	v_mov_b32_e32 v6, v10
	v_mov_b32_e32 v9, v1
	;; [unrolled: 1-line block ×4, first 2 shown]
                                        ; implicit-def: $sgpr28_sgpr29
	s_branch .LBB21_96
.LBB21_94:                              ;   in Loop: Header=BB21_96 Depth=2
	s_or_b64 exec, exec, s[30:31]
	s_waitcnt lgkmcnt(0)
	s_barrier
	ds_read_b64 v[25:26], v13 offset:3072
	s_mov_b64 s[30:31], -1
	s_mov_b64 s[34:35], -1
	s_waitcnt lgkmcnt(0)
	s_barrier
	v_cmp_ne_u32_e32 vcc, 0, v25
	s_cbranch_vccz .LBB21_99
.LBB21_95:                              ;   in Loop: Header=BB21_96 Depth=2
	s_and_b64 s[30:31], exec, s[30:31]
	s_or_b64 s[2:3], s[30:31], s[2:3]
	s_andn2_b64 s[28:29], s[28:29], exec
	s_and_b64 s[30:31], s[34:35], exec
	s_or_b64 s[28:29], s[28:29], s[30:31]
	s_andn2_b64 exec, exec, s[2:3]
	s_cbranch_execz .LBB21_100
.LBB21_96:                              ;   Parent Loop BB21_16 Depth=1
                                        ; =>  This Inner Loop Header: Depth=2
	v_cmp_gt_i64_e32 vcc, s[56:57], v[8:9]
	s_and_saveexec_b64 s[30:31], vcc
	s_cbranch_execz .LBB21_94
; %bb.97:                               ;   in Loop: Header=BB21_96 Depth=2
	global_load_dword v25, v[6:7], off
	s_waitcnt vmcnt(0)
	v_xor_b32_e32 v12, 0x80000000, v25
	v_and_b32_e32 v12, v12, v47
	v_cmp_eq_u32_e32 vcc, v12, v44
	s_and_b64 exec, exec, vcc
	s_cbranch_execz .LBB21_94
; %bb.98:                               ;   in Loop: Header=BB21_96 Depth=2
	ds_write_b64 v13, v[24:25] offset:3072
	s_branch .LBB21_94
.LBB21_99:                              ;   in Loop: Header=BB21_96 Depth=2
	v_add_co_u32_e32 v8, vcc, s33, v8
	v_addc_co_u32_e32 v9, vcc, 0, v9, vcc
	v_mov_b32_e32 v12, s85
	v_add_co_u32_e32 v6, vcc, s84, v6
	v_addc_co_u32_e32 v7, vcc, v7, v12, vcc
	v_cmp_le_i64_e32 vcc, s[26:27], v[8:9]
	s_mov_b64 s[34:35], 0
	s_orn2_b64 s[30:31], vcc, exec
	s_branch .LBB21_95
.LBB21_100:                             ;   in Loop: Header=BB21_16 Depth=1
	s_or_b64 exec, exec, s[2:3]
	s_and_b64 s[2:3], s[28:29], exec
.LBB21_101:                             ;   in Loop: Header=BB21_16 Depth=1
	s_or_b64 exec, exec, s[8:9]
.LBB21_102:                             ;   in Loop: Header=BB21_16 Depth=1
	s_and_b64 vcc, exec, s[0:1]
	s_cbranch_vccz .LBB21_116
; %bb.103:                              ;   in Loop: Header=BB21_16 Depth=1
	s_add_u32 s24, s18, s89
	v_readlane_b32 s0, v56, 32
	s_addc_u32 s1, s19, s0
	s_mov_b32 s0, s83
	s_cmp_lg_u64 s[0:1], 0
	s_cbranch_scc0 .LBB21_144
; %bb.104:                              ;   in Loop: Header=BB21_16 Depth=1
	s_add_u32 s8, s33, 0
	s_addc_u32 s9, 0, 0
	s_xor_b64 s[8:9], s[8:9], 0
	v_cvt_f32_u32_e32 v6, s8
	v_cvt_f32_u32_e32 v7, s9
	s_sub_u32 s0, 0, s8
	s_subb_u32 s25, 0, s9
	v_mac_f32_e32 v6, 0x4f800000, v7
	v_rcp_f32_e32 v6, v6
	v_mul_f32_e32 v6, 0x5f7ffffc, v6
	v_mul_f32_e32 v7, 0x2f800000, v6
	v_trunc_f32_e32 v7, v7
	v_mac_f32_e32 v6, 0xcf800000, v7
	v_cvt_u32_f32_e32 v7, v7
	v_cvt_u32_f32_e32 v6, v6
	v_readfirstlane_b32 s26, v7
	v_readfirstlane_b32 s22, v6
	s_mul_i32 s23, s0, s26
	s_mul_hi_u32 s28, s0, s22
	s_mul_i32 s27, s25, s22
	s_add_i32 s23, s28, s23
	s_mul_i32 s29, s0, s22
	s_add_i32 s23, s23, s27
	s_mul_i32 s28, s22, s23
	s_mul_hi_u32 s30, s22, s29
	s_mul_hi_u32 s27, s22, s23
	s_add_u32 s28, s30, s28
	s_addc_u32 s27, 0, s27
	s_mul_hi_u32 s31, s26, s29
	s_mul_i32 s29, s26, s29
	s_add_u32 s28, s28, s29
	s_mul_hi_u32 s30, s26, s23
	s_addc_u32 s27, s27, s31
	s_addc_u32 s28, s30, 0
	s_mul_i32 s23, s26, s23
	s_add_u32 s23, s27, s23
	s_addc_u32 s27, 0, s28
	s_add_u32 s28, s22, s23
	s_cselect_b64 s[22:23], -1, 0
	s_cmp_lg_u64 s[22:23], 0
	s_addc_u32 s26, s26, s27
	s_mul_i32 s22, s0, s26
	s_mul_hi_u32 s23, s0, s28
	s_add_i32 s22, s23, s22
	s_mul_i32 s25, s25, s28
	s_add_i32 s22, s22, s25
	s_mul_i32 s0, s0, s28
	s_mul_hi_u32 s25, s26, s0
	s_mul_i32 s27, s26, s0
	s_mul_i32 s30, s28, s22
	s_mul_hi_u32 s0, s28, s0
	s_mul_hi_u32 s29, s28, s22
	s_add_u32 s0, s0, s30
	s_addc_u32 s29, 0, s29
	s_add_u32 s0, s0, s27
	s_mul_hi_u32 s23, s26, s22
	s_addc_u32 s0, s29, s25
	s_addc_u32 s23, s23, 0
	s_mul_i32 s22, s26, s22
	s_add_u32 s0, s0, s22
	s_addc_u32 s25, 0, s23
	s_add_u32 s0, s28, s0
	s_cselect_b64 s[22:23], -1, 0
	s_cmp_lg_u64 s[22:23], 0
	s_addc_u32 s25, s26, s25
	s_ashr_i32 s22, s1, 31
	s_add_u32 s26, s24, s22
	s_mov_b32 s23, s22
	s_addc_u32 s27, s1, s22
	s_xor_b64 s[26:27], s[26:27], s[22:23]
	s_mul_i32 s29, s26, s25
	s_mul_hi_u32 s30, s26, s0
	s_mul_hi_u32 s28, s26, s25
	s_add_u32 s29, s30, s29
	s_addc_u32 s28, 0, s28
	s_mul_hi_u32 s31, s27, s0
	s_mul_i32 s0, s27, s0
	s_add_u32 s0, s29, s0
	s_mul_hi_u32 s30, s27, s25
	s_addc_u32 s0, s28, s31
	s_addc_u32 s28, s30, 0
	s_mul_i32 s25, s27, s25
	s_add_u32 s0, s0, s25
	s_addc_u32 s25, 0, s28
	s_mul_i32 s25, s8, s25
	s_mul_hi_u32 s28, s8, s0
	s_add_i32 s25, s28, s25
	s_mul_i32 s28, s9, s0
	s_add_i32 s25, s25, s28
	s_sub_i32 s30, s27, s25
	s_mul_i32 s0, s8, s0
	s_sub_u32 s0, s26, s0
	s_cselect_b64 s[28:29], -1, 0
	s_cmp_lg_u64 s[28:29], 0
	s_subb_u32 s26, s30, s9
	s_sub_u32 s34, s0, s8
	s_cselect_b64 s[30:31], -1, 0
	s_cmp_lg_u64 s[30:31], 0
	s_subb_u32 s35, s26, 0
	s_cmp_ge_u32 s35, s9
	s_cselect_b32 s36, -1, 0
	s_cmp_ge_u32 s34, s8
	s_cselect_b32 s37, -1, 0
	s_cmp_eq_u32 s35, s9
	s_cselect_b32 s36, s37, s36
	s_cmp_lg_u64 s[30:31], 0
	s_subb_u32 s26, s26, s9
	s_sub_u32 s37, s34, s8
	s_cselect_b64 s[30:31], -1, 0
	s_cmp_lg_u64 s[30:31], 0
	s_subb_u32 s26, s26, 0
	s_cmp_lg_u32 s36, 0
	s_cselect_b32 s30, s37, s34
	s_cselect_b32 s26, s26, s35
	s_cmp_lg_u64 s[28:29], 0
	s_subb_u32 s25, s27, s25
	s_cmp_ge_u32 s25, s9
	s_cselect_b32 s27, -1, 0
	s_cmp_ge_u32 s0, s8
	s_cselect_b32 s8, -1, 0
	s_cmp_eq_u32 s25, s9
	s_cselect_b32 s8, s8, s27
	s_cmp_lg_u32 s8, 0
	s_cselect_b32 s9, s26, s25
	s_cselect_b32 s8, s30, s0
	s_xor_b64 s[8:9], s[8:9], s[22:23]
	s_sub_u32 s8, s8, s22
	s_subb_u32 s9, s9, s22
	s_cbranch_execnz .LBB21_106
.LBB21_105:                             ;   in Loop: Header=BB21_16 Depth=1
	v_cvt_f32_u32_e32 v6, s33
	s_sub_i32 s0, 0, s33
	v_rcp_iflag_f32_e32 v6, v6
	v_mul_f32_e32 v6, 0x4f7ffffe, v6
	v_cvt_u32_f32_e32 v6, v6
	v_readfirstlane_b32 s8, v6
	s_mul_i32 s0, s0, s8
	s_mul_hi_u32 s0, s8, s0
	s_add_i32 s8, s8, s0
	s_mul_hi_u32 s0, s24, s8
	s_mul_i32 s0, s0, s33
	s_sub_i32 s0, s24, s0
	s_sub_i32 s8, s0, s33
	s_cmp_ge_u32 s0, s33
	s_cselect_b32 s0, s8, s0
	s_sub_i32 s8, s0, s33
	s_cmp_ge_u32 s0, s33
	s_cselect_b32 s82, s8, s0
	s_mov_b64 s[8:9], s[82:83]
.LBB21_106:                             ;   in Loop: Header=BB21_16 Depth=1
	s_sub_u32 s8, s24, s8
	s_subb_u32 s9, s1, s9
	v_cmp_gt_i64_e32 vcc, s[8:9], v[0:1]
                                        ; implicit-def: $vgpr26
	s_and_saveexec_b64 s[0:1], vcc
	s_cbranch_execz .LBB21_115
; %bb.107:                              ;   in Loop: Header=BB21_16 Depth=1
	v_mov_b32_e32 v7, v1
	s_mov_b64 s[22:23], 0
	v_mov_b32_e32 v8, v14
	v_mov_b32_e32 v6, v0
                                        ; implicit-def: $sgpr24_sgpr25
	s_branch .LBB21_110
.LBB21_108:                             ;   in Loop: Header=BB21_110 Depth=2
	s_or_b64 exec, exec, s[26:27]
	s_waitcnt lgkmcnt(0)
	s_barrier
	ds_read_b64 v[25:26], v13 offset:3072
	s_mov_b64 s[26:27], -1
	s_mov_b64 s[28:29], -1
	s_waitcnt lgkmcnt(0)
	s_barrier
	v_cmp_ne_u32_e32 vcc, 0, v25
	s_cbranch_vccz .LBB21_113
.LBB21_109:                             ;   in Loop: Header=BB21_110 Depth=2
	s_and_b64 s[26:27], exec, s[26:27]
	s_or_b64 s[22:23], s[26:27], s[22:23]
	s_andn2_b64 s[24:25], s[24:25], exec
	s_and_b64 s[26:27], s[28:29], exec
	s_or_b64 s[24:25], s[24:25], s[26:27]
	s_andn2_b64 exec, exec, s[22:23]
	s_cbranch_execz .LBB21_114
.LBB21_110:                             ;   Parent Loop BB21_16 Depth=1
                                        ; =>  This Inner Loop Header: Depth=2
	v_cmp_gt_u64_e32 vcc, s[18:19], v[6:7]
	s_and_saveexec_b64 s[26:27], vcc
	s_cbranch_execz .LBB21_108
; %bb.111:                              ;   in Loop: Header=BB21_110 Depth=2
	ds_read_b32 v25, v8
	s_waitcnt lgkmcnt(0)
	v_xor_b32_e32 v9, 0x80000000, v25
	v_and_b32_e32 v9, v9, v47
	v_cmp_eq_u32_e32 vcc, v9, v44
	s_and_b64 exec, exec, vcc
	s_cbranch_execz .LBB21_108
; %bb.112:                              ;   in Loop: Header=BB21_110 Depth=2
	ds_write_b64 v13, v[24:25] offset:3072
	s_branch .LBB21_108
.LBB21_113:                             ;   in Loop: Header=BB21_110 Depth=2
	v_add_co_u32_e32 v6, vcc, s33, v6
	v_addc_co_u32_e32 v7, vcc, 0, v7, vcc
	v_cmp_le_i64_e32 vcc, s[8:9], v[6:7]
	v_add_u32_e32 v8, s87, v8
	s_mov_b64 s[28:29], 0
	s_orn2_b64 s[26:27], vcc, exec
	s_branch .LBB21_109
.LBB21_114:                             ;   in Loop: Header=BB21_16 Depth=1
	s_or_b64 exec, exec, s[22:23]
	s_andn2_b64 s[2:3], s[2:3], exec
	s_and_b64 s[8:9], s[24:25], exec
	s_or_b64 s[2:3], s[2:3], s[8:9]
.LBB21_115:                             ;   in Loop: Header=BB21_16 Depth=1
	s_or_b64 exec, exec, s[0:1]
	s_mov_b64 s[22:23], 0
	s_mov_b64 s[24:25], -1
.LBB21_116:                             ;   in Loop: Header=BB21_16 Depth=1
	s_orn2_b64 s[0:1], s[2:3], exec
.LBB21_117:                             ;   in Loop: Header=BB21_16 Depth=1
	s_or_b64 exec, exec, s[14:15]
	s_andn2_b64 s[2:3], s[78:79], exec
	s_and_b64 s[8:9], s[24:25], exec
	s_or_b64 s[78:79], s[2:3], s[8:9]
	s_andn2_b64 s[2:3], s[72:73], exec
	s_and_b64 s[8:9], s[22:23], exec
	s_andn2_b64 s[60:61], s[60:61], exec
	s_or_b64 s[72:73], s[2:3], s[8:9]
                                        ; implicit-def: $vgpr6_vgpr7
	s_and_saveexec_b64 s[14:15], s[0:1]
	s_cbranch_execz .LBB21_15
; %bb.118:                              ;   in Loop: Header=BB21_16 Depth=1
	v_mov_b32_e32 v6, 1
	s_xor_b64 s[6:7], s[16:17], -1
	v_mov_b32_e32 v12, 1
	v_mov_b32_e32 v7, 0
	s_mov_b64 s[2:3], 0
	s_and_saveexec_b64 s[0:1], s[6:7]
	s_cbranch_execz .LBB21_127
; %bb.119:                              ;   in Loop: Header=BB21_16 Depth=1
	v_cmp_le_i64_e32 vcc, v[27:28], v[2:3]
	s_and_saveexec_b64 s[2:3], vcc
	s_xor_b64 s[2:3], exec, s[2:3]
	s_cbranch_execz .LBB21_124
; %bb.120:                              ;   in Loop: Header=BB21_16 Depth=1
	ds_read_b64 v[6:7], v13 offset:5120
	v_and_b32_e32 v44, s48, v44
	v_or_b32_e32 v47, s54, v47
	s_waitcnt lgkmcnt(0)
	v_cmp_ne_u64_e32 vcc, 0, v[6:7]
	s_cbranch_vccnz .LBB21_124
; %bb.121:                              ;   in Loop: Header=BB21_16 Depth=1
	s_mov_b64 s[6:7], exec
	v_readlane_b32 s8, v56, 12
	v_readlane_b32 s9, v56, 13
	s_and_b64 s[8:9], s[6:7], s[8:9]
	s_mov_b64 exec, s[8:9]
; %bb.122:                              ;   in Loop: Header=BB21_16 Depth=1
	ds_write_b64 v13, v[2:3] offset:5128
; %bb.123:                              ;   in Loop: Header=BB21_16 Depth=1
	s_or_b64 exec, exec, s[6:7]
	s_waitcnt lgkmcnt(0)
	s_barrier
.LBB21_124:                             ;   in Loop: Header=BB21_16 Depth=1
	s_or_saveexec_b64 s[2:3], s[2:3]
	s_mov_b64 s[6:7], 0
	v_mov_b32_e32 v12, 8
	s_xor_b64 exec, exec, s[2:3]
; %bb.125:                              ;   in Loop: Header=BB21_16 Depth=1
	v_sub_co_u32_e32 v27, vcc, v27, v2
	s_mov_b64 s[6:7], exec
	v_subb_co_u32_e32 v28, vcc, v28, v3, vcc
	v_mov_b32_e32 v12, 0
; %bb.126:                              ;   in Loop: Header=BB21_16 Depth=1
	s_or_b64 exec, exec, s[2:3]
	v_mov_b32_e32 v6, v27
	s_and_b64 s[2:3], s[6:7], exec
	v_mov_b32_e32 v7, v28
.LBB21_127:                             ;   in Loop: Header=BB21_16 Depth=1
	s_or_b64 exec, exec, s[0:1]
	s_mov_b64 s[16:17], -1
	s_mov_b64 s[0:1], -1
                                        ; implicit-def: $sgpr6_sgpr7
                                        ; implicit-def: $sgpr22_sgpr23
	s_and_saveexec_b64 s[8:9], s[2:3]
	s_xor_b64 s[18:19], exec, s[8:9]
	s_cbranch_execz .LBB21_269
; %bb.128:                              ;   in Loop: Header=BB21_16 Depth=1
	v_cmp_eq_u64_e32 vcc, 1, v[4:5]
	v_cmp_eq_u64_e64 s[6:7], 1, v[6:7]
                                        ; implicit-def: $sgpr22_sgpr23
	s_and_b64 s[26:27], vcc, s[6:7]
                                        ; implicit-def: $sgpr6_sgpr7
	s_and_saveexec_b64 s[24:25], s[26:27]
	s_cbranch_execz .LBB21_162
; %bb.129:                              ;   in Loop: Header=BB21_16 Depth=1
	ds_read_b64 v[2:3], v13 offset:5120
	s_waitcnt lgkmcnt(0)
	s_barrier
	v_readfirstlane_b32 s30, v2
	v_readfirstlane_b32 s31, v3
	s_and_saveexec_b64 s[0:1], s[52:53]
; %bb.130:                              ;   in Loop: Header=BB21_16 Depth=1
	ds_write_b32 v45, v13
; %bb.131:                              ;   in Loop: Header=BB21_16 Depth=1
	s_or_b64 exec, exec, s[0:1]
	v_cmp_gt_i64_e64 s[0:1], s[30:31], 0
	v_and_b32_e32 v2, s48, v44
	v_lshl_or_b32 v44, 1, s88, v2
	v_or_b32_e32 v47, s54, v47
	s_mov_b64 s[6:7], -1
	s_mov_b64 s[22:23], 0
	s_and_b64 vcc, exec, s[0:1]
	s_mov_b64 s[2:3], 0
	s_mov_b64 s[0:1], -1
	s_waitcnt lgkmcnt(0)
	s_barrier
                                        ; implicit-def: $vgpr26
	s_cbranch_vccnz .LBB21_147
; %bb.132:                              ;   in Loop: Header=BB21_16 Depth=1
	s_mov_b32 s80, s83
	s_cmp_lg_u64 s[80:81], 0
	s_cbranch_scc0 .LBB21_189
; %bb.133:                              ;   in Loop: Header=BB21_16 Depth=1
	s_add_u32 s0, s33, 0
	s_addc_u32 s1, 0, 0
	s_xor_b64 s[0:1], s[0:1], 0
	v_cvt_f32_u32_e32 v2, s0
	v_cvt_f32_u32_e32 v3, s1
	s_sub_u32 s8, 0, s0
	s_subb_u32 s9, 0, s1
	v_mac_f32_e32 v2, 0x4f800000, v3
	v_rcp_f32_e32 v2, v2
	v_mul_f32_e32 v2, 0x5f7ffffc, v2
	v_mul_f32_e32 v3, 0x2f800000, v2
	v_trunc_f32_e32 v3, v3
	v_mac_f32_e32 v2, 0xcf800000, v3
	v_cvt_u32_f32_e32 v3, v3
	v_cvt_u32_f32_e32 v2, v2
	v_readfirstlane_b32 s28, v3
	v_readfirstlane_b32 s2, v2
	s_mul_i32 s3, s8, s28
	s_mul_hi_u32 s34, s8, s2
	s_mul_i32 s29, s9, s2
	s_add_i32 s3, s34, s3
	s_mul_i32 s35, s8, s2
	s_add_i32 s3, s3, s29
	s_mul_i32 s34, s2, s3
	s_mul_hi_u32 s36, s2, s35
	s_mul_hi_u32 s29, s2, s3
	s_add_u32 s34, s36, s34
	s_addc_u32 s29, 0, s29
	s_mul_hi_u32 s37, s28, s35
	s_mul_i32 s35, s28, s35
	s_add_u32 s34, s34, s35
	s_mul_hi_u32 s36, s28, s3
	s_addc_u32 s29, s29, s37
	s_addc_u32 s34, s36, 0
	s_mul_i32 s3, s28, s3
	s_add_u32 s3, s29, s3
	s_addc_u32 s29, 0, s34
	s_add_u32 s34, s2, s3
	s_cselect_b64 s[2:3], -1, 0
	s_cmp_lg_u64 s[2:3], 0
	s_addc_u32 s28, s28, s29
	s_mul_i32 s2, s8, s28
	s_mul_hi_u32 s3, s8, s34
	s_add_i32 s2, s3, s2
	s_mul_i32 s9, s9, s34
	s_add_i32 s2, s2, s9
	s_mul_i32 s8, s8, s34
	s_mul_hi_u32 s9, s28, s8
	s_mul_i32 s29, s28, s8
	s_mul_i32 s36, s34, s2
	s_mul_hi_u32 s8, s34, s8
	s_mul_hi_u32 s35, s34, s2
	s_add_u32 s8, s8, s36
	s_addc_u32 s35, 0, s35
	s_add_u32 s8, s8, s29
	s_mul_hi_u32 s3, s28, s2
	s_addc_u32 s8, s35, s9
	s_addc_u32 s3, s3, 0
	s_mul_i32 s2, s28, s2
	s_add_u32 s2, s8, s2
	s_addc_u32 s8, 0, s3
	s_add_u32 s29, s34, s2
	s_cselect_b64 s[2:3], -1, 0
	s_cmp_lg_u64 s[2:3], 0
	s_addc_u32 s28, s28, s8
	s_ashr_i32 s2, s81, 31
	s_add_u32 s8, s51, s2
	s_mov_b32 s3, s2
	s_addc_u32 s9, s81, s2
	s_xor_b64 s[8:9], s[8:9], s[2:3]
	s_mul_i32 s35, s8, s28
	s_mul_hi_u32 s36, s8, s29
	s_mul_hi_u32 s34, s8, s28
	s_add_u32 s35, s36, s35
	s_addc_u32 s34, 0, s34
	s_mul_hi_u32 s37, s9, s29
	s_mul_i32 s29, s9, s29
	s_add_u32 s29, s35, s29
	s_mul_hi_u32 s36, s9, s28
	s_addc_u32 s29, s34, s37
	s_addc_u32 s34, s36, 0
	s_mul_i32 s28, s9, s28
	s_add_u32 s28, s29, s28
	s_addc_u32 s29, 0, s34
	s_mul_i32 s29, s0, s29
	s_mul_hi_u32 s34, s0, s28
	s_add_i32 s29, s34, s29
	s_mul_i32 s34, s1, s28
	s_add_i32 s36, s29, s34
	s_sub_i32 s34, s9, s36
	s_mul_i32 s28, s0, s28
	s_sub_u32 s8, s8, s28
	s_cselect_b64 s[28:29], -1, 0
	s_cmp_lg_u64 s[28:29], 0
	s_subb_u32 s37, s34, s1
	s_sub_u32 s38, s8, s0
	s_cselect_b64 s[34:35], -1, 0
	s_cmp_lg_u64 s[34:35], 0
	s_subb_u32 s39, s37, 0
	s_cmp_ge_u32 s39, s1
	s_cselect_b32 s40, -1, 0
	s_cmp_ge_u32 s38, s0
	s_cselect_b32 s41, -1, 0
	s_cmp_eq_u32 s39, s1
	s_cselect_b32 s40, s41, s40
	s_cmp_lg_u64 s[34:35], 0
	s_subb_u32 s37, s37, s1
	s_sub_u32 s41, s38, s0
	s_cselect_b64 s[34:35], -1, 0
	s_cmp_lg_u64 s[34:35], 0
	s_subb_u32 s34, s37, 0
	s_cmp_lg_u32 s40, 0
	s_cselect_b32 s35, s41, s38
	s_cselect_b32 s34, s34, s39
	s_cmp_lg_u64 s[28:29], 0
	s_subb_u32 s9, s9, s36
	s_cmp_ge_u32 s9, s1
	s_cselect_b32 s28, -1, 0
	s_cmp_ge_u32 s8, s0
	s_cselect_b32 s0, -1, 0
	s_cmp_eq_u32 s9, s1
	s_cselect_b32 s0, s0, s28
	s_cmp_lg_u32 s0, 0
	s_cselect_b32 s1, s34, s9
	s_cselect_b32 s0, s35, s8
	s_xor_b64 s[0:1], s[0:1], s[2:3]
	s_sub_u32 s0, s0, s2
	s_subb_u32 s1, s1, s2
	s_cbranch_execnz .LBB21_135
.LBB21_134:                             ;   in Loop: Header=BB21_16 Depth=1
	v_cvt_f32_u32_e32 v2, s33
	s_sub_i32 s0, 0, s33
	v_rcp_iflag_f32_e32 v2, v2
	v_mul_f32_e32 v2, 0x4f7ffffe, v2
	v_cvt_u32_f32_e32 v2, v2
	v_readfirstlane_b32 s1, v2
	s_mul_i32 s0, s0, s1
	s_mul_hi_u32 s0, s1, s0
	s_add_i32 s1, s1, s0
	s_mul_hi_u32 s0, s51, s1
	s_mul_i32 s0, s0, s33
	s_sub_i32 s0, s51, s0
	s_sub_i32 s1, s0, s33
	s_cmp_ge_u32 s0, s33
	s_cselect_b32 s0, s1, s0
	s_sub_i32 s1, s0, s33
	s_cmp_ge_u32 s0, s33
	s_cselect_b32 s82, s1, s0
	s_mov_b64 s[0:1], s[82:83]
.LBB21_135:                             ;   in Loop: Header=BB21_16 Depth=1
	s_sub_u32 s28, s51, s0
	s_subb_u32 s29, s81, s1
	v_cmp_gt_i64_e32 vcc, s[28:29], v[0:1]
	s_mov_b64 s[0:1], 0
	s_mov_b64 s[2:3], 0
                                        ; implicit-def: $vgpr26
	s_and_saveexec_b64 s[8:9], vcc
	s_cbranch_execz .LBB21_146
; %bb.136:                              ;   in Loop: Header=BB21_16 Depth=1
	v_mov_b32_e32 v2, v10
	v_mov_b32_e32 v9, v1
	v_mov_b32_e32 v3, v11
	v_mov_b32_e32 v8, v0
                                        ; implicit-def: $sgpr34_sgpr35
	s_branch .LBB21_139
.LBB21_137:                             ;   in Loop: Header=BB21_139 Depth=2
	s_or_b64 exec, exec, s[36:37]
	s_waitcnt lgkmcnt(0)
	s_barrier
	ds_read_b64 v[25:26], v13 offset:3072
	s_mov_b64 s[36:37], -1
	s_mov_b64 s[38:39], -1
	s_waitcnt lgkmcnt(0)
	s_barrier
	v_cmp_ne_u32_e32 vcc, 0, v25
	s_cbranch_vccz .LBB21_142
.LBB21_138:                             ;   in Loop: Header=BB21_139 Depth=2
	s_and_b64 s[36:37], exec, s[36:37]
	s_or_b64 s[2:3], s[36:37], s[2:3]
	s_andn2_b64 s[34:35], s[34:35], exec
	s_and_b64 s[36:37], s[38:39], exec
	s_or_b64 s[34:35], s[34:35], s[36:37]
	s_andn2_b64 exec, exec, s[2:3]
	s_cbranch_execz .LBB21_145
.LBB21_139:                             ;   Parent Loop BB21_16 Depth=1
                                        ; =>  This Inner Loop Header: Depth=2
	v_cmp_gt_i64_e32 vcc, s[56:57], v[8:9]
	s_and_saveexec_b64 s[36:37], vcc
	s_cbranch_execz .LBB21_137
; %bb.140:                              ;   in Loop: Header=BB21_139 Depth=2
	global_load_dword v25, v[2:3], off
	s_waitcnt vmcnt(0)
	v_xor_b32_e32 v26, 0x80000000, v25
	v_and_b32_e32 v26, v26, v47
	v_cmp_eq_u32_e32 vcc, v26, v44
	s_and_b64 exec, exec, vcc
	s_cbranch_execz .LBB21_137
; %bb.141:                              ;   in Loop: Header=BB21_139 Depth=2
	ds_write_b64 v13, v[24:25] offset:3072
	s_branch .LBB21_137
.LBB21_142:                             ;   in Loop: Header=BB21_139 Depth=2
	v_add_co_u32_e32 v8, vcc, s33, v8
	v_addc_co_u32_e32 v9, vcc, 0, v9, vcc
	v_mov_b32_e32 v25, s85
	v_add_co_u32_e32 v2, vcc, s84, v2
	v_addc_co_u32_e32 v3, vcc, v3, v25, vcc
	v_cmp_le_i64_e32 vcc, s[28:29], v[8:9]
	s_mov_b64 s[38:39], 0
	s_orn2_b64 s[36:37], vcc, exec
	s_branch .LBB21_138
.LBB21_143:                             ;   in Loop: Header=BB21_16 Depth=1
                                        ; implicit-def: $sgpr0_sgpr1
	s_branch .LBB21_91
.LBB21_144:                             ;   in Loop: Header=BB21_16 Depth=1
                                        ; implicit-def: $sgpr8_sgpr9
	s_branch .LBB21_105
.LBB21_145:                             ;   in Loop: Header=BB21_16 Depth=1
	s_or_b64 exec, exec, s[2:3]
	s_and_b64 s[2:3], s[34:35], exec
.LBB21_146:                             ;   in Loop: Header=BB21_16 Depth=1
	s_or_b64 exec, exec, s[8:9]
.LBB21_147:                             ;   in Loop: Header=BB21_16 Depth=1
	s_and_b64 vcc, exec, s[0:1]
	s_cbranch_vccz .LBB21_161
; %bb.148:                              ;   in Loop: Header=BB21_16 Depth=1
	s_add_u32 s22, s30, s89
	v_readlane_b32 s0, v56, 32
	s_addc_u32 s1, s31, s0
	s_mov_b32 s0, s83
	s_cmp_lg_u64 s[0:1], 0
	s_cbranch_scc0 .LBB21_190
; %bb.149:                              ;   in Loop: Header=BB21_16 Depth=1
	s_add_u32 s6, s33, 0
	s_addc_u32 s7, 0, 0
	s_xor_b64 s[6:7], s[6:7], 0
	v_cvt_f32_u32_e32 v2, s6
	v_cvt_f32_u32_e32 v3, s7
	s_sub_u32 s0, 0, s6
	s_subb_u32 s23, 0, s7
	v_mac_f32_e32 v2, 0x4f800000, v3
	v_rcp_f32_e32 v2, v2
	v_mul_f32_e32 v2, 0x5f7ffffc, v2
	v_mul_f32_e32 v3, 0x2f800000, v2
	v_trunc_f32_e32 v3, v3
	v_mac_f32_e32 v2, 0xcf800000, v3
	v_cvt_u32_f32_e32 v3, v3
	v_cvt_u32_f32_e32 v2, v2
	v_readfirstlane_b32 s28, v3
	v_readfirstlane_b32 s8, v2
	s_mul_i32 s9, s0, s28
	s_mul_hi_u32 s34, s0, s8
	s_mul_i32 s29, s23, s8
	s_add_i32 s9, s34, s9
	s_mul_i32 s35, s0, s8
	s_add_i32 s9, s9, s29
	s_mul_i32 s34, s8, s9
	s_mul_hi_u32 s36, s8, s35
	s_mul_hi_u32 s29, s8, s9
	s_add_u32 s34, s36, s34
	s_addc_u32 s29, 0, s29
	s_mul_hi_u32 s37, s28, s35
	s_mul_i32 s35, s28, s35
	s_add_u32 s34, s34, s35
	s_mul_hi_u32 s36, s28, s9
	s_addc_u32 s29, s29, s37
	s_addc_u32 s34, s36, 0
	s_mul_i32 s9, s28, s9
	s_add_u32 s9, s29, s9
	s_addc_u32 s29, 0, s34
	s_add_u32 s34, s8, s9
	s_cselect_b64 s[8:9], -1, 0
	s_cmp_lg_u64 s[8:9], 0
	s_addc_u32 s28, s28, s29
	s_mul_i32 s8, s0, s28
	s_mul_hi_u32 s9, s0, s34
	s_add_i32 s8, s9, s8
	s_mul_i32 s23, s23, s34
	s_add_i32 s8, s8, s23
	s_mul_i32 s0, s0, s34
	s_mul_hi_u32 s23, s28, s0
	s_mul_i32 s29, s28, s0
	s_mul_i32 s36, s34, s8
	s_mul_hi_u32 s0, s34, s0
	s_mul_hi_u32 s35, s34, s8
	s_add_u32 s0, s0, s36
	s_addc_u32 s35, 0, s35
	s_add_u32 s0, s0, s29
	s_mul_hi_u32 s9, s28, s8
	s_addc_u32 s0, s35, s23
	s_addc_u32 s9, s9, 0
	s_mul_i32 s8, s28, s8
	s_add_u32 s0, s0, s8
	s_addc_u32 s23, 0, s9
	s_add_u32 s0, s34, s0
	s_cselect_b64 s[8:9], -1, 0
	s_cmp_lg_u64 s[8:9], 0
	s_addc_u32 s23, s28, s23
	s_ashr_i32 s8, s1, 31
	s_add_u32 s28, s22, s8
	s_mov_b32 s9, s8
	s_addc_u32 s29, s1, s8
	s_xor_b64 s[28:29], s[28:29], s[8:9]
	s_mul_i32 s35, s28, s23
	s_mul_hi_u32 s36, s28, s0
	s_mul_hi_u32 s34, s28, s23
	s_add_u32 s35, s36, s35
	s_addc_u32 s34, 0, s34
	s_mul_hi_u32 s37, s29, s0
	s_mul_i32 s0, s29, s0
	s_add_u32 s0, s35, s0
	s_mul_hi_u32 s36, s29, s23
	s_addc_u32 s0, s34, s37
	s_addc_u32 s34, s36, 0
	s_mul_i32 s23, s29, s23
	s_add_u32 s0, s0, s23
	s_addc_u32 s23, 0, s34
	s_mul_i32 s23, s6, s23
	s_mul_hi_u32 s34, s6, s0
	s_add_i32 s23, s34, s23
	s_mul_i32 s34, s7, s0
	s_add_i32 s23, s23, s34
	s_sub_i32 s36, s29, s23
	s_mul_i32 s0, s6, s0
	s_sub_u32 s0, s28, s0
	s_cselect_b64 s[34:35], -1, 0
	s_cmp_lg_u64 s[34:35], 0
	s_subb_u32 s28, s36, s7
	s_sub_u32 s38, s0, s6
	s_cselect_b64 s[36:37], -1, 0
	s_cmp_lg_u64 s[36:37], 0
	s_subb_u32 s39, s28, 0
	s_cmp_ge_u32 s39, s7
	s_cselect_b32 s40, -1, 0
	s_cmp_ge_u32 s38, s6
	s_cselect_b32 s41, -1, 0
	s_cmp_eq_u32 s39, s7
	s_cselect_b32 s40, s41, s40
	s_cmp_lg_u64 s[36:37], 0
	s_subb_u32 s28, s28, s7
	s_sub_u32 s41, s38, s6
	s_cselect_b64 s[36:37], -1, 0
	s_cmp_lg_u64 s[36:37], 0
	s_subb_u32 s28, s28, 0
	s_cmp_lg_u32 s40, 0
	s_cselect_b32 s36, s41, s38
	s_cselect_b32 s28, s28, s39
	s_cmp_lg_u64 s[34:35], 0
	s_subb_u32 s23, s29, s23
	s_cmp_ge_u32 s23, s7
	s_cselect_b32 s29, -1, 0
	s_cmp_ge_u32 s0, s6
	s_cselect_b32 s6, -1, 0
	s_cmp_eq_u32 s23, s7
	s_cselect_b32 s6, s6, s29
	s_cmp_lg_u32 s6, 0
	s_cselect_b32 s7, s28, s23
	s_cselect_b32 s6, s36, s0
	s_xor_b64 s[6:7], s[6:7], s[8:9]
	s_sub_u32 s6, s6, s8
	s_subb_u32 s7, s7, s8
	s_cbranch_execnz .LBB21_151
.LBB21_150:                             ;   in Loop: Header=BB21_16 Depth=1
	v_cvt_f32_u32_e32 v2, s33
	s_sub_i32 s0, 0, s33
	v_rcp_iflag_f32_e32 v2, v2
	v_mul_f32_e32 v2, 0x4f7ffffe, v2
	v_cvt_u32_f32_e32 v2, v2
	v_readfirstlane_b32 s6, v2
	s_mul_i32 s0, s0, s6
	s_mul_hi_u32 s0, s6, s0
	s_add_i32 s6, s6, s0
	s_mul_hi_u32 s0, s22, s6
	s_mul_i32 s0, s0, s33
	s_sub_i32 s0, s22, s0
	s_sub_i32 s6, s0, s33
	s_cmp_ge_u32 s0, s33
	s_cselect_b32 s0, s6, s0
	s_sub_i32 s6, s0, s33
	s_cmp_ge_u32 s0, s33
	s_cselect_b32 s82, s6, s0
	s_mov_b64 s[6:7], s[82:83]
.LBB21_151:                             ;   in Loop: Header=BB21_16 Depth=1
	s_sub_u32 s6, s22, s6
	s_subb_u32 s7, s1, s7
	v_cmp_gt_i64_e32 vcc, s[6:7], v[0:1]
                                        ; implicit-def: $vgpr26
	s_and_saveexec_b64 s[0:1], vcc
	s_cbranch_execz .LBB21_160
; %bb.152:                              ;   in Loop: Header=BB21_16 Depth=1
	v_mov_b32_e32 v3, v1
	s_mov_b64 s[8:9], 0
	v_mov_b32_e32 v8, v14
	v_mov_b32_e32 v2, v0
                                        ; implicit-def: $sgpr22_sgpr23
	s_branch .LBB21_155
.LBB21_153:                             ;   in Loop: Header=BB21_155 Depth=2
	s_or_b64 exec, exec, s[28:29]
	s_waitcnt lgkmcnt(0)
	s_barrier
	ds_read_b64 v[25:26], v13 offset:3072
	s_mov_b64 s[28:29], -1
	s_mov_b64 s[34:35], -1
	s_waitcnt lgkmcnt(0)
	s_barrier
	v_cmp_eq_u32_e32 vcc, 0, v25
	s_cbranch_vccnz .LBB21_158
.LBB21_154:                             ;   in Loop: Header=BB21_155 Depth=2
	s_and_b64 s[28:29], exec, s[28:29]
	s_or_b64 s[8:9], s[28:29], s[8:9]
	s_andn2_b64 s[22:23], s[22:23], exec
	s_and_b64 s[28:29], s[34:35], exec
	s_or_b64 s[22:23], s[22:23], s[28:29]
	s_andn2_b64 exec, exec, s[8:9]
	s_cbranch_execz .LBB21_159
.LBB21_155:                             ;   Parent Loop BB21_16 Depth=1
                                        ; =>  This Inner Loop Header: Depth=2
	v_cmp_gt_u64_e32 vcc, s[30:31], v[2:3]
	s_and_saveexec_b64 s[28:29], vcc
	s_cbranch_execz .LBB21_153
; %bb.156:                              ;   in Loop: Header=BB21_155 Depth=2
	ds_read_b32 v25, v8
	s_waitcnt lgkmcnt(0)
	v_xor_b32_e32 v9, 0x80000000, v25
	v_and_b32_e32 v9, v9, v47
	v_cmp_eq_u32_e32 vcc, v9, v44
	s_and_b64 exec, exec, vcc
	s_cbranch_execz .LBB21_153
; %bb.157:                              ;   in Loop: Header=BB21_155 Depth=2
	ds_write_b64 v13, v[24:25] offset:3072
	s_branch .LBB21_153
.LBB21_158:                             ;   in Loop: Header=BB21_155 Depth=2
	v_add_co_u32_e32 v2, vcc, s33, v2
	v_addc_co_u32_e32 v3, vcc, 0, v3, vcc
	v_cmp_le_i64_e32 vcc, s[6:7], v[2:3]
	v_add_u32_e32 v8, s87, v8
	s_mov_b64 s[34:35], 0
	s_orn2_b64 s[28:29], vcc, exec
	s_branch .LBB21_154
.LBB21_159:                             ;   in Loop: Header=BB21_16 Depth=1
	s_or_b64 exec, exec, s[8:9]
	s_andn2_b64 s[2:3], s[2:3], exec
	s_and_b64 s[6:7], s[22:23], exec
	s_or_b64 s[2:3], s[2:3], s[6:7]
.LBB21_160:                             ;   in Loop: Header=BB21_16 Depth=1
	s_or_b64 exec, exec, s[0:1]
	s_mov_b64 s[6:7], 0
	s_mov_b64 s[22:23], -1
.LBB21_161:                             ;   in Loop: Header=BB21_16 Depth=1
	s_orn2_b64 s[0:1], s[2:3], exec
.LBB21_162:                             ;   in Loop: Header=BB21_16 Depth=1
	s_or_b64 exec, exec, s[24:25]
	s_mov_b64 s[2:3], 0
	s_and_saveexec_b64 s[24:25], s[0:1]
	s_cbranch_execz .LBB21_268
; %bb.163:                              ;   in Loop: Header=BB21_16 Depth=1
	v_mov_b32_e32 v2, 1
	s_xor_b64 s[8:9], s[26:27], -1
	v_mov_b32_e32 v12, 1
	v_mov_b32_e32 v3, 0
	s_and_saveexec_b64 s[0:1], s[8:9]
	s_cbranch_execz .LBB21_173
; %bb.164:                              ;   in Loop: Header=BB21_16 Depth=1
	v_cmp_le_i64_e32 vcc, v[6:7], v[4:5]
	s_and_saveexec_b64 s[2:3], vcc
	s_xor_b64 s[2:3], exec, s[2:3]
	s_cbranch_execz .LBB21_170
; %bb.165:                              ;   in Loop: Header=BB21_16 Depth=1
	v_and_b32_e32 v2, s48, v44
	v_lshl_or_b32 v44, 1, s88, v2
	ds_read_b64 v[2:3], v13 offset:5120
	v_or_b32_e32 v47, s54, v47
	s_waitcnt lgkmcnt(0)
	v_cmp_ne_u64_e32 vcc, 0, v[2:3]
	s_cbranch_vccnz .LBB21_169
; %bb.166:                              ;   in Loop: Header=BB21_16 Depth=1
	s_mov_b64 s[8:9], exec
	v_readlane_b32 s26, v56, 12
	v_readlane_b32 s27, v56, 13
	s_and_b64 s[26:27], s[8:9], s[26:27]
	s_mov_b64 exec, s[26:27]
; %bb.167:                              ;   in Loop: Header=BB21_16 Depth=1
	ds_write_b64 v13, v[4:5] offset:5128
; %bb.168:                              ;   in Loop: Header=BB21_16 Depth=1
	s_or_b64 exec, exec, s[8:9]
	s_waitcnt lgkmcnt(0)
	s_barrier
.LBB21_169:                             ;   in Loop: Header=BB21_16 Depth=1
                                        ; implicit-def: $vgpr2_vgpr3_vgpr4_vgpr5
.LBB21_170:                             ;   in Loop: Header=BB21_16 Depth=1
	s_or_saveexec_b64 s[2:3], s[2:3]
	s_mov_b64 s[8:9], 0
	v_mov_b32_e32 v12, 8
	s_xor_b64 exec, exec, s[2:3]
; %bb.171:                              ;   in Loop: Header=BB21_16 Depth=1
	v_sub_co_u32_e32 v6, vcc, v6, v4
	v_subb_co_u32_e32 v7, vcc, v7, v5, vcc
	v_mov_b32_e32 v12, 0
	s_mov_b64 s[8:9], exec
; %bb.172:                              ;   in Loop: Header=BB21_16 Depth=1
	s_or_b64 exec, exec, s[2:3]
	v_mov_b32_e32 v2, v6
	s_and_b64 s[2:3], s[8:9], exec
	v_mov_b32_e32 v3, v7
.LBB21_173:                             ;   in Loop: Header=BB21_16 Depth=1
	s_or_b64 exec, exec, s[0:1]
	s_mov_b64 s[0:1], -1
                                        ; implicit-def: $sgpr30_sgpr31
                                        ; implicit-def: $sgpr34_sgpr35
	s_and_saveexec_b64 s[26:27], s[2:3]
	s_cbranch_execz .LBB21_267
; %bb.174:                              ;   in Loop: Header=BB21_16 Depth=1
	s_cmp_eq_u64 s[20:21], 1
	v_cmp_eq_u64_e32 vcc, 1, v[2:3]
	s_cselect_b64 s[0:1], -1, 0
	s_and_b64 s[38:39], s[0:1], vcc
	s_mov_b64 s[0:1], -1
                                        ; implicit-def: $sgpr34_sgpr35
                                        ; implicit-def: $sgpr30_sgpr31
	s_and_saveexec_b64 s[36:37], s[38:39]
	s_cbranch_execz .LBB21_208
; %bb.175:                              ;   in Loop: Header=BB21_16 Depth=1
	ds_read_b64 v[4:5], v13 offset:5120
	s_waitcnt lgkmcnt(0)
	s_barrier
	v_readfirstlane_b32 s40, v4
	v_readfirstlane_b32 s41, v5
	s_and_saveexec_b64 s[0:1], s[52:53]
; %bb.176:                              ;   in Loop: Header=BB21_16 Depth=1
	ds_write_b32 v45, v13
; %bb.177:                              ;   in Loop: Header=BB21_16 Depth=1
	s_or_b64 exec, exec, s[0:1]
	v_cmp_gt_i64_e64 s[0:1], s[40:41], 0
	v_and_b32_e32 v4, s48, v44
	v_lshl_or_b32 v44, 2, s88, v4
	v_or_b32_e32 v47, s54, v47
	s_mov_b64 s[30:31], -1
	s_mov_b64 s[34:35], 0
	s_and_b64 vcc, exec, s[0:1]
	s_mov_b64 s[2:3], 0
	s_mov_b64 s[0:1], -1
	s_waitcnt lgkmcnt(0)
	s_barrier
                                        ; implicit-def: $vgpr26
	s_cbranch_vccnz .LBB21_193
; %bb.178:                              ;   in Loop: Header=BB21_16 Depth=1
	s_mov_b32 s80, s83
	s_cmp_lg_u64 s[80:81], 0
	s_cbranch_scc0 .LBB21_234
; %bb.179:                              ;   in Loop: Header=BB21_16 Depth=1
	s_add_u32 s0, s33, 0
	s_addc_u32 s1, 0, 0
	s_xor_b64 s[0:1], s[0:1], 0
	v_cvt_f32_u32_e32 v4, s0
	v_cvt_f32_u32_e32 v5, s1
	s_sub_u32 s8, 0, s0
	s_subb_u32 s9, 0, s1
	v_mac_f32_e32 v4, 0x4f800000, v5
	v_rcp_f32_e32 v4, v4
	v_mul_f32_e32 v4, 0x5f7ffffc, v4
	v_mul_f32_e32 v5, 0x2f800000, v4
	v_trunc_f32_e32 v5, v5
	v_mac_f32_e32 v4, 0xcf800000, v5
	v_cvt_u32_f32_e32 v5, v5
	v_cvt_u32_f32_e32 v4, v4
	v_readfirstlane_b32 s28, v5
	v_readfirstlane_b32 s2, v4
	s_mul_i32 s3, s8, s28
	s_mul_hi_u32 s42, s8, s2
	s_mul_i32 s29, s9, s2
	s_add_i32 s3, s42, s3
	s_mul_i32 s43, s8, s2
	s_add_i32 s3, s3, s29
	s_mul_i32 s42, s2, s3
	s_mul_hi_u32 s44, s2, s43
	s_mul_hi_u32 s29, s2, s3
	s_add_u32 s42, s44, s42
	s_addc_u32 s29, 0, s29
	s_mul_hi_u32 s45, s28, s43
	s_mul_i32 s43, s28, s43
	s_add_u32 s42, s42, s43
	s_mul_hi_u32 s44, s28, s3
	s_addc_u32 s29, s29, s45
	s_addc_u32 s42, s44, 0
	s_mul_i32 s3, s28, s3
	s_add_u32 s3, s29, s3
	s_addc_u32 s29, 0, s42
	s_add_u32 s42, s2, s3
	s_cselect_b64 s[2:3], -1, 0
	s_cmp_lg_u64 s[2:3], 0
	s_addc_u32 s28, s28, s29
	s_mul_i32 s2, s8, s28
	s_mul_hi_u32 s3, s8, s42
	s_add_i32 s2, s3, s2
	s_mul_i32 s9, s9, s42
	s_add_i32 s2, s2, s9
	s_mul_i32 s8, s8, s42
	s_mul_hi_u32 s9, s28, s8
	s_mul_i32 s29, s28, s8
	s_mul_i32 s44, s42, s2
	s_mul_hi_u32 s8, s42, s8
	s_mul_hi_u32 s43, s42, s2
	s_add_u32 s8, s8, s44
	s_addc_u32 s43, 0, s43
	s_add_u32 s8, s8, s29
	s_mul_hi_u32 s3, s28, s2
	s_addc_u32 s8, s43, s9
	s_addc_u32 s3, s3, 0
	s_mul_i32 s2, s28, s2
	s_add_u32 s2, s8, s2
	s_addc_u32 s8, 0, s3
	s_add_u32 s29, s42, s2
	s_cselect_b64 s[2:3], -1, 0
	s_cmp_lg_u64 s[2:3], 0
	s_addc_u32 s28, s28, s8
	s_ashr_i32 s2, s81, 31
	s_add_u32 s8, s51, s2
	s_mov_b32 s3, s2
	s_addc_u32 s9, s81, s2
	s_xor_b64 s[8:9], s[8:9], s[2:3]
	s_mul_i32 s43, s8, s28
	s_mul_hi_u32 s44, s8, s29
	s_mul_hi_u32 s42, s8, s28
	s_add_u32 s43, s44, s43
	s_addc_u32 s42, 0, s42
	s_mul_hi_u32 s45, s9, s29
	s_mul_i32 s29, s9, s29
	s_add_u32 s29, s43, s29
	s_mul_hi_u32 s44, s9, s28
	s_addc_u32 s29, s42, s45
	s_addc_u32 s42, s44, 0
	s_mul_i32 s28, s9, s28
	s_add_u32 s28, s29, s28
	s_addc_u32 s29, 0, s42
	s_mul_i32 s29, s0, s29
	s_mul_hi_u32 s42, s0, s28
	s_add_i32 s29, s42, s29
	s_mul_i32 s42, s1, s28
	s_add_i32 s44, s29, s42
	s_sub_i32 s42, s9, s44
	s_mul_i32 s28, s0, s28
	s_sub_u32 s8, s8, s28
	s_cselect_b64 s[28:29], -1, 0
	s_cmp_lg_u64 s[28:29], 0
	s_subb_u32 s45, s42, s1
	s_sub_u32 s46, s8, s0
	s_cselect_b64 s[42:43], -1, 0
	s_cmp_lg_u64 s[42:43], 0
	s_subb_u32 s47, s45, 0
	s_cmp_ge_u32 s47, s1
	s_cselect_b32 s49, -1, 0
	s_cmp_ge_u32 s46, s0
	s_cselect_b32 s50, -1, 0
	s_cmp_eq_u32 s47, s1
	s_cselect_b32 s49, s50, s49
	s_cmp_lg_u64 s[42:43], 0
	s_subb_u32 s45, s45, s1
	s_sub_u32 s50, s46, s0
	s_cselect_b64 s[42:43], -1, 0
	s_cmp_lg_u64 s[42:43], 0
	s_subb_u32 s42, s45, 0
	s_cmp_lg_u32 s49, 0
	s_cselect_b32 s43, s50, s46
	s_cselect_b32 s42, s42, s47
	s_cmp_lg_u64 s[28:29], 0
	s_subb_u32 s9, s9, s44
	s_cmp_ge_u32 s9, s1
	s_cselect_b32 s28, -1, 0
	s_cmp_ge_u32 s8, s0
	s_cselect_b32 s0, -1, 0
	s_cmp_eq_u32 s9, s1
	s_cselect_b32 s0, s0, s28
	s_cmp_lg_u32 s0, 0
	s_cselect_b32 s1, s42, s9
	s_cselect_b32 s0, s43, s8
	s_xor_b64 s[0:1], s[0:1], s[2:3]
	s_sub_u32 s0, s0, s2
	s_subb_u32 s1, s1, s2
	s_cbranch_execnz .LBB21_181
.LBB21_180:                             ;   in Loop: Header=BB21_16 Depth=1
	v_cvt_f32_u32_e32 v4, s33
	s_sub_i32 s0, 0, s33
	v_rcp_iflag_f32_e32 v4, v4
	v_mul_f32_e32 v4, 0x4f7ffffe, v4
	v_cvt_u32_f32_e32 v4, v4
	v_readfirstlane_b32 s1, v4
	s_mul_i32 s0, s0, s1
	s_mul_hi_u32 s0, s1, s0
	s_add_i32 s1, s1, s0
	s_mul_hi_u32 s0, s51, s1
	s_mul_i32 s0, s0, s33
	s_sub_i32 s0, s51, s0
	s_sub_i32 s1, s0, s33
	s_cmp_ge_u32 s0, s33
	s_cselect_b32 s0, s1, s0
	s_sub_i32 s1, s0, s33
	s_cmp_ge_u32 s0, s33
	s_cselect_b32 s82, s1, s0
	s_mov_b64 s[0:1], s[82:83]
.LBB21_181:                             ;   in Loop: Header=BB21_16 Depth=1
	s_sub_u32 s28, s51, s0
	s_subb_u32 s29, s81, s1
	v_cmp_gt_i64_e32 vcc, s[28:29], v[0:1]
	s_mov_b64 s[0:1], 0
	s_mov_b64 s[2:3], 0
                                        ; implicit-def: $vgpr26
	s_and_saveexec_b64 s[8:9], vcc
	s_cbranch_execz .LBB21_192
; %bb.182:                              ;   in Loop: Header=BB21_16 Depth=1
	v_mov_b32_e32 v4, v10
	v_mov_b32_e32 v7, v1
	;; [unrolled: 1-line block ×4, first 2 shown]
                                        ; implicit-def: $sgpr42_sgpr43
	s_branch .LBB21_185
.LBB21_183:                             ;   in Loop: Header=BB21_185 Depth=2
	s_or_b64 exec, exec, s[44:45]
	s_waitcnt lgkmcnt(0)
	s_barrier
	ds_read_b64 v[25:26], v13 offset:3072
	s_mov_b64 s[44:45], -1
	s_mov_b64 s[46:47], -1
	s_waitcnt lgkmcnt(0)
	s_barrier
	v_cmp_ne_u32_e32 vcc, 0, v25
	s_cbranch_vccz .LBB21_188
.LBB21_184:                             ;   in Loop: Header=BB21_185 Depth=2
	s_and_b64 s[44:45], exec, s[44:45]
	s_or_b64 s[2:3], s[44:45], s[2:3]
	s_andn2_b64 s[42:43], s[42:43], exec
	s_and_b64 s[44:45], s[46:47], exec
	s_or_b64 s[42:43], s[42:43], s[44:45]
	s_andn2_b64 exec, exec, s[2:3]
	s_cbranch_execz .LBB21_191
.LBB21_185:                             ;   Parent Loop BB21_16 Depth=1
                                        ; =>  This Inner Loop Header: Depth=2
	v_cmp_gt_i64_e32 vcc, s[56:57], v[6:7]
	s_and_saveexec_b64 s[44:45], vcc
	s_cbranch_execz .LBB21_183
; %bb.186:                              ;   in Loop: Header=BB21_185 Depth=2
	global_load_dword v25, v[4:5], off
	s_waitcnt vmcnt(0)
	v_xor_b32_e32 v8, 0x80000000, v25
	v_and_b32_e32 v8, v8, v47
	v_cmp_eq_u32_e32 vcc, v8, v44
	s_and_b64 exec, exec, vcc
	s_cbranch_execz .LBB21_183
; %bb.187:                              ;   in Loop: Header=BB21_185 Depth=2
	ds_write_b64 v13, v[24:25] offset:3072
	s_branch .LBB21_183
.LBB21_188:                             ;   in Loop: Header=BB21_185 Depth=2
	v_add_co_u32_e32 v6, vcc, s33, v6
	v_addc_co_u32_e32 v7, vcc, 0, v7, vcc
	v_mov_b32_e32 v8, s85
	v_add_co_u32_e32 v4, vcc, s84, v4
	v_addc_co_u32_e32 v5, vcc, v5, v8, vcc
	v_cmp_le_i64_e32 vcc, s[28:29], v[6:7]
	s_mov_b64 s[46:47], 0
	s_orn2_b64 s[44:45], vcc, exec
	s_branch .LBB21_184
.LBB21_189:                             ;   in Loop: Header=BB21_16 Depth=1
                                        ; implicit-def: $sgpr0_sgpr1
	s_branch .LBB21_134
.LBB21_190:                             ;   in Loop: Header=BB21_16 Depth=1
                                        ; implicit-def: $sgpr6_sgpr7
	s_branch .LBB21_150
.LBB21_191:                             ;   in Loop: Header=BB21_16 Depth=1
	s_or_b64 exec, exec, s[2:3]
	s_and_b64 s[2:3], s[42:43], exec
.LBB21_192:                             ;   in Loop: Header=BB21_16 Depth=1
	s_or_b64 exec, exec, s[8:9]
.LBB21_193:                             ;   in Loop: Header=BB21_16 Depth=1
	s_and_b64 vcc, exec, s[0:1]
	s_cbranch_vccz .LBB21_207
; %bb.194:                              ;   in Loop: Header=BB21_16 Depth=1
	s_add_u32 s30, s40, s89
	v_readlane_b32 s0, v56, 32
	s_addc_u32 s1, s41, s0
	s_mov_b32 s0, s83
	s_cmp_lg_u64 s[0:1], 0
	s_cbranch_scc0 .LBB21_235
; %bb.195:                              ;   in Loop: Header=BB21_16 Depth=1
	s_add_u32 s8, s33, 0
	s_addc_u32 s9, 0, 0
	s_xor_b64 s[8:9], s[8:9], 0
	v_cvt_f32_u32_e32 v4, s8
	v_cvt_f32_u32_e32 v5, s9
	s_sub_u32 s0, 0, s8
	s_subb_u32 s31, 0, s9
	v_mac_f32_e32 v4, 0x4f800000, v5
	v_rcp_f32_e32 v4, v4
	v_mul_f32_e32 v4, 0x5f7ffffc, v4
	v_mul_f32_e32 v5, 0x2f800000, v4
	v_trunc_f32_e32 v5, v5
	v_mac_f32_e32 v4, 0xcf800000, v5
	v_cvt_u32_f32_e32 v5, v5
	v_cvt_u32_f32_e32 v4, v4
	v_readfirstlane_b32 s34, v5
	v_readfirstlane_b32 s28, v4
	s_mul_i32 s29, s0, s34
	s_mul_hi_u32 s42, s0, s28
	s_mul_i32 s35, s31, s28
	s_add_i32 s29, s42, s29
	s_mul_i32 s43, s0, s28
	s_add_i32 s29, s29, s35
	s_mul_i32 s42, s28, s29
	s_mul_hi_u32 s44, s28, s43
	s_mul_hi_u32 s35, s28, s29
	s_add_u32 s42, s44, s42
	s_addc_u32 s35, 0, s35
	s_mul_hi_u32 s45, s34, s43
	s_mul_i32 s43, s34, s43
	s_add_u32 s42, s42, s43
	s_mul_hi_u32 s44, s34, s29
	s_addc_u32 s35, s35, s45
	s_addc_u32 s42, s44, 0
	s_mul_i32 s29, s34, s29
	s_add_u32 s29, s35, s29
	s_addc_u32 s35, 0, s42
	s_add_u32 s42, s28, s29
	s_cselect_b64 s[28:29], -1, 0
	s_cmp_lg_u64 s[28:29], 0
	s_addc_u32 s34, s34, s35
	s_mul_i32 s28, s0, s34
	s_mul_hi_u32 s29, s0, s42
	s_add_i32 s28, s29, s28
	s_mul_i32 s31, s31, s42
	s_add_i32 s28, s28, s31
	s_mul_i32 s0, s0, s42
	s_mul_hi_u32 s31, s34, s0
	s_mul_i32 s35, s34, s0
	s_mul_i32 s44, s42, s28
	s_mul_hi_u32 s0, s42, s0
	s_mul_hi_u32 s43, s42, s28
	s_add_u32 s0, s0, s44
	s_addc_u32 s43, 0, s43
	s_add_u32 s0, s0, s35
	s_mul_hi_u32 s29, s34, s28
	s_addc_u32 s0, s43, s31
	s_addc_u32 s29, s29, 0
	s_mul_i32 s28, s34, s28
	s_add_u32 s0, s0, s28
	s_addc_u32 s31, 0, s29
	s_add_u32 s0, s42, s0
	s_cselect_b64 s[28:29], -1, 0
	s_cmp_lg_u64 s[28:29], 0
	s_addc_u32 s31, s34, s31
	s_ashr_i32 s28, s1, 31
	s_add_u32 s34, s30, s28
	s_mov_b32 s29, s28
	s_addc_u32 s35, s1, s28
	s_xor_b64 s[34:35], s[34:35], s[28:29]
	s_mul_i32 s43, s34, s31
	s_mul_hi_u32 s44, s34, s0
	s_mul_hi_u32 s42, s34, s31
	s_add_u32 s43, s44, s43
	s_addc_u32 s42, 0, s42
	s_mul_hi_u32 s45, s35, s0
	s_mul_i32 s0, s35, s0
	s_add_u32 s0, s43, s0
	s_mul_hi_u32 s44, s35, s31
	s_addc_u32 s0, s42, s45
	s_addc_u32 s42, s44, 0
	s_mul_i32 s31, s35, s31
	s_add_u32 s0, s0, s31
	s_addc_u32 s31, 0, s42
	s_mul_i32 s31, s8, s31
	s_mul_hi_u32 s42, s8, s0
	s_add_i32 s31, s42, s31
	s_mul_i32 s42, s9, s0
	s_add_i32 s31, s31, s42
	s_sub_i32 s44, s35, s31
	s_mul_i32 s0, s8, s0
	s_sub_u32 s0, s34, s0
	s_cselect_b64 s[42:43], -1, 0
	s_cmp_lg_u64 s[42:43], 0
	s_subb_u32 s34, s44, s9
	s_sub_u32 s46, s0, s8
	s_cselect_b64 s[44:45], -1, 0
	s_cmp_lg_u64 s[44:45], 0
	s_subb_u32 s47, s34, 0
	s_cmp_ge_u32 s47, s9
	s_cselect_b32 s49, -1, 0
	s_cmp_ge_u32 s46, s8
	s_cselect_b32 s50, -1, 0
	s_cmp_eq_u32 s47, s9
	s_cselect_b32 s49, s50, s49
	s_cmp_lg_u64 s[44:45], 0
	s_subb_u32 s34, s34, s9
	s_sub_u32 s50, s46, s8
	s_cselect_b64 s[44:45], -1, 0
	s_cmp_lg_u64 s[44:45], 0
	s_subb_u32 s34, s34, 0
	s_cmp_lg_u32 s49, 0
	s_cselect_b32 s44, s50, s46
	s_cselect_b32 s34, s34, s47
	s_cmp_lg_u64 s[42:43], 0
	s_subb_u32 s31, s35, s31
	s_cmp_ge_u32 s31, s9
	s_cselect_b32 s35, -1, 0
	s_cmp_ge_u32 s0, s8
	s_cselect_b32 s8, -1, 0
	s_cmp_eq_u32 s31, s9
	s_cselect_b32 s8, s8, s35
	s_cmp_lg_u32 s8, 0
	s_cselect_b32 s9, s34, s31
	s_cselect_b32 s8, s44, s0
	s_xor_b64 s[8:9], s[8:9], s[28:29]
	s_sub_u32 s8, s8, s28
	s_subb_u32 s9, s9, s28
	s_cbranch_execnz .LBB21_197
.LBB21_196:                             ;   in Loop: Header=BB21_16 Depth=1
	v_cvt_f32_u32_e32 v4, s33
	s_sub_i32 s0, 0, s33
	v_rcp_iflag_f32_e32 v4, v4
	v_mul_f32_e32 v4, 0x4f7ffffe, v4
	v_cvt_u32_f32_e32 v4, v4
	v_readfirstlane_b32 s8, v4
	s_mul_i32 s0, s0, s8
	s_mul_hi_u32 s0, s8, s0
	s_add_i32 s8, s8, s0
	s_mul_hi_u32 s0, s30, s8
	s_mul_i32 s0, s0, s33
	s_sub_i32 s0, s30, s0
	s_sub_i32 s8, s0, s33
	s_cmp_ge_u32 s0, s33
	s_cselect_b32 s0, s8, s0
	s_sub_i32 s8, s0, s33
	s_cmp_ge_u32 s0, s33
	s_cselect_b32 s82, s8, s0
	s_mov_b64 s[8:9], s[82:83]
.LBB21_197:                             ;   in Loop: Header=BB21_16 Depth=1
	s_sub_u32 s8, s30, s8
	s_subb_u32 s9, s1, s9
	v_cmp_gt_i64_e32 vcc, s[8:9], v[0:1]
                                        ; implicit-def: $vgpr26
	s_and_saveexec_b64 s[0:1], vcc
	s_cbranch_execz .LBB21_206
; %bb.198:                              ;   in Loop: Header=BB21_16 Depth=1
	v_mov_b32_e32 v5, v1
	s_mov_b64 s[28:29], 0
	v_mov_b32_e32 v6, v14
	v_mov_b32_e32 v4, v0
                                        ; implicit-def: $sgpr30_sgpr31
	s_branch .LBB21_201
.LBB21_199:                             ;   in Loop: Header=BB21_201 Depth=2
	s_or_b64 exec, exec, s[34:35]
	s_waitcnt lgkmcnt(0)
	s_barrier
	ds_read_b64 v[25:26], v13 offset:3072
	s_mov_b64 s[34:35], -1
	s_mov_b64 s[42:43], -1
	s_waitcnt lgkmcnt(0)
	s_barrier
	v_cmp_eq_u32_e32 vcc, 0, v25
	s_cbranch_vccnz .LBB21_204
.LBB21_200:                             ;   in Loop: Header=BB21_201 Depth=2
	s_and_b64 s[34:35], exec, s[34:35]
	s_or_b64 s[28:29], s[34:35], s[28:29]
	s_andn2_b64 s[30:31], s[30:31], exec
	s_and_b64 s[34:35], s[42:43], exec
	s_or_b64 s[30:31], s[30:31], s[34:35]
	s_andn2_b64 exec, exec, s[28:29]
	s_cbranch_execz .LBB21_205
.LBB21_201:                             ;   Parent Loop BB21_16 Depth=1
                                        ; =>  This Inner Loop Header: Depth=2
	v_cmp_gt_u64_e32 vcc, s[40:41], v[4:5]
	s_and_saveexec_b64 s[34:35], vcc
	s_cbranch_execz .LBB21_199
; %bb.202:                              ;   in Loop: Header=BB21_201 Depth=2
	ds_read_b32 v25, v6
	s_waitcnt lgkmcnt(0)
	v_xor_b32_e32 v7, 0x80000000, v25
	v_and_b32_e32 v7, v7, v47
	v_cmp_eq_u32_e32 vcc, v7, v44
	s_and_b64 exec, exec, vcc
	s_cbranch_execz .LBB21_199
; %bb.203:                              ;   in Loop: Header=BB21_201 Depth=2
	ds_write_b64 v13, v[24:25] offset:3072
	s_branch .LBB21_199
.LBB21_204:                             ;   in Loop: Header=BB21_201 Depth=2
	v_add_co_u32_e32 v4, vcc, s33, v4
	v_addc_co_u32_e32 v5, vcc, 0, v5, vcc
	v_cmp_le_i64_e32 vcc, s[8:9], v[4:5]
	v_add_u32_e32 v6, s87, v6
	s_mov_b64 s[42:43], 0
	s_orn2_b64 s[34:35], vcc, exec
	s_branch .LBB21_200
.LBB21_205:                             ;   in Loop: Header=BB21_16 Depth=1
	s_or_b64 exec, exec, s[28:29]
	s_andn2_b64 s[2:3], s[2:3], exec
	s_and_b64 s[8:9], s[30:31], exec
	s_or_b64 s[2:3], s[2:3], s[8:9]
.LBB21_206:                             ;   in Loop: Header=BB21_16 Depth=1
	s_or_b64 exec, exec, s[0:1]
	s_mov_b64 s[30:31], 0
	s_mov_b64 s[34:35], -1
.LBB21_207:                             ;   in Loop: Header=BB21_16 Depth=1
	s_orn2_b64 s[0:1], s[2:3], exec
.LBB21_208:                             ;   in Loop: Header=BB21_16 Depth=1
	s_or_b64 exec, exec, s[36:37]
	s_mov_b64 s[2:3], 0
	s_and_saveexec_b64 s[36:37], s[0:1]
	s_cbranch_execz .LBB21_266
; %bb.209:                              ;   in Loop: Header=BB21_16 Depth=1
	v_mov_b32_e32 v4, 1
	s_xor_b64 s[8:9], s[38:39], -1
	v_mov_b32_e32 v12, 1
	v_mov_b32_e32 v5, 0
	s_and_saveexec_b64 s[0:1], s[8:9]
	s_cbranch_execz .LBB21_218
; %bb.210:                              ;   in Loop: Header=BB21_16 Depth=1
	v_cmp_ge_i64_e32 vcc, s[20:21], v[2:3]
	s_and_saveexec_b64 s[2:3], vcc
	s_xor_b64 s[2:3], exec, s[2:3]
	s_cbranch_execz .LBB21_215
; %bb.211:                              ;   in Loop: Header=BB21_16 Depth=1
	v_and_b32_e32 v4, s48, v44
	v_lshl_or_b32 v44, 2, s88, v4
	ds_read_b64 v[4:5], v13 offset:5120
	v_or_b32_e32 v47, s54, v47
	s_waitcnt lgkmcnt(0)
	v_cmp_ne_u64_e32 vcc, 0, v[4:5]
	s_cbranch_vccnz .LBB21_215
; %bb.212:                              ;   in Loop: Header=BB21_16 Depth=1
	s_mov_b64 s[8:9], exec
	v_readlane_b32 s28, v56, 12
	v_readlane_b32 s29, v56, 13
	s_and_b64 s[28:29], s[8:9], s[28:29]
	s_mov_b64 exec, s[28:29]
; %bb.213:                              ;   in Loop: Header=BB21_16 Depth=1
	v_mov_b32_e32 v4, s20
	v_mov_b32_e32 v5, s21
	ds_write_b64 v13, v[4:5] offset:5128
; %bb.214:                              ;   in Loop: Header=BB21_16 Depth=1
	s_or_b64 exec, exec, s[8:9]
	s_waitcnt lgkmcnt(0)
	s_barrier
.LBB21_215:                             ;   in Loop: Header=BB21_16 Depth=1
	s_or_saveexec_b64 s[2:3], s[2:3]
	s_mov_b64 s[8:9], 0
	v_mov_b32_e32 v12, 8
	s_xor_b64 exec, exec, s[2:3]
; %bb.216:                              ;   in Loop: Header=BB21_16 Depth=1
	v_subrev_co_u32_e32 v2, vcc, s20, v2
	v_mov_b32_e32 v4, s21
	v_subb_co_u32_e32 v3, vcc, v3, v4, vcc
	v_mov_b32_e32 v12, 0
	s_mov_b64 s[8:9], exec
; %bb.217:                              ;   in Loop: Header=BB21_16 Depth=1
	s_or_b64 exec, exec, s[2:3]
	v_mov_b32_e32 v5, v3
	s_and_b64 s[2:3], s[8:9], exec
	v_mov_b32_e32 v4, v2
.LBB21_218:                             ;   in Loop: Header=BB21_16 Depth=1
	s_or_b64 exec, exec, s[0:1]
	s_mov_b64 s[0:1], -1
                                        ; implicit-def: $sgpr46_sgpr47
                                        ; implicit-def: $sgpr44_sgpr45
	s_and_saveexec_b64 s[20:21], s[2:3]
	s_cbranch_execz .LBB21_265
; %bb.219:                              ;   in Loop: Header=BB21_16 Depth=1
	s_cmp_eq_u64 s[12:13], 1
	v_cmp_eq_u64_e32 vcc, 1, v[4:5]
	s_cselect_b64 s[0:1], -1, 0
	s_and_b64 s[38:39], s[0:1], vcc
	s_mov_b64 s[2:3], -1
                                        ; implicit-def: $sgpr46_sgpr47
                                        ; implicit-def: $sgpr44_sgpr45
	s_and_saveexec_b64 s[40:41], s[38:39]
	s_cbranch_execz .LBB21_253
; %bb.220:                              ;   in Loop: Header=BB21_16 Depth=1
	ds_read_b64 v[2:3], v13 offset:5120
	s_waitcnt lgkmcnt(0)
	s_barrier
	v_readfirstlane_b32 s42, v2
	v_readfirstlane_b32 s43, v3
	s_and_saveexec_b64 s[0:1], s[52:53]
; %bb.221:                              ;   in Loop: Header=BB21_16 Depth=1
	ds_write_b32 v45, v13
; %bb.222:                              ;   in Loop: Header=BB21_16 Depth=1
	s_or_b64 exec, exec, s[0:1]
	v_cmp_gt_i64_e64 s[0:1], s[42:43], 0
	v_or_b32_e32 v44, s54, v44
	v_or_b32_e32 v47, s54, v47
	s_mov_b64 s[44:45], -1
	s_mov_b64 s[46:47], 0
	s_and_b64 vcc, exec, s[0:1]
	s_mov_b64 s[2:3], 0
	s_mov_b64 s[0:1], -1
	s_waitcnt lgkmcnt(0)
	s_barrier
                                        ; implicit-def: $vgpr26
	s_cbranch_vccnz .LBB21_238
; %bb.223:                              ;   in Loop: Header=BB21_16 Depth=1
	s_mov_b32 s80, s83
	s_cmp_lg_u64 s[80:81], 0
	s_cbranch_scc0 .LBB21_272
; %bb.224:                              ;   in Loop: Header=BB21_16 Depth=1
	s_add_u32 s0, s33, 0
	s_addc_u32 s1, 0, 0
	s_xor_b64 s[0:1], s[0:1], 0
	v_cvt_f32_u32_e32 v2, s0
	v_cvt_f32_u32_e32 v3, s1
	s_sub_u32 s8, 0, s0
	s_subb_u32 s9, 0, s1
	v_mac_f32_e32 v2, 0x4f800000, v3
	v_rcp_f32_e32 v2, v2
	v_mul_f32_e32 v2, 0x5f7ffffc, v2
	v_mul_f32_e32 v3, 0x2f800000, v2
	v_trunc_f32_e32 v3, v3
	v_mac_f32_e32 v2, 0xcf800000, v3
	v_cvt_u32_f32_e32 v3, v3
	v_cvt_u32_f32_e32 v2, v2
	v_readfirstlane_b32 s28, v3
	v_readfirstlane_b32 s2, v2
	s_mul_i32 s3, s8, s28
	s_mul_hi_u32 s48, s8, s2
	s_mul_i32 s29, s9, s2
	s_add_i32 s3, s48, s3
	s_mul_i32 s49, s8, s2
	s_add_i32 s3, s3, s29
	s_mul_i32 s48, s2, s3
	s_mul_hi_u32 s50, s2, s49
	s_mul_hi_u32 s29, s2, s3
	s_add_u32 s48, s50, s48
	s_addc_u32 s29, 0, s29
	s_mul_hi_u32 s51, s28, s49
	s_mul_i32 s49, s28, s49
	s_add_u32 s48, s48, s49
	s_mul_hi_u32 s50, s28, s3
	s_addc_u32 s29, s29, s51
	s_addc_u32 s48, s50, 0
	s_mul_i32 s3, s28, s3
	s_add_u32 s3, s29, s3
	s_addc_u32 s29, 0, s48
	s_add_u32 s48, s2, s3
	s_cselect_b64 s[2:3], -1, 0
	s_cmp_lg_u64 s[2:3], 0
	s_addc_u32 s28, s28, s29
	s_mul_i32 s2, s8, s28
	s_mul_hi_u32 s3, s8, s48
	s_add_i32 s2, s3, s2
	s_mul_i32 s9, s9, s48
	s_add_i32 s2, s2, s9
	s_mul_i32 s8, s8, s48
	s_mul_hi_u32 s9, s28, s8
	s_mul_i32 s29, s28, s8
	s_mul_i32 s50, s48, s2
	s_mul_hi_u32 s8, s48, s8
	s_mul_hi_u32 s49, s48, s2
	s_add_u32 s8, s8, s50
	s_addc_u32 s49, 0, s49
	s_add_u32 s8, s8, s29
	s_mul_hi_u32 s3, s28, s2
	s_addc_u32 s8, s49, s9
	s_addc_u32 s3, s3, 0
	s_mul_i32 s2, s28, s2
	s_add_u32 s2, s8, s2
	s_addc_u32 s8, 0, s3
	s_add_u32 s29, s48, s2
	s_cselect_b64 s[2:3], -1, 0
	s_cmp_lg_u64 s[2:3], 0
	s_addc_u32 s28, s28, s8
	s_ashr_i32 s2, s81, 31
	v_readlane_b32 s8, v56, 45
	s_add_u32 s8, s8, s2
	s_mov_b32 s3, s2
	s_addc_u32 s9, s81, s2
	s_xor_b64 s[8:9], s[8:9], s[2:3]
	s_mul_i32 s49, s8, s28
	s_mul_hi_u32 s50, s8, s29
	s_mul_hi_u32 s48, s8, s28
	s_add_u32 s49, s50, s49
	s_addc_u32 s48, 0, s48
	s_mul_hi_u32 s51, s9, s29
	s_mul_i32 s29, s9, s29
	s_add_u32 s29, s49, s29
	s_mul_hi_u32 s50, s9, s28
	s_addc_u32 s29, s48, s51
	s_addc_u32 s48, s50, 0
	s_mul_i32 s28, s9, s28
	s_add_u32 s28, s29, s28
	s_addc_u32 s29, 0, s48
	s_mul_i32 s29, s0, s29
	s_mul_hi_u32 s48, s0, s28
	s_add_i32 s29, s48, s29
	s_mul_i32 s48, s1, s28
	s_add_i32 s50, s29, s48
	s_sub_i32 s48, s9, s50
	s_mul_i32 s28, s0, s28
	s_sub_u32 s8, s8, s28
	s_cselect_b64 s[28:29], -1, 0
	s_cmp_lg_u64 s[28:29], 0
	s_subb_u32 s51, s48, s1
	s_sub_u32 s52, s8, s0
	s_cselect_b64 s[48:49], -1, 0
	s_cmp_lg_u64 s[48:49], 0
	s_subb_u32 s53, s51, 0
	s_cmp_ge_u32 s53, s1
	s_cselect_b32 s55, -1, 0
	s_cmp_ge_u32 s52, s0
	s_cselect_b32 s58, -1, 0
	s_cmp_eq_u32 s53, s1
	s_cselect_b32 s55, s58, s55
	s_cmp_lg_u64 s[48:49], 0
	s_subb_u32 s51, s51, s1
	s_sub_u32 s58, s52, s0
	s_cselect_b64 s[48:49], -1, 0
	s_cmp_lg_u64 s[48:49], 0
	s_subb_u32 s48, s51, 0
	s_cmp_lg_u32 s55, 0
	s_cselect_b32 s49, s58, s52
	s_cselect_b32 s48, s48, s53
	s_cmp_lg_u64 s[28:29], 0
	s_subb_u32 s9, s9, s50
	s_cmp_ge_u32 s9, s1
	s_cselect_b32 s28, -1, 0
	s_cmp_ge_u32 s8, s0
	s_cselect_b32 s0, -1, 0
	s_cmp_eq_u32 s9, s1
	s_cselect_b32 s0, s0, s28
	s_cmp_lg_u32 s0, 0
	s_cselect_b32 s1, s48, s9
	s_cselect_b32 s0, s49, s8
	s_xor_b64 s[0:1], s[0:1], s[2:3]
	s_sub_u32 s0, s0, s2
	v_readlane_b32 s51, v56, 45
	s_subb_u32 s1, s1, s2
	s_cbranch_execnz .LBB21_226
.LBB21_225:                             ;   in Loop: Header=BB21_16 Depth=1
	v_cvt_f32_u32_e32 v2, s33
	s_sub_i32 s0, 0, s33
	v_rcp_iflag_f32_e32 v2, v2
	v_mul_f32_e32 v2, 0x4f7ffffe, v2
	v_cvt_u32_f32_e32 v2, v2
	v_readfirstlane_b32 s1, v2
	s_mul_i32 s0, s0, s1
	s_mul_hi_u32 s0, s1, s0
	s_add_i32 s1, s1, s0
	s_mul_hi_u32 s0, s51, s1
	s_mul_i32 s0, s0, s33
	s_sub_i32 s0, s51, s0
	s_sub_i32 s1, s0, s33
	s_cmp_ge_u32 s0, s33
	s_cselect_b32 s0, s1, s0
	s_sub_i32 s1, s0, s33
	s_cmp_ge_u32 s0, s33
	s_cselect_b32 s82, s1, s0
	s_mov_b64 s[0:1], s[82:83]
.LBB21_226:                             ;   in Loop: Header=BB21_16 Depth=1
	s_sub_u32 s28, s51, s0
	s_subb_u32 s29, s81, s1
	v_cmp_gt_i64_e32 vcc, s[28:29], v[0:1]
	s_mov_b64 s[0:1], 0
	s_mov_b64 s[2:3], 0
                                        ; implicit-def: $vgpr26
	s_and_saveexec_b64 s[8:9], vcc
	s_cbranch_execz .LBB21_237
; %bb.227:                              ;   in Loop: Header=BB21_16 Depth=1
	v_mov_b32_e32 v2, v10
	v_mov_b32_e32 v7, v1
	;; [unrolled: 1-line block ×4, first 2 shown]
                                        ; implicit-def: $sgpr48_sgpr49
	s_branch .LBB21_230
.LBB21_228:                             ;   in Loop: Header=BB21_230 Depth=2
	s_or_b64 exec, exec, s[50:51]
	s_waitcnt lgkmcnt(0)
	s_barrier
	ds_read_b64 v[25:26], v13 offset:3072
	s_mov_b64 s[50:51], -1
	s_mov_b64 s[52:53], -1
	s_waitcnt lgkmcnt(0)
	s_barrier
	v_cmp_ne_u32_e32 vcc, 0, v25
	s_cbranch_vccz .LBB21_233
.LBB21_229:                             ;   in Loop: Header=BB21_230 Depth=2
	s_and_b64 s[50:51], exec, s[50:51]
	s_or_b64 s[2:3], s[50:51], s[2:3]
	s_andn2_b64 s[48:49], s[48:49], exec
	s_and_b64 s[50:51], s[52:53], exec
	s_or_b64 s[48:49], s[48:49], s[50:51]
	s_andn2_b64 exec, exec, s[2:3]
	s_cbranch_execz .LBB21_236
.LBB21_230:                             ;   Parent Loop BB21_16 Depth=1
                                        ; =>  This Inner Loop Header: Depth=2
	v_cmp_gt_i64_e32 vcc, s[56:57], v[6:7]
	s_and_saveexec_b64 s[50:51], vcc
	s_cbranch_execz .LBB21_228
; %bb.231:                              ;   in Loop: Header=BB21_230 Depth=2
	global_load_dword v25, v[2:3], off
	s_waitcnt vmcnt(0)
	v_xor_b32_e32 v8, 0x80000000, v25
	v_and_b32_e32 v8, v8, v47
	v_cmp_eq_u32_e32 vcc, v8, v44
	s_and_b64 exec, exec, vcc
	s_cbranch_execz .LBB21_228
; %bb.232:                              ;   in Loop: Header=BB21_230 Depth=2
	ds_write_b64 v13, v[24:25] offset:3072
	s_branch .LBB21_228
.LBB21_233:                             ;   in Loop: Header=BB21_230 Depth=2
	v_add_co_u32_e32 v6, vcc, s33, v6
	v_addc_co_u32_e32 v7, vcc, 0, v7, vcc
	v_mov_b32_e32 v8, s85
	v_add_co_u32_e32 v2, vcc, s84, v2
	v_addc_co_u32_e32 v3, vcc, v3, v8, vcc
	v_cmp_le_i64_e32 vcc, s[28:29], v[6:7]
	s_mov_b64 s[52:53], 0
	s_orn2_b64 s[50:51], vcc, exec
	s_branch .LBB21_229
.LBB21_234:                             ;   in Loop: Header=BB21_16 Depth=1
                                        ; implicit-def: $sgpr0_sgpr1
	s_branch .LBB21_180
.LBB21_235:                             ;   in Loop: Header=BB21_16 Depth=1
                                        ; implicit-def: $sgpr8_sgpr9
	s_branch .LBB21_196
.LBB21_236:                             ;   in Loop: Header=BB21_16 Depth=1
	s_or_b64 exec, exec, s[2:3]
	s_and_b64 s[2:3], s[48:49], exec
	v_readlane_b32 s51, v56, 45
.LBB21_237:                             ;   in Loop: Header=BB21_16 Depth=1
	s_or_b64 exec, exec, s[8:9]
	v_readlane_b32 s52, v56, 43
	v_readlane_b32 s53, v56, 44
.LBB21_238:                             ;   in Loop: Header=BB21_16 Depth=1
	s_and_b64 vcc, exec, s[0:1]
	s_cbranch_vccz .LBB21_252
; %bb.239:                              ;   in Loop: Header=BB21_16 Depth=1
	s_add_u32 s44, s42, s89
	v_readlane_b32 s0, v56, 32
	s_addc_u32 s1, s43, s0
	s_mov_b32 s0, s83
	s_cmp_lg_u64 s[0:1], 0
	s_cbranch_scc0 .LBB21_273
; %bb.240:                              ;   in Loop: Header=BB21_16 Depth=1
	s_add_u32 s8, s33, 0
	s_addc_u32 s9, 0, 0
	s_xor_b64 s[8:9], s[8:9], 0
	v_cvt_f32_u32_e32 v2, s8
	v_cvt_f32_u32_e32 v3, s9
	s_sub_u32 s0, 0, s8
	s_subb_u32 s45, 0, s9
	v_mac_f32_e32 v2, 0x4f800000, v3
	v_rcp_f32_e32 v2, v2
	v_mul_f32_e32 v2, 0x5f7ffffc, v2
	v_mul_f32_e32 v3, 0x2f800000, v2
	v_trunc_f32_e32 v3, v3
	v_mac_f32_e32 v2, 0xcf800000, v3
	v_cvt_u32_f32_e32 v3, v3
	v_cvt_u32_f32_e32 v2, v2
	v_readfirstlane_b32 s46, v3
	v_readfirstlane_b32 s28, v2
	s_mul_i32 s29, s0, s46
	s_mul_hi_u32 s48, s0, s28
	s_mul_i32 s47, s45, s28
	s_add_i32 s29, s48, s29
	s_mul_i32 s49, s0, s28
	s_add_i32 s29, s29, s47
	s_mul_i32 s48, s28, s29
	s_mul_hi_u32 s50, s28, s49
	s_mul_hi_u32 s47, s28, s29
	s_add_u32 s48, s50, s48
	s_addc_u32 s47, 0, s47
	s_mul_hi_u32 s51, s46, s49
	s_mul_i32 s49, s46, s49
	s_add_u32 s48, s48, s49
	s_mul_hi_u32 s50, s46, s29
	s_addc_u32 s47, s47, s51
	s_addc_u32 s48, s50, 0
	s_mul_i32 s29, s46, s29
	s_add_u32 s29, s47, s29
	s_addc_u32 s47, 0, s48
	s_add_u32 s48, s28, s29
	s_cselect_b64 s[28:29], -1, 0
	s_cmp_lg_u64 s[28:29], 0
	s_addc_u32 s46, s46, s47
	s_mul_i32 s28, s0, s46
	s_mul_hi_u32 s29, s0, s48
	s_add_i32 s28, s29, s28
	s_mul_i32 s45, s45, s48
	s_add_i32 s28, s28, s45
	s_mul_i32 s0, s0, s48
	s_mul_hi_u32 s45, s46, s0
	s_mul_i32 s47, s46, s0
	s_mul_i32 s50, s48, s28
	s_mul_hi_u32 s0, s48, s0
	s_mul_hi_u32 s49, s48, s28
	s_add_u32 s0, s0, s50
	s_addc_u32 s49, 0, s49
	s_add_u32 s0, s0, s47
	s_mul_hi_u32 s29, s46, s28
	s_addc_u32 s0, s49, s45
	s_addc_u32 s29, s29, 0
	s_mul_i32 s28, s46, s28
	s_add_u32 s0, s0, s28
	s_addc_u32 s45, 0, s29
	s_add_u32 s0, s48, s0
	s_cselect_b64 s[28:29], -1, 0
	s_cmp_lg_u64 s[28:29], 0
	s_addc_u32 s45, s46, s45
	s_ashr_i32 s28, s1, 31
	s_add_u32 s46, s44, s28
	s_mov_b32 s29, s28
	s_addc_u32 s47, s1, s28
	s_xor_b64 s[46:47], s[46:47], s[28:29]
	s_mul_i32 s49, s46, s45
	s_mul_hi_u32 s50, s46, s0
	s_mul_hi_u32 s48, s46, s45
	s_add_u32 s49, s50, s49
	s_addc_u32 s48, 0, s48
	s_mul_hi_u32 s51, s47, s0
	s_mul_i32 s0, s47, s0
	s_add_u32 s0, s49, s0
	s_mul_hi_u32 s50, s47, s45
	s_addc_u32 s0, s48, s51
	s_addc_u32 s48, s50, 0
	s_mul_i32 s45, s47, s45
	s_add_u32 s0, s0, s45
	s_addc_u32 s45, 0, s48
	s_mul_i32 s45, s8, s45
	s_mul_hi_u32 s48, s8, s0
	s_add_i32 s45, s48, s45
	s_mul_i32 s48, s9, s0
	s_add_i32 s45, s45, s48
	s_sub_i32 s50, s47, s45
	s_mul_i32 s0, s8, s0
	s_sub_u32 s0, s46, s0
	s_cselect_b64 s[48:49], -1, 0
	s_cmp_lg_u64 s[48:49], 0
	s_subb_u32 s46, s50, s9
	s_sub_u32 s52, s0, s8
	s_cselect_b64 s[50:51], -1, 0
	s_cmp_lg_u64 s[50:51], 0
	s_subb_u32 s53, s46, 0
	s_cmp_ge_u32 s53, s9
	s_cselect_b32 s55, -1, 0
	s_cmp_ge_u32 s52, s8
	s_cselect_b32 s58, -1, 0
	s_cmp_eq_u32 s53, s9
	s_cselect_b32 s55, s58, s55
	s_cmp_lg_u64 s[50:51], 0
	s_subb_u32 s46, s46, s9
	s_sub_u32 s58, s52, s8
	s_cselect_b64 s[50:51], -1, 0
	s_cmp_lg_u64 s[50:51], 0
	s_subb_u32 s46, s46, 0
	s_cmp_lg_u32 s55, 0
	s_cselect_b32 s50, s58, s52
	s_cselect_b32 s46, s46, s53
	s_cmp_lg_u64 s[48:49], 0
	s_subb_u32 s45, s47, s45
	s_cmp_ge_u32 s45, s9
	s_cselect_b32 s47, -1, 0
	s_cmp_ge_u32 s0, s8
	s_cselect_b32 s8, -1, 0
	s_cmp_eq_u32 s45, s9
	s_cselect_b32 s8, s8, s47
	s_cmp_lg_u32 s8, 0
	s_cselect_b32 s9, s46, s45
	s_cselect_b32 s8, s50, s0
	s_xor_b64 s[8:9], s[8:9], s[28:29]
	v_readlane_b32 s52, v56, 43
	s_sub_u32 s8, s8, s28
	v_readlane_b32 s53, v56, 44
	s_subb_u32 s9, s9, s28
	s_cbranch_execnz .LBB21_242
.LBB21_241:                             ;   in Loop: Header=BB21_16 Depth=1
	v_cvt_f32_u32_e32 v2, s33
	s_sub_i32 s0, 0, s33
	v_rcp_iflag_f32_e32 v2, v2
	v_mul_f32_e32 v2, 0x4f7ffffe, v2
	v_cvt_u32_f32_e32 v2, v2
	v_readfirstlane_b32 s8, v2
	s_mul_i32 s0, s0, s8
	s_mul_hi_u32 s0, s8, s0
	s_add_i32 s8, s8, s0
	s_mul_hi_u32 s0, s44, s8
	s_mul_i32 s0, s0, s33
	s_sub_i32 s0, s44, s0
	s_sub_i32 s8, s0, s33
	s_cmp_ge_u32 s0, s33
	s_cselect_b32 s0, s8, s0
	s_sub_i32 s8, s0, s33
	s_cmp_ge_u32 s0, s33
	s_cselect_b32 s82, s8, s0
	s_mov_b64 s[8:9], s[82:83]
.LBB21_242:                             ;   in Loop: Header=BB21_16 Depth=1
	s_sub_u32 s8, s44, s8
	s_subb_u32 s9, s1, s9
	v_cmp_gt_i64_e32 vcc, s[8:9], v[0:1]
                                        ; implicit-def: $vgpr26
	s_and_saveexec_b64 s[0:1], vcc
	v_readlane_b32 s51, v56, 45
	s_cbranch_execz .LBB21_251
; %bb.243:                              ;   in Loop: Header=BB21_16 Depth=1
	v_mov_b32_e32 v3, v1
	s_mov_b64 s[28:29], 0
	v_mov_b32_e32 v6, v14
	v_mov_b32_e32 v2, v0
                                        ; implicit-def: $sgpr44_sgpr45
	s_branch .LBB21_246
.LBB21_244:                             ;   in Loop: Header=BB21_246 Depth=2
	s_or_b64 exec, exec, s[46:47]
	s_waitcnt lgkmcnt(0)
	s_barrier
	ds_read_b64 v[25:26], v13 offset:3072
	s_mov_b64 s[46:47], -1
	s_mov_b64 s[48:49], -1
	s_waitcnt lgkmcnt(0)
	s_barrier
	v_cmp_eq_u32_e32 vcc, 0, v25
	s_cbranch_vccnz .LBB21_249
.LBB21_245:                             ;   in Loop: Header=BB21_246 Depth=2
	s_and_b64 s[46:47], exec, s[46:47]
	s_or_b64 s[28:29], s[46:47], s[28:29]
	s_andn2_b64 s[44:45], s[44:45], exec
	s_and_b64 s[46:47], s[48:49], exec
	s_or_b64 s[44:45], s[44:45], s[46:47]
	s_andn2_b64 exec, exec, s[28:29]
	s_cbranch_execz .LBB21_250
.LBB21_246:                             ;   Parent Loop BB21_16 Depth=1
                                        ; =>  This Inner Loop Header: Depth=2
	v_cmp_gt_u64_e32 vcc, s[42:43], v[2:3]
	s_and_saveexec_b64 s[46:47], vcc
	s_cbranch_execz .LBB21_244
; %bb.247:                              ;   in Loop: Header=BB21_246 Depth=2
	ds_read_b32 v25, v6
	s_waitcnt lgkmcnt(0)
	v_xor_b32_e32 v7, 0x80000000, v25
	v_and_b32_e32 v7, v7, v47
	v_cmp_eq_u32_e32 vcc, v7, v44
	s_and_b64 exec, exec, vcc
	s_cbranch_execz .LBB21_244
; %bb.248:                              ;   in Loop: Header=BB21_246 Depth=2
	ds_write_b64 v13, v[24:25] offset:3072
	s_branch .LBB21_244
.LBB21_249:                             ;   in Loop: Header=BB21_246 Depth=2
	v_add_co_u32_e32 v2, vcc, s33, v2
	v_addc_co_u32_e32 v3, vcc, 0, v3, vcc
	v_cmp_le_i64_e32 vcc, s[8:9], v[2:3]
	v_add_u32_e32 v6, s87, v6
	s_mov_b64 s[48:49], 0
	s_orn2_b64 s[46:47], vcc, exec
	s_branch .LBB21_245
.LBB21_250:                             ;   in Loop: Header=BB21_16 Depth=1
	s_or_b64 exec, exec, s[28:29]
	s_andn2_b64 s[2:3], s[2:3], exec
	s_and_b64 s[8:9], s[44:45], exec
	s_or_b64 s[2:3], s[2:3], s[8:9]
.LBB21_251:                             ;   in Loop: Header=BB21_16 Depth=1
	s_or_b64 exec, exec, s[0:1]
	s_mov_b64 s[44:45], 0
	s_mov_b64 s[46:47], -1
.LBB21_252:                             ;   in Loop: Header=BB21_16 Depth=1
	s_orn2_b64 s[2:3], s[2:3], exec
.LBB21_253:                             ;   in Loop: Header=BB21_16 Depth=1
	s_or_b64 exec, exec, s[40:41]
	s_mov_b64 s[8:9], 0
	s_and_saveexec_b64 s[0:1], s[2:3]
	s_cbranch_execz .LBB21_264
; %bb.254:                              ;   in Loop: Header=BB21_16 Depth=1
	v_mov_b32_e32 v2, 1
	s_xor_b64 s[8:9], s[38:39], -1
	v_mov_b32_e32 v3, 0
	v_mov_b32_e32 v12, 1
	s_and_saveexec_b64 s[2:3], s[8:9]
	s_cbranch_execz .LBB21_263
; %bb.255:                              ;   in Loop: Header=BB21_16 Depth=1
	v_cmp_ge_i64_e32 vcc, s[12:13], v[4:5]
	s_and_saveexec_b64 s[8:9], vcc
	s_xor_b64 s[8:9], exec, s[8:9]
	s_cbranch_execz .LBB21_260
; %bb.256:                              ;   in Loop: Header=BB21_16 Depth=1
	ds_read_b64 v[2:3], v13 offset:5120
	v_or_b32_e32 v44, s54, v44
	v_or_b32_e32 v47, s54, v47
	s_waitcnt lgkmcnt(0)
	v_cmp_ne_u64_e32 vcc, 0, v[2:3]
	s_cbranch_vccnz .LBB21_260
; %bb.257:                              ;   in Loop: Header=BB21_16 Depth=1
	s_mov_b64 s[28:29], exec
	v_readlane_b32 s38, v56, 12
	v_readlane_b32 s39, v56, 13
	s_and_b64 s[38:39], s[28:29], s[38:39]
	s_mov_b64 exec, s[38:39]
; %bb.258:                              ;   in Loop: Header=BB21_16 Depth=1
	v_mov_b32_e32 v2, s12
	v_mov_b32_e32 v3, s13
	ds_write_b64 v13, v[2:3] offset:5128
; %bb.259:                              ;   in Loop: Header=BB21_16 Depth=1
	s_or_b64 exec, exec, s[28:29]
	s_waitcnt lgkmcnt(0)
	s_barrier
.LBB21_260:                             ;   in Loop: Header=BB21_16 Depth=1
	s_andn2_saveexec_b64 s[8:9], s[8:9]
; %bb.261:                              ;   in Loop: Header=BB21_16 Depth=1
	v_mov_b32_e32 v2, s13
	v_subrev_co_u32_e32 v4, vcc, s12, v4
	v_subb_co_u32_e32 v5, vcc, v5, v2, vcc
; %bb.262:                              ;   in Loop: Header=BB21_16 Depth=1
	s_or_b64 exec, exec, s[8:9]
	v_mov_b32_e32 v2, v4
	v_mov_b32_e32 v12, 8
	;; [unrolled: 1-line block ×3, first 2 shown]
.LBB21_263:                             ;   in Loop: Header=BB21_16 Depth=1
	s_or_b64 exec, exec, s[2:3]
	v_mov_b32_e32 v5, v3
	s_mov_b64 s[8:9], exec
	v_mov_b32_e32 v4, v2
.LBB21_264:                             ;   in Loop: Header=BB21_16 Depth=1
	s_or_b64 exec, exec, s[0:1]
	s_orn2_b64 s[0:1], s[8:9], exec
.LBB21_265:                             ;   in Loop: Header=BB21_16 Depth=1
	s_or_b64 exec, exec, s[20:21]
	s_andn2_b64 s[2:3], s[34:35], exec
	s_and_b64 s[8:9], s[46:47], exec
	s_or_b64 s[34:35], s[2:3], s[8:9]
	s_andn2_b64 s[2:3], s[30:31], exec
	s_and_b64 s[8:9], s[44:45], exec
	v_mov_b32_e32 v2, v4
	s_or_b64 s[30:31], s[2:3], s[8:9]
	s_and_b64 s[2:3], s[0:1], exec
	v_mov_b32_e32 v3, v5
.LBB21_266:                             ;   in Loop: Header=BB21_16 Depth=1
	s_or_b64 exec, exec, s[36:37]
	s_orn2_b64 s[0:1], s[2:3], exec
.LBB21_267:                             ;   in Loop: Header=BB21_16 Depth=1
	s_or_b64 exec, exec, s[26:27]
	s_andn2_b64 s[2:3], s[22:23], exec
	s_and_b64 s[8:9], s[34:35], exec
	s_or_b64 s[22:23], s[2:3], s[8:9]
	s_andn2_b64 s[2:3], s[6:7], exec
	s_and_b64 s[6:7], s[30:31], exec
	v_mov_b32_e32 v7, v3
	s_or_b64 s[6:7], s[2:3], s[6:7]
	s_and_b64 s[2:3], s[0:1], exec
	v_mov_b32_e32 v6, v2
.LBB21_268:                             ;   in Loop: Header=BB21_16 Depth=1
	s_or_b64 exec, exec, s[24:25]
	s_orn2_b64 s[0:1], s[2:3], exec
.LBB21_269:                             ;   in Loop: Header=BB21_16 Depth=1
	s_or_b64 exec, exec, s[18:19]
	s_mov_b64 s[2:3], 0
	s_and_saveexec_b64 s[8:9], s[0:1]
	s_xor_b64 s[0:1], exec, s[8:9]
	s_cbranch_execz .LBB21_14
; %bb.270:                              ;   in Loop: Header=BB21_16 Depth=1
	v_and_b32_e32 v2, 7, v12
	v_cmp_eq_u32_e32 vcc, 0, v2
	s_mov_b64 s[8:9], -1
	s_mov_b64 s[2:3], -1
	s_and_saveexec_b64 s[12:13], vcc
	s_cbranch_execz .LBB21_13
; %bb.271:                              ;   in Loop: Header=BB21_16 Depth=1
	s_add_i32 s16, s88, -2
	s_cmp_eq_u32 s88, 0
	s_cselect_b64 s[8:9], -1, 0
	v_xor_b32_e32 v46, 1, v46
	s_xor_b64 s[2:3], exec, -1
	s_orn2_b64 s[8:9], s[8:9], exec
	s_mov_b32 s88, s16
	s_branch .LBB21_13
.LBB21_272:                             ;   in Loop: Header=BB21_16 Depth=1
                                        ; implicit-def: $sgpr0_sgpr1
	s_branch .LBB21_225
.LBB21_273:                             ;   in Loop: Header=BB21_16 Depth=1
                                        ; implicit-def: $sgpr8_sgpr9
	s_branch .LBB21_241
.LBB21_274:
	s_or_b64 exec, exec, s[70:71]
	s_xor_b64 s[4:5], s[10:11], -1
	s_xor_b64 s[0:1], s[74:75], -1
	;; [unrolled: 1-line block ×3, first 2 shown]
	s_mov_b64 s[2:3], 0
	s_and_saveexec_b64 s[8:9], s[0:1]
	s_xor_b64 s[0:1], exec, s[8:9]
	s_cbranch_execnz .LBB21_279
; %bb.275:
	s_andn2_saveexec_b64 s[0:1], s[0:1]
	s_cbranch_execnz .LBB21_304
.LBB21_276:
	s_or_b64 exec, exec, s[0:1]
	s_and_saveexec_b64 s[0:1], s[2:3]
.LBB21_277:
	; divergent unreachable
.LBB21_278:
	s_endpgm
.LBB21_279:
	s_and_saveexec_b64 s[2:3], s[4:5]
	s_xor_b64 s[4:5], exec, s[2:3]
	s_cbranch_execz .LBB21_302
; %bb.280:
	s_and_saveexec_b64 s[2:3], s[6:7]
	s_xor_b64 s[2:3], exec, s[2:3]
; %bb.281:
	v_xor_b32_e32 v26, 0x80000000, v44
; %bb.282:
	s_or_b64 exec, exec, s[2:3]
	s_mov_b64 s[2:3], exec
	v_readlane_b32 s6, v56, 12
	v_readlane_b32 s7, v56, 13
	s_and_b64 s[6:7], s[2:3], s[6:7]
	v_readlane_b32 s24, v56, 22
	v_readlane_b32 s25, v56, 23
	s_mov_b64 exec, s[6:7]
; %bb.283:
	v_mov_b32_e32 v2, 0
	v_mov_b32_e32 v3, s56
	ds_write_b32 v2, v3 offset:5140
; %bb.284:
	s_or_b64 exec, exec, s[2:3]
	s_waitcnt lgkmcnt(0)
	s_barrier
	s_mov_b64 s[6:7], exec
	v_readlane_b32 s2, v56, 28
	v_readlane_b32 s3, v56, 29
	s_and_b64 s[2:3], s[6:7], s[2:3]
	s_mov_b64 exec, s[2:3]
	s_cbranch_execz .LBB21_299
; %bb.285:
	v_mov_b32_e32 v2, 0
	ds_read_b32 v4, v2 offset:5140
	s_mov_b64 s[8:9], 0
                                        ; implicit-def: $sgpr10_sgpr11
                                        ; implicit-def: $sgpr12_sgpr13
                                        ; implicit-def: $sgpr14_sgpr15
	s_waitcnt lgkmcnt(0)
	v_ashrrev_i32_e32 v5, 31, v4
	s_branch .LBB21_288
.LBB21_286:                             ;   in Loop: Header=BB21_288 Depth=1
	s_or_b64 exec, exec, s[20:21]
	s_andn2_b64 s[14:15], s[14:15], exec
	s_and_b64 s[18:19], s[18:19], exec
	s_andn2_b64 s[12:13], s[12:13], exec
	s_and_b64 s[2:3], s[2:3], exec
	s_or_b64 s[14:15], s[14:15], s[18:19]
	s_or_b64 s[12:13], s[12:13], s[2:3]
.LBB21_287:                             ;   in Loop: Header=BB21_288 Depth=1
	s_or_b64 exec, exec, s[16:17]
	s_and_b64 s[2:3], exec, s[12:13]
	s_or_b64 s[8:9], s[2:3], s[8:9]
	s_andn2_b64 s[2:3], s[10:11], exec
	s_and_b64 s[10:11], s[14:15], exec
	s_or_b64 s[10:11], s[2:3], s[10:11]
	s_andn2_b64 exec, exec, s[8:9]
	s_cbranch_execz .LBB21_294
.LBB21_288:                             ; =>This Inner Loop Header: Depth=1
	v_mov_b32_e32 v3, v1
	v_mov_b32_e32 v2, v0
	v_cmp_lt_i64_e32 vcc, v[2:3], v[4:5]
	s_or_b64 s[14:15], s[14:15], exec
	s_or_b64 s[12:13], s[12:13], exec
                                        ; implicit-def: $vgpr0_vgpr1
	s_and_saveexec_b64 s[16:17], vcc
	s_cbranch_execz .LBB21_287
; %bb.289:                              ;   in Loop: Header=BB21_288 Depth=1
	global_load_dword v0, v[10:11], off
	s_mov_b64 s[2:3], -1
	s_mov_b64 s[18:19], 0
	s_waitcnt vmcnt(0)
	v_cmp_ne_u32_e32 vcc, v0, v26
                                        ; implicit-def: $vgpr0_vgpr1
	s_and_saveexec_b64 s[20:21], vcc
	s_cbranch_execz .LBB21_286
; %bb.290:                              ;   in Loop: Header=BB21_288 Depth=1
	v_add_co_u32_e32 v0, vcc, s33, v2
	v_addc_co_u32_e32 v1, vcc, 0, v3, vcc
	v_mov_b32_e32 v3, s85
	v_cmp_le_i64_e32 vcc, s[56:57], v[0:1]
	v_add_co_u32_e64 v10, s[2:3], s84, v10
	v_addc_co_u32_e64 v11, s[2:3], v11, v3, s[2:3]
	s_mov_b64 s[18:19], exec
	s_orn2_b64 s[2:3], vcc, exec
	s_branch .LBB21_286
.LBB21_291:
                                        ; implicit-def: $sgpr16_sgpr17
	s_branch .LBB21_3
.LBB21_292:
                                        ; implicit-def: $sgpr0_sgpr1
                                        ; kill: killed $sgpr0_sgpr1
	s_branch .LBB21_6
.LBB21_293:
                                        ; implicit-def: $sgpr0_sgpr1
                                        ; kill: killed $sgpr0_sgpr1
	s_load_dwordx2 s[0:1], s[4:5], 0x0
	s_branch .LBB21_9
.LBB21_294:
	s_or_b64 exec, exec, s[8:9]
	s_xor_b64 s[2:3], s[10:11], -1
	s_and_saveexec_b64 s[8:9], s[2:3]
	s_xor_b64 s[8:9], exec, s[8:9]
	s_cbranch_execz .LBB21_299
; %bb.295:
	s_mov_b64 s[2:3], exec
	s_brev_b32 s8, -2
.LBB21_296:                             ; =>This Inner Loop Header: Depth=1
	s_ff1_i32_b64 s9, s[2:3]
	v_readlane_b32 s12, v2, s9
	s_lshl_b64 s[10:11], 1, s9
	s_min_i32 s8, s8, s12
	s_andn2_b64 s[2:3], s[2:3], s[10:11]
	s_cmp_lg_u64 s[2:3], 0
	s_cbranch_scc1 .LBB21_296
; %bb.297:
	v_mbcnt_lo_u32_b32 v0, exec_lo, 0
	v_mbcnt_hi_u32_b32 v0, exec_hi, v0
	v_cmp_eq_u32_e32 vcc, 0, v0
	s_and_saveexec_b64 s[2:3], vcc
	s_xor_b64 s[2:3], exec, s[2:3]
; %bb.298:
	v_mov_b32_e32 v0, 0
	v_mov_b32_e32 v1, s8
	ds_min_i32 v0, v1 offset:5140
.LBB21_299:
	s_or_b64 exec, exec, s[6:7]
	s_waitcnt lgkmcnt(0)
	s_barrier
	s_mov_b64 s[2:3], exec
	v_readlane_b32 s6, v56, 12
	v_readlane_b32 s7, v56, 13
	s_and_b64 s[6:7], s[2:3], s[6:7]
	s_mov_b64 exec, s[6:7]
	s_cbranch_execz .LBB21_301
; %bb.300:
	v_readlane_b32 s8, v56, 0
	v_readlane_b32 s9, v56, 1
	;; [unrolled: 1-line block ×4, first 2 shown]
	s_mul_i32 s6, s10, s9
	s_mul_hi_u32 s7, s10, s8
	s_add_i32 s6, s7, s6
	s_mul_i32 s7, s11, s8
	s_add_i32 s6, s6, s7
	s_mul_i32 s7, s10, s8
	v_readlane_b32 s12, v56, 18
	s_sub_u32 s8, s24, s7
	v_readlane_b32 s14, v56, 20
	v_readlane_b32 s15, v56, 21
	s_subb_u32 s6, 0, s6
	s_mul_i32 s7, s8, s15
	s_mul_hi_u32 s9, s8, s14
	v_readlane_b32 s13, v56, 19
	s_add_i32 s7, s9, s7
	s_mul_i32 s6, s6, s14
	s_add_i32 s7, s7, s6
	s_mul_i32 s6, s8, s14
	s_mul_i32 s8, s10, s13
	s_mul_hi_u32 s9, s10, s12
	s_add_i32 s8, s9, s8
	s_mul_i32 s9, s11, s12
	s_add_i32 s9, s8, s9
	s_mul_i32 s8, s10, s12
	v_readlane_b32 s12, v56, 2
	v_readlane_b32 s13, v56, 3
	;; [unrolled: 1-line block ×4, first 2 shown]
	s_mul_i32 s10, s14, s13
	s_mul_hi_u32 s11, s14, s12
	s_add_i32 s10, s11, s10
	s_mul_i32 s11, s15, s12
	s_add_i32 s10, s10, s11
	s_mul_i32 s11, s14, s12
	v_readlane_b32 s16, v56, 14
	s_sub_u32 s12, s24, s11
	v_readlane_b32 s18, v56, 16
	v_readlane_b32 s19, v56, 17
	s_subb_u32 s10, 0, s10
	s_mul_i32 s11, s12, s19
	s_mul_hi_u32 s13, s12, s18
	v_readlane_b32 s17, v56, 15
	s_add_i32 s11, s13, s11
	s_mul_i32 s10, s10, s18
	s_add_i32 s11, s11, s10
	s_mul_i32 s10, s12, s18
	s_mul_i32 s12, s14, s17
	s_mul_hi_u32 s13, s14, s16
	s_add_i32 s12, s13, s12
	s_mul_i32 s13, s15, s16
	s_add_i32 s13, s12, s13
	s_mul_i32 s12, s14, s16
	s_lshl_b64 s[8:9], s[8:9], 2
	v_readlane_b32 s14, v56, 10
	v_readlane_b32 s15, v56, 11
	s_add_u32 s8, s14, s8
	s_addc_u32 s9, s15, s9
	s_lshl_b64 s[6:7], s[6:7], 2
	v_mov_b32_e32 v2, 0
	s_add_u32 s6, s8, s6
	ds_read_b32 v0, v2 offset:5140
	s_addc_u32 s7, s9, s7
	s_lshl_b64 s[8:9], s[12:13], 3
	v_readlane_b32 s12, v56, 8
	v_readlane_b32 s13, v56, 9
	s_add_u32 s12, s12, s8
	s_addc_u32 s13, s13, s9
	s_lshl_b64 s[8:9], s[10:11], 3
	s_add_u32 s8, s12, s8
	s_addc_u32 s9, s13, s9
	s_waitcnt lgkmcnt(0)
	v_ashrrev_i32_e32 v1, 31, v0
	global_store_dwordx2 v2, v[0:1], s[8:9]
	global_store_dword v2, v26, s[6:7]
.LBB21_301:
	s_or_b64 exec, exec, s[2:3]
.LBB21_302:
	s_or_saveexec_b64 s[2:3], s[4:5]
	s_mov_b64 s[4:5], 0
	s_xor_b64 exec, exec, s[2:3]
	s_cbranch_execnz .LBB21_305
.LBB21_303:
	s_or_b64 exec, exec, s[2:3]
	s_and_b64 s[2:3], s[4:5], exec
	s_andn2_saveexec_b64 s[0:1], s[0:1]
	s_cbranch_execz .LBB21_276
.LBB21_304:
	s_or_b64 s[2:3], s[2:3], exec
	s_trap 2
	s_or_b64 exec, exec, s[0:1]
	s_and_saveexec_b64 s[0:1], s[2:3]
	s_cbranch_execnz .LBB21_277
	s_branch .LBB21_278
.LBB21_305:
	s_mov_b64 s[4:5], exec
	s_trap 2
	s_branch .LBB21_303
	.section	.rodata,"a",@progbits
	.p2align	6, 0x0
	.amdhsa_kernel _ZN2at6native12_GLOBAL__N_114gatherKthValueIilLi2EEEvNS_4cuda6detail10TensorInfoIKT_T0_EES8_S8_S8_S8_NS5_IS6_S8_EENS5_IlS8_EE
		.amdhsa_group_segment_fixed_size 5144
		.amdhsa_private_segment_fixed_size 0
		.amdhsa_kernarg_size 1536
		.amdhsa_user_sgpr_count 6
		.amdhsa_user_sgpr_private_segment_buffer 1
		.amdhsa_user_sgpr_dispatch_ptr 0
		.amdhsa_user_sgpr_queue_ptr 0
		.amdhsa_user_sgpr_kernarg_segment_ptr 1
		.amdhsa_user_sgpr_dispatch_id 0
		.amdhsa_user_sgpr_flat_scratch_init 0
		.amdhsa_user_sgpr_private_segment_size 0
		.amdhsa_uses_dynamic_stack 0
		.amdhsa_system_sgpr_private_segment_wavefront_offset 0
		.amdhsa_system_sgpr_workgroup_id_x 1
		.amdhsa_system_sgpr_workgroup_id_y 1
		.amdhsa_system_sgpr_workgroup_id_z 1
		.amdhsa_system_sgpr_workgroup_info 0
		.amdhsa_system_vgpr_workitem_id 0
		.amdhsa_next_free_vgpr 57
		.amdhsa_next_free_sgpr 96
		.amdhsa_reserve_vcc 1
		.amdhsa_reserve_flat_scratch 0
		.amdhsa_float_round_mode_32 0
		.amdhsa_float_round_mode_16_64 0
		.amdhsa_float_denorm_mode_32 3
		.amdhsa_float_denorm_mode_16_64 3
		.amdhsa_dx10_clamp 1
		.amdhsa_ieee_mode 1
		.amdhsa_fp16_overflow 0
		.amdhsa_exception_fp_ieee_invalid_op 0
		.amdhsa_exception_fp_denorm_src 0
		.amdhsa_exception_fp_ieee_div_zero 0
		.amdhsa_exception_fp_ieee_overflow 0
		.amdhsa_exception_fp_ieee_underflow 0
		.amdhsa_exception_fp_ieee_inexact 0
		.amdhsa_exception_int_div_zero 0
	.end_amdhsa_kernel
	.section	.text._ZN2at6native12_GLOBAL__N_114gatherKthValueIilLi2EEEvNS_4cuda6detail10TensorInfoIKT_T0_EES8_S8_S8_S8_NS5_IS6_S8_EENS5_IlS8_EE,"axG",@progbits,_ZN2at6native12_GLOBAL__N_114gatherKthValueIilLi2EEEvNS_4cuda6detail10TensorInfoIKT_T0_EES8_S8_S8_S8_NS5_IS6_S8_EENS5_IlS8_EE,comdat
.Lfunc_end21:
	.size	_ZN2at6native12_GLOBAL__N_114gatherKthValueIilLi2EEEvNS_4cuda6detail10TensorInfoIKT_T0_EES8_S8_S8_S8_NS5_IS6_S8_EENS5_IlS8_EE, .Lfunc_end21-_ZN2at6native12_GLOBAL__N_114gatherKthValueIilLi2EEEvNS_4cuda6detail10TensorInfoIKT_T0_EES8_S8_S8_S8_NS5_IS6_S8_EENS5_IlS8_EE
                                        ; -- End function
	.set _ZN2at6native12_GLOBAL__N_114gatherKthValueIilLi2EEEvNS_4cuda6detail10TensorInfoIKT_T0_EES8_S8_S8_S8_NS5_IS6_S8_EENS5_IlS8_EE.num_vgpr, 57
	.set _ZN2at6native12_GLOBAL__N_114gatherKthValueIilLi2EEEvNS_4cuda6detail10TensorInfoIKT_T0_EES8_S8_S8_S8_NS5_IS6_S8_EENS5_IlS8_EE.num_agpr, 0
	.set _ZN2at6native12_GLOBAL__N_114gatherKthValueIilLi2EEEvNS_4cuda6detail10TensorInfoIKT_T0_EES8_S8_S8_S8_NS5_IS6_S8_EENS5_IlS8_EE.numbered_sgpr, 96
	.set _ZN2at6native12_GLOBAL__N_114gatherKthValueIilLi2EEEvNS_4cuda6detail10TensorInfoIKT_T0_EES8_S8_S8_S8_NS5_IS6_S8_EENS5_IlS8_EE.num_named_barrier, 0
	.set _ZN2at6native12_GLOBAL__N_114gatherKthValueIilLi2EEEvNS_4cuda6detail10TensorInfoIKT_T0_EES8_S8_S8_S8_NS5_IS6_S8_EENS5_IlS8_EE.private_seg_size, 0
	.set _ZN2at6native12_GLOBAL__N_114gatherKthValueIilLi2EEEvNS_4cuda6detail10TensorInfoIKT_T0_EES8_S8_S8_S8_NS5_IS6_S8_EENS5_IlS8_EE.uses_vcc, 1
	.set _ZN2at6native12_GLOBAL__N_114gatherKthValueIilLi2EEEvNS_4cuda6detail10TensorInfoIKT_T0_EES8_S8_S8_S8_NS5_IS6_S8_EENS5_IlS8_EE.uses_flat_scratch, 0
	.set _ZN2at6native12_GLOBAL__N_114gatherKthValueIilLi2EEEvNS_4cuda6detail10TensorInfoIKT_T0_EES8_S8_S8_S8_NS5_IS6_S8_EENS5_IlS8_EE.has_dyn_sized_stack, 0
	.set _ZN2at6native12_GLOBAL__N_114gatherKthValueIilLi2EEEvNS_4cuda6detail10TensorInfoIKT_T0_EES8_S8_S8_S8_NS5_IS6_S8_EENS5_IlS8_EE.has_recursion, 0
	.set _ZN2at6native12_GLOBAL__N_114gatherKthValueIilLi2EEEvNS_4cuda6detail10TensorInfoIKT_T0_EES8_S8_S8_S8_NS5_IS6_S8_EENS5_IlS8_EE.has_indirect_call, 0
	.section	.AMDGPU.csdata,"",@progbits
; Kernel info:
; codeLenInByte = 18016
; TotalNumSgprs: 100
; NumVgprs: 57
; ScratchSize: 0
; MemoryBound: 0
; FloatMode: 240
; IeeeMode: 1
; LDSByteSize: 5144 bytes/workgroup (compile time only)
; SGPRBlocks: 12
; VGPRBlocks: 14
; NumSGPRsForWavesPerEU: 100
; NumVGPRsForWavesPerEU: 57
; Occupancy: 4
; WaveLimiterHint : 1
; COMPUTE_PGM_RSRC2:SCRATCH_EN: 0
; COMPUTE_PGM_RSRC2:USER_SGPR: 6
; COMPUTE_PGM_RSRC2:TRAP_HANDLER: 0
; COMPUTE_PGM_RSRC2:TGID_X_EN: 1
; COMPUTE_PGM_RSRC2:TGID_Y_EN: 1
; COMPUTE_PGM_RSRC2:TGID_Z_EN: 1
; COMPUTE_PGM_RSRC2:TIDIG_COMP_CNT: 0
	.section	.text._ZN2at6native12_GLOBAL__N_114gatherKthValueIilLi3EEEvNS_4cuda6detail10TensorInfoIKT_T0_EES8_S8_S8_S8_NS5_IS6_S8_EENS5_IlS8_EE,"axG",@progbits,_ZN2at6native12_GLOBAL__N_114gatherKthValueIilLi3EEEvNS_4cuda6detail10TensorInfoIKT_T0_EES8_S8_S8_S8_NS5_IS6_S8_EENS5_IlS8_EE,comdat
	.globl	_ZN2at6native12_GLOBAL__N_114gatherKthValueIilLi3EEEvNS_4cuda6detail10TensorInfoIKT_T0_EES8_S8_S8_S8_NS5_IS6_S8_EENS5_IlS8_EE ; -- Begin function _ZN2at6native12_GLOBAL__N_114gatherKthValueIilLi3EEEvNS_4cuda6detail10TensorInfoIKT_T0_EES8_S8_S8_S8_NS5_IS6_S8_EENS5_IlS8_EE
	.p2align	8
	.type	_ZN2at6native12_GLOBAL__N_114gatherKthValueIilLi3EEEvNS_4cuda6detail10TensorInfoIKT_T0_EES8_S8_S8_S8_NS5_IS6_S8_EENS5_IlS8_EE,@function
_ZN2at6native12_GLOBAL__N_114gatherKthValueIilLi3EEEvNS_4cuda6detail10TensorInfoIKT_T0_EES8_S8_S8_S8_NS5_IS6_S8_EENS5_IlS8_EE: ; @_ZN2at6native12_GLOBAL__N_114gatherKthValueIilLi3EEEvNS_4cuda6detail10TensorInfoIKT_T0_EES8_S8_S8_S8_NS5_IS6_S8_EENS5_IlS8_EE
; %bb.0:
	s_load_dwordx2 s[18:19], s[4:5], 0x500
	s_load_dwordx8 s[56:63], s[4:5], 0x1a0
	s_add_u32 s16, s4, 0x500
	s_addc_u32 s17, s5, 0
	s_mov_b32 s43, 0
	s_waitcnt lgkmcnt(0)
	s_mul_i32 s0, s19, s8
	s_add_i32 s0, s0, s7
	s_mul_i32 s0, s0, s18
	s_add_i32 s42, s0, s6
	v_mov_b32_e32 v1, s42
	v_mov_b32_e32 v2, s43
	v_cmp_le_i64_e32 vcc, s[60:61], v[1:2]
	s_cbranch_vccnz .LBB22_295
; %bb.1:
	s_load_dwordx4 s[8:11], s[4:5], 0x10
	s_mov_b32 s0, s43
	s_waitcnt lgkmcnt(0)
	s_mov_b32 s1, s11
	s_cmp_lg_u64 s[0:1], 0
	s_cbranch_scc0 .LBB22_12
; %bb.2:
	s_ashr_i32 s0, s11, 31
	s_add_u32 s2, s10, s0
	s_mov_b32 s1, s0
	s_addc_u32 s3, s11, s0
	s_xor_b64 s[2:3], s[2:3], s[0:1]
	v_cvt_f32_u32_e32 v1, s2
	v_cvt_f32_u32_e32 v2, s3
	s_sub_u32 s7, 0, s2
	s_subb_u32 s19, 0, s3
	v_madmk_f32 v1, v2, 0x4f800000, v1
	v_rcp_f32_e32 v1, v1
	v_mul_f32_e32 v1, 0x5f7ffffc, v1
	v_mul_f32_e32 v2, 0x2f800000, v1
	v_trunc_f32_e32 v2, v2
	v_madmk_f32 v1, v2, 0xcf800000, v1
	v_cvt_u32_f32_e32 v2, v2
	v_cvt_u32_f32_e32 v1, v1
	v_readfirstlane_b32 s20, v2
	v_readfirstlane_b32 s14, v1
	s_mul_i32 s15, s7, s20
	s_mul_hi_u32 s22, s7, s14
	s_mul_i32 s21, s19, s14
	s_add_i32 s15, s22, s15
	s_add_i32 s15, s15, s21
	s_mul_i32 s23, s7, s14
	s_mul_i32 s22, s14, s15
	s_mul_hi_u32 s24, s14, s23
	s_mul_hi_u32 s21, s14, s15
	s_add_u32 s22, s24, s22
	s_addc_u32 s21, 0, s21
	s_mul_hi_u32 s25, s20, s23
	s_mul_i32 s23, s20, s23
	s_add_u32 s22, s22, s23
	s_mul_hi_u32 s24, s20, s15
	s_addc_u32 s21, s21, s25
	s_addc_u32 s22, s24, 0
	s_mul_i32 s15, s20, s15
	s_add_u32 s15, s21, s15
	s_addc_u32 s21, 0, s22
	s_add_u32 s22, s14, s15
	s_cselect_b64 s[14:15], -1, 0
	s_cmp_lg_u64 s[14:15], 0
	s_addc_u32 s20, s20, s21
	s_mul_i32 s14, s7, s20
	s_mul_hi_u32 s15, s7, s22
	s_add_i32 s14, s15, s14
	s_mul_i32 s19, s19, s22
	s_add_i32 s14, s14, s19
	s_mul_i32 s7, s7, s22
	s_mul_hi_u32 s19, s20, s7
	s_mul_i32 s21, s20, s7
	s_mul_i32 s24, s22, s14
	s_mul_hi_u32 s7, s22, s7
	s_mul_hi_u32 s23, s22, s14
	s_add_u32 s7, s7, s24
	s_addc_u32 s23, 0, s23
	s_add_u32 s7, s7, s21
	s_mul_hi_u32 s15, s20, s14
	s_addc_u32 s7, s23, s19
	s_addc_u32 s15, s15, 0
	s_mul_i32 s14, s20, s14
	s_add_u32 s7, s7, s14
	s_addc_u32 s19, 0, s15
	s_add_u32 s7, s22, s7
	s_cselect_b64 s[14:15], -1, 0
	s_cmp_lg_u64 s[14:15], 0
	s_addc_u32 s19, s20, s19
	s_add_u32 s14, s42, 0
	s_addc_u32 s15, 0, 0
	s_xor_b64 s[14:15], s[14:15], 0
	s_mul_i32 s21, s14, s19
	s_mul_hi_u32 s22, s14, s7
	s_mul_hi_u32 s20, s14, s19
	s_add_u32 s21, s22, s21
	s_addc_u32 s20, 0, s20
	s_mul_hi_u32 s23, s15, s7
	s_mul_i32 s7, s15, s7
	s_add_u32 s7, s21, s7
	s_mul_hi_u32 s22, s15, s19
	s_addc_u32 s7, s20, s23
	s_addc_u32 s20, s22, 0
	s_mul_i32 s19, s15, s19
	s_add_u32 s7, s7, s19
	s_addc_u32 s19, 0, s20
	s_mul_i32 s20, s2, s19
	s_mul_hi_u32 s21, s2, s7
	s_add_i32 s20, s21, s20
	s_mul_i32 s21, s3, s7
	s_add_i32 s24, s20, s21
	s_sub_i32 s22, s15, s24
	s_mul_i32 s20, s2, s7
	s_sub_u32 s14, s14, s20
	s_cselect_b64 s[20:21], -1, 0
	s_cmp_lg_u64 s[20:21], 0
	s_subb_u32 s25, s22, s3
	s_sub_u32 s26, s14, s2
	s_cselect_b64 s[22:23], -1, 0
	s_cmp_lg_u64 s[22:23], 0
	s_subb_u32 s22, s25, 0
	s_cmp_ge_u32 s22, s3
	s_cselect_b32 s23, -1, 0
	s_cmp_ge_u32 s26, s2
	s_cselect_b32 s25, -1, 0
	s_cmp_eq_u32 s22, s3
	s_cselect_b32 s22, s25, s23
	s_add_u32 s23, s7, 1
	s_addc_u32 s25, s19, 0
	s_add_u32 s26, s7, 2
	s_addc_u32 s27, s19, 0
	s_cmp_lg_u32 s22, 0
	s_cselect_b32 s22, s26, s23
	s_cselect_b32 s23, s27, s25
	s_cmp_lg_u64 s[20:21], 0
	s_subb_u32 s15, s15, s24
	s_cmp_ge_u32 s15, s3
	s_cselect_b32 s20, -1, 0
	s_cmp_ge_u32 s14, s2
	s_cselect_b32 s2, -1, 0
	s_cmp_eq_u32 s15, s3
	s_cselect_b32 s2, s2, s20
	s_cmp_lg_u32 s2, 0
	s_cselect_b32 s3, s23, s19
	s_cselect_b32 s2, s22, s7
	s_xor_b64 s[0:1], 0, s[0:1]
	s_xor_b64 s[2:3], s[2:3], s[0:1]
	s_sub_u32 s2, s2, s0
	s_subb_u32 s3, s3, s1
	s_cbranch_execnz .LBB22_4
.LBB22_3:
	v_cvt_f32_u32_e32 v1, s10
	s_sub_i32 s0, 0, s10
	s_mov_b32 s3, 0
	v_rcp_iflag_f32_e32 v1, v1
	v_mul_f32_e32 v1, 0x4f7ffffe, v1
	v_cvt_u32_f32_e32 v1, v1
	v_readfirstlane_b32 s1, v1
	s_mul_i32 s0, s0, s1
	s_mul_hi_u32 s0, s1, s0
	s_add_i32 s1, s1, s0
	s_mul_hi_u32 s0, s42, s1
	s_mul_i32 s2, s0, s10
	s_sub_i32 s2, s42, s2
	s_add_i32 s1, s0, 1
	s_sub_i32 s7, s2, s10
	s_cmp_ge_u32 s2, s10
	s_cselect_b32 s0, s1, s0
	s_cselect_b32 s2, s7, s2
	s_add_i32 s1, s0, 1
	s_cmp_ge_u32 s2, s10
	s_cselect_b32 s2, s1, s0
.LBB22_4:
	s_or_b64 s[0:1], s[2:3], s[8:9]
	s_mov_b32 s0, 0
	s_cmp_lg_u64 s[0:1], 0
	s_cbranch_scc0 .LBB22_13
; %bb.5:
	s_ashr_i32 s12, s9, 31
	s_add_u32 s0, s8, s12
	s_mov_b32 s13, s12
	s_addc_u32 s1, s9, s12
	s_xor_b64 s[14:15], s[0:1], s[12:13]
	v_cvt_f32_u32_e32 v1, s14
	v_cvt_f32_u32_e32 v2, s15
	s_sub_u32 s7, 0, s14
	s_subb_u32 s19, 0, s15
	v_madmk_f32 v1, v2, 0x4f800000, v1
	v_rcp_f32_e32 v1, v1
	v_mul_f32_e32 v1, 0x5f7ffffc, v1
	v_mul_f32_e32 v2, 0x2f800000, v1
	v_trunc_f32_e32 v2, v2
	v_madmk_f32 v1, v2, 0xcf800000, v1
	v_cvt_u32_f32_e32 v2, v2
	v_cvt_u32_f32_e32 v1, v1
	v_readfirstlane_b32 s22, v2
	v_readfirstlane_b32 s20, v1
	s_mul_i32 s21, s7, s22
	s_mul_hi_u32 s24, s7, s20
	s_mul_i32 s23, s19, s20
	s_add_i32 s21, s24, s21
	s_add_i32 s21, s21, s23
	s_mul_i32 s25, s7, s20
	s_mul_i32 s24, s20, s21
	s_mul_hi_u32 s26, s20, s25
	s_mul_hi_u32 s23, s20, s21
	s_add_u32 s24, s26, s24
	s_addc_u32 s23, 0, s23
	s_mul_hi_u32 s27, s22, s25
	s_mul_i32 s25, s22, s25
	s_add_u32 s24, s24, s25
	s_mul_hi_u32 s26, s22, s21
	s_addc_u32 s23, s23, s27
	s_addc_u32 s24, s26, 0
	s_mul_i32 s21, s22, s21
	s_add_u32 s21, s23, s21
	s_addc_u32 s23, 0, s24
	s_add_u32 s24, s20, s21
	s_cselect_b64 s[20:21], -1, 0
	s_cmp_lg_u64 s[20:21], 0
	s_addc_u32 s22, s22, s23
	s_mul_i32 s20, s7, s22
	s_mul_hi_u32 s21, s7, s24
	s_add_i32 s20, s21, s20
	s_mul_i32 s19, s19, s24
	s_add_i32 s20, s20, s19
	s_mul_i32 s7, s7, s24
	s_mul_hi_u32 s21, s22, s7
	s_mul_i32 s23, s22, s7
	s_mul_i32 s26, s24, s20
	s_mul_hi_u32 s7, s24, s7
	s_mul_hi_u32 s25, s24, s20
	s_add_u32 s7, s7, s26
	s_addc_u32 s25, 0, s25
	s_add_u32 s7, s7, s23
	s_mul_hi_u32 s19, s22, s20
	s_addc_u32 s7, s25, s21
	s_addc_u32 s19, s19, 0
	s_mul_i32 s20, s22, s20
	s_add_u32 s7, s7, s20
	s_addc_u32 s19, 0, s19
	s_add_u32 s7, s24, s7
	s_cselect_b64 s[20:21], -1, 0
	s_cmp_lg_u64 s[20:21], 0
	s_addc_u32 s19, s22, s19
	s_ashr_i32 s20, s3, 31
	s_add_u32 s22, s2, s20
	s_mov_b32 s21, s20
	s_addc_u32 s23, s3, s20
	s_xor_b64 s[22:23], s[22:23], s[20:21]
	s_mul_i32 s25, s22, s19
	s_mul_hi_u32 s26, s22, s7
	s_mul_hi_u32 s24, s22, s19
	s_add_u32 s25, s26, s25
	s_addc_u32 s24, 0, s24
	s_mul_hi_u32 s27, s23, s7
	s_mul_i32 s7, s23, s7
	s_add_u32 s7, s25, s7
	s_mul_hi_u32 s26, s23, s19
	s_addc_u32 s7, s24, s27
	s_addc_u32 s24, s26, 0
	s_mul_i32 s19, s23, s19
	s_add_u32 s7, s7, s19
	s_addc_u32 s19, 0, s24
	s_mul_i32 s24, s14, s19
	s_mul_hi_u32 s25, s14, s7
	s_add_i32 s24, s25, s24
	s_mul_i32 s25, s15, s7
	s_add_i32 s28, s24, s25
	s_sub_i32 s26, s23, s28
	s_mul_i32 s24, s14, s7
	s_sub_u32 s22, s22, s24
	s_cselect_b64 s[24:25], -1, 0
	s_cmp_lg_u64 s[24:25], 0
	s_subb_u32 s29, s26, s15
	s_sub_u32 s30, s22, s14
	s_cselect_b64 s[26:27], -1, 0
	s_cmp_lg_u64 s[26:27], 0
	s_subb_u32 s26, s29, 0
	s_cmp_ge_u32 s26, s15
	s_cselect_b32 s27, -1, 0
	s_cmp_ge_u32 s30, s14
	s_cselect_b32 s29, -1, 0
	s_cmp_eq_u32 s26, s15
	s_cselect_b32 s26, s29, s27
	s_add_u32 s27, s7, 1
	s_addc_u32 s29, s19, 0
	s_add_u32 s30, s7, 2
	s_addc_u32 s31, s19, 0
	s_cmp_lg_u32 s26, 0
	s_cselect_b32 s26, s30, s27
	s_cselect_b32 s27, s31, s29
	s_cmp_lg_u64 s[24:25], 0
	s_subb_u32 s23, s23, s28
	s_cmp_ge_u32 s23, s15
	s_cselect_b32 s24, -1, 0
	s_cmp_ge_u32 s22, s14
	s_cselect_b32 s14, -1, 0
	s_cmp_eq_u32 s23, s15
	s_cselect_b32 s14, s14, s24
	s_cmp_lg_u32 s14, 0
	s_cselect_b32 s15, s27, s19
	s_cselect_b32 s14, s26, s7
	s_xor_b64 s[12:13], s[20:21], s[12:13]
	s_xor_b64 s[14:15], s[14:15], s[12:13]
	s_sub_u32 s20, s14, s12
	s_subb_u32 s21, s15, s13
	s_load_dwordx4 s[24:27], s[4:5], 0x1d0
	s_cbranch_execnz .LBB22_7
.LBB22_6:
	v_cvt_f32_u32_e32 v1, s8
	s_sub_i32 s0, 0, s8
	s_mov_b32 s21, 0
	v_rcp_iflag_f32_e32 v1, v1
	v_mul_f32_e32 v1, 0x4f7ffffe, v1
	v_cvt_u32_f32_e32 v1, v1
	v_readfirstlane_b32 s1, v1
	s_mul_i32 s0, s0, s1
	s_mul_hi_u32 s0, s1, s0
	s_add_i32 s1, s1, s0
	s_mul_hi_u32 s0, s2, s1
	s_mul_i32 s7, s0, s8
	s_sub_i32 s7, s2, s7
	s_add_i32 s1, s0, 1
	s_sub_i32 s12, s7, s8
	s_cmp_ge_u32 s7, s8
	s_cselect_b32 s0, s1, s0
	s_cselect_b32 s7, s12, s7
	s_add_i32 s1, s0, 1
	s_cmp_ge_u32 s7, s8
	s_cselect_b32 s20, s1, s0
.LBB22_7:
                                        ; implicit-def: $vgpr56 : SGPR spill to VGPR lane
	s_waitcnt lgkmcnt(0)
	s_mov_b32 s1, s27
	v_writelane_b32 v56, s24, 0
	s_mov_b32 s0, 0
	v_writelane_b32 v56, s25, 1
	s_cmp_lg_u64 s[0:1], 0
	v_writelane_b32 v56, s26, 2
	v_writelane_b32 v56, s27, 3
	s_cbranch_scc0 .LBB22_14
; %bb.8:
	s_ashr_i32 s0, s27, 31
	s_add_u32 s12, s26, s0
	s_mov_b32 s1, s0
	s_addc_u32 s13, s27, s0
	s_xor_b64 s[14:15], s[12:13], s[0:1]
	v_cvt_f32_u32_e32 v1, s14
	v_cvt_f32_u32_e32 v2, s15
	s_sub_u32 s7, 0, s14
	s_subb_u32 s19, 0, s15
	v_madmk_f32 v1, v2, 0x4f800000, v1
	v_rcp_f32_e32 v1, v1
	v_mul_f32_e32 v1, 0x5f7ffffc, v1
	v_mul_f32_e32 v2, 0x2f800000, v1
	v_trunc_f32_e32 v2, v2
	v_madmk_f32 v1, v2, 0xcf800000, v1
	v_cvt_u32_f32_e32 v2, v2
	v_cvt_u32_f32_e32 v1, v1
	v_readfirstlane_b32 s24, v2
	v_readfirstlane_b32 s22, v1
	s_mul_i32 s23, s7, s24
	s_mul_hi_u32 s26, s7, s22
	s_mul_i32 s25, s19, s22
	s_add_i32 s23, s26, s23
	s_add_i32 s23, s23, s25
	s_mul_i32 s27, s7, s22
	s_mul_i32 s26, s22, s23
	s_mul_hi_u32 s28, s22, s27
	s_mul_hi_u32 s25, s22, s23
	s_add_u32 s26, s28, s26
	s_addc_u32 s25, 0, s25
	s_mul_hi_u32 s29, s24, s27
	s_mul_i32 s27, s24, s27
	s_add_u32 s26, s26, s27
	s_mul_hi_u32 s28, s24, s23
	s_addc_u32 s25, s25, s29
	s_addc_u32 s26, s28, 0
	s_mul_i32 s23, s24, s23
	s_add_u32 s23, s25, s23
	s_addc_u32 s25, 0, s26
	s_add_u32 s26, s22, s23
	s_cselect_b64 s[22:23], -1, 0
	s_cmp_lg_u64 s[22:23], 0
	s_addc_u32 s24, s24, s25
	s_mul_i32 s22, s7, s24
	s_mul_hi_u32 s23, s7, s26
	s_add_i32 s22, s23, s22
	s_mul_i32 s19, s19, s26
	s_add_i32 s22, s22, s19
	s_mul_i32 s7, s7, s26
	s_mul_hi_u32 s23, s24, s7
	s_mul_i32 s25, s24, s7
	s_mul_i32 s28, s26, s22
	s_mul_hi_u32 s7, s26, s7
	s_mul_hi_u32 s27, s26, s22
	s_add_u32 s7, s7, s28
	s_addc_u32 s27, 0, s27
	s_add_u32 s7, s7, s25
	s_mul_hi_u32 s19, s24, s22
	s_addc_u32 s7, s27, s23
	s_addc_u32 s19, s19, 0
	s_mul_i32 s22, s24, s22
	s_add_u32 s7, s7, s22
	s_addc_u32 s19, 0, s19
	s_add_u32 s7, s26, s7
	s_cselect_b64 s[22:23], -1, 0
	s_cmp_lg_u64 s[22:23], 0
	s_addc_u32 s19, s24, s19
	s_add_u32 s22, s42, 0
	s_addc_u32 s23, 0, 0
	s_xor_b64 s[22:23], s[22:23], 0
	s_mul_i32 s25, s22, s19
	s_mul_hi_u32 s26, s22, s7
	s_mul_hi_u32 s24, s22, s19
	s_add_u32 s25, s26, s25
	s_addc_u32 s24, 0, s24
	s_mul_hi_u32 s27, s23, s7
	s_mul_i32 s7, s23, s7
	s_add_u32 s7, s25, s7
	s_mul_hi_u32 s26, s23, s19
	s_addc_u32 s7, s24, s27
	s_addc_u32 s24, s26, 0
	s_mul_i32 s19, s23, s19
	s_add_u32 s7, s7, s19
	s_addc_u32 s19, 0, s24
	s_mul_i32 s24, s14, s19
	s_mul_hi_u32 s25, s14, s7
	s_add_i32 s24, s25, s24
	s_mul_i32 s25, s15, s7
	s_add_i32 s28, s24, s25
	s_sub_i32 s26, s23, s28
	s_mul_i32 s24, s14, s7
	s_sub_u32 s22, s22, s24
	s_cselect_b64 s[24:25], -1, 0
	s_cmp_lg_u64 s[24:25], 0
	s_subb_u32 s29, s26, s15
	s_sub_u32 s30, s22, s14
	s_cselect_b64 s[26:27], -1, 0
	s_cmp_lg_u64 s[26:27], 0
	s_subb_u32 s26, s29, 0
	s_cmp_ge_u32 s26, s15
	s_cselect_b32 s27, -1, 0
	s_cmp_ge_u32 s30, s14
	s_cselect_b32 s29, -1, 0
	s_cmp_eq_u32 s26, s15
	s_cselect_b32 s26, s29, s27
	s_add_u32 s27, s7, 1
	s_addc_u32 s29, s19, 0
	s_add_u32 s30, s7, 2
	s_addc_u32 s31, s19, 0
	s_cmp_lg_u32 s26, 0
	s_cselect_b32 s26, s30, s27
	s_cselect_b32 s27, s31, s29
	s_cmp_lg_u64 s[24:25], 0
	s_subb_u32 s23, s23, s28
	s_cmp_ge_u32 s23, s15
	s_cselect_b32 s24, -1, 0
	s_cmp_ge_u32 s22, s14
	s_cselect_b32 s14, -1, 0
	s_cmp_eq_u32 s23, s15
	s_cselect_b32 s14, s14, s24
	s_cmp_lg_u32 s14, 0
	s_cselect_b32 s15, s27, s19
	s_cselect_b32 s14, s26, s7
	s_load_dwordx4 s[24:27], s[4:5], 0x1d0
	s_xor_b64 s[0:1], 0, s[0:1]
	s_xor_b64 s[14:15], s[14:15], s[0:1]
	s_sub_u32 s14, s14, s0
	s_subb_u32 s15, s15, s1
	s_cbranch_execnz .LBB22_10
.LBB22_9:
	s_waitcnt lgkmcnt(0)
	v_cvt_f32_u32_e32 v1, s26
	s_sub_i32 s0, 0, s26
	s_mov_b32 s15, 0
	v_rcp_iflag_f32_e32 v1, v1
	v_mul_f32_e32 v1, 0x4f7ffffe, v1
	v_cvt_u32_f32_e32 v1, v1
	v_readfirstlane_b32 s1, v1
	s_mul_i32 s0, s0, s1
	s_mul_hi_u32 s0, s1, s0
	s_add_i32 s1, s1, s0
	s_mul_hi_u32 s0, s42, s1
	s_mul_i32 s7, s0, s26
	s_sub_i32 s7, s42, s7
	s_add_i32 s1, s0, 1
	s_sub_i32 s12, s7, s26
	s_cmp_ge_u32 s7, s26
	s_cselect_b32 s0, s1, s0
	s_cselect_b32 s7, s12, s7
	s_add_i32 s1, s0, 1
	s_cmp_ge_u32 s7, s26
	s_cselect_b32 s14, s1, s0
.LBB22_10:
	s_waitcnt lgkmcnt(0)
	s_or_b64 s[0:1], s[14:15], s[24:25]
	s_mov_b32 s0, 0
	s_cmp_lg_u64 s[0:1], 0
	v_writelane_b32 v56, s14, 4
	v_writelane_b32 v56, s15, 5
	s_cbranch_scc0 .LBB22_15
; %bb.11:
	s_ashr_i32 s12, s25, 31
	s_add_u32 s0, s24, s12
	s_mov_b32 s13, s12
	s_addc_u32 s1, s25, s12
	s_xor_b64 s[14:15], s[0:1], s[12:13]
	v_cvt_f32_u32_e32 v1, s14
	v_cvt_f32_u32_e32 v2, s15
	s_sub_u32 s7, 0, s14
	s_subb_u32 s19, 0, s15
	s_mov_b64 s[0:1], 0
	v_madmk_f32 v1, v2, 0x4f800000, v1
	v_rcp_f32_e32 v1, v1
	v_mul_f32_e32 v1, 0x5f7ffffc, v1
	v_mul_f32_e32 v2, 0x2f800000, v1
	v_trunc_f32_e32 v2, v2
	v_madmk_f32 v1, v2, 0xcf800000, v1
	v_cvt_u32_f32_e32 v2, v2
	v_cvt_u32_f32_e32 v1, v1
	v_readfirstlane_b32 s24, v2
	v_readfirstlane_b32 s22, v1
	s_mul_i32 s23, s7, s24
	s_mul_hi_u32 s26, s7, s22
	s_mul_i32 s25, s19, s22
	s_add_i32 s23, s26, s23
	s_add_i32 s23, s23, s25
	s_mul_i32 s27, s7, s22
	s_mul_i32 s26, s22, s23
	s_mul_hi_u32 s28, s22, s27
	s_mul_hi_u32 s25, s22, s23
	s_add_u32 s26, s28, s26
	s_addc_u32 s25, 0, s25
	s_mul_hi_u32 s29, s24, s27
	s_mul_i32 s27, s24, s27
	s_add_u32 s26, s26, s27
	s_mul_hi_u32 s28, s24, s23
	s_addc_u32 s25, s25, s29
	s_addc_u32 s26, s28, 0
	s_mul_i32 s23, s24, s23
	s_add_u32 s23, s25, s23
	s_addc_u32 s25, 0, s26
	s_add_u32 s26, s22, s23
	s_cselect_b64 s[22:23], -1, 0
	s_cmp_lg_u64 s[22:23], 0
	s_addc_u32 s24, s24, s25
	s_mul_i32 s22, s7, s24
	s_mul_hi_u32 s23, s7, s26
	s_add_i32 s22, s23, s22
	s_mul_i32 s19, s19, s26
	s_add_i32 s22, s22, s19
	s_mul_i32 s7, s7, s26
	s_mul_hi_u32 s23, s24, s7
	s_mul_i32 s25, s24, s7
	s_mul_i32 s28, s26, s22
	s_mul_hi_u32 s7, s26, s7
	s_mul_hi_u32 s27, s26, s22
	s_add_u32 s7, s7, s28
	s_addc_u32 s27, 0, s27
	s_add_u32 s7, s7, s25
	s_mul_hi_u32 s19, s24, s22
	s_addc_u32 s7, s27, s23
	s_addc_u32 s19, s19, 0
	s_mul_i32 s22, s24, s22
	s_add_u32 s7, s7, s22
	s_addc_u32 s19, 0, s19
	s_add_u32 s7, s26, s7
	s_cselect_b64 s[22:23], -1, 0
	s_cmp_lg_u64 s[22:23], 0
	v_readlane_b32 s22, v56, 4
	v_readlane_b32 s23, v56, 5
	s_addc_u32 s19, s24, s19
	s_ashr_i32 s22, s23, 31
	v_readlane_b32 s24, v56, 4
	v_readlane_b32 s26, v56, 4
	;; [unrolled: 1-line block ×3, first 2 shown]
	s_add_u32 s24, s24, s22
	v_readlane_b32 s27, v56, 5
	s_mov_b32 s23, s22
	s_addc_u32 s25, s27, s22
	s_xor_b64 s[24:25], s[24:25], s[22:23]
	s_mul_i32 s27, s24, s19
	s_mul_hi_u32 s28, s24, s7
	s_mul_hi_u32 s26, s24, s19
	s_add_u32 s27, s28, s27
	s_addc_u32 s26, 0, s26
	s_mul_hi_u32 s29, s25, s7
	s_mul_i32 s7, s25, s7
	s_add_u32 s7, s27, s7
	s_mul_hi_u32 s28, s25, s19
	s_addc_u32 s7, s26, s29
	s_addc_u32 s26, s28, 0
	s_mul_i32 s19, s25, s19
	s_add_u32 s7, s7, s19
	s_addc_u32 s19, 0, s26
	s_mul_i32 s26, s14, s19
	s_mul_hi_u32 s27, s14, s7
	s_add_i32 s26, s27, s26
	s_mul_i32 s27, s15, s7
	s_add_i32 s30, s26, s27
	s_sub_i32 s28, s25, s30
	s_mul_i32 s26, s14, s7
	s_sub_u32 s24, s24, s26
	s_cselect_b64 s[26:27], -1, 0
	s_cmp_lg_u64 s[26:27], 0
	s_subb_u32 s31, s28, s15
	s_sub_u32 s33, s24, s14
	s_cselect_b64 s[28:29], -1, 0
	s_cmp_lg_u64 s[28:29], 0
	s_subb_u32 s28, s31, 0
	s_cmp_ge_u32 s28, s15
	s_cselect_b32 s29, -1, 0
	s_cmp_ge_u32 s33, s14
	s_cselect_b32 s31, -1, 0
	s_cmp_eq_u32 s28, s15
	s_cselect_b32 s28, s31, s29
	s_add_u32 s29, s7, 1
	s_addc_u32 s31, s19, 0
	s_add_u32 s33, s7, 2
	s_addc_u32 s34, s19, 0
	s_cmp_lg_u32 s28, 0
	s_cselect_b32 s28, s33, s29
	s_cselect_b32 s29, s34, s31
	s_cmp_lg_u64 s[26:27], 0
	s_subb_u32 s25, s25, s30
	s_cmp_ge_u32 s25, s15
	s_cselect_b32 s26, -1, 0
	s_cmp_ge_u32 s24, s14
	s_cselect_b32 s14, -1, 0
	s_cmp_eq_u32 s25, s15
	s_cselect_b32 s14, s14, s26
	s_cmp_lg_u32 s14, 0
	s_load_dwordx4 s[24:27], s[4:5], 0x1d0
	s_cselect_b32 s15, s29, s19
	s_cselect_b32 s14, s28, s7
	s_xor_b64 s[12:13], s[22:23], s[12:13]
	s_xor_b64 s[14:15], s[14:15], s[12:13]
	s_sub_u32 s12, s14, s12
	s_subb_u32 s13, s15, s13
	v_readlane_b32 s14, v56, 4
	v_readlane_b32 s15, v56, 5
	s_branch .LBB22_16
.LBB22_12:
                                        ; implicit-def: $sgpr2_sgpr3
	s_branch .LBB22_3
.LBB22_13:
                                        ; implicit-def: $sgpr20_sgpr21
	s_load_dwordx4 s[24:27], s[4:5], 0x1d0
	s_branch .LBB22_6
.LBB22_14:
                                        ; implicit-def: $sgpr14_sgpr15
	s_branch .LBB22_9
.LBB22_15:
	s_mov_b64 s[0:1], -1
                                        ; implicit-def: $sgpr12_sgpr13
.LBB22_16:
	s_load_dwordx4 s[28:31], s[4:5], 0x370
	s_andn2_b64 vcc, exec, s[0:1]
	s_waitcnt lgkmcnt(0)
	v_writelane_b32 v56, s28, 6
	v_writelane_b32 v56, s29, 7
	;; [unrolled: 1-line block ×4, first 2 shown]
	s_cbranch_vccnz .LBB22_18
; %bb.17:
	v_cvt_f32_u32_e32 v1, s24
	s_sub_i32 s0, 0, s24
	s_mov_b32 s13, 0
	v_rcp_iflag_f32_e32 v1, v1
	v_mul_f32_e32 v1, 0x4f7ffffe, v1
	v_cvt_u32_f32_e32 v1, v1
	v_readfirstlane_b32 s1, v1
	s_mul_i32 s0, s0, s1
	s_mul_hi_u32 s0, s1, s0
	s_add_i32 s1, s1, s0
	s_mul_hi_u32 s0, s14, s1
	s_mul_i32 s7, s0, s24
	s_sub_i32 s7, s14, s7
	s_add_i32 s1, s0, 1
	s_sub_i32 s12, s7, s24
	s_cmp_ge_u32 s7, s24
	s_cselect_b32 s0, s1, s0
	s_cselect_b32 s7, s12, s7
	s_add_i32 s1, s0, 1
	s_cmp_ge_u32 s7, s24
	s_cselect_b32 s12, s1, s0
.LBB22_18:
	s_load_dwordx4 s[24:27], s[4:5], 0x370
	s_mov_b32 s0, 0
	v_writelane_b32 v56, s12, 10
	v_writelane_b32 v56, s13, 11
	s_waitcnt lgkmcnt(0)
	s_mov_b32 s1, s27
	s_cmp_lg_u64 s[0:1], 0
	s_cbranch_scc0 .LBB22_23
; %bb.19:
	s_ashr_i32 s0, s27, 31
	s_add_u32 s12, s26, s0
	s_mov_b32 s1, s0
	s_addc_u32 s13, s27, s0
	s_xor_b64 s[14:15], s[12:13], s[0:1]
	v_cvt_f32_u32_e32 v1, s14
	v_cvt_f32_u32_e32 v2, s15
	s_sub_u32 s7, 0, s14
	s_subb_u32 s19, 0, s15
	v_madmk_f32 v1, v2, 0x4f800000, v1
	v_rcp_f32_e32 v1, v1
	v_mul_f32_e32 v1, 0x5f7ffffc, v1
	v_mul_f32_e32 v2, 0x2f800000, v1
	v_trunc_f32_e32 v2, v2
	v_madmk_f32 v1, v2, 0xcf800000, v1
	v_cvt_u32_f32_e32 v2, v2
	v_cvt_u32_f32_e32 v1, v1
	v_readfirstlane_b32 s24, v2
	v_readfirstlane_b32 s22, v1
	s_mul_i32 s23, s7, s24
	s_mul_hi_u32 s26, s7, s22
	s_mul_i32 s25, s19, s22
	s_add_i32 s23, s26, s23
	s_add_i32 s23, s23, s25
	s_mul_i32 s27, s7, s22
	s_mul_i32 s26, s22, s23
	s_mul_hi_u32 s28, s22, s27
	s_mul_hi_u32 s25, s22, s23
	s_add_u32 s26, s28, s26
	s_addc_u32 s25, 0, s25
	s_mul_hi_u32 s29, s24, s27
	s_mul_i32 s27, s24, s27
	s_add_u32 s26, s26, s27
	s_mul_hi_u32 s28, s24, s23
	s_addc_u32 s25, s25, s29
	s_addc_u32 s26, s28, 0
	s_mul_i32 s23, s24, s23
	s_add_u32 s23, s25, s23
	s_addc_u32 s25, 0, s26
	s_add_u32 s26, s22, s23
	s_cselect_b64 s[22:23], -1, 0
	s_cmp_lg_u64 s[22:23], 0
	s_addc_u32 s24, s24, s25
	s_mul_i32 s22, s7, s24
	s_mul_hi_u32 s23, s7, s26
	s_add_i32 s22, s23, s22
	s_mul_i32 s19, s19, s26
	s_add_i32 s22, s22, s19
	s_mul_i32 s7, s7, s26
	s_mul_hi_u32 s23, s24, s7
	s_mul_i32 s25, s24, s7
	s_mul_i32 s28, s26, s22
	s_mul_hi_u32 s7, s26, s7
	s_mul_hi_u32 s27, s26, s22
	s_add_u32 s7, s7, s28
	s_addc_u32 s27, 0, s27
	s_add_u32 s7, s7, s25
	s_mul_hi_u32 s19, s24, s22
	s_addc_u32 s7, s27, s23
	s_addc_u32 s19, s19, 0
	s_mul_i32 s22, s24, s22
	s_add_u32 s7, s7, s22
	s_addc_u32 s19, 0, s19
	s_add_u32 s7, s26, s7
	s_cselect_b64 s[22:23], -1, 0
	s_cmp_lg_u64 s[22:23], 0
	s_addc_u32 s19, s24, s19
	s_add_u32 s22, s42, 0
	s_addc_u32 s23, 0, 0
	s_xor_b64 s[22:23], s[22:23], 0
	s_mul_i32 s25, s22, s19
	s_mul_hi_u32 s26, s22, s7
	s_mul_hi_u32 s24, s22, s19
	s_add_u32 s25, s26, s25
	s_addc_u32 s24, 0, s24
	s_mul_hi_u32 s27, s23, s7
	s_mul_i32 s7, s23, s7
	s_add_u32 s7, s25, s7
	s_mul_hi_u32 s26, s23, s19
	s_addc_u32 s7, s24, s27
	s_addc_u32 s24, s26, 0
	s_mul_i32 s19, s23, s19
	s_add_u32 s7, s7, s19
	s_addc_u32 s19, 0, s24
	s_mul_i32 s24, s14, s19
	s_mul_hi_u32 s25, s14, s7
	s_add_i32 s24, s25, s24
	s_mul_i32 s25, s15, s7
	s_add_i32 s28, s24, s25
	s_sub_i32 s26, s23, s28
	s_mul_i32 s24, s14, s7
	s_sub_u32 s22, s22, s24
	s_cselect_b64 s[24:25], -1, 0
	s_cmp_lg_u64 s[24:25], 0
	s_subb_u32 s29, s26, s15
	s_sub_u32 s30, s22, s14
	s_cselect_b64 s[26:27], -1, 0
	s_cmp_lg_u64 s[26:27], 0
	s_subb_u32 s26, s29, 0
	s_cmp_ge_u32 s26, s15
	s_cselect_b32 s27, -1, 0
	s_cmp_ge_u32 s30, s14
	s_cselect_b32 s29, -1, 0
	s_cmp_eq_u32 s26, s15
	s_cselect_b32 s26, s29, s27
	s_add_u32 s27, s7, 1
	s_addc_u32 s29, s19, 0
	s_add_u32 s30, s7, 2
	s_addc_u32 s31, s19, 0
	s_cmp_lg_u32 s26, 0
	s_cselect_b32 s26, s30, s27
	s_cselect_b32 s27, s31, s29
	s_cmp_lg_u64 s[24:25], 0
	s_subb_u32 s23, s23, s28
	s_cmp_ge_u32 s23, s15
	s_cselect_b32 s24, -1, 0
	s_cmp_ge_u32 s22, s14
	s_cselect_b32 s14, -1, 0
	s_cmp_eq_u32 s23, s15
	s_cselect_b32 s14, s14, s24
	s_cmp_lg_u32 s14, 0
	s_cselect_b32 s15, s27, s19
	s_cselect_b32 s14, s26, s7
	s_load_dwordx4 s[24:27], s[4:5], 0x370
	s_xor_b64 s[0:1], 0, s[0:1]
	s_xor_b64 s[14:15], s[14:15], s[0:1]
	s_sub_u32 s38, s14, s0
	s_subb_u32 s39, s15, s1
	s_cbranch_execnz .LBB22_21
.LBB22_20:
	s_waitcnt lgkmcnt(0)
	v_cvt_f32_u32_e32 v1, s26
	s_sub_i32 s0, 0, s26
	s_mov_b32 s39, 0
	v_rcp_iflag_f32_e32 v1, v1
	v_mul_f32_e32 v1, 0x4f7ffffe, v1
	v_cvt_u32_f32_e32 v1, v1
	v_readfirstlane_b32 s1, v1
	s_mul_i32 s0, s0, s1
	s_mul_hi_u32 s0, s1, s0
	s_add_i32 s1, s1, s0
	s_mul_hi_u32 s0, s42, s1
	s_mul_i32 s7, s0, s26
	s_sub_i32 s7, s42, s7
	s_add_i32 s1, s0, 1
	s_sub_i32 s12, s7, s26
	s_cmp_ge_u32 s7, s26
	s_cselect_b32 s0, s1, s0
	s_cselect_b32 s7, s12, s7
	s_add_i32 s1, s0, 1
	s_cmp_ge_u32 s7, s26
	s_cselect_b32 s38, s1, s0
.LBB22_21:
	s_load_dwordx2 s[0:1], s[4:5], 0xe0
	s_load_dwordx4 s[12:15], s[4:5], 0xd0
	s_waitcnt lgkmcnt(0)
	s_or_b64 s[22:23], s[38:39], s[24:25]
	s_mov_b32 s22, 0
	s_cmp_lg_u64 s[22:23], 0
	v_writelane_b32 v56, s38, 12
	v_writelane_b32 v56, s39, 13
	s_cbranch_scc0 .LBB22_24
; %bb.22:
	s_ashr_i32 s22, s25, 31
	s_add_u32 s24, s24, s22
	s_mov_b32 s23, s22
	s_addc_u32 s25, s25, s22
	s_xor_b64 s[26:27], s[24:25], s[22:23]
	v_cvt_f32_u32_e32 v1, s26
	v_cvt_f32_u32_e32 v2, s27
	s_sub_u32 s7, 0, s26
	s_subb_u32 s19, 0, s27
	s_mov_b64 s[24:25], 0
	v_madmk_f32 v1, v2, 0x4f800000, v1
	v_rcp_f32_e32 v1, v1
	v_mul_f32_e32 v1, 0x5f7ffffc, v1
	v_mul_f32_e32 v2, 0x2f800000, v1
	v_trunc_f32_e32 v2, v2
	v_madmk_f32 v1, v2, 0xcf800000, v1
	v_cvt_u32_f32_e32 v2, v2
	v_cvt_u32_f32_e32 v1, v1
	v_readfirstlane_b32 s30, v2
	v_readfirstlane_b32 s28, v1
	s_mul_i32 s29, s7, s30
	s_mul_hi_u32 s33, s7, s28
	s_mul_i32 s31, s19, s28
	s_add_i32 s29, s33, s29
	s_add_i32 s29, s29, s31
	s_mul_i32 s34, s7, s28
	s_mul_i32 s33, s28, s29
	s_mul_hi_u32 s35, s28, s34
	s_mul_hi_u32 s31, s28, s29
	s_add_u32 s33, s35, s33
	s_addc_u32 s31, 0, s31
	s_mul_hi_u32 s36, s30, s34
	s_mul_i32 s34, s30, s34
	s_add_u32 s33, s33, s34
	s_mul_hi_u32 s35, s30, s29
	s_addc_u32 s31, s31, s36
	s_addc_u32 s33, s35, 0
	s_mul_i32 s29, s30, s29
	s_add_u32 s29, s31, s29
	s_addc_u32 s31, 0, s33
	s_add_u32 s33, s28, s29
	s_cselect_b64 s[28:29], -1, 0
	s_cmp_lg_u64 s[28:29], 0
	s_addc_u32 s30, s30, s31
	s_mul_i32 s28, s7, s30
	s_mul_hi_u32 s29, s7, s33
	s_add_i32 s28, s29, s28
	s_mul_i32 s19, s19, s33
	s_add_i32 s28, s28, s19
	s_mul_i32 s7, s7, s33
	s_mul_hi_u32 s29, s30, s7
	s_mul_i32 s31, s30, s7
	s_mul_i32 s35, s33, s28
	s_mul_hi_u32 s7, s33, s7
	s_mul_hi_u32 s34, s33, s28
	s_add_u32 s7, s7, s35
	s_addc_u32 s34, 0, s34
	s_add_u32 s7, s7, s31
	s_mul_hi_u32 s19, s30, s28
	s_addc_u32 s7, s34, s29
	s_addc_u32 s19, s19, 0
	s_mul_i32 s28, s30, s28
	s_add_u32 s7, s7, s28
	s_addc_u32 s19, 0, s19
	s_add_u32 s7, s33, s7
	s_cselect_b64 s[28:29], -1, 0
	s_cmp_lg_u64 s[28:29], 0
	s_addc_u32 s19, s30, s19
	s_ashr_i32 s28, s39, 31
	s_add_u32 s30, s38, s28
	s_mov_b32 s29, s28
	s_addc_u32 s31, s39, s28
	s_xor_b64 s[30:31], s[30:31], s[28:29]
	s_mul_i32 s34, s30, s19
	s_mul_hi_u32 s35, s30, s7
	s_mul_hi_u32 s33, s30, s19
	s_add_u32 s34, s35, s34
	s_addc_u32 s33, 0, s33
	s_mul_hi_u32 s36, s31, s7
	s_mul_i32 s7, s31, s7
	s_add_u32 s7, s34, s7
	s_mul_hi_u32 s35, s31, s19
	s_addc_u32 s7, s33, s36
	s_addc_u32 s33, s35, 0
	s_mul_i32 s19, s31, s19
	s_add_u32 s7, s7, s19
	s_addc_u32 s19, 0, s33
	s_mul_i32 s33, s26, s19
	s_mul_hi_u32 s34, s26, s7
	s_add_i32 s33, s34, s33
	s_mul_i32 s34, s27, s7
	s_add_i32 s33, s33, s34
	s_sub_i32 s36, s31, s33
	s_mul_i32 s34, s26, s7
	s_sub_u32 s30, s30, s34
	s_cselect_b64 s[34:35], -1, 0
	s_cmp_lg_u64 s[34:35], 0
	s_subb_u32 s38, s36, s27
	s_sub_u32 s39, s30, s26
	s_cselect_b64 s[36:37], -1, 0
	s_cmp_lg_u64 s[36:37], 0
	s_subb_u32 s36, s38, 0
	s_cmp_ge_u32 s36, s27
	s_cselect_b32 s37, -1, 0
	s_cmp_ge_u32 s39, s26
	s_cselect_b32 s38, -1, 0
	s_cmp_eq_u32 s36, s27
	s_cselect_b32 s36, s38, s37
	s_add_u32 s37, s7, 1
	s_addc_u32 s38, s19, 0
	s_add_u32 s39, s7, 2
	s_addc_u32 s40, s19, 0
	s_cmp_lg_u32 s36, 0
	s_cselect_b32 s36, s39, s37
	s_cselect_b32 s37, s40, s38
	s_cmp_lg_u64 s[34:35], 0
	s_subb_u32 s31, s31, s33
	s_cmp_ge_u32 s31, s27
	s_cselect_b32 s33, -1, 0
	s_cmp_ge_u32 s30, s26
	s_cselect_b32 s26, -1, 0
	s_cmp_eq_u32 s31, s27
	s_cselect_b32 s26, s26, s33
	s_cmp_lg_u32 s26, 0
	s_cselect_b32 s27, s37, s19
	s_cselect_b32 s26, s36, s7
	s_xor_b64 s[22:23], s[28:29], s[22:23]
	s_xor_b64 s[26:27], s[26:27], s[22:23]
	s_sub_u32 s22, s26, s22
	s_subb_u32 s23, s27, s23
	v_writelane_b32 v56, s22, 26
	v_writelane_b32 v56, s23, 27
	s_branch .LBB22_25
.LBB22_23:
                                        ; implicit-def: $sgpr38_sgpr39
	s_branch .LBB22_20
.LBB22_24:
	s_mov_b64 s[24:25], -1
                                        ; implicit-def: $sgpr22_sgpr23
                                        ; kill: killed $sgpr22_sgpr23
.LBB22_25:
	s_load_dwordx2 s[22:23], s[4:5], 0x440
	s_load_dwordx4 s[28:31], s[4:5], 0x430
	s_andn2_b64 vcc, exec, s[24:25]
	s_waitcnt lgkmcnt(0)
	v_writelane_b32 v56, s22, 14
	v_writelane_b32 v56, s23, 15
	s_load_dwordx2 s[22:23], s[4:5], 0x2a0
	v_writelane_b32 v56, s28, 16
	v_writelane_b32 v56, s29, 17
	;; [unrolled: 1-line block ×4, first 2 shown]
	s_load_dwordx4 s[28:31], s[4:5], 0x290
	s_waitcnt lgkmcnt(0)
	v_writelane_b32 v56, s22, 20
	v_writelane_b32 v56, s23, 21
	s_load_dwordx2 s[22:23], s[4:5], 0x0
	v_writelane_b32 v56, s28, 22
	v_writelane_b32 v56, s29, 23
	;; [unrolled: 1-line block ×4, first 2 shown]
	s_cbranch_vccnz .LBB22_27
; %bb.26:
	s_load_dwordx4 s[24:27], s[4:5], 0x370
	s_waitcnt lgkmcnt(0)
	s_mov_b64 s[30:31], s[26:27]
	s_mov_b64 s[28:29], s[24:25]
	v_cvt_f32_u32_e32 v1, s28
	s_sub_i32 s7, 0, s28
	v_readlane_b32 s26, v56, 12
	s_mov_b32 s29, 0
	v_rcp_iflag_f32_e32 v1, v1
	v_readlane_b32 s27, v56, 13
	v_mul_f32_e32 v1, 0x4f7ffffe, v1
	v_cvt_u32_f32_e32 v1, v1
	v_readfirstlane_b32 s19, v1
	s_mul_i32 s7, s7, s19
	s_mul_hi_u32 s7, s19, s7
	s_add_i32 s19, s19, s7
	s_mul_hi_u32 s7, s26, s19
	s_mul_i32 s24, s7, s28
	s_sub_i32 s24, s26, s24
	s_add_i32 s19, s7, 1
	s_sub_i32 s25, s24, s28
	s_cmp_ge_u32 s24, s28
	s_cselect_b32 s7, s19, s7
	s_cselect_b32 s24, s25, s24
	s_add_i32 s19, s7, 1
	s_cmp_ge_u32 s24, s28
	s_cselect_b32 s28, s19, s7
	v_writelane_b32 v56, s28, 26
	v_writelane_b32 v56, s29, 27
.LBB22_27:
	s_load_dwordx2 s[24:25], s[4:5], 0x360
	s_mov_b32 s95, 0
	s_load_dwordx2 s[4:5], s[4:5], 0x1c0
	s_waitcnt lgkmcnt(0)
	v_writelane_b32 v56, s24, 28
	v_writelane_b32 v56, s25, 29
	v_writelane_b32 v56, s4, 30
	v_writelane_b32 v56, s5, 31
	v_cmp_eq_u32_e64 s[24:25], 0, v0
	s_mov_b64 s[4:5], exec
	v_writelane_b32 v56, s24, 32
	v_writelane_b32 v56, s25, 33
	s_and_b64 s[24:25], s[4:5], s[24:25]
	s_mov_b64 exec, s[24:25]
	s_cbranch_execz .LBB22_29
; %bb.28:
	v_mov_b32_e32 v1, 0
	v_mov_b32_e32 v3, s56
	;; [unrolled: 1-line block ×4, first 2 shown]
	ds_write_b32 v1, v1 offset:5136
	ds_write_b128 v1, v[1:4] offset:5120
.LBB22_29:
	s_or_b64 exec, exec, s[4:5]
	s_mul_i32 s4, s20, s9
	s_mul_hi_u32 s5, s20, s8
	s_add_i32 s4, s5, s4
	s_mul_i32 s5, s21, s8
	s_add_i32 s4, s4, s5
	s_mul_i32 s5, s20, s8
	s_sub_u32 s7, s2, s5
	s_subb_u32 s4, s3, s4
	s_mul_i32 s5, s7, s15
	s_mul_hi_u32 s8, s7, s14
	s_add_i32 s5, s8, s5
	s_mul_i32 s4, s4, s14
	s_add_i32 s5, s5, s4
	s_mul_i32 s4, s7, s14
	s_mul_i32 s7, s20, s13
	s_mul_hi_u32 s8, s20, s12
	s_add_i32 s7, s8, s7
	s_mul_i32 s8, s21, s12
	s_add_i32 s9, s7, s8
	s_mul_i32 s7, s2, s11
	s_mul_hi_u32 s11, s2, s10
	s_add_i32 s7, s11, s7
	s_mul_i32 s3, s3, s10
	s_add_i32 s7, s7, s3
	s_mul_i32 s2, s2, s10
	s_sub_u32 s2, s42, s2
	s_subb_u32 s3, 0, s7
	s_mul_i32 s1, s2, s1
	s_mul_hi_u32 s7, s2, s0
	s_mul_i32 s8, s20, s12
	s_add_i32 s1, s7, s1
	s_mul_i32 s3, s3, s0
	s_mov_b32 s10, s42
	s_add_i32 s1, s1, s3
	s_lshl_b64 s[8:9], s[8:9], 2
	v_writelane_b32 v56, s10, 34
	s_mul_i32 s0, s2, s0
	s_add_u32 s2, s22, s8
	v_writelane_b32 v56, s11, 35
	s_addc_u32 s3, s23, s9
	s_lshl_b64 s[10:11], s[4:5], 2
	s_add_u32 s2, s2, s10
	s_addc_u32 s3, s3, s11
	s_lshl_b64 s[0:1], s[0:1], 2
	v_mbcnt_lo_u32_b32 v1, -1, 0
	s_add_u32 s80, s2, s0
	v_mbcnt_hi_u32_b32 v33, -1, v1
	s_addc_u32 s81, s3, s1
	v_cmp_gt_u32_e32 vcc, 64, v0
	v_cmp_gt_i32_e64 s[2:3], 4, v33
	s_and_b64 s[74:75], vcc, s[2:3]
	v_mad_u64_u32 v[2:3], s[2:3], s62, v0, 0
	v_mov_b32_e32 v13, 0
	v_mov_b32_e32 v4, 0x300
	;; [unrolled: 1-line block ×4, first 2 shown]
	v_mad_u64_u32 v[6:7], s[2:3], s63, v0, v[3:4]
	v_cmp_gt_u64_e64 s[2:3], s[56:57], v[0:1]
	s_waitcnt lgkmcnt(0)
	v_writelane_b32 v56, s2, 36
	v_writelane_b32 v56, s3, 37
	v_cmp_gt_i64_e64 s[2:3], s[56:57], v[0:1]
	s_barrier
	v_writelane_b32 v56, s2, 38
	v_writelane_b32 v56, s3, 39
	s_load_dword s2, s[16:17], 0xc
	v_mov_b32_e32 v3, v6
	v_cmp_gt_i64_e64 s[92:93], s[56:57], v[4:5]
	v_lshlrev_b64 v[4:5], 2, v[2:3]
	v_mov_b32_e32 v6, s81
	s_waitcnt lgkmcnt(0)
	s_and_b32 s33, s2, 0xffff
	s_bfe_u32 s2, s2, 0xa0006
	s_cmp_gt_u32 s33, 63
	s_cselect_b64 s[12:13], -1, 0
	s_add_u32 s7, s33, -1
	s_addc_u32 s3, 0, -1
	v_writelane_b32 v56, s12, 40
	s_add_u32 s53, s7, s56
	v_writelane_b32 v56, s13, 41
	s_addc_u32 s65, s3, s57
	v_writelane_b32 v56, s7, 42
	s_cmp_lt_u32 s6, s18
	v_writelane_b32 v56, s3, 43
	s_cselect_b32 s3, 12, 18
	s_add_u32 s70, s16, s3
	s_addc_u32 s71, s17, 0
	s_add_i32 s3, s2, -1
	s_bfe_u32 s6, s33, 0x30006
	s_and_b32 s3, s3, 0xffff
	s_cmp_gt_u32 s3, 6
	s_cselect_b64 s[12:13], -1, 0
	s_and_b32 s87, s2, 0x3f8
	s_cmp_lg_u32 s6, 0
	v_writelane_b32 v56, s12, 44
	s_cselect_b64 s[2:3], -1, 0
	s_add_u32 s0, s8, s0
	v_add_co_u32_e32 v16, vcc, s80, v4
	v_writelane_b32 v56, s13, 45
	s_addc_u32 s1, s9, s1
	v_addc_co_u32_e32 v17, vcc, v6, v5, vcc
	v_lshlrev_b64 v[6:7], v33, -1
	v_writelane_b32 v56, s6, 46
	s_add_u32 s0, s0, s10
	v_writelane_b32 v56, s2, 47
	s_addc_u32 s1, s1, s11
	v_lshlrev_b32_e32 v36, 4, v0
	v_not_b32_e32 v34, v7
	v_writelane_b32 v56, s3, 48
	s_add_u32 s2, s22, s0
	v_or_b32_e32 v7, 12, v36
	s_addc_u32 s3, s23, s1
	v_mad_u64_u32 v[18:19], s[0:1], s62, v7, 0
	v_or_b32_e32 v8, 8, v36
	v_mad_u64_u32 v[20:21], s[0:1], s62, v8, 0
	v_not_b32_e32 v35, v6
	v_mov_b32_e32 v6, v19
	v_mad_u64_u32 v[6:7], s[0:1], s63, v7, v[6:7]
	v_mov_b32_e32 v7, v21
	v_mad_u64_u32 v[7:8], s[0:1], s63, v8, v[7:8]
	v_mov_b32_e32 v8, s3
	v_writelane_b32 v56, s2, 49
	v_add_co_u32_e32 v10, vcc, s2, v4
	v_addc_co_u32_e32 v11, vcc, v8, v5, vcc
	v_or_b32_e32 v5, 4, v36
	v_mad_u64_u32 v[21:22], s[0:1], s62, v5, 0
	v_writelane_b32 v56, s3, 50
	s_lshl_b32 s52, s33, 2
	v_mov_b32_e32 v4, v22
	v_mad_u64_u32 v[4:5], s[0:1], s63, v5, v[4:5]
	v_writelane_b32 v56, s53, 51
	s_mul_i32 s0, s63, s33
	s_mul_hi_u32 s1, s62, s33
	v_writelane_b32 v56, s52, 52
	v_lshrrev_b32_e32 v5, 1, v0
	v_lshlrev_b64 v[22:23], 4, v[2:3]
	v_mov_b32_e32 v2, s57
	v_add_co_u32_e32 v41, vcc, s56, v0
	s_add_i32 s1, s1, s0
	s_mul_i32 s0, s62, s33
	v_writelane_b32 v56, s92, 53
	v_lshlrev_b32_e32 v14, 2, v0
	v_lshlrev_b32_e32 v9, 2, v33
	v_and_b32_e32 v5, 0x1e0, v5
	v_addc_co_u32_e32 v42, vcc, 0, v2, vcc
	v_mov_b32_e32 v2, 0xc00
	s_lshl_b64 s[88:89], s[0:1], 2
	v_mov_b32_e32 v27, s58
	v_writelane_b32 v56, s93, 54
	v_cmp_eq_u32_e64 s[4:5], 0, v33
	v_cmp_gt_u32_e64 s[72:73], 2, v0
	v_mov_b32_e32 v15, v13
	v_and_b32_e32 v19, 0x100, v9
	v_mov_b32_e32 v37, v6
	v_mov_b32_e32 v38, v7
	v_or_b32_e32 v39, 0xc00, v5
	s_lshl_b64 s[84:85], s[62:63], 2
	s_lshl_b64 s[10:11], s[62:63], 4
	v_mov_b32_e32 v40, v4
	v_lshl_or_b32 v43, v33, 3, v2
	s_mov_b32 s86, 30
	s_mov_b64 s[60:61], 0
	v_add_u32_e32 v45, 0xc00, v14
	v_mov_b32_e32 v46, 0
	v_mov_b32_e32 v44, 0
	;; [unrolled: 1-line block ×6, first 2 shown]
	v_writelane_b32 v56, s88, 55
                                        ; implicit-def: $sgpr66_sgpr67
                                        ; implicit-def: $sgpr78_sgpr79
                                        ; implicit-def: $sgpr76_sgpr77
                                        ; implicit-def: $sgpr90_sgpr91
                                        ; implicit-def: $sgpr68_sgpr69
                                        ; implicit-def: $sgpr82_sgpr83
	v_writelane_b32 v56, s89, 56
	s_branch .LBB22_33
.LBB22_30:                              ;   in Loop: Header=BB22_33 Depth=1
	s_or_b64 exec, exec, s[16:17]
	s_and_b64 s[8:9], s[8:9], exec
	s_andn2_b64 s[22:23], s[22:23], exec
	s_andn2_b64 s[6:7], s[6:7], exec
	s_orn2_b64 s[16:17], s[12:13], exec
.LBB22_31:                              ;   in Loop: Header=BB22_33 Depth=1
	s_or_b64 exec, exec, s[0:1]
	s_andn2_b64 s[0:1], s[82:83], exec
	s_and_b64 s[2:3], s[8:9], exec
	s_or_b64 s[82:83], s[0:1], s[2:3]
	s_andn2_b64 s[0:1], s[68:69], exec
	s_and_b64 s[8:9], s[22:23], exec
	s_or_b64 s[68:69], s[0:1], s[8:9]
	;; [unrolled: 3-line block ×3, first 2 shown]
	s_orn2_b64 s[6:7], s[16:17], exec
.LBB22_32:                              ;   in Loop: Header=BB22_33 Depth=1
	s_or_b64 exec, exec, s[14:15]
	s_and_b64 s[0:1], exec, s[6:7]
	s_or_b64 s[60:61], s[0:1], s[60:61]
	s_andn2_b64 s[0:1], s[76:77], exec
	s_and_b64 s[6:7], s[82:83], exec
	s_or_b64 s[76:77], s[0:1], s[6:7]
	s_andn2_b64 s[0:1], s[78:79], exec
	s_and_b64 s[6:7], s[68:69], exec
	;; [unrolled: 3-line block ×3, first 2 shown]
	v_mov_b32_e32 v28, v7
	s_or_b64 s[66:67], s[0:1], s[6:7]
	v_mov_b32_e32 v27, v6
	s_andn2_b64 exec, exec, s[60:61]
	s_cbranch_execz .LBB22_291
.LBB22_33:                              ; =>This Loop Header: Depth=1
                                        ;     Child Loop BB22_39 Depth 2
                                        ;     Child Loop BB22_52 Depth 2
	;; [unrolled: 1-line block ×16, first 2 shown]
	ds_read_b128 v[2:5], v13 offset:5120
	s_waitcnt lgkmcnt(0)
	v_readfirstlane_b32 s59, v3
	v_readfirstlane_b32 s58, v2
	v_cmp_gt_i64_e64 s[0:1], s[58:59], 0
	s_and_b64 vcc, exec, s[0:1]
	s_cbranch_vccnz .LBB22_60
; %bb.34:                               ;   in Loop: Header=BB22_33 Depth=1
	s_and_b64 vcc, exec, s[92:93]
	s_cbranch_vccz .LBB22_47
; %bb.35:                               ;   in Loop: Header=BB22_33 Depth=1
	s_mov_b64 s[0:1], 0x301
	v_cmp_gt_i64_e32 vcc, s[0:1], v[4:5]
	s_mov_b64 s[0:1], 0
	s_mov_b64 s[6:7], 0
	s_cbranch_vccz .LBB22_48
; %bb.36:                               ;   in Loop: Header=BB22_33 Depth=1
	v_readlane_b32 s2, v56, 36
	v_readlane_b32 s3, v56, 37
	s_and_saveexec_b64 s[8:9], s[2:3]
	s_cbranch_execz .LBB22_94
; %bb.37:                               ;   in Loop: Header=BB22_33 Depth=1
	global_load_ushort v6, v13, s[70:71]
	global_load_dword v7, v[16:17], off
	v_readlane_b32 s2, v56, 49
	v_readlane_b32 s3, v56, 50
	v_mov_b32_e32 v2, s2
	v_mov_b32_e32 v3, s3
	s_mov_b64 s[14:15], 0
	s_waitcnt vmcnt(1)
	v_readfirstlane_b32 s6, v6
	s_and_b32 s12, 0xffff, s6
	v_add_u32_e32 v4, s12, v0
	v_mad_u64_u32 v[2:3], s[6:7], s84, v4, v[2:3]
	s_mul_i32 s13, s85, s12
	s_mul_i32 s22, s84, s12
	v_mad_u64_u32 v[3:4], s[6:7], s85, v4, v[3:4]
	s_mul_hi_u32 s6, s84, s12
	v_mov_b32_e32 v5, v1
	s_add_i32 s23, s6, s13
	v_mov_b32_e32 v4, v0
	s_branch .LBB22_39
.LBB22_38:                              ;   in Loop: Header=BB22_39 Depth=2
	s_or_b64 exec, exec, s[6:7]
	v_mov_b32_e32 v7, s23
	v_add_co_u32_e32 v2, vcc, s22, v2
	v_addc_co_u32_e32 v3, vcc, v3, v7, vcc
	v_mov_b32_e32 v7, v8
	s_andn2_b64 exec, exec, s[14:15]
	s_cbranch_execz .LBB22_94
.LBB22_39:                              ;   Parent Loop BB22_33 Depth=1
                                        ; =>  This Inner Loop Header: Depth=2
	v_add_co_u32_sdwa v4, vcc, v4, v6 dst_sel:DWORD dst_unused:UNUSED_PAD src0_sel:DWORD src1_sel:WORD_0
	v_addc_co_u32_e32 v5, vcc, 0, v5, vcc
	v_cmp_gt_i64_e64 s[6:7], s[56:57], v[4:5]
	v_cmp_le_i64_e32 vcc, s[56:57], v[4:5]
	s_waitcnt lgkmcnt(0)
	v_mov_b32_e32 v9, 0
	v_mov_b32_e32 v8, 0
	s_and_saveexec_b64 s[12:13], s[6:7]
	s_cbranch_execz .LBB22_41
; %bb.40:                               ;   in Loop: Header=BB22_39 Depth=2
	global_load_dword v8, v[2:3], off
.LBB22_41:                              ;   in Loop: Header=BB22_39 Depth=2
	s_or_b64 exec, exec, s[12:13]
	s_waitcnt vmcnt(0)
	v_xor_b32_e32 v12, 0x80000000, v7
	v_and_b32_e32 v12, v12, v47
	v_cmp_eq_u32_e64 s[12:13], v12, v44
	s_cmp_lg_u64 s[12:13], 0
	s_cselect_b64 s[6:7], -1, 0
	s_and_b64 s[6:7], s[4:5], s[6:7]
	s_and_saveexec_b64 s[16:17], s[6:7]
	s_cbranch_execz .LBB22_45
; %bb.42:                               ;   in Loop: Header=BB22_39 Depth=2
	s_mov_b64 s[20:21], exec
	v_mbcnt_lo_u32_b32 v9, s20, 0
	v_mbcnt_hi_u32_b32 v9, s21, v9
	s_bcnt1_i32_b64 s24, s[12:13]
	v_cmp_eq_u32_e64 s[6:7], 0, v9
                                        ; implicit-def: $vgpr12
	s_and_saveexec_b64 s[18:19], s[6:7]
; %bb.43:                               ;   in Loop: Header=BB22_39 Depth=2
	s_bcnt1_i32_b64 s6, s[20:21]
	s_mul_i32 s6, s24, s6
	v_mov_b32_e32 v12, s6
	ds_add_rtn_u32 v12, v13, v12 offset:5136
; %bb.44:                               ;   in Loop: Header=BB22_39 Depth=2
	s_or_b64 exec, exec, s[18:19]
	s_waitcnt lgkmcnt(0)
	v_readfirstlane_b32 s6, v12
	v_mov_b32_e32 v12, s6
	v_mad_u32_u24 v9, s24, v9, v12
.LBB22_45:                              ;   in Loop: Header=BB22_39 Depth=2
	s_or_b64 exec, exec, s[16:17]
	ds_bpermute_b32 v9, v19, v9
	s_and_b64 s[6:7], exec, vcc
	s_or_b64 s[14:15], s[6:7], s[14:15]
	s_and_saveexec_b64 s[6:7], s[12:13]
	s_cbranch_execz .LBB22_38
; %bb.46:                               ;   in Loop: Header=BB22_39 Depth=2
	v_and_b32_e32 v25, s12, v35
	v_and_b32_e32 v12, s13, v34
	v_bcnt_u32_b32 v25, v25, 0
	v_bcnt_u32_b32 v12, v12, v25
	v_lshlrev_b32_e32 v12, 2, v12
	s_waitcnt lgkmcnt(0)
	v_lshl_add_u32 v9, v9, 2, v12
	ds_write_b32 v9, v7
	s_branch .LBB22_38
.LBB22_47:                              ;   in Loop: Header=BB22_33 Depth=1
	s_mov_b64 s[0:1], -1
	s_mov_b64 s[6:7], 0
.LBB22_48:                              ;   in Loop: Header=BB22_33 Depth=1
	s_and_b64 vcc, exec, s[0:1]
	s_cbranch_vccz .LBB22_58
.LBB22_49:                              ;   in Loop: Header=BB22_33 Depth=1
	s_mov_b64 s[0:1], exec
	v_readlane_b32 s6, v56, 38
	v_readlane_b32 s7, v56, 39
	s_and_b64 s[6:7], s[0:1], s[6:7]
	s_mov_b64 exec, s[6:7]
	s_cbranch_execz .LBB22_55
; %bb.50:                               ;   in Loop: Header=BB22_33 Depth=1
	global_load_ushort v2, v13, s[70:71]
	global_load_dword v8, v[16:17], off
	s_waitcnt vmcnt(1)
	v_add_u32_sdwa v12, v2, v0 dst_sel:DWORD dst_unused:UNUSED_PAD src0_sel:WORD_0 src1_sel:DWORD
	v_cmp_gt_i64_e32 vcc, s[56:57], v[12:13]
	v_readfirstlane_b32 s8, v2
	v_mov_b32_e32 v2, v0
	s_and_saveexec_b64 s[6:7], vcc
	s_cbranch_execz .LBB22_54
; %bb.51:                               ;   in Loop: Header=BB22_33 Depth=1
	v_readlane_b32 s2, v56, 49
	v_readlane_b32 s3, v56, 50
	v_mov_b32_e32 v2, s2
	v_mov_b32_e32 v3, s3
	v_mad_u64_u32 v[2:3], s[12:13], s84, v12, v[2:3]
	s_and_b32 s12, s8, 0xffff
	v_mov_b32_e32 v7, v1
	v_mad_u64_u32 v[3:4], s[8:9], s85, v12, v[3:4]
	s_mul_i32 s8, s85, s12
	s_mul_hi_u32 s9, s84, s12
	v_mov_b32_e32 v4, v12
	s_add_i32 s13, s9, s8
	s_mov_b64 s[8:9], 0
	v_mov_b32_e32 v5, v13
	v_mov_b32_e32 v6, v0
.LBB22_52:                              ;   Parent Loop BB22_33 Depth=1
                                        ; =>  This Inner Loop Header: Depth=2
	global_load_dword v9, v[2:3], off
	v_mov_b32_e32 v30, v5
	s_mul_i32 s14, s84, s12
	v_mov_b32_e32 v29, v4
	v_mov_b32_e32 v5, s13
	v_add_co_u32_e32 v2, vcc, s14, v2
	v_lshlrev_b32_e32 v4, 2, v6
	v_addc_co_u32_e32 v3, vcc, v3, v5, vcc
	s_waitcnt vmcnt(1)
	ds_write_b32 v4, v8
	v_add_co_u32_e32 v4, vcc, s12, v29
	v_addc_co_u32_e32 v5, vcc, 0, v30, vcc
	v_cmp_le_i64_e32 vcc, s[56:57], v[4:5]
	v_mov_b32_e32 v6, v29
	s_or_b64 s[8:9], vcc, s[8:9]
	v_mov_b32_e32 v7, v30
	s_waitcnt vmcnt(0)
	v_mov_b32_e32 v8, v9
	s_andn2_b64 exec, exec, s[8:9]
	s_cbranch_execnz .LBB22_52
; %bb.53:                               ;   in Loop: Header=BB22_33 Depth=1
	s_or_b64 exec, exec, s[8:9]
	v_subrev_u32_e32 v2, s12, v4
	v_mov_b32_e32 v8, v9
.LBB22_54:                              ;   in Loop: Header=BB22_33 Depth=1
	s_or_b64 exec, exec, s[6:7]
	v_lshlrev_b32_e32 v2, 2, v2
	s_waitcnt vmcnt(0)
	ds_write_b32 v2, v8
.LBB22_55:                              ;   in Loop: Header=BB22_33 Depth=1
	s_or_b64 exec, exec, s[0:1]
	s_waitcnt lgkmcnt(0)
	s_barrier
	s_mov_b64 s[0:1], exec
	v_readlane_b32 s6, v56, 32
	v_readlane_b32 s7, v56, 33
	s_and_b64 s[6:7], s[0:1], s[6:7]
	s_mov_b64 exec, s[6:7]
; %bb.56:                               ;   in Loop: Header=BB22_33 Depth=1
	v_mov_b32_e32 v2, s56
	v_mov_b32_e32 v3, s57
	ds_write_b64 v13, v[2:3] offset:5120
; %bb.57:                               ;   in Loop: Header=BB22_33 Depth=1
	s_or_b64 exec, exec, s[0:1]
	s_mov_b64 s[6:7], -1
	s_waitcnt lgkmcnt(0)
	s_barrier
.LBB22_58:                              ;   in Loop: Header=BB22_33 Depth=1
	s_and_b64 vcc, exec, s[6:7]
	s_cbranch_vccz .LBB22_60
; %bb.59:                               ;   in Loop: Header=BB22_33 Depth=1
	ds_read_b64 v[2:3], v13 offset:5120
	s_waitcnt lgkmcnt(0)
	v_readfirstlane_b32 s58, v2
.LBB22_60:                              ;   in Loop: Header=BB22_33 Depth=1
	s_cmp_lt_i32 s58, 1
	s_mov_b64 s[0:1], -1
                                        ; implicit-def: $vgpr2_vgpr3
                                        ; implicit-def: $vgpr6_vgpr7
	s_cbranch_scc1 .LBB22_70
; %bb.61:                               ;   in Loop: Header=BB22_33 Depth=1
	s_and_b64 vcc, exec, s[0:1]
	s_cbranch_vccnz .LBB22_84
.LBB22_62:                              ;   in Loop: Header=BB22_33 Depth=1
	v_lshlrev_b32_e32 v12, 6, v46
	s_and_saveexec_b64 s[0:1], s[4:5]
	s_cbranch_execz .LBB22_64
.LBB22_63:                              ;   in Loop: Header=BB22_33 Depth=1
	v_lshl_add_u32 v25, v12, 3, v39
	ds_write_b128 v25, v[2:5]
	ds_write_b128 v25, v[6:9] offset:16
.LBB22_64:                              ;   in Loop: Header=BB22_33 Depth=1
	s_or_b64 exec, exec, s[0:1]
	s_waitcnt lgkmcnt(0)
	s_barrier
	s_and_saveexec_b64 s[0:1], s[74:75]
	s_cbranch_execz .LBB22_102
; %bb.65:                               ;   in Loop: Header=BB22_33 Depth=1
	v_readlane_b32 s2, v56, 40
	v_mov_b32_e32 v2, 0
	v_readlane_b32 s3, v56, 41
	v_mov_b32_e32 v3, 0
	s_andn2_b64 vcc, exec, s[2:3]
	s_cbranch_vccnz .LBB22_101
; %bb.66:                               ;   in Loop: Header=BB22_33 Depth=1
	v_readlane_b32 s2, v56, 44
	v_readlane_b32 s3, v56, 45
	s_andn2_b64 vcc, exec, s[2:3]
	s_cbranch_vccnz .LBB22_97
; %bb.67:                               ;   in Loop: Header=BB22_33 Depth=1
	v_mov_b32_e32 v2, 0
	v_lshl_add_u32 v4, v46, 9, v43
	v_mov_b32_e32 v3, 0
	s_mov_b32 s6, 0
.LBB22_68:                              ;   Parent Loop BB22_33 Depth=1
                                        ; =>  This Inner Loop Header: Depth=2
	ds_read2_b64 v[5:8], v4 offset1:4
	ds_read2_b64 v[29:32], v4 offset0:8 offset1:12
	ds_read2_b64 v[48:51], v4 offset0:16 offset1:20
	;; [unrolled: 1-line block ×3, first 2 shown]
	s_add_i32 s6, s6, 8
	s_waitcnt lgkmcnt(3)
	v_add_co_u32_e32 v2, vcc, v5, v2
	v_addc_co_u32_e32 v3, vcc, v6, v3, vcc
	v_add_co_u32_e32 v2, vcc, v7, v2
	v_addc_co_u32_e32 v3, vcc, v8, v3, vcc
	s_waitcnt lgkmcnt(2)
	v_add_co_u32_e32 v2, vcc, v29, v2
	v_addc_co_u32_e32 v3, vcc, v30, v3, vcc
	v_add_co_u32_e32 v2, vcc, v31, v2
	v_addc_co_u32_e32 v3, vcc, v32, v3, vcc
	;; [unrolled: 5-line block ×3, first 2 shown]
	s_waitcnt lgkmcnt(0)
	v_add_co_u32_e32 v2, vcc, v52, v2
	v_addc_co_u32_e32 v3, vcc, v53, v3, vcc
	v_add_co_u32_e32 v2, vcc, v54, v2
	v_add_u32_e32 v4, 0x100, v4
	s_cmp_eq_u32 s87, s6
	v_addc_co_u32_e32 v3, vcc, v55, v3, vcc
	s_cbranch_scc0 .LBB22_68
; %bb.69:                               ;   in Loop: Header=BB22_33 Depth=1
	s_mov_b32 s6, s87
	s_branch .LBB22_98
.LBB22_70:                              ;   in Loop: Header=BB22_33 Depth=1
	global_load_ushort v2, v13, s[70:71]
	s_mov_b32 s0, s95
	s_waitcnt vmcnt(0)
	v_readfirstlane_b32 s1, v2
	s_and_b32 s28, s1, 0xffff
	s_lshl_b32 s8, s28, 2
	s_mov_b32 s1, s57
	s_cmp_lg_u64 s[0:1], 0
	s_cbranch_scc0 .LBB22_93
; %bb.71:                               ;   in Loop: Header=BB22_33 Depth=1
	s_add_u32 s0, s8, 0
	s_addc_u32 s1, 0, 0
	s_xor_b64 s[0:1], s[0:1], 0
	v_cvt_f32_u32_e32 v2, s0
	v_cvt_f32_u32_e32 v3, s1
	s_sub_u32 s9, 0, s0
	s_subb_u32 s12, 0, s1
	v_mac_f32_e32 v2, 0x4f800000, v3
	v_rcp_f32_e32 v2, v2
	v_mul_f32_e32 v2, 0x5f7ffffc, v2
	v_mul_f32_e32 v3, 0x2f800000, v2
	v_trunc_f32_e32 v3, v3
	v_mac_f32_e32 v2, 0xcf800000, v3
	v_cvt_u32_f32_e32 v3, v3
	v_cvt_u32_f32_e32 v2, v2
	v_readfirstlane_b32 s13, v3
	v_readfirstlane_b32 s6, v2
	s_mul_i32 s7, s9, s13
	s_mul_hi_u32 s15, s9, s6
	s_mul_i32 s14, s12, s6
	s_add_i32 s7, s15, s7
	s_mul_i32 s16, s9, s6
	s_add_i32 s7, s7, s14
	s_mul_i32 s15, s6, s7
	s_mul_hi_u32 s17, s6, s16
	s_mul_hi_u32 s14, s6, s7
	s_add_u32 s15, s17, s15
	s_addc_u32 s14, 0, s14
	s_mul_hi_u32 s18, s13, s16
	s_mul_i32 s16, s13, s16
	s_add_u32 s15, s15, s16
	s_mul_hi_u32 s17, s13, s7
	s_addc_u32 s14, s14, s18
	s_addc_u32 s15, s17, 0
	s_mul_i32 s7, s13, s7
	s_add_u32 s7, s14, s7
	s_addc_u32 s14, 0, s15
	s_add_u32 s15, s6, s7
	s_cselect_b64 s[6:7], -1, 0
	s_cmp_lg_u64 s[6:7], 0
	s_addc_u32 s13, s13, s14
	s_mul_i32 s6, s9, s13
	s_mul_hi_u32 s7, s9, s15
	s_add_i32 s6, s7, s6
	s_mul_i32 s12, s12, s15
	s_add_i32 s6, s6, s12
	s_mul_i32 s9, s9, s15
	s_mul_hi_u32 s12, s13, s9
	s_mul_i32 s14, s13, s9
	s_mul_i32 s17, s15, s6
	s_mul_hi_u32 s9, s15, s9
	s_mul_hi_u32 s16, s15, s6
	s_add_u32 s9, s9, s17
	s_addc_u32 s16, 0, s16
	s_add_u32 s9, s9, s14
	s_mul_hi_u32 s7, s13, s6
	s_addc_u32 s9, s16, s12
	s_addc_u32 s7, s7, 0
	s_mul_i32 s6, s13, s6
	s_add_u32 s6, s9, s6
	s_addc_u32 s9, 0, s7
	s_add_u32 s14, s15, s6
	s_cselect_b64 s[6:7], -1, 0
	s_cmp_lg_u64 s[6:7], 0
	s_addc_u32 s9, s13, s9
	s_ashr_i32 s6, s57, 31
	s_add_u32 s12, s56, s6
	s_mov_b32 s7, s6
	s_addc_u32 s13, s57, s6
	s_xor_b64 s[12:13], s[12:13], s[6:7]
	s_mul_i32 s16, s12, s9
	s_mul_hi_u32 s17, s12, s14
	s_mul_hi_u32 s15, s12, s9
	s_add_u32 s16, s17, s16
	s_addc_u32 s15, 0, s15
	s_mul_hi_u32 s18, s13, s14
	s_mul_i32 s14, s13, s14
	s_add_u32 s14, s16, s14
	s_mul_hi_u32 s17, s13, s9
	s_addc_u32 s14, s15, s18
	s_addc_u32 s15, s17, 0
	s_mul_i32 s9, s13, s9
	s_add_u32 s9, s14, s9
	s_addc_u32 s14, 0, s15
	s_mul_i32 s14, s0, s14
	s_mul_hi_u32 s15, s0, s9
	s_add_i32 s14, s15, s14
	s_mul_i32 s15, s1, s9
	s_add_i32 s18, s14, s15
	s_sub_i32 s16, s13, s18
	s_mul_i32 s9, s0, s9
	s_sub_u32 s9, s12, s9
	s_cselect_b64 s[14:15], -1, 0
	s_cmp_lg_u64 s[14:15], 0
	s_subb_u32 s12, s16, s1
	s_sub_u32 s19, s9, s0
	s_cselect_b64 s[16:17], -1, 0
	s_cmp_lg_u64 s[16:17], 0
	s_subb_u32 s20, s12, 0
	s_cmp_ge_u32 s20, s1
	s_cselect_b32 s21, -1, 0
	s_cmp_ge_u32 s19, s0
	s_cselect_b32 s22, -1, 0
	s_cmp_eq_u32 s20, s1
	s_cselect_b32 s21, s22, s21
	s_cmp_lg_u64 s[16:17], 0
	s_subb_u32 s12, s12, s1
	s_sub_u32 s22, s19, s0
	s_cselect_b64 s[16:17], -1, 0
	s_cmp_lg_u64 s[16:17], 0
	s_subb_u32 s12, s12, 0
	s_cmp_lg_u32 s21, 0
	s_cselect_b32 s16, s22, s19
	s_cselect_b32 s12, s12, s20
	s_cmp_lg_u64 s[14:15], 0
	s_subb_u32 s13, s13, s18
	s_cmp_ge_u32 s13, s1
	s_cselect_b32 s14, -1, 0
	s_cmp_ge_u32 s9, s0
	s_cselect_b32 s0, -1, 0
	s_cmp_eq_u32 s13, s1
	s_cselect_b32 s0, s0, s14
	s_cmp_lg_u32 s0, 0
	s_cselect_b32 s1, s12, s13
	s_cselect_b32 s0, s16, s9
	s_xor_b64 s[0:1], s[0:1], s[6:7]
	s_sub_u32 s18, s0, s6
	s_subb_u32 s19, s1, s6
	s_cbranch_execnz .LBB22_73
.LBB22_72:                              ;   in Loop: Header=BB22_33 Depth=1
	v_cvt_f32_u32_e32 v2, s8
	s_sub_i32 s0, 0, s8
	v_rcp_iflag_f32_e32 v2, v2
	v_mul_f32_e32 v2, 0x4f7ffffe, v2
	v_cvt_u32_f32_e32 v2, v2
	v_readfirstlane_b32 s1, v2
	s_mul_i32 s0, s0, s1
	s_mul_hi_u32 s0, s1, s0
	s_add_i32 s1, s1, s0
	s_mul_hi_u32 s0, s56, s1
	s_mul_i32 s0, s0, s8
	s_sub_i32 s0, s56, s0
	s_sub_i32 s1, s0, s8
	s_cmp_ge_u32 s0, s8
	s_cselect_b32 s0, s1, s0
	s_sub_i32 s1, s0, s8
	s_cmp_ge_u32 s0, s8
	s_cselect_b32 s94, s1, s0
	s_mov_b64 s[18:19], s[94:95]
.LBB22_73:                              ;   in Loop: Header=BB22_33 Depth=1
	s_sub_u32 s20, s56, s18
	s_subb_u32 s21, s57, s19
	v_cmp_gt_i64_e32 vcc, s[20:21], v[14:15]
	v_mov_b32_e32 v2, 0
	v_mov_b32_e32 v4, 0
	;; [unrolled: 1-line block ×8, first 2 shown]
	s_and_saveexec_b64 s[22:23], vcc
	s_cbranch_execz .LBB22_77
; %bb.74:                               ;   in Loop: Header=BB22_33 Depth=1
	s_mul_i32 s0, s11, s28
	s_mul_hi_u32 s1, s10, s28
	v_mov_b32_e32 v30, v15
	s_add_i32 s0, s1, s0
	s_mov_b64 s[24:25], 0
	s_mov_b64 s[26:27], s[80:81]
	;; [unrolled: 1-line block ×6, first 2 shown]
	v_mov_b32_e32 v29, v14
.LBB22_75:                              ;   Parent Loop BB22_33 Depth=1
                                        ; =>  This Inner Loop Header: Depth=2
	v_add_co_u32_e32 v2, vcc, s26, v22
	v_mov_b32_e32 v4, s27
	v_addc_co_u32_e32 v3, vcc, v4, v23, vcc
	global_load_dword v5, v[2:3], off
	v_add_co_u32_e32 v2, vcc, s26, v21
	v_addc_co_u32_e32 v3, vcc, v4, v40, vcc
	global_load_dword v6, v[2:3], off
	v_add_co_u32_e32 v2, vcc, s26, v20
	v_addc_co_u32_e32 v3, vcc, v4, v38, vcc
	global_load_dword v7, v[2:3], off
	v_add_co_u32_e32 v2, vcc, s26, v18
	v_addc_co_u32_e32 v3, vcc, v4, v37, vcc
	global_load_dword v2, v[2:3], off
	s_waitcnt vmcnt(3)
	v_xor_b32_e32 v3, 0x80000000, v5
	s_waitcnt vmcnt(2)
	v_xor_b32_e32 v4, 0x80000000, v6
	v_and_b32_e32 v6, v3, v47
	v_bfe_u32 v3, v3, s86, 2
	v_cmp_eq_u32_e32 vcc, v6, v44
	v_and_b32_e32 v6, v4, v47
	s_waitcnt vmcnt(1)
	v_xor_b32_e32 v5, 0x80000000, v7
	v_bfe_u32 v4, v4, s86, 2
	v_cmp_eq_u32_e64 s[16:17], 0, v3
	v_cmp_eq_u32_e64 s[6:7], v6, v44
	v_and_b32_e32 v6, v5, v47
	s_waitcnt vmcnt(0)
	v_xor_b32_e32 v2, 0x80000000, v2
	v_bfe_u32 v5, v5, s86, 2
	s_and_b64 s[40:41], vcc, s[16:17]
	v_cmp_eq_u32_e64 s[16:17], 0, v4
	v_cmp_eq_u32_e64 s[12:13], v6, v44
	v_and_b32_e32 v6, v2, v47
	v_bfe_u32 v2, v2, s86, 2
	s_and_b64 s[42:43], s[6:7], s[16:17]
	v_cmp_eq_u32_e64 s[16:17], 0, v5
	v_cmp_eq_u32_e64 s[14:15], v6, v44
	s_and_b64 s[44:45], s[12:13], s[16:17]
	v_cmp_eq_u32_e64 s[16:17], 0, v2
	v_cndmask_b32_e64 v6, 0, 1, s[40:41]
	s_and_b64 s[46:47], s[14:15], s[16:17]
	v_cmp_ne_u32_e64 s[16:17], 0, v6
	v_cndmask_b32_e64 v6, 0, 1, s[42:43]
	s_bcnt1_i32_b64 s1, s[16:17]
	v_cmp_ne_u32_e64 s[16:17], 0, v6
	v_cndmask_b32_e64 v6, 0, 1, s[44:45]
	s_bcnt1_i32_b64 s9, s[16:17]
	;; [unrolled: 3-line block ×3, first 2 shown]
	v_cmp_ne_u32_e64 s[16:17], 0, v6
	s_bcnt1_i32_b64 s16, s[16:17]
	s_add_u32 s1, s1, s38
	s_addc_u32 s17, 0, s39
	s_add_u32 s1, s1, s9
	s_addc_u32 s9, s17, 0
	;; [unrolled: 2-line block ×3, first 2 shown]
	s_add_u32 s38, s1, s16
	v_cmp_eq_u32_e64 s[16:17], 1, v3
	s_addc_u32 s39, s9, 0
	s_and_b64 s[40:41], vcc, s[16:17]
	v_cmp_eq_u32_e64 s[16:17], 1, v4
	s_and_b64 s[42:43], s[6:7], s[16:17]
	v_cmp_eq_u32_e64 s[16:17], 1, v5
	s_and_b64 s[44:45], s[12:13], s[16:17]
	v_cmp_eq_u32_e64 s[16:17], 1, v2
	v_cndmask_b32_e64 v6, 0, 1, s[40:41]
	s_and_b64 s[46:47], s[14:15], s[16:17]
	v_cmp_ne_u32_e64 s[16:17], 0, v6
	v_cndmask_b32_e64 v6, 0, 1, s[42:43]
	s_bcnt1_i32_b64 s1, s[16:17]
	v_cmp_ne_u32_e64 s[16:17], 0, v6
	v_cndmask_b32_e64 v6, 0, 1, s[44:45]
	s_bcnt1_i32_b64 s9, s[16:17]
	;; [unrolled: 3-line block ×3, first 2 shown]
	v_cmp_ne_u32_e64 s[16:17], 0, v6
	s_bcnt1_i32_b64 s16, s[16:17]
	s_add_u32 s1, s1, s36
	s_addc_u32 s17, 0, s37
	s_add_u32 s1, s1, s9
	s_addc_u32 s9, s17, 0
	;; [unrolled: 2-line block ×3, first 2 shown]
	s_add_u32 s36, s1, s16
	v_cmp_eq_u32_e64 s[16:17], 2, v3
	s_addc_u32 s37, s9, 0
	s_and_b64 s[40:41], vcc, s[16:17]
	v_cmp_eq_u32_e64 s[16:17], 2, v4
	s_and_b64 s[42:43], s[6:7], s[16:17]
	v_cmp_eq_u32_e64 s[16:17], 2, v5
	s_and_b64 s[44:45], s[12:13], s[16:17]
	v_cmp_eq_u32_e64 s[16:17], 2, v2
	v_cndmask_b32_e64 v6, 0, 1, s[40:41]
	s_and_b64 s[46:47], s[14:15], s[16:17]
	v_cmp_ne_u32_e64 s[16:17], 0, v6
	v_cndmask_b32_e64 v6, 0, 1, s[42:43]
	s_bcnt1_i32_b64 s1, s[16:17]
	v_cmp_ne_u32_e64 s[16:17], 0, v6
	v_cndmask_b32_e64 v6, 0, 1, s[44:45]
	s_bcnt1_i32_b64 s9, s[16:17]
	v_cmp_ne_u32_e64 s[16:17], 0, v6
	v_cndmask_b32_e64 v6, 0, 1, s[46:47]
	s_bcnt1_i32_b64 s29, s[16:17]
	v_cmp_ne_u32_e64 s[16:17], 0, v6
	s_bcnt1_i32_b64 s16, s[16:17]
	s_add_u32 s1, s1, s34
	s_addc_u32 s17, 0, s35
	s_add_u32 s1, s1, s9
	s_addc_u32 s9, s17, 0
	;; [unrolled: 2-line block ×3, first 2 shown]
	s_add_u32 s34, s1, s16
	v_cmp_eq_u32_e64 s[16:17], 3, v3
	s_addc_u32 s35, s9, 0
	s_and_b64 s[16:17], vcc, s[16:17]
	v_cmp_eq_u32_e32 vcc, 3, v4
	s_and_b64 s[6:7], s[6:7], vcc
	v_cmp_eq_u32_e32 vcc, 3, v5
	s_and_b64 s[12:13], s[12:13], vcc
	v_cmp_eq_u32_e32 vcc, 3, v2
	v_cndmask_b32_e64 v2, 0, 1, s[16:17]
	s_and_b64 s[14:15], s[14:15], vcc
	v_cmp_ne_u32_e32 vcc, 0, v2
	v_cndmask_b32_e64 v2, 0, 1, s[6:7]
	s_bcnt1_i32_b64 s1, vcc
	v_cmp_ne_u32_e32 vcc, 0, v2
	v_cndmask_b32_e64 v2, 0, 1, s[12:13]
	s_bcnt1_i32_b64 s6, vcc
	;; [unrolled: 3-line block ×3, first 2 shown]
	v_cmp_ne_u32_e32 vcc, 0, v2
	s_bcnt1_i32_b64 s9, vcc
	s_add_u32 s1, s1, s30
	s_addc_u32 s12, 0, s31
	s_add_u32 s1, s1, s6
	s_addc_u32 s6, s12, 0
	;; [unrolled: 2-line block ×3, first 2 shown]
	s_add_u32 s30, s1, s9
	v_add_co_u32_e32 v29, vcc, s8, v29
	s_addc_u32 s31, s6, 0
	v_addc_co_u32_e32 v30, vcc, 0, v30, vcc
	s_mul_i32 s1, s10, s28
	s_add_u32 s26, s26, s1
	v_cmp_le_i64_e32 vcc, s[20:21], v[29:30]
	s_addc_u32 s27, s27, s0
	v_mov_b32_e32 v2, s38
	v_mov_b32_e32 v4, s36
	;; [unrolled: 1-line block ×4, first 2 shown]
	s_or_b64 s[24:25], vcc, s[24:25]
	v_mov_b32_e32 v3, s39
	v_mov_b32_e32 v5, s37
	;; [unrolled: 1-line block ×4, first 2 shown]
	s_andn2_b64 exec, exec, s[24:25]
	s_cbranch_execnz .LBB22_75
; %bb.76:                               ;   in Loop: Header=BB22_33 Depth=1
	s_or_b64 exec, exec, s[24:25]
.LBB22_77:                              ;   in Loop: Header=BB22_33 Depth=1
	s_or_b64 exec, exec, s[22:23]
	v_mov_b32_e32 v12, s21
	v_add_co_u32_e32 v29, vcc, s20, v0
	v_addc_co_u32_e32 v30, vcc, 0, v12, vcc
	v_cmp_gt_i64_e32 vcc, s[56:57], v[29:30]
	s_and_saveexec_b64 s[0:1], vcc
	s_cbranch_execz .LBB22_83
; %bb.78:                               ;   in Loop: Header=BB22_33 Depth=1
	v_mul_lo_u32 v12, v30, s62
	v_mul_lo_u32 v25, v29, s63
	v_mad_u64_u32 v[31:32], s[6:7], v29, s62, 0
	v_readlane_b32 s2, v56, 49
	v_readlane_b32 s3, v56, 50
	v_add3_u32 v32, v32, v25, v12
	v_lshlrev_b64 v[31:32], 2, v[31:32]
	v_mov_b32_e32 v12, s81
	v_add_co_u32_e32 v31, vcc, s80, v31
	v_addc_co_u32_e32 v32, vcc, v12, v32, vcc
	global_load_dword v12, v[31:32], off
	v_add_co_u32_e32 v25, vcc, s28, v41
	v_addc_co_u32_e32 v31, vcc, 0, v42, vcc
	v_mov_b32_e32 v32, s19
	v_subrev_co_u32_e32 v25, vcc, s18, v25
	v_subb_co_u32_e32 v31, vcc, v31, v32, vcc
	v_mul_lo_u32 v48, s84, v31
	v_mov_b32_e32 v32, s3
	v_mov_b32_e32 v31, s2
	v_mul_lo_u32 v49, s85, v25
	v_mad_u64_u32 v[31:32], s[6:7], s84, v25, v[31:32]
	s_mul_i32 s6, s85, s28
	s_mul_hi_u32 s7, s84, s28
	v_add3_u32 v32, v49, v32, v48
	s_add_i32 s14, s7, s6
	s_mov_b64 s[8:9], 0
	s_branch .LBB22_80
.LBB22_79:                              ;   in Loop: Header=BB22_80 Depth=2
	s_or_b64 exec, exec, s[12:13]
	s_waitcnt vmcnt(0)
	v_xor_b32_e32 v12, 0x80000000, v12
	s_and_b64 s[6:7], exec, vcc
	v_and_b32_e32 v48, v12, v47
	v_bfe_u32 v12, v12, s86, 2
	s_or_b64 s[8:9], s[6:7], s[8:9]
	v_cmp_eq_u32_e32 vcc, v48, v44
	v_cmp_eq_u32_e64 s[6:7], 0, v12
	s_and_b64 s[6:7], vcc, s[6:7]
	v_cndmask_b32_e64 v48, 0, 1, s[6:7]
	v_cmp_ne_u32_e64 s[6:7], 0, v48
	s_bcnt1_i32_b64 s6, s[6:7]
	v_add_co_u32_e64 v2, s[6:7], s6, v2
	v_addc_co_u32_e64 v3, s[6:7], 0, v3, s[6:7]
	v_cmp_eq_u32_e64 s[6:7], 1, v12
	s_and_b64 s[6:7], vcc, s[6:7]
	v_cndmask_b32_e64 v48, 0, 1, s[6:7]
	v_cmp_ne_u32_e64 s[6:7], 0, v48
	s_bcnt1_i32_b64 s6, s[6:7]
	v_add_co_u32_e64 v4, s[6:7], s6, v4
	v_addc_co_u32_e64 v5, s[6:7], 0, v5, s[6:7]
	;; [unrolled: 7-line block ×3, first 2 shown]
	v_cmp_eq_u32_e64 s[6:7], 3, v12
	s_and_b64 s[6:7], vcc, s[6:7]
	v_cndmask_b32_e64 v12, 0, 1, s[6:7]
	v_cmp_ne_u32_e32 vcc, 0, v12
	s_bcnt1_i32_b64 s6, vcc
	v_add_co_u32_e32 v8, vcc, s6, v8
	v_addc_co_u32_e32 v9, vcc, 0, v9, vcc
	s_mul_i32 s6, s84, s28
	v_mov_b32_e32 v12, s14
	v_add_co_u32_e32 v31, vcc, s6, v31
	v_addc_co_u32_e32 v32, vcc, v32, v12, vcc
	v_mov_b32_e32 v12, v25
	s_andn2_b64 exec, exec, s[8:9]
	s_cbranch_execz .LBB22_82
.LBB22_80:                              ;   Parent Loop BB22_33 Depth=1
                                        ; =>  This Inner Loop Header: Depth=2
	v_add_co_u32_e32 v29, vcc, s28, v29
	v_addc_co_u32_e32 v30, vcc, 0, v30, vcc
	v_cmp_gt_i64_e64 s[6:7], s[56:57], v[29:30]
	v_cmp_le_i64_e32 vcc, s[56:57], v[29:30]
	v_mov_b32_e32 v25, 0
	s_and_saveexec_b64 s[12:13], s[6:7]
	s_cbranch_execz .LBB22_79
; %bb.81:                               ;   in Loop: Header=BB22_80 Depth=2
	global_load_dword v25, v[31:32], off
	s_branch .LBB22_79
.LBB22_82:                              ;   in Loop: Header=BB22_33 Depth=1
	s_or_b64 exec, exec, s[8:9]
.LBB22_83:                              ;   in Loop: Header=BB22_33 Depth=1
	s_or_b64 exec, exec, s[0:1]
	s_branch .LBB22_62
.LBB22_84:                              ;   in Loop: Header=BB22_33 Depth=1
	global_load_ushort v12, v13, s[70:71]
	v_writelane_b32 v56, s68, 57
	v_writelane_b32 v56, s69, 58
	s_mov_b64 s[2:3], s[90:91]
	s_mov_b64 s[90:91], s[78:79]
	;; [unrolled: 1-line block ×5, first 2 shown]
	v_mov_b32_e32 v6, 0
	v_mov_b32_e32 v7, 0
	s_waitcnt vmcnt(0)
	v_readfirstlane_b32 s0, v12
	s_and_b32 s0, 0xffff, s0
	s_lshl_b32 s59, s0, 2
	v_cvt_f32_u32_e32 v2, s59
	s_sub_i32 s1, 0, s59
	v_rcp_iflag_f32_e32 v4, v2
	v_mov_b32_e32 v2, 0
	v_mov_b32_e32 v3, 0
	v_mul_f32_e32 v4, 0x4f7ffffe, v4
	v_cvt_u32_f32_e32 v8, v4
	v_mov_b32_e32 v4, 0
	v_mov_b32_e32 v5, 0
	v_readfirstlane_b32 s6, v8
	s_mul_i32 s1, s1, s6
	s_mul_hi_u32 s1, s6, s1
	s_add_i32 s6, s6, s1
	s_mul_hi_u32 s1, s58, s6
	s_mul_i32 s6, s1, s59
	s_sub_i32 s6, s58, s6
	s_add_i32 s7, s1, 1
	s_sub_i32 s8, s6, s59
	s_cmp_ge_u32 s6, s59
	s_cselect_b32 s1, s7, s1
	s_cselect_b32 s6, s8, s6
	s_add_i32 s7, s1, 1
	s_cmp_ge_u32 s6, s59
	s_cselect_b32 s1, s7, s1
	s_mul_hi_u32 s69, s0, s1
	s_mul_i32 s68, s0, s1
	s_lshl_b64 s[70:71], s[68:69], 2
	v_cmp_gt_u64_e32 vcc, s[70:71], v[14:15]
	v_mov_b32_e32 v8, 0
	v_mov_b32_e32 v9, 0
	s_and_saveexec_b64 s[54:55], vcc
	s_cbranch_execz .LBB22_88
; %bb.85:                               ;   in Loop: Header=BB22_33 Depth=1
	v_mov_b32_e32 v30, v15
	s_mov_b64 s[88:89], s[4:5]
	s_mov_b64 s[4:5], s[72:73]
	;; [unrolled: 1-line block ×4, first 2 shown]
	s_lshl_b32 s69, s0, 4
	s_mov_b64 s[0:1], 0
	v_mov_b32_e32 v25, v36
	s_mov_b64 s[8:9], 0
	s_mov_b64 s[92:93], 0
	;; [unrolled: 1-line block ×4, first 2 shown]
	v_mov_b32_e32 v29, v14
.LBB22_86:                              ;   Parent Loop BB22_33 Depth=1
                                        ; =>  This Inner Loop Header: Depth=2
	ds_read_b128 v[2:5], v25
	v_add_co_u32_e32 v29, vcc, s59, v29
	v_addc_co_u32_e32 v30, vcc, 0, v30, vcc
	s_waitcnt lgkmcnt(0)
	v_xor_b32_e32 v2, 0x80000000, v2
	v_xor_b32_e32 v3, 0x80000000, v3
	v_and_b32_e32 v6, v2, v47
	v_bfe_u32 v2, v2, s86, 2
	v_xor_b32_e32 v4, 0x80000000, v4
	v_and_b32_e32 v7, v3, v47
	v_bfe_u32 v3, v3, s86, 2
	v_cmp_eq_u32_e64 s[18:19], v6, v44
	v_cmp_eq_u32_e64 s[6:7], 0, v2
	v_xor_b32_e32 v5, 0x80000000, v5
	v_and_b32_e32 v8, v4, v47
	v_bfe_u32 v4, v4, s86, 2
	v_cmp_eq_u32_e64 s[16:17], v7, v44
	v_cmp_eq_u32_e64 s[30:31], 0, v3
	s_and_b64 s[6:7], s[18:19], s[6:7]
	v_and_b32_e32 v9, v5, v47
	v_bfe_u32 v5, v5, s86, 2
	v_cmp_eq_u32_e64 s[14:15], v8, v44
	v_cmp_eq_u32_e64 s[34:35], 0, v4
	;; [unrolled: 1-line block ×5, first 2 shown]
	v_cndmask_b32_e64 v2, 0, 1, s[6:7]
	s_and_b64 s[6:7], s[16:17], s[30:31]
	v_cmp_eq_u32_e64 s[12:13], v9, v44
	v_cmp_eq_u32_e64 s[36:37], 0, v5
	;; [unrolled: 1-line block ×5, first 2 shown]
	v_cndmask_b32_e64 v3, 0, 1, s[6:7]
	s_and_b64 s[6:7], s[14:15], s[34:35]
	v_cmp_eq_u32_e64 s[42:43], 1, v4
	v_cmp_eq_u32_e64 s[50:51], 2, v4
	;; [unrolled: 1-line block ×3, first 2 shown]
	v_cndmask_b32_e64 v4, 0, 1, s[6:7]
	s_and_b64 s[6:7], s[12:13], s[36:37]
	v_cmp_eq_u32_e64 s[44:45], 1, v5
	v_cmp_eq_u32_e64 s[52:53], 2, v5
	;; [unrolled: 1-line block ×3, first 2 shown]
	v_cndmask_b32_e64 v5, 0, 1, s[6:7]
	v_cmp_ne_u32_e64 s[6:7], 0, v2
	v_cmp_ne_u32_e64 s[30:31], 0, v3
	v_cmp_ne_u32_e64 s[34:35], 0, v4
	v_cmp_ne_u32_e64 s[36:37], 0, v5
	s_bcnt1_i32_b64 s6, s[6:7]
	s_bcnt1_i32_b64 s7, s[30:31]
	s_bcnt1_i32_b64 s30, s[34:35]
	s_bcnt1_i32_b64 s31, s[36:37]
	s_add_u32 s6, s6, s28
	s_addc_u32 s28, 0, s29
	s_add_u32 s6, s6, s7
	s_addc_u32 s7, s28, 0
	s_add_u32 s6, s6, s30
	s_addc_u32 s7, s7, 0
	s_add_u32 s28, s6, s31
	s_addc_u32 s29, s7, 0
	s_and_b64 s[6:7], s[18:19], s[38:39]
	v_cndmask_b32_e64 v4, 0, 1, s[6:7]
	s_and_b64 s[6:7], s[16:17], s[40:41]
	v_cndmask_b32_e64 v5, 0, 1, s[6:7]
	s_and_b64 s[6:7], s[14:15], s[42:43]
	v_cndmask_b32_e64 v6, 0, 1, s[6:7]
	s_and_b64 s[6:7], s[12:13], s[44:45]
	v_cndmask_b32_e64 v7, 0, 1, s[6:7]
	v_cmp_ne_u32_e64 s[6:7], 0, v4
	v_cmp_ne_u32_e64 s[30:31], 0, v5
	v_cmp_ne_u32_e64 s[34:35], 0, v6
	v_cmp_ne_u32_e64 s[36:37], 0, v7
	s_bcnt1_i32_b64 s6, s[6:7]
	s_bcnt1_i32_b64 s7, s[30:31]
	s_bcnt1_i32_b64 s30, s[34:35]
	s_bcnt1_i32_b64 s31, s[36:37]
	s_add_u32 s6, s6, s80
	s_addc_u32 s34, 0, s81
	s_add_u32 s6, s6, s7
	s_addc_u32 s7, s34, 0
	s_add_u32 s6, s6, s30
	s_addc_u32 s7, s7, 0
	s_add_u32 s80, s6, s31
	s_addc_u32 s81, s7, 0
	s_and_b64 s[6:7], s[18:19], s[46:47]
	v_cndmask_b32_e64 v6, 0, 1, s[6:7]
	s_and_b64 s[6:7], s[16:17], s[48:49]
	v_cndmask_b32_e64 v7, 0, 1, s[6:7]
	s_and_b64 s[6:7], s[14:15], s[50:51]
	v_cndmask_b32_e64 v8, 0, 1, s[6:7]
	s_and_b64 s[6:7], s[12:13], s[52:53]
	;; [unrolled: 24-line block ×3, first 2 shown]
	v_cndmask_b32_e64 v32, 0, 1, s[6:7]
	v_cmp_ne_u32_e64 s[6:7], 0, v8
	v_cmp_ne_u32_e64 s[12:13], 0, v9
	;; [unrolled: 1-line block ×4, first 2 shown]
	s_bcnt1_i32_b64 s6, s[6:7]
	s_bcnt1_i32_b64 s7, s[12:13]
	;; [unrolled: 1-line block ×4, first 2 shown]
	s_add_u32 s6, s6, s8
	s_addc_u32 s8, 0, s9
	s_add_u32 s6, s6, s7
	s_addc_u32 s7, s8, 0
	;; [unrolled: 2-line block ×3, first 2 shown]
	v_cmp_le_u64_e32 vcc, s[70:71], v[29:30]
	s_add_u32 s8, s6, s13
	v_mov_b32_e32 v2, s28
	v_mov_b32_e32 v4, s80
	v_mov_b32_e32 v6, s92
	s_addc_u32 s9, s7, 0
	v_mov_b32_e32 v8, s8
	v_add_u32_e32 v25, s69, v25
	v_mov_b32_e32 v3, s29
	v_mov_b32_e32 v5, s81
	;; [unrolled: 1-line block ×3, first 2 shown]
	s_or_b64 s[0:1], vcc, s[0:1]
	v_mov_b32_e32 v9, s9
	s_andn2_b64 exec, exec, s[0:1]
	s_cbranch_execnz .LBB22_86
; %bb.87:                               ;   in Loop: Header=BB22_33 Depth=1
	s_or_b64 exec, exec, s[0:1]
	s_mov_b64 s[80:81], s[74:75]
	s_mov_b64 s[74:75], s[72:73]
	;; [unrolled: 1-line block ×4, first 2 shown]
	v_readlane_b32 s88, v56, 55
	v_readlane_b32 s92, v56, 53
	v_readlane_b32 s89, v56, 56
	v_readlane_b32 s93, v56, 54
	v_readlane_b32 s53, v56, 51
	v_readlane_b32 s52, v56, 52
.LBB22_88:                              ;   in Loop: Header=BB22_33 Depth=1
	s_or_b64 exec, exec, s[54:55]
	v_mov_b32_e32 v25, s71
	v_add_co_u32_e32 v29, vcc, s70, v0
	s_and_b32 s94, s58, 0x7fffffff
	v_addc_co_u32_e32 v30, vcc, 0, v25, vcc
	v_cmp_gt_u64_e32 vcc, s[94:95], v[29:30]
	s_and_saveexec_b64 s[12:13], vcc
	s_mov_b64 s[70:71], s[66:67]
	s_mov_b64 s[66:67], s[76:77]
	;; [unrolled: 1-line block ×5, first 2 shown]
	s_cbranch_execz .LBB22_92
; %bb.89:                               ;   in Loop: Header=BB22_33 Depth=1
	v_lshl_add_u32 v25, s68, 4, v14
	s_mov_b64 s[0:1], 0
.LBB22_90:                              ;   Parent Loop BB22_33 Depth=1
                                        ; =>  This Inner Loop Header: Depth=2
	ds_read_b32 v31, v25
	v_add_u32_e32 v25, s59, v25
	s_waitcnt lgkmcnt(0)
	v_xor_b32_e32 v31, 0x80000000, v31
	v_and_b32_e32 v32, v31, v47
	v_bfe_u32 v31, v31, s86, 2
	v_cmp_eq_u32_e32 vcc, v32, v44
	v_cmp_eq_u32_e64 s[6:7], 0, v31
	s_and_b64 s[6:7], vcc, s[6:7]
	v_cndmask_b32_e64 v32, 0, 1, s[6:7]
	v_cmp_ne_u32_e64 s[6:7], 0, v32
	s_bcnt1_i32_b64 s6, s[6:7]
	v_add_co_u32_e64 v2, s[6:7], s6, v2
	v_addc_co_u32_e64 v3, s[6:7], 0, v3, s[6:7]
	v_cmp_eq_u32_e64 s[6:7], 1, v31
	s_and_b64 s[6:7], vcc, s[6:7]
	v_cndmask_b32_e64 v32, 0, 1, s[6:7]
	v_cmp_ne_u32_e64 s[6:7], 0, v32
	s_bcnt1_i32_b64 s6, s[6:7]
	v_add_co_u32_e64 v4, s[6:7], s6, v4
	v_addc_co_u32_e64 v5, s[6:7], 0, v5, s[6:7]
	;; [unrolled: 7-line block ×3, first 2 shown]
	v_cmp_eq_u32_e64 s[6:7], 3, v31
	s_and_b64 s[6:7], vcc, s[6:7]
	v_cndmask_b32_e64 v31, 0, 1, s[6:7]
	v_cmp_ne_u32_e32 vcc, 0, v31
	s_bcnt1_i32_b64 s6, vcc
	v_add_co_u32_e32 v8, vcc, s6, v8
	v_addc_co_u32_e32 v9, vcc, 0, v9, vcc
	v_add_co_u32_sdwa v29, vcc, v29, v12 dst_sel:DWORD dst_unused:UNUSED_PAD src0_sel:DWORD src1_sel:WORD_0
	v_addc_co_u32_e32 v30, vcc, 0, v30, vcc
	v_cmp_le_u64_e32 vcc, s[94:95], v[29:30]
	s_or_b64 s[0:1], vcc, s[0:1]
	s_andn2_b64 exec, exec, s[0:1]
	s_cbranch_execnz .LBB22_90
; %bb.91:                               ;   in Loop: Header=BB22_33 Depth=1
	s_or_b64 exec, exec, s[0:1]
.LBB22_92:                              ;   in Loop: Header=BB22_33 Depth=1
	s_or_b64 exec, exec, s[12:13]
	v_readlane_b32 s68, v56, 57
	v_readlane_b32 s69, v56, 58
	v_lshlrev_b32_e32 v12, 6, v46
	s_and_saveexec_b64 s[0:1], s[4:5]
	s_cbranch_execnz .LBB22_63
	s_branch .LBB22_64
.LBB22_93:                              ;   in Loop: Header=BB22_33 Depth=1
                                        ; implicit-def: $sgpr18_sgpr19
	s_branch .LBB22_72
.LBB22_94:                              ;   in Loop: Header=BB22_33 Depth=1
	s_or_b64 exec, exec, s[8:9]
	s_waitcnt lgkmcnt(0)
	s_barrier
	s_mov_b64 s[6:7], exec
	v_readlane_b32 s8, v56, 32
	v_readlane_b32 s9, v56, 33
	s_and_b64 s[8:9], s[6:7], s[8:9]
	s_mov_b64 exec, s[8:9]
	s_cbranch_execz .LBB22_96
; %bb.95:                               ;   in Loop: Header=BB22_33 Depth=1
	ds_read_b32 v2, v13 offset:5136
	s_waitcnt lgkmcnt(0)
	v_ashrrev_i32_e32 v3, 31, v2
	ds_write_b64 v13, v[2:3] offset:5120
.LBB22_96:                              ;   in Loop: Header=BB22_33 Depth=1
	s_or_b64 exec, exec, s[6:7]
	s_waitcnt lgkmcnt(0)
	s_barrier
	s_mov_b64 s[6:7], -1
	s_and_b64 vcc, exec, s[0:1]
	s_cbranch_vccnz .LBB22_49
	s_branch .LBB22_58
.LBB22_97:                              ;   in Loop: Header=BB22_33 Depth=1
	v_mov_b32_e32 v2, 0
	v_mov_b32_e32 v3, 0
	s_mov_b32 s6, 0
.LBB22_98:                              ;   in Loop: Header=BB22_33 Depth=1
	v_readlane_b32 s2, v56, 47
	v_readlane_b32 s3, v56, 48
	s_andn2_b64 vcc, exec, s[2:3]
	s_cbranch_vccnz .LBB22_101
; %bb.99:                               ;   in Loop: Header=BB22_33 Depth=1
	v_lshlrev_b32_e32 v4, 9, v46
	s_lshl_b32 s6, s6, 5
	v_add_u32_e32 v4, s6, v4
	v_add_u32_e32 v4, v43, v4
	v_readlane_b32 s6, v56, 46
.LBB22_100:                             ;   Parent Loop BB22_33 Depth=1
                                        ; =>  This Inner Loop Header: Depth=2
	ds_read_b64 v[5:6], v4
	s_add_i32 s6, s6, -1
	v_add_u32_e32 v4, 32, v4
	s_cmp_lg_u32 s6, 0
	s_waitcnt lgkmcnt(0)
	v_add_co_u32_e32 v2, vcc, v5, v2
	v_addc_co_u32_e32 v3, vcc, v6, v3, vcc
	s_cbranch_scc1 .LBB22_100
.LBB22_101:                             ;   in Loop: Header=BB22_33 Depth=1
	v_add_lshl_u32 v4, v12, v33, 3
	ds_write_b64 v4, v[2:3] offset:3072
.LBB22_102:                             ;   in Loop: Header=BB22_33 Depth=1
	s_or_b64 exec, exec, s[0:1]
	v_lshlrev_b32_e32 v2, 3, v12
	s_waitcnt lgkmcnt(0)
	s_barrier
	ds_read_b128 v[6:9], v2 offset:3088
	ds_read_b128 v[2:5], v2 offset:3072
	v_cmp_eq_u64_e64 s[6:7], 1, v[27:28]
	s_lshl_b32 s58, 3, s86
	s_not_b32 s50, s58
	s_waitcnt lgkmcnt(1)
	v_readfirstlane_b32 s20, v6
	s_waitcnt lgkmcnt(0)
	v_cmp_eq_u64_e32 vcc, 1, v[2:3]
	v_readfirstlane_b32 s21, v7
	v_readfirstlane_b32 s12, v8
	;; [unrolled: 1-line block ×3, first 2 shown]
	s_and_b64 s[16:17], vcc, s[6:7]
	s_mov_b64 s[6:7], -1
	s_mov_b64 s[0:1], -1
                                        ; implicit-def: $sgpr24_sgpr25
                                        ; implicit-def: $sgpr22_sgpr23
	s_and_saveexec_b64 s[14:15], s[16:17]
	s_cbranch_execz .LBB22_134
; %bb.103:                              ;   in Loop: Header=BB22_33 Depth=1
	ds_read_b64 v[6:7], v13 offset:5120
	s_waitcnt lgkmcnt(0)
	s_barrier
	v_readfirstlane_b32 s18, v6
	v_readfirstlane_b32 s19, v7
	s_and_saveexec_b64 s[0:1], s[72:73]
; %bb.104:                              ;   in Loop: Header=BB22_33 Depth=1
	ds_write_b32 v45, v13
; %bb.105:                              ;   in Loop: Header=BB22_33 Depth=1
	s_or_b64 exec, exec, s[0:1]
	v_cmp_lt_i64_e64 s[0:1], s[18:19], 1
	v_and_b32_e32 v44, s50, v44
	v_or_b32_e32 v47, s58, v47
	s_mov_b64 s[22:23], -1
	s_mov_b64 s[24:25], 0
	s_and_b64 vcc, exec, s[0:1]
	s_mov_b64 s[26:27], 0
	s_mov_b64 s[0:1], -1
	s_waitcnt lgkmcnt(0)
	s_barrier
                                        ; implicit-def: $vgpr26
	s_cbranch_vccz .LBB22_119
; %bb.106:                              ;   in Loop: Header=BB22_33 Depth=1
	s_mov_b32 s64, s95
	s_cmp_lg_u64 s[64:65], 0
	s_cbranch_scc0 .LBB22_160
; %bb.107:                              ;   in Loop: Header=BB22_33 Depth=1
	s_add_u32 s0, s33, 0
	s_addc_u32 s1, 0, 0
	s_xor_b64 s[0:1], s[0:1], 0
	v_cvt_f32_u32_e32 v6, s0
	v_cvt_f32_u32_e32 v7, s1
	s_sub_u32 s26, 0, s0
	s_subb_u32 s27, 0, s1
	v_mac_f32_e32 v6, 0x4f800000, v7
	v_rcp_f32_e32 v6, v6
	v_mul_f32_e32 v6, 0x5f7ffffc, v6
	v_mul_f32_e32 v7, 0x2f800000, v6
	v_trunc_f32_e32 v7, v7
	v_mac_f32_e32 v6, 0xcf800000, v7
	v_cvt_u32_f32_e32 v7, v7
	v_cvt_u32_f32_e32 v6, v6
	v_readfirstlane_b32 s28, v7
	v_readfirstlane_b32 s8, v6
	s_mul_i32 s9, s26, s28
	s_mul_hi_u32 s30, s26, s8
	s_mul_i32 s29, s27, s8
	s_add_i32 s9, s30, s9
	s_mul_i32 s31, s26, s8
	s_add_i32 s9, s9, s29
	s_mul_i32 s30, s8, s9
	s_mul_hi_u32 s34, s8, s31
	s_mul_hi_u32 s29, s8, s9
	s_add_u32 s30, s34, s30
	s_addc_u32 s29, 0, s29
	s_mul_hi_u32 s35, s28, s31
	s_mul_i32 s31, s28, s31
	s_add_u32 s30, s30, s31
	s_mul_hi_u32 s34, s28, s9
	s_addc_u32 s29, s29, s35
	s_addc_u32 s30, s34, 0
	s_mul_i32 s9, s28, s9
	s_add_u32 s9, s29, s9
	s_addc_u32 s29, 0, s30
	s_add_u32 s30, s8, s9
	s_cselect_b64 s[8:9], -1, 0
	s_cmp_lg_u64 s[8:9], 0
	s_addc_u32 s28, s28, s29
	s_mul_i32 s8, s26, s28
	s_mul_hi_u32 s9, s26, s30
	s_add_i32 s8, s9, s8
	s_mul_i32 s27, s27, s30
	s_add_i32 s8, s8, s27
	s_mul_i32 s26, s26, s30
	s_mul_hi_u32 s27, s28, s26
	s_mul_i32 s29, s28, s26
	s_mul_i32 s34, s30, s8
	s_mul_hi_u32 s26, s30, s26
	s_mul_hi_u32 s31, s30, s8
	s_add_u32 s26, s26, s34
	s_addc_u32 s31, 0, s31
	s_add_u32 s26, s26, s29
	s_mul_hi_u32 s9, s28, s8
	s_addc_u32 s26, s31, s27
	s_addc_u32 s9, s9, 0
	s_mul_i32 s8, s28, s8
	s_add_u32 s8, s26, s8
	s_addc_u32 s26, 0, s9
	s_add_u32 s29, s30, s8
	s_cselect_b64 s[8:9], -1, 0
	s_cmp_lg_u64 s[8:9], 0
	s_addc_u32 s28, s28, s26
	s_ashr_i32 s8, s65, 31
	s_add_u32 s26, s53, s8
	s_mov_b32 s9, s8
	s_addc_u32 s27, s65, s8
	s_xor_b64 s[26:27], s[26:27], s[8:9]
	s_mul_i32 s31, s26, s28
	s_mul_hi_u32 s34, s26, s29
	s_mul_hi_u32 s30, s26, s28
	s_add_u32 s31, s34, s31
	s_addc_u32 s30, 0, s30
	s_mul_hi_u32 s35, s27, s29
	s_mul_i32 s29, s27, s29
	s_add_u32 s29, s31, s29
	s_mul_hi_u32 s34, s27, s28
	s_addc_u32 s29, s30, s35
	s_addc_u32 s30, s34, 0
	s_mul_i32 s28, s27, s28
	s_add_u32 s28, s29, s28
	s_addc_u32 s29, 0, s30
	s_mul_i32 s29, s0, s29
	s_mul_hi_u32 s30, s0, s28
	s_add_i32 s29, s30, s29
	s_mul_i32 s30, s1, s28
	s_add_i32 s34, s29, s30
	s_sub_i32 s30, s27, s34
	s_mul_i32 s28, s0, s28
	s_sub_u32 s26, s26, s28
	s_cselect_b64 s[28:29], -1, 0
	s_cmp_lg_u64 s[28:29], 0
	s_subb_u32 s35, s30, s1
	s_sub_u32 s36, s26, s0
	s_cselect_b64 s[30:31], -1, 0
	s_cmp_lg_u64 s[30:31], 0
	s_subb_u32 s37, s35, 0
	s_cmp_ge_u32 s37, s1
	s_cselect_b32 s38, -1, 0
	s_cmp_ge_u32 s36, s0
	s_cselect_b32 s39, -1, 0
	s_cmp_eq_u32 s37, s1
	s_cselect_b32 s38, s39, s38
	s_cmp_lg_u64 s[30:31], 0
	s_subb_u32 s35, s35, s1
	s_sub_u32 s39, s36, s0
	s_cselect_b64 s[30:31], -1, 0
	s_cmp_lg_u64 s[30:31], 0
	s_subb_u32 s30, s35, 0
	s_cmp_lg_u32 s38, 0
	s_cselect_b32 s31, s39, s36
	s_cselect_b32 s30, s30, s37
	s_cmp_lg_u64 s[28:29], 0
	s_subb_u32 s27, s27, s34
	s_cmp_ge_u32 s27, s1
	s_cselect_b32 s28, -1, 0
	s_cmp_ge_u32 s26, s0
	s_cselect_b32 s0, -1, 0
	s_cmp_eq_u32 s27, s1
	s_cselect_b32 s0, s0, s28
	s_cmp_lg_u32 s0, 0
	s_cselect_b32 s1, s30, s27
	s_cselect_b32 s0, s31, s26
	s_xor_b64 s[0:1], s[0:1], s[8:9]
	s_sub_u32 s0, s0, s8
	s_subb_u32 s1, s1, s8
	s_cbranch_execnz .LBB22_109
.LBB22_108:                             ;   in Loop: Header=BB22_33 Depth=1
	v_cvt_f32_u32_e32 v6, s33
	s_sub_i32 s0, 0, s33
	v_rcp_iflag_f32_e32 v6, v6
	v_mul_f32_e32 v6, 0x4f7ffffe, v6
	v_cvt_u32_f32_e32 v6, v6
	v_readfirstlane_b32 s1, v6
	s_mul_i32 s0, s0, s1
	s_mul_hi_u32 s0, s1, s0
	s_add_i32 s1, s1, s0
	s_mul_hi_u32 s0, s53, s1
	s_mul_i32 s0, s0, s33
	s_sub_i32 s0, s53, s0
	s_sub_i32 s1, s0, s33
	s_cmp_ge_u32 s0, s33
	s_cselect_b32 s0, s1, s0
	s_sub_i32 s1, s0, s33
	s_cmp_ge_u32 s0, s33
	s_cselect_b32 s94, s1, s0
	s_mov_b64 s[0:1], s[94:95]
.LBB22_109:                             ;   in Loop: Header=BB22_33 Depth=1
	s_sub_u32 s28, s53, s0
	s_subb_u32 s29, s65, s1
	v_cmp_gt_i64_e32 vcc, s[28:29], v[0:1]
	s_mov_b64 s[0:1], 0
	s_mov_b64 s[26:27], 0
                                        ; implicit-def: $vgpr26
	s_and_saveexec_b64 s[8:9], vcc
	s_cbranch_execz .LBB22_118
; %bb.110:                              ;   in Loop: Header=BB22_33 Depth=1
	v_mov_b32_e32 v6, v10
	v_mov_b32_e32 v9, v1
	;; [unrolled: 1-line block ×4, first 2 shown]
                                        ; implicit-def: $sgpr30_sgpr31
	s_branch .LBB22_113
.LBB22_111:                             ;   in Loop: Header=BB22_113 Depth=2
	s_or_b64 exec, exec, s[34:35]
	s_waitcnt lgkmcnt(0)
	s_barrier
	ds_read_b64 v[25:26], v13 offset:3072
	s_mov_b64 s[34:35], -1
	s_mov_b64 s[36:37], -1
	s_waitcnt lgkmcnt(0)
	s_barrier
	v_cmp_ne_u32_e32 vcc, 0, v25
	s_cbranch_vccz .LBB22_116
.LBB22_112:                             ;   in Loop: Header=BB22_113 Depth=2
	s_and_b64 s[34:35], exec, s[34:35]
	s_or_b64 s[26:27], s[34:35], s[26:27]
	s_andn2_b64 s[30:31], s[30:31], exec
	s_and_b64 s[34:35], s[36:37], exec
	s_or_b64 s[30:31], s[30:31], s[34:35]
	s_andn2_b64 exec, exec, s[26:27]
	s_cbranch_execz .LBB22_117
.LBB22_113:                             ;   Parent Loop BB22_33 Depth=1
                                        ; =>  This Inner Loop Header: Depth=2
	v_cmp_gt_i64_e32 vcc, s[56:57], v[8:9]
	s_and_saveexec_b64 s[34:35], vcc
	s_cbranch_execz .LBB22_111
; %bb.114:                              ;   in Loop: Header=BB22_113 Depth=2
	global_load_dword v25, v[6:7], off
	s_waitcnt vmcnt(0)
	v_xor_b32_e32 v12, 0x80000000, v25
	v_and_b32_e32 v12, v12, v47
	v_cmp_eq_u32_e32 vcc, v12, v44
	s_and_b64 exec, exec, vcc
	s_cbranch_execz .LBB22_111
; %bb.115:                              ;   in Loop: Header=BB22_113 Depth=2
	ds_write_b64 v13, v[24:25] offset:3072
	s_branch .LBB22_111
.LBB22_116:                             ;   in Loop: Header=BB22_113 Depth=2
	v_add_co_u32_e32 v8, vcc, s33, v8
	v_addc_co_u32_e32 v9, vcc, 0, v9, vcc
	v_mov_b32_e32 v12, s89
	v_add_co_u32_e32 v6, vcc, s88, v6
	v_addc_co_u32_e32 v7, vcc, v7, v12, vcc
	v_cmp_le_i64_e32 vcc, s[28:29], v[8:9]
	s_mov_b64 s[36:37], 0
	s_orn2_b64 s[34:35], vcc, exec
	s_branch .LBB22_112
.LBB22_117:                             ;   in Loop: Header=BB22_33 Depth=1
	s_or_b64 exec, exec, s[26:27]
	s_and_b64 s[26:27], s[30:31], exec
.LBB22_118:                             ;   in Loop: Header=BB22_33 Depth=1
	s_or_b64 exec, exec, s[8:9]
.LBB22_119:                             ;   in Loop: Header=BB22_33 Depth=1
	s_and_b64 vcc, exec, s[0:1]
	s_cbranch_vccz .LBB22_133
; %bb.120:                              ;   in Loop: Header=BB22_33 Depth=1
	v_readlane_b32 s0, v56, 42
	s_add_u32 s24, s18, s0
	v_readlane_b32 s0, v56, 43
	s_addc_u32 s1, s19, s0
	s_mov_b32 s0, s95
	s_cmp_lg_u64 s[0:1], 0
	s_cbranch_scc0 .LBB22_161
; %bb.121:                              ;   in Loop: Header=BB22_33 Depth=1
	s_add_u32 s8, s33, 0
	s_addc_u32 s9, 0, 0
	s_xor_b64 s[8:9], s[8:9], 0
	v_cvt_f32_u32_e32 v6, s8
	v_cvt_f32_u32_e32 v7, s9
	s_sub_u32 s0, 0, s8
	s_subb_u32 s25, 0, s9
	v_mac_f32_e32 v6, 0x4f800000, v7
	v_rcp_f32_e32 v6, v6
	v_mul_f32_e32 v6, 0x5f7ffffc, v6
	v_mul_f32_e32 v7, 0x2f800000, v6
	v_trunc_f32_e32 v7, v7
	v_mac_f32_e32 v6, 0xcf800000, v7
	v_cvt_u32_f32_e32 v7, v7
	v_cvt_u32_f32_e32 v6, v6
	v_readfirstlane_b32 s28, v7
	v_readfirstlane_b32 s22, v6
	s_mul_i32 s23, s0, s28
	s_mul_hi_u32 s30, s0, s22
	s_mul_i32 s29, s25, s22
	s_add_i32 s23, s30, s23
	s_mul_i32 s31, s0, s22
	s_add_i32 s23, s23, s29
	s_mul_i32 s30, s22, s23
	s_mul_hi_u32 s34, s22, s31
	s_mul_hi_u32 s29, s22, s23
	s_add_u32 s30, s34, s30
	s_addc_u32 s29, 0, s29
	s_mul_hi_u32 s35, s28, s31
	s_mul_i32 s31, s28, s31
	s_add_u32 s30, s30, s31
	s_mul_hi_u32 s34, s28, s23
	s_addc_u32 s29, s29, s35
	s_addc_u32 s30, s34, 0
	s_mul_i32 s23, s28, s23
	s_add_u32 s23, s29, s23
	s_addc_u32 s29, 0, s30
	s_add_u32 s30, s22, s23
	s_cselect_b64 s[22:23], -1, 0
	s_cmp_lg_u64 s[22:23], 0
	s_addc_u32 s28, s28, s29
	s_mul_i32 s22, s0, s28
	s_mul_hi_u32 s23, s0, s30
	s_add_i32 s22, s23, s22
	s_mul_i32 s25, s25, s30
	s_add_i32 s22, s22, s25
	s_mul_i32 s0, s0, s30
	s_mul_hi_u32 s25, s28, s0
	s_mul_i32 s29, s28, s0
	s_mul_i32 s34, s30, s22
	s_mul_hi_u32 s0, s30, s0
	s_mul_hi_u32 s31, s30, s22
	s_add_u32 s0, s0, s34
	s_addc_u32 s31, 0, s31
	s_add_u32 s0, s0, s29
	s_mul_hi_u32 s23, s28, s22
	s_addc_u32 s0, s31, s25
	s_addc_u32 s23, s23, 0
	s_mul_i32 s22, s28, s22
	s_add_u32 s0, s0, s22
	s_addc_u32 s25, 0, s23
	s_add_u32 s0, s30, s0
	s_cselect_b64 s[22:23], -1, 0
	s_cmp_lg_u64 s[22:23], 0
	s_addc_u32 s25, s28, s25
	s_ashr_i32 s22, s1, 31
	s_add_u32 s28, s24, s22
	s_mov_b32 s23, s22
	s_addc_u32 s29, s1, s22
	s_xor_b64 s[28:29], s[28:29], s[22:23]
	s_mul_i32 s31, s28, s25
	s_mul_hi_u32 s34, s28, s0
	s_mul_hi_u32 s30, s28, s25
	s_add_u32 s31, s34, s31
	s_addc_u32 s30, 0, s30
	s_mul_hi_u32 s35, s29, s0
	s_mul_i32 s0, s29, s0
	s_add_u32 s0, s31, s0
	s_mul_hi_u32 s34, s29, s25
	s_addc_u32 s0, s30, s35
	s_addc_u32 s30, s34, 0
	s_mul_i32 s25, s29, s25
	s_add_u32 s0, s0, s25
	s_addc_u32 s25, 0, s30
	s_mul_i32 s25, s8, s25
	s_mul_hi_u32 s30, s8, s0
	s_add_i32 s25, s30, s25
	s_mul_i32 s30, s9, s0
	s_add_i32 s25, s25, s30
	s_sub_i32 s34, s29, s25
	s_mul_i32 s0, s8, s0
	s_sub_u32 s0, s28, s0
	s_cselect_b64 s[30:31], -1, 0
	s_cmp_lg_u64 s[30:31], 0
	s_subb_u32 s28, s34, s9
	s_sub_u32 s36, s0, s8
	s_cselect_b64 s[34:35], -1, 0
	s_cmp_lg_u64 s[34:35], 0
	s_subb_u32 s37, s28, 0
	s_cmp_ge_u32 s37, s9
	s_cselect_b32 s38, -1, 0
	s_cmp_ge_u32 s36, s8
	s_cselect_b32 s39, -1, 0
	s_cmp_eq_u32 s37, s9
	s_cselect_b32 s38, s39, s38
	s_cmp_lg_u64 s[34:35], 0
	s_subb_u32 s28, s28, s9
	s_sub_u32 s39, s36, s8
	s_cselect_b64 s[34:35], -1, 0
	s_cmp_lg_u64 s[34:35], 0
	s_subb_u32 s28, s28, 0
	s_cmp_lg_u32 s38, 0
	s_cselect_b32 s34, s39, s36
	s_cselect_b32 s28, s28, s37
	s_cmp_lg_u64 s[30:31], 0
	s_subb_u32 s25, s29, s25
	s_cmp_ge_u32 s25, s9
	s_cselect_b32 s29, -1, 0
	s_cmp_ge_u32 s0, s8
	s_cselect_b32 s8, -1, 0
	s_cmp_eq_u32 s25, s9
	s_cselect_b32 s8, s8, s29
	s_cmp_lg_u32 s8, 0
	s_cselect_b32 s9, s28, s25
	s_cselect_b32 s8, s34, s0
	s_xor_b64 s[8:9], s[8:9], s[22:23]
	s_sub_u32 s8, s8, s22
	s_subb_u32 s9, s9, s22
	s_cbranch_execnz .LBB22_123
.LBB22_122:                             ;   in Loop: Header=BB22_33 Depth=1
	v_cvt_f32_u32_e32 v6, s33
	s_sub_i32 s0, 0, s33
	v_rcp_iflag_f32_e32 v6, v6
	v_mul_f32_e32 v6, 0x4f7ffffe, v6
	v_cvt_u32_f32_e32 v6, v6
	v_readfirstlane_b32 s8, v6
	s_mul_i32 s0, s0, s8
	s_mul_hi_u32 s0, s8, s0
	s_add_i32 s8, s8, s0
	s_mul_hi_u32 s0, s24, s8
	s_mul_i32 s0, s0, s33
	s_sub_i32 s0, s24, s0
	s_sub_i32 s8, s0, s33
	s_cmp_ge_u32 s0, s33
	s_cselect_b32 s0, s8, s0
	s_sub_i32 s8, s0, s33
	s_cmp_ge_u32 s0, s33
	s_cselect_b32 s94, s8, s0
	s_mov_b64 s[8:9], s[94:95]
.LBB22_123:                             ;   in Loop: Header=BB22_33 Depth=1
	s_sub_u32 s8, s24, s8
	s_subb_u32 s9, s1, s9
	v_cmp_gt_i64_e32 vcc, s[8:9], v[0:1]
                                        ; implicit-def: $vgpr26
	s_and_saveexec_b64 s[0:1], vcc
	s_cbranch_execz .LBB22_132
; %bb.124:                              ;   in Loop: Header=BB22_33 Depth=1
	v_mov_b32_e32 v7, v1
	s_mov_b64 s[22:23], 0
	v_mov_b32_e32 v8, v14
	v_mov_b32_e32 v6, v0
                                        ; implicit-def: $sgpr24_sgpr25
	s_branch .LBB22_127
.LBB22_125:                             ;   in Loop: Header=BB22_127 Depth=2
	s_or_b64 exec, exec, s[28:29]
	s_waitcnt lgkmcnt(0)
	s_barrier
	ds_read_b64 v[25:26], v13 offset:3072
	s_mov_b64 s[28:29], -1
	s_mov_b64 s[30:31], -1
	s_waitcnt lgkmcnt(0)
	s_barrier
	v_cmp_ne_u32_e32 vcc, 0, v25
	s_cbranch_vccz .LBB22_130
.LBB22_126:                             ;   in Loop: Header=BB22_127 Depth=2
	s_and_b64 s[28:29], exec, s[28:29]
	s_or_b64 s[22:23], s[28:29], s[22:23]
	s_andn2_b64 s[24:25], s[24:25], exec
	s_and_b64 s[28:29], s[30:31], exec
	s_or_b64 s[24:25], s[24:25], s[28:29]
	s_andn2_b64 exec, exec, s[22:23]
	s_cbranch_execz .LBB22_131
.LBB22_127:                             ;   Parent Loop BB22_33 Depth=1
                                        ; =>  This Inner Loop Header: Depth=2
	v_cmp_gt_u64_e32 vcc, s[18:19], v[6:7]
	s_and_saveexec_b64 s[28:29], vcc
	s_cbranch_execz .LBB22_125
; %bb.128:                              ;   in Loop: Header=BB22_127 Depth=2
	ds_read_b32 v25, v8
	s_waitcnt lgkmcnt(0)
	v_xor_b32_e32 v9, 0x80000000, v25
	v_and_b32_e32 v9, v9, v47
	v_cmp_eq_u32_e32 vcc, v9, v44
	s_and_b64 exec, exec, vcc
	s_cbranch_execz .LBB22_125
; %bb.129:                              ;   in Loop: Header=BB22_127 Depth=2
	ds_write_b64 v13, v[24:25] offset:3072
	s_branch .LBB22_125
.LBB22_130:                             ;   in Loop: Header=BB22_127 Depth=2
	v_add_co_u32_e32 v6, vcc, s33, v6
	v_addc_co_u32_e32 v7, vcc, 0, v7, vcc
	v_cmp_le_i64_e32 vcc, s[8:9], v[6:7]
	v_add_u32_e32 v8, s52, v8
	s_mov_b64 s[30:31], 0
	s_orn2_b64 s[28:29], vcc, exec
	s_branch .LBB22_126
.LBB22_131:                             ;   in Loop: Header=BB22_33 Depth=1
	s_or_b64 exec, exec, s[22:23]
	s_andn2_b64 s[8:9], s[26:27], exec
	s_and_b64 s[18:19], s[24:25], exec
	s_or_b64 s[26:27], s[8:9], s[18:19]
.LBB22_132:                             ;   in Loop: Header=BB22_33 Depth=1
	s_or_b64 exec, exec, s[0:1]
	s_mov_b64 s[22:23], 0
	s_mov_b64 s[24:25], -1
.LBB22_133:                             ;   in Loop: Header=BB22_33 Depth=1
	s_orn2_b64 s[0:1], s[26:27], exec
.LBB22_134:                             ;   in Loop: Header=BB22_33 Depth=1
	s_or_b64 exec, exec, s[14:15]
	s_andn2_b64 s[8:9], s[68:69], exec
	s_and_b64 s[14:15], s[24:25], exec
	s_or_b64 s[68:69], s[8:9], s[14:15]
	s_andn2_b64 s[8:9], s[90:91], exec
	s_and_b64 s[14:15], s[22:23], exec
	s_andn2_b64 s[82:83], s[82:83], exec
	s_or_b64 s[90:91], s[8:9], s[14:15]
                                        ; implicit-def: $vgpr6_vgpr7
	s_and_saveexec_b64 s[14:15], s[0:1]
	s_cbranch_execz .LBB22_32
; %bb.135:                              ;   in Loop: Header=BB22_33 Depth=1
	v_mov_b32_e32 v6, 1
	s_xor_b64 s[6:7], s[16:17], -1
	v_mov_b32_e32 v12, 1
	v_mov_b32_e32 v7, 0
	s_mov_b64 s[8:9], 0
	s_and_saveexec_b64 s[0:1], s[6:7]
	s_cbranch_execz .LBB22_144
; %bb.136:                              ;   in Loop: Header=BB22_33 Depth=1
	v_cmp_le_i64_e32 vcc, v[27:28], v[2:3]
	s_and_saveexec_b64 s[6:7], vcc
	s_xor_b64 s[6:7], exec, s[6:7]
	s_cbranch_execz .LBB22_141
; %bb.137:                              ;   in Loop: Header=BB22_33 Depth=1
	ds_read_b64 v[6:7], v13 offset:5120
	v_and_b32_e32 v44, s50, v44
	v_or_b32_e32 v47, s58, v47
	s_waitcnt lgkmcnt(0)
	v_cmp_ne_u64_e32 vcc, 0, v[6:7]
	s_cbranch_vccnz .LBB22_141
; %bb.138:                              ;   in Loop: Header=BB22_33 Depth=1
	s_mov_b64 s[8:9], exec
	v_readlane_b32 s16, v56, 32
	v_readlane_b32 s17, v56, 33
	s_and_b64 s[16:17], s[8:9], s[16:17]
	s_mov_b64 exec, s[16:17]
; %bb.139:                              ;   in Loop: Header=BB22_33 Depth=1
	ds_write_b64 v13, v[2:3] offset:5128
; %bb.140:                              ;   in Loop: Header=BB22_33 Depth=1
	s_or_b64 exec, exec, s[8:9]
	s_waitcnt lgkmcnt(0)
	s_barrier
.LBB22_141:                             ;   in Loop: Header=BB22_33 Depth=1
	s_or_saveexec_b64 s[6:7], s[6:7]
	s_mov_b64 s[8:9], 0
	v_mov_b32_e32 v12, 8
	s_xor_b64 exec, exec, s[6:7]
; %bb.142:                              ;   in Loop: Header=BB22_33 Depth=1
	v_sub_co_u32_e32 v27, vcc, v27, v2
	v_subb_co_u32_e32 v28, vcc, v28, v3, vcc
	v_mov_b32_e32 v12, 0
	s_mov_b64 s[8:9], exec
; %bb.143:                              ;   in Loop: Header=BB22_33 Depth=1
	s_or_b64 exec, exec, s[6:7]
	v_mov_b32_e32 v6, v27
	s_and_b64 s[8:9], s[8:9], exec
	v_mov_b32_e32 v7, v28
.LBB22_144:                             ;   in Loop: Header=BB22_33 Depth=1
	s_or_b64 exec, exec, s[0:1]
	s_mov_b64 s[16:17], -1
	s_mov_b64 s[0:1], -1
                                        ; implicit-def: $sgpr6_sgpr7
                                        ; implicit-def: $sgpr22_sgpr23
	s_and_saveexec_b64 s[18:19], s[8:9]
	s_xor_b64 s[18:19], exec, s[18:19]
	s_cbranch_execz .LBB22_286
; %bb.145:                              ;   in Loop: Header=BB22_33 Depth=1
	v_cmp_eq_u64_e32 vcc, 1, v[4:5]
	v_cmp_eq_u64_e64 s[6:7], 1, v[6:7]
                                        ; implicit-def: $sgpr22_sgpr23
	s_and_b64 s[26:27], vcc, s[6:7]
                                        ; implicit-def: $sgpr6_sgpr7
	s_and_saveexec_b64 s[24:25], s[26:27]
	s_cbranch_execz .LBB22_179
; %bb.146:                              ;   in Loop: Header=BB22_33 Depth=1
	ds_read_b64 v[2:3], v13 offset:5120
	s_waitcnt lgkmcnt(0)
	s_barrier
	v_readfirstlane_b32 s30, v2
	v_readfirstlane_b32 s31, v3
	s_and_saveexec_b64 s[0:1], s[72:73]
; %bb.147:                              ;   in Loop: Header=BB22_33 Depth=1
	ds_write_b32 v45, v13
; %bb.148:                              ;   in Loop: Header=BB22_33 Depth=1
	s_or_b64 exec, exec, s[0:1]
	v_cmp_gt_i64_e64 s[0:1], s[30:31], 0
	v_and_b32_e32 v2, s50, v44
	v_lshl_or_b32 v44, 1, s86, v2
	v_or_b32_e32 v47, s58, v47
	s_mov_b64 s[6:7], -1
	s_mov_b64 s[22:23], 0
	s_and_b64 vcc, exec, s[0:1]
	s_mov_b64 s[34:35], 0
	s_mov_b64 s[0:1], -1
	s_waitcnt lgkmcnt(0)
	s_barrier
                                        ; implicit-def: $vgpr26
	s_cbranch_vccnz .LBB22_164
; %bb.149:                              ;   in Loop: Header=BB22_33 Depth=1
	s_mov_b32 s64, s95
	s_cmp_lg_u64 s[64:65], 0
	s_cbranch_scc0 .LBB22_206
; %bb.150:                              ;   in Loop: Header=BB22_33 Depth=1
	s_add_u32 s0, s33, 0
	s_addc_u32 s1, 0, 0
	s_xor_b64 s[0:1], s[0:1], 0
	v_cvt_f32_u32_e32 v2, s0
	v_cvt_f32_u32_e32 v3, s1
	s_sub_u32 s28, 0, s0
	s_subb_u32 s29, 0, s1
	v_mac_f32_e32 v2, 0x4f800000, v3
	v_rcp_f32_e32 v2, v2
	v_mul_f32_e32 v2, 0x5f7ffffc, v2
	v_mul_f32_e32 v3, 0x2f800000, v2
	v_trunc_f32_e32 v3, v3
	v_mac_f32_e32 v2, 0xcf800000, v3
	v_cvt_u32_f32_e32 v3, v3
	v_cvt_u32_f32_e32 v2, v2
	v_readfirstlane_b32 s34, v3
	v_readfirstlane_b32 s8, v2
	s_mul_i32 s9, s28, s34
	s_mul_hi_u32 s36, s28, s8
	s_mul_i32 s35, s29, s8
	s_add_i32 s9, s36, s9
	s_mul_i32 s37, s28, s8
	s_add_i32 s9, s9, s35
	s_mul_i32 s36, s8, s9
	s_mul_hi_u32 s38, s8, s37
	s_mul_hi_u32 s35, s8, s9
	s_add_u32 s36, s38, s36
	s_addc_u32 s35, 0, s35
	s_mul_hi_u32 s39, s34, s37
	s_mul_i32 s37, s34, s37
	s_add_u32 s36, s36, s37
	s_mul_hi_u32 s38, s34, s9
	s_addc_u32 s35, s35, s39
	s_addc_u32 s36, s38, 0
	s_mul_i32 s9, s34, s9
	s_add_u32 s9, s35, s9
	s_addc_u32 s35, 0, s36
	s_add_u32 s36, s8, s9
	s_cselect_b64 s[8:9], -1, 0
	s_cmp_lg_u64 s[8:9], 0
	s_addc_u32 s34, s34, s35
	s_mul_i32 s8, s28, s34
	s_mul_hi_u32 s9, s28, s36
	s_add_i32 s8, s9, s8
	s_mul_i32 s29, s29, s36
	s_add_i32 s8, s8, s29
	s_mul_i32 s28, s28, s36
	s_mul_hi_u32 s29, s34, s28
	s_mul_i32 s35, s34, s28
	s_mul_i32 s38, s36, s8
	s_mul_hi_u32 s28, s36, s28
	s_mul_hi_u32 s37, s36, s8
	s_add_u32 s28, s28, s38
	s_addc_u32 s37, 0, s37
	s_add_u32 s28, s28, s35
	s_mul_hi_u32 s9, s34, s8
	s_addc_u32 s28, s37, s29
	s_addc_u32 s9, s9, 0
	s_mul_i32 s8, s34, s8
	s_add_u32 s8, s28, s8
	s_addc_u32 s28, 0, s9
	s_add_u32 s35, s36, s8
	s_cselect_b64 s[8:9], -1, 0
	s_cmp_lg_u64 s[8:9], 0
	s_addc_u32 s34, s34, s28
	s_ashr_i32 s8, s65, 31
	s_add_u32 s28, s53, s8
	s_mov_b32 s9, s8
	s_addc_u32 s29, s65, s8
	s_xor_b64 s[28:29], s[28:29], s[8:9]
	s_mul_i32 s37, s28, s34
	s_mul_hi_u32 s38, s28, s35
	s_mul_hi_u32 s36, s28, s34
	s_add_u32 s37, s38, s37
	s_addc_u32 s36, 0, s36
	s_mul_hi_u32 s39, s29, s35
	s_mul_i32 s35, s29, s35
	s_add_u32 s35, s37, s35
	s_mul_hi_u32 s38, s29, s34
	s_addc_u32 s35, s36, s39
	s_addc_u32 s36, s38, 0
	s_mul_i32 s34, s29, s34
	s_add_u32 s34, s35, s34
	s_addc_u32 s35, 0, s36
	s_mul_i32 s35, s0, s35
	s_mul_hi_u32 s36, s0, s34
	s_add_i32 s35, s36, s35
	s_mul_i32 s36, s1, s34
	s_add_i32 s38, s35, s36
	s_sub_i32 s36, s29, s38
	s_mul_i32 s34, s0, s34
	s_sub_u32 s28, s28, s34
	s_cselect_b64 s[34:35], -1, 0
	s_cmp_lg_u64 s[34:35], 0
	s_subb_u32 s39, s36, s1
	s_sub_u32 s40, s28, s0
	s_cselect_b64 s[36:37], -1, 0
	s_cmp_lg_u64 s[36:37], 0
	s_subb_u32 s41, s39, 0
	s_cmp_ge_u32 s41, s1
	s_cselect_b32 s42, -1, 0
	s_cmp_ge_u32 s40, s0
	s_cselect_b32 s43, -1, 0
	s_cmp_eq_u32 s41, s1
	s_cselect_b32 s42, s43, s42
	s_cmp_lg_u64 s[36:37], 0
	s_subb_u32 s39, s39, s1
	s_sub_u32 s43, s40, s0
	s_cselect_b64 s[36:37], -1, 0
	s_cmp_lg_u64 s[36:37], 0
	s_subb_u32 s36, s39, 0
	s_cmp_lg_u32 s42, 0
	s_cselect_b32 s37, s43, s40
	s_cselect_b32 s36, s36, s41
	s_cmp_lg_u64 s[34:35], 0
	s_subb_u32 s29, s29, s38
	s_cmp_ge_u32 s29, s1
	s_cselect_b32 s34, -1, 0
	s_cmp_ge_u32 s28, s0
	s_cselect_b32 s0, -1, 0
	s_cmp_eq_u32 s29, s1
	s_cselect_b32 s0, s0, s34
	s_cmp_lg_u32 s0, 0
	s_cselect_b32 s1, s36, s29
	s_cselect_b32 s0, s37, s28
	s_xor_b64 s[0:1], s[0:1], s[8:9]
	s_sub_u32 s0, s0, s8
	s_subb_u32 s1, s1, s8
	s_cbranch_execnz .LBB22_152
.LBB22_151:                             ;   in Loop: Header=BB22_33 Depth=1
	v_cvt_f32_u32_e32 v2, s33
	s_sub_i32 s0, 0, s33
	v_rcp_iflag_f32_e32 v2, v2
	v_mul_f32_e32 v2, 0x4f7ffffe, v2
	v_cvt_u32_f32_e32 v2, v2
	v_readfirstlane_b32 s1, v2
	s_mul_i32 s0, s0, s1
	s_mul_hi_u32 s0, s1, s0
	s_add_i32 s1, s1, s0
	s_mul_hi_u32 s0, s53, s1
	s_mul_i32 s0, s0, s33
	s_sub_i32 s0, s53, s0
	s_sub_i32 s1, s0, s33
	s_cmp_ge_u32 s0, s33
	s_cselect_b32 s0, s1, s0
	s_sub_i32 s1, s0, s33
	s_cmp_ge_u32 s0, s33
	s_cselect_b32 s94, s1, s0
	s_mov_b64 s[0:1], s[94:95]
.LBB22_152:                             ;   in Loop: Header=BB22_33 Depth=1
	s_sub_u32 s28, s53, s0
	s_subb_u32 s29, s65, s1
	v_cmp_gt_i64_e32 vcc, s[28:29], v[0:1]
	s_mov_b64 s[0:1], 0
	s_mov_b64 s[34:35], 0
                                        ; implicit-def: $vgpr26
	s_and_saveexec_b64 s[8:9], vcc
	s_cbranch_execz .LBB22_163
; %bb.153:                              ;   in Loop: Header=BB22_33 Depth=1
	v_mov_b32_e32 v2, v10
	v_mov_b32_e32 v9, v1
	v_mov_b32_e32 v3, v11
	v_mov_b32_e32 v8, v0
                                        ; implicit-def: $sgpr36_sgpr37
	s_branch .LBB22_156
.LBB22_154:                             ;   in Loop: Header=BB22_156 Depth=2
	s_or_b64 exec, exec, s[38:39]
	s_waitcnt lgkmcnt(0)
	s_barrier
	ds_read_b64 v[25:26], v13 offset:3072
	s_mov_b64 s[38:39], -1
	s_mov_b64 s[40:41], -1
	s_waitcnt lgkmcnt(0)
	s_barrier
	v_cmp_ne_u32_e32 vcc, 0, v25
	s_cbranch_vccz .LBB22_159
.LBB22_155:                             ;   in Loop: Header=BB22_156 Depth=2
	s_and_b64 s[38:39], exec, s[38:39]
	s_or_b64 s[34:35], s[38:39], s[34:35]
	s_andn2_b64 s[36:37], s[36:37], exec
	s_and_b64 s[38:39], s[40:41], exec
	s_or_b64 s[36:37], s[36:37], s[38:39]
	s_andn2_b64 exec, exec, s[34:35]
	s_cbranch_execz .LBB22_162
.LBB22_156:                             ;   Parent Loop BB22_33 Depth=1
                                        ; =>  This Inner Loop Header: Depth=2
	v_cmp_gt_i64_e32 vcc, s[56:57], v[8:9]
	s_and_saveexec_b64 s[38:39], vcc
	s_cbranch_execz .LBB22_154
; %bb.157:                              ;   in Loop: Header=BB22_156 Depth=2
	global_load_dword v25, v[2:3], off
	s_waitcnt vmcnt(0)
	v_xor_b32_e32 v26, 0x80000000, v25
	v_and_b32_e32 v26, v26, v47
	v_cmp_eq_u32_e32 vcc, v26, v44
	s_and_b64 exec, exec, vcc
	s_cbranch_execz .LBB22_154
; %bb.158:                              ;   in Loop: Header=BB22_156 Depth=2
	ds_write_b64 v13, v[24:25] offset:3072
	s_branch .LBB22_154
.LBB22_159:                             ;   in Loop: Header=BB22_156 Depth=2
	v_add_co_u32_e32 v8, vcc, s33, v8
	v_addc_co_u32_e32 v9, vcc, 0, v9, vcc
	v_mov_b32_e32 v25, s89
	v_add_co_u32_e32 v2, vcc, s88, v2
	v_addc_co_u32_e32 v3, vcc, v3, v25, vcc
	v_cmp_le_i64_e32 vcc, s[28:29], v[8:9]
	s_mov_b64 s[40:41], 0
	s_orn2_b64 s[38:39], vcc, exec
	s_branch .LBB22_155
.LBB22_160:                             ;   in Loop: Header=BB22_33 Depth=1
                                        ; implicit-def: $sgpr0_sgpr1
	s_branch .LBB22_108
.LBB22_161:                             ;   in Loop: Header=BB22_33 Depth=1
                                        ; implicit-def: $sgpr8_sgpr9
	s_branch .LBB22_122
.LBB22_162:                             ;   in Loop: Header=BB22_33 Depth=1
	s_or_b64 exec, exec, s[34:35]
	s_and_b64 s[34:35], s[36:37], exec
.LBB22_163:                             ;   in Loop: Header=BB22_33 Depth=1
	s_or_b64 exec, exec, s[8:9]
.LBB22_164:                             ;   in Loop: Header=BB22_33 Depth=1
	s_and_b64 vcc, exec, s[0:1]
	s_cbranch_vccz .LBB22_178
; %bb.165:                              ;   in Loop: Header=BB22_33 Depth=1
	v_readlane_b32 s0, v56, 42
	s_add_u32 s22, s30, s0
	v_readlane_b32 s0, v56, 43
	s_addc_u32 s1, s31, s0
	s_mov_b32 s0, s95
	s_cmp_lg_u64 s[0:1], 0
	s_cbranch_scc0 .LBB22_207
; %bb.166:                              ;   in Loop: Header=BB22_33 Depth=1
	s_add_u32 s6, s33, 0
	s_addc_u32 s7, 0, 0
	s_xor_b64 s[6:7], s[6:7], 0
	v_cvt_f32_u32_e32 v2, s6
	v_cvt_f32_u32_e32 v3, s7
	s_sub_u32 s0, 0, s6
	s_subb_u32 s23, 0, s7
	v_mac_f32_e32 v2, 0x4f800000, v3
	v_rcp_f32_e32 v2, v2
	v_mul_f32_e32 v2, 0x5f7ffffc, v2
	v_mul_f32_e32 v3, 0x2f800000, v2
	v_trunc_f32_e32 v3, v3
	v_mac_f32_e32 v2, 0xcf800000, v3
	v_cvt_u32_f32_e32 v3, v3
	v_cvt_u32_f32_e32 v2, v2
	v_readfirstlane_b32 s28, v3
	v_readfirstlane_b32 s8, v2
	s_mul_i32 s9, s0, s28
	s_mul_hi_u32 s36, s0, s8
	s_mul_i32 s29, s23, s8
	s_add_i32 s9, s36, s9
	s_mul_i32 s37, s0, s8
	s_add_i32 s9, s9, s29
	s_mul_i32 s36, s8, s9
	s_mul_hi_u32 s38, s8, s37
	s_mul_hi_u32 s29, s8, s9
	s_add_u32 s36, s38, s36
	s_addc_u32 s29, 0, s29
	s_mul_hi_u32 s39, s28, s37
	s_mul_i32 s37, s28, s37
	s_add_u32 s36, s36, s37
	s_mul_hi_u32 s38, s28, s9
	s_addc_u32 s29, s29, s39
	s_addc_u32 s36, s38, 0
	s_mul_i32 s9, s28, s9
	s_add_u32 s9, s29, s9
	s_addc_u32 s29, 0, s36
	s_add_u32 s36, s8, s9
	s_cselect_b64 s[8:9], -1, 0
	s_cmp_lg_u64 s[8:9], 0
	s_addc_u32 s28, s28, s29
	s_mul_i32 s8, s0, s28
	s_mul_hi_u32 s9, s0, s36
	s_add_i32 s8, s9, s8
	s_mul_i32 s23, s23, s36
	s_add_i32 s8, s8, s23
	s_mul_i32 s0, s0, s36
	s_mul_hi_u32 s23, s28, s0
	s_mul_i32 s29, s28, s0
	s_mul_i32 s38, s36, s8
	s_mul_hi_u32 s0, s36, s0
	s_mul_hi_u32 s37, s36, s8
	s_add_u32 s0, s0, s38
	s_addc_u32 s37, 0, s37
	s_add_u32 s0, s0, s29
	s_mul_hi_u32 s9, s28, s8
	s_addc_u32 s0, s37, s23
	s_addc_u32 s9, s9, 0
	s_mul_i32 s8, s28, s8
	s_add_u32 s0, s0, s8
	s_addc_u32 s23, 0, s9
	s_add_u32 s0, s36, s0
	s_cselect_b64 s[8:9], -1, 0
	s_cmp_lg_u64 s[8:9], 0
	s_addc_u32 s23, s28, s23
	s_ashr_i32 s8, s1, 31
	s_add_u32 s28, s22, s8
	s_mov_b32 s9, s8
	s_addc_u32 s29, s1, s8
	s_xor_b64 s[28:29], s[28:29], s[8:9]
	s_mul_i32 s37, s28, s23
	s_mul_hi_u32 s38, s28, s0
	s_mul_hi_u32 s36, s28, s23
	s_add_u32 s37, s38, s37
	s_addc_u32 s36, 0, s36
	s_mul_hi_u32 s39, s29, s0
	s_mul_i32 s0, s29, s0
	s_add_u32 s0, s37, s0
	s_mul_hi_u32 s38, s29, s23
	s_addc_u32 s0, s36, s39
	s_addc_u32 s36, s38, 0
	s_mul_i32 s23, s29, s23
	s_add_u32 s0, s0, s23
	s_addc_u32 s23, 0, s36
	s_mul_i32 s23, s6, s23
	s_mul_hi_u32 s36, s6, s0
	s_add_i32 s23, s36, s23
	s_mul_i32 s36, s7, s0
	s_add_i32 s23, s23, s36
	s_sub_i32 s38, s29, s23
	s_mul_i32 s0, s6, s0
	s_sub_u32 s0, s28, s0
	s_cselect_b64 s[36:37], -1, 0
	s_cmp_lg_u64 s[36:37], 0
	s_subb_u32 s28, s38, s7
	s_sub_u32 s40, s0, s6
	s_cselect_b64 s[38:39], -1, 0
	s_cmp_lg_u64 s[38:39], 0
	s_subb_u32 s41, s28, 0
	s_cmp_ge_u32 s41, s7
	s_cselect_b32 s42, -1, 0
	s_cmp_ge_u32 s40, s6
	s_cselect_b32 s43, -1, 0
	s_cmp_eq_u32 s41, s7
	s_cselect_b32 s42, s43, s42
	s_cmp_lg_u64 s[38:39], 0
	s_subb_u32 s28, s28, s7
	s_sub_u32 s43, s40, s6
	s_cselect_b64 s[38:39], -1, 0
	s_cmp_lg_u64 s[38:39], 0
	s_subb_u32 s28, s28, 0
	s_cmp_lg_u32 s42, 0
	s_cselect_b32 s38, s43, s40
	s_cselect_b32 s28, s28, s41
	s_cmp_lg_u64 s[36:37], 0
	s_subb_u32 s23, s29, s23
	s_cmp_ge_u32 s23, s7
	s_cselect_b32 s29, -1, 0
	s_cmp_ge_u32 s0, s6
	s_cselect_b32 s6, -1, 0
	s_cmp_eq_u32 s23, s7
	s_cselect_b32 s6, s6, s29
	s_cmp_lg_u32 s6, 0
	s_cselect_b32 s7, s28, s23
	s_cselect_b32 s6, s38, s0
	s_xor_b64 s[6:7], s[6:7], s[8:9]
	s_sub_u32 s6, s6, s8
	s_subb_u32 s7, s7, s8
	s_cbranch_execnz .LBB22_168
.LBB22_167:                             ;   in Loop: Header=BB22_33 Depth=1
	v_cvt_f32_u32_e32 v2, s33
	s_sub_i32 s0, 0, s33
	v_rcp_iflag_f32_e32 v2, v2
	v_mul_f32_e32 v2, 0x4f7ffffe, v2
	v_cvt_u32_f32_e32 v2, v2
	v_readfirstlane_b32 s6, v2
	s_mul_i32 s0, s0, s6
	s_mul_hi_u32 s0, s6, s0
	s_add_i32 s6, s6, s0
	s_mul_hi_u32 s0, s22, s6
	s_mul_i32 s0, s0, s33
	s_sub_i32 s0, s22, s0
	s_sub_i32 s6, s0, s33
	s_cmp_ge_u32 s0, s33
	s_cselect_b32 s0, s6, s0
	s_sub_i32 s6, s0, s33
	s_cmp_ge_u32 s0, s33
	s_cselect_b32 s94, s6, s0
	s_mov_b64 s[6:7], s[94:95]
.LBB22_168:                             ;   in Loop: Header=BB22_33 Depth=1
	s_sub_u32 s6, s22, s6
	s_subb_u32 s7, s1, s7
	v_cmp_gt_i64_e32 vcc, s[6:7], v[0:1]
                                        ; implicit-def: $vgpr26
	s_and_saveexec_b64 s[0:1], vcc
	s_cbranch_execz .LBB22_177
; %bb.169:                              ;   in Loop: Header=BB22_33 Depth=1
	v_mov_b32_e32 v3, v1
	s_mov_b64 s[8:9], 0
	v_mov_b32_e32 v8, v14
	v_mov_b32_e32 v2, v0
                                        ; implicit-def: $sgpr22_sgpr23
	s_branch .LBB22_172
.LBB22_170:                             ;   in Loop: Header=BB22_172 Depth=2
	s_or_b64 exec, exec, s[28:29]
	s_waitcnt lgkmcnt(0)
	s_barrier
	ds_read_b64 v[25:26], v13 offset:3072
	s_mov_b64 s[28:29], -1
	s_mov_b64 s[36:37], -1
	s_waitcnt lgkmcnt(0)
	s_barrier
	v_cmp_eq_u32_e32 vcc, 0, v25
	s_cbranch_vccnz .LBB22_175
.LBB22_171:                             ;   in Loop: Header=BB22_172 Depth=2
	s_and_b64 s[28:29], exec, s[28:29]
	s_or_b64 s[8:9], s[28:29], s[8:9]
	s_andn2_b64 s[22:23], s[22:23], exec
	s_and_b64 s[28:29], s[36:37], exec
	s_or_b64 s[22:23], s[22:23], s[28:29]
	s_andn2_b64 exec, exec, s[8:9]
	s_cbranch_execz .LBB22_176
.LBB22_172:                             ;   Parent Loop BB22_33 Depth=1
                                        ; =>  This Inner Loop Header: Depth=2
	v_cmp_gt_u64_e32 vcc, s[30:31], v[2:3]
	s_and_saveexec_b64 s[28:29], vcc
	s_cbranch_execz .LBB22_170
; %bb.173:                              ;   in Loop: Header=BB22_172 Depth=2
	ds_read_b32 v25, v8
	s_waitcnt lgkmcnt(0)
	v_xor_b32_e32 v9, 0x80000000, v25
	v_and_b32_e32 v9, v9, v47
	v_cmp_eq_u32_e32 vcc, v9, v44
	s_and_b64 exec, exec, vcc
	s_cbranch_execz .LBB22_170
; %bb.174:                              ;   in Loop: Header=BB22_172 Depth=2
	ds_write_b64 v13, v[24:25] offset:3072
	s_branch .LBB22_170
.LBB22_175:                             ;   in Loop: Header=BB22_172 Depth=2
	v_add_co_u32_e32 v2, vcc, s33, v2
	v_addc_co_u32_e32 v3, vcc, 0, v3, vcc
	v_cmp_le_i64_e32 vcc, s[6:7], v[2:3]
	v_add_u32_e32 v8, s52, v8
	s_mov_b64 s[36:37], 0
	s_orn2_b64 s[28:29], vcc, exec
	s_branch .LBB22_171
.LBB22_176:                             ;   in Loop: Header=BB22_33 Depth=1
	s_or_b64 exec, exec, s[8:9]
	s_andn2_b64 s[6:7], s[34:35], exec
	s_and_b64 s[8:9], s[22:23], exec
	s_or_b64 s[34:35], s[6:7], s[8:9]
.LBB22_177:                             ;   in Loop: Header=BB22_33 Depth=1
	s_or_b64 exec, exec, s[0:1]
	s_mov_b64 s[6:7], 0
	s_mov_b64 s[22:23], -1
.LBB22_178:                             ;   in Loop: Header=BB22_33 Depth=1
	s_orn2_b64 s[0:1], s[34:35], exec
.LBB22_179:                             ;   in Loop: Header=BB22_33 Depth=1
	s_or_b64 exec, exec, s[24:25]
	s_mov_b64 s[8:9], 0
	s_and_saveexec_b64 s[24:25], s[0:1]
	s_cbranch_execz .LBB22_285
; %bb.180:                              ;   in Loop: Header=BB22_33 Depth=1
	v_mov_b32_e32 v2, 1
	s_xor_b64 s[26:27], s[26:27], -1
	v_mov_b32_e32 v12, 1
	v_mov_b32_e32 v3, 0
	s_and_saveexec_b64 s[0:1], s[26:27]
	s_cbranch_execz .LBB22_190
; %bb.181:                              ;   in Loop: Header=BB22_33 Depth=1
	v_cmp_le_i64_e32 vcc, v[6:7], v[4:5]
	s_and_saveexec_b64 s[8:9], vcc
	s_xor_b64 s[8:9], exec, s[8:9]
	s_cbranch_execz .LBB22_187
; %bb.182:                              ;   in Loop: Header=BB22_33 Depth=1
	v_and_b32_e32 v2, s50, v44
	v_lshl_or_b32 v44, 1, s86, v2
	ds_read_b64 v[2:3], v13 offset:5120
	v_or_b32_e32 v47, s58, v47
	s_waitcnt lgkmcnt(0)
	v_cmp_ne_u64_e32 vcc, 0, v[2:3]
	s_cbranch_vccnz .LBB22_186
; %bb.183:                              ;   in Loop: Header=BB22_33 Depth=1
	s_mov_b64 s[26:27], exec
	v_readlane_b32 s28, v56, 32
	v_readlane_b32 s29, v56, 33
	s_and_b64 s[28:29], s[26:27], s[28:29]
	s_mov_b64 exec, s[28:29]
; %bb.184:                              ;   in Loop: Header=BB22_33 Depth=1
	ds_write_b64 v13, v[4:5] offset:5128
; %bb.185:                              ;   in Loop: Header=BB22_33 Depth=1
	s_or_b64 exec, exec, s[26:27]
	s_waitcnt lgkmcnt(0)
	s_barrier
.LBB22_186:                             ;   in Loop: Header=BB22_33 Depth=1
                                        ; implicit-def: $vgpr2_vgpr3_vgpr4_vgpr5
.LBB22_187:                             ;   in Loop: Header=BB22_33 Depth=1
	s_or_saveexec_b64 s[8:9], s[8:9]
	s_mov_b64 s[26:27], 0
	v_mov_b32_e32 v12, 8
	s_xor_b64 exec, exec, s[8:9]
; %bb.188:                              ;   in Loop: Header=BB22_33 Depth=1
	v_sub_co_u32_e32 v6, vcc, v6, v4
	v_subb_co_u32_e32 v7, vcc, v7, v5, vcc
	v_mov_b32_e32 v12, 0
	s_mov_b64 s[26:27], exec
; %bb.189:                              ;   in Loop: Header=BB22_33 Depth=1
	s_or_b64 exec, exec, s[8:9]
	v_mov_b32_e32 v2, v6
	s_and_b64 s[8:9], s[26:27], exec
	v_mov_b32_e32 v3, v7
.LBB22_190:                             ;   in Loop: Header=BB22_33 Depth=1
	s_or_b64 exec, exec, s[0:1]
	s_mov_b64 s[0:1], -1
                                        ; implicit-def: $sgpr30_sgpr31
                                        ; implicit-def: $sgpr34_sgpr35
	s_and_saveexec_b64 s[26:27], s[8:9]
	s_cbranch_execz .LBB22_284
; %bb.191:                              ;   in Loop: Header=BB22_33 Depth=1
	s_cmp_eq_u64 s[20:21], 1
	v_cmp_eq_u64_e32 vcc, 1, v[2:3]
	s_cselect_b64 s[0:1], -1, 0
	s_and_b64 s[38:39], s[0:1], vcc
	s_mov_b64 s[0:1], -1
                                        ; implicit-def: $sgpr34_sgpr35
                                        ; implicit-def: $sgpr30_sgpr31
	s_and_saveexec_b64 s[36:37], s[38:39]
	s_cbranch_execz .LBB22_225
; %bb.192:                              ;   in Loop: Header=BB22_33 Depth=1
	ds_read_b64 v[4:5], v13 offset:5120
	s_waitcnt lgkmcnt(0)
	s_barrier
	v_readfirstlane_b32 s40, v4
	v_readfirstlane_b32 s41, v5
	s_and_saveexec_b64 s[0:1], s[72:73]
; %bb.193:                              ;   in Loop: Header=BB22_33 Depth=1
	ds_write_b32 v45, v13
; %bb.194:                              ;   in Loop: Header=BB22_33 Depth=1
	s_or_b64 exec, exec, s[0:1]
	v_cmp_gt_i64_e64 s[0:1], s[40:41], 0
	v_and_b32_e32 v4, s50, v44
	v_lshl_or_b32 v44, 2, s86, v4
	v_or_b32_e32 v47, s58, v47
	s_mov_b64 s[30:31], -1
	s_mov_b64 s[34:35], 0
	s_and_b64 vcc, exec, s[0:1]
	s_mov_b64 s[42:43], 0
	s_mov_b64 s[0:1], -1
	s_waitcnt lgkmcnt(0)
	s_barrier
                                        ; implicit-def: $vgpr26
	s_cbranch_vccnz .LBB22_210
; %bb.195:                              ;   in Loop: Header=BB22_33 Depth=1
	s_mov_b32 s64, s95
	s_cmp_lg_u64 s[64:65], 0
	s_cbranch_scc0 .LBB22_251
; %bb.196:                              ;   in Loop: Header=BB22_33 Depth=1
	s_add_u32 s0, s33, 0
	s_addc_u32 s1, 0, 0
	s_xor_b64 s[0:1], s[0:1], 0
	v_cvt_f32_u32_e32 v4, s0
	v_cvt_f32_u32_e32 v5, s1
	s_sub_u32 s28, 0, s0
	s_subb_u32 s29, 0, s1
	v_mac_f32_e32 v4, 0x4f800000, v5
	v_rcp_f32_e32 v4, v4
	v_mul_f32_e32 v4, 0x5f7ffffc, v4
	v_mul_f32_e32 v5, 0x2f800000, v4
	v_trunc_f32_e32 v5, v5
	v_mac_f32_e32 v4, 0xcf800000, v5
	v_cvt_u32_f32_e32 v5, v5
	v_cvt_u32_f32_e32 v4, v4
	v_readfirstlane_b32 s42, v5
	v_readfirstlane_b32 s8, v4
	s_mul_i32 s9, s28, s42
	s_mul_hi_u32 s44, s28, s8
	s_mul_i32 s43, s29, s8
	s_add_i32 s9, s44, s9
	s_mul_i32 s45, s28, s8
	s_add_i32 s9, s9, s43
	s_mul_i32 s44, s8, s9
	s_mul_hi_u32 s46, s8, s45
	s_mul_hi_u32 s43, s8, s9
	s_add_u32 s44, s46, s44
	s_addc_u32 s43, 0, s43
	s_mul_hi_u32 s47, s42, s45
	s_mul_i32 s45, s42, s45
	s_add_u32 s44, s44, s45
	s_mul_hi_u32 s46, s42, s9
	s_addc_u32 s43, s43, s47
	s_addc_u32 s44, s46, 0
	s_mul_i32 s9, s42, s9
	s_add_u32 s9, s43, s9
	s_addc_u32 s43, 0, s44
	s_add_u32 s44, s8, s9
	s_cselect_b64 s[8:9], -1, 0
	s_cmp_lg_u64 s[8:9], 0
	s_addc_u32 s42, s42, s43
	s_mul_i32 s8, s28, s42
	s_mul_hi_u32 s9, s28, s44
	s_add_i32 s8, s9, s8
	s_mul_i32 s29, s29, s44
	s_add_i32 s8, s8, s29
	s_mul_i32 s28, s28, s44
	s_mul_hi_u32 s29, s42, s28
	s_mul_i32 s43, s42, s28
	s_mul_i32 s46, s44, s8
	s_mul_hi_u32 s28, s44, s28
	s_mul_hi_u32 s45, s44, s8
	s_add_u32 s28, s28, s46
	s_addc_u32 s45, 0, s45
	s_add_u32 s28, s28, s43
	s_mul_hi_u32 s9, s42, s8
	s_addc_u32 s28, s45, s29
	s_addc_u32 s9, s9, 0
	s_mul_i32 s8, s42, s8
	s_add_u32 s8, s28, s8
	s_addc_u32 s28, 0, s9
	s_add_u32 s43, s44, s8
	s_cselect_b64 s[8:9], -1, 0
	s_cmp_lg_u64 s[8:9], 0
	s_addc_u32 s42, s42, s28
	s_ashr_i32 s8, s65, 31
	s_add_u32 s28, s53, s8
	s_mov_b32 s9, s8
	s_addc_u32 s29, s65, s8
	s_xor_b64 s[28:29], s[28:29], s[8:9]
	s_mul_i32 s45, s28, s42
	s_mul_hi_u32 s46, s28, s43
	s_mul_hi_u32 s44, s28, s42
	s_add_u32 s45, s46, s45
	s_addc_u32 s44, 0, s44
	s_mul_hi_u32 s47, s29, s43
	s_mul_i32 s43, s29, s43
	s_add_u32 s43, s45, s43
	s_mul_hi_u32 s46, s29, s42
	s_addc_u32 s43, s44, s47
	s_addc_u32 s44, s46, 0
	s_mul_i32 s42, s29, s42
	s_add_u32 s42, s43, s42
	s_addc_u32 s43, 0, s44
	s_mul_i32 s43, s0, s43
	s_mul_hi_u32 s44, s0, s42
	s_add_i32 s43, s44, s43
	s_mul_i32 s44, s1, s42
	s_add_i32 s46, s43, s44
	s_sub_i32 s44, s29, s46
	s_mul_i32 s42, s0, s42
	s_sub_u32 s28, s28, s42
	s_cselect_b64 s[42:43], -1, 0
	s_cmp_lg_u64 s[42:43], 0
	s_subb_u32 s47, s44, s1
	s_sub_u32 s48, s28, s0
	s_cselect_b64 s[44:45], -1, 0
	s_cmp_lg_u64 s[44:45], 0
	s_subb_u32 s49, s47, 0
	s_cmp_ge_u32 s49, s1
	s_cselect_b32 s51, -1, 0
	s_cmp_ge_u32 s48, s0
	s_cselect_b32 s52, -1, 0
	s_cmp_eq_u32 s49, s1
	s_cselect_b32 s51, s52, s51
	s_cmp_lg_u64 s[44:45], 0
	s_subb_u32 s47, s47, s1
	s_sub_u32 s52, s48, s0
	s_cselect_b64 s[44:45], -1, 0
	s_cmp_lg_u64 s[44:45], 0
	s_subb_u32 s44, s47, 0
	s_cmp_lg_u32 s51, 0
	s_cselect_b32 s45, s52, s48
	s_cselect_b32 s44, s44, s49
	s_cmp_lg_u64 s[42:43], 0
	s_subb_u32 s29, s29, s46
	s_cmp_ge_u32 s29, s1
	s_cselect_b32 s42, -1, 0
	s_cmp_ge_u32 s28, s0
	s_cselect_b32 s0, -1, 0
	s_cmp_eq_u32 s29, s1
	s_cselect_b32 s0, s0, s42
	s_cmp_lg_u32 s0, 0
	s_cselect_b32 s1, s44, s29
	s_cselect_b32 s0, s45, s28
	s_xor_b64 s[0:1], s[0:1], s[8:9]
	s_sub_u32 s0, s0, s8
	s_subb_u32 s1, s1, s8
	s_cbranch_execnz .LBB22_198
.LBB22_197:                             ;   in Loop: Header=BB22_33 Depth=1
	v_cvt_f32_u32_e32 v4, s33
	s_sub_i32 s0, 0, s33
	v_rcp_iflag_f32_e32 v4, v4
	v_mul_f32_e32 v4, 0x4f7ffffe, v4
	v_cvt_u32_f32_e32 v4, v4
	v_readfirstlane_b32 s1, v4
	s_mul_i32 s0, s0, s1
	s_mul_hi_u32 s0, s1, s0
	s_add_i32 s1, s1, s0
	s_mul_hi_u32 s0, s53, s1
	s_mul_i32 s0, s0, s33
	s_sub_i32 s0, s53, s0
	s_sub_i32 s1, s0, s33
	s_cmp_ge_u32 s0, s33
	s_cselect_b32 s0, s1, s0
	s_sub_i32 s1, s0, s33
	s_cmp_ge_u32 s0, s33
	s_cselect_b32 s94, s1, s0
	s_mov_b64 s[0:1], s[94:95]
.LBB22_198:                             ;   in Loop: Header=BB22_33 Depth=1
	s_sub_u32 s28, s53, s0
	s_subb_u32 s29, s65, s1
	v_cmp_gt_i64_e32 vcc, s[28:29], v[0:1]
	s_mov_b64 s[0:1], 0
	s_mov_b64 s[42:43], 0
                                        ; implicit-def: $vgpr26
	s_and_saveexec_b64 s[8:9], vcc
	v_readlane_b32 s52, v56, 52
	s_cbranch_execz .LBB22_209
; %bb.199:                              ;   in Loop: Header=BB22_33 Depth=1
	v_mov_b32_e32 v4, v10
	v_mov_b32_e32 v7, v1
	;; [unrolled: 1-line block ×4, first 2 shown]
                                        ; implicit-def: $sgpr44_sgpr45
	s_branch .LBB22_202
.LBB22_200:                             ;   in Loop: Header=BB22_202 Depth=2
	s_or_b64 exec, exec, s[46:47]
	s_waitcnt lgkmcnt(0)
	s_barrier
	ds_read_b64 v[25:26], v13 offset:3072
	s_mov_b64 s[46:47], -1
	s_mov_b64 s[48:49], -1
	s_waitcnt lgkmcnt(0)
	s_barrier
	v_cmp_ne_u32_e32 vcc, 0, v25
	s_cbranch_vccz .LBB22_205
.LBB22_201:                             ;   in Loop: Header=BB22_202 Depth=2
	s_and_b64 s[46:47], exec, s[46:47]
	s_or_b64 s[42:43], s[46:47], s[42:43]
	s_andn2_b64 s[44:45], s[44:45], exec
	s_and_b64 s[46:47], s[48:49], exec
	s_or_b64 s[44:45], s[44:45], s[46:47]
	s_andn2_b64 exec, exec, s[42:43]
	s_cbranch_execz .LBB22_208
.LBB22_202:                             ;   Parent Loop BB22_33 Depth=1
                                        ; =>  This Inner Loop Header: Depth=2
	v_cmp_gt_i64_e32 vcc, s[56:57], v[6:7]
	s_and_saveexec_b64 s[46:47], vcc
	s_cbranch_execz .LBB22_200
; %bb.203:                              ;   in Loop: Header=BB22_202 Depth=2
	global_load_dword v25, v[4:5], off
	s_waitcnt vmcnt(0)
	v_xor_b32_e32 v8, 0x80000000, v25
	v_and_b32_e32 v8, v8, v47
	v_cmp_eq_u32_e32 vcc, v8, v44
	s_and_b64 exec, exec, vcc
	s_cbranch_execz .LBB22_200
; %bb.204:                              ;   in Loop: Header=BB22_202 Depth=2
	ds_write_b64 v13, v[24:25] offset:3072
	s_branch .LBB22_200
.LBB22_205:                             ;   in Loop: Header=BB22_202 Depth=2
	v_add_co_u32_e32 v6, vcc, s33, v6
	v_addc_co_u32_e32 v7, vcc, 0, v7, vcc
	v_mov_b32_e32 v8, s89
	v_add_co_u32_e32 v4, vcc, s88, v4
	v_addc_co_u32_e32 v5, vcc, v5, v8, vcc
	v_cmp_le_i64_e32 vcc, s[28:29], v[6:7]
	s_mov_b64 s[48:49], 0
	s_orn2_b64 s[46:47], vcc, exec
	s_branch .LBB22_201
.LBB22_206:                             ;   in Loop: Header=BB22_33 Depth=1
                                        ; implicit-def: $sgpr0_sgpr1
	s_branch .LBB22_151
.LBB22_207:                             ;   in Loop: Header=BB22_33 Depth=1
                                        ; implicit-def: $sgpr6_sgpr7
	s_branch .LBB22_167
.LBB22_208:                             ;   in Loop: Header=BB22_33 Depth=1
	s_or_b64 exec, exec, s[42:43]
	s_and_b64 s[42:43], s[44:45], exec
.LBB22_209:                             ;   in Loop: Header=BB22_33 Depth=1
	s_or_b64 exec, exec, s[8:9]
.LBB22_210:                             ;   in Loop: Header=BB22_33 Depth=1
	s_and_b64 vcc, exec, s[0:1]
	s_cbranch_vccz .LBB22_224
; %bb.211:                              ;   in Loop: Header=BB22_33 Depth=1
	v_readlane_b32 s0, v56, 42
	s_add_u32 s30, s40, s0
	v_readlane_b32 s0, v56, 43
	s_addc_u32 s1, s41, s0
	s_mov_b32 s0, s95
	s_cmp_lg_u64 s[0:1], 0
	s_cbranch_scc0 .LBB22_252
; %bb.212:                              ;   in Loop: Header=BB22_33 Depth=1
	s_add_u32 s8, s33, 0
	s_addc_u32 s9, 0, 0
	s_xor_b64 s[8:9], s[8:9], 0
	v_cvt_f32_u32_e32 v4, s8
	v_cvt_f32_u32_e32 v5, s9
	s_sub_u32 s0, 0, s8
	s_subb_u32 s31, 0, s9
	v_mac_f32_e32 v4, 0x4f800000, v5
	v_rcp_f32_e32 v4, v4
	v_mul_f32_e32 v4, 0x5f7ffffc, v4
	v_mul_f32_e32 v5, 0x2f800000, v4
	v_trunc_f32_e32 v5, v5
	v_mac_f32_e32 v4, 0xcf800000, v5
	v_cvt_u32_f32_e32 v5, v5
	v_cvt_u32_f32_e32 v4, v4
	v_readfirstlane_b32 s34, v5
	v_readfirstlane_b32 s28, v4
	s_mul_i32 s29, s0, s34
	s_mul_hi_u32 s44, s0, s28
	s_mul_i32 s35, s31, s28
	s_add_i32 s29, s44, s29
	s_mul_i32 s45, s0, s28
	s_add_i32 s29, s29, s35
	s_mul_i32 s44, s28, s29
	s_mul_hi_u32 s46, s28, s45
	s_mul_hi_u32 s35, s28, s29
	s_add_u32 s44, s46, s44
	s_addc_u32 s35, 0, s35
	s_mul_hi_u32 s47, s34, s45
	s_mul_i32 s45, s34, s45
	s_add_u32 s44, s44, s45
	s_mul_hi_u32 s46, s34, s29
	s_addc_u32 s35, s35, s47
	s_addc_u32 s44, s46, 0
	s_mul_i32 s29, s34, s29
	s_add_u32 s29, s35, s29
	s_addc_u32 s35, 0, s44
	s_add_u32 s44, s28, s29
	s_cselect_b64 s[28:29], -1, 0
	s_cmp_lg_u64 s[28:29], 0
	s_addc_u32 s34, s34, s35
	s_mul_i32 s28, s0, s34
	s_mul_hi_u32 s29, s0, s44
	s_add_i32 s28, s29, s28
	s_mul_i32 s31, s31, s44
	s_add_i32 s28, s28, s31
	s_mul_i32 s0, s0, s44
	s_mul_hi_u32 s31, s34, s0
	s_mul_i32 s35, s34, s0
	s_mul_i32 s46, s44, s28
	s_mul_hi_u32 s0, s44, s0
	s_mul_hi_u32 s45, s44, s28
	s_add_u32 s0, s0, s46
	s_addc_u32 s45, 0, s45
	s_add_u32 s0, s0, s35
	s_mul_hi_u32 s29, s34, s28
	s_addc_u32 s0, s45, s31
	s_addc_u32 s29, s29, 0
	s_mul_i32 s28, s34, s28
	s_add_u32 s0, s0, s28
	s_addc_u32 s31, 0, s29
	s_add_u32 s0, s44, s0
	s_cselect_b64 s[28:29], -1, 0
	s_cmp_lg_u64 s[28:29], 0
	s_addc_u32 s31, s34, s31
	s_ashr_i32 s28, s1, 31
	s_add_u32 s34, s30, s28
	s_mov_b32 s29, s28
	s_addc_u32 s35, s1, s28
	s_xor_b64 s[34:35], s[34:35], s[28:29]
	s_mul_i32 s45, s34, s31
	s_mul_hi_u32 s46, s34, s0
	s_mul_hi_u32 s44, s34, s31
	s_add_u32 s45, s46, s45
	s_addc_u32 s44, 0, s44
	s_mul_hi_u32 s47, s35, s0
	s_mul_i32 s0, s35, s0
	s_add_u32 s0, s45, s0
	s_mul_hi_u32 s46, s35, s31
	s_addc_u32 s0, s44, s47
	s_addc_u32 s44, s46, 0
	s_mul_i32 s31, s35, s31
	s_add_u32 s0, s0, s31
	s_addc_u32 s31, 0, s44
	s_mul_i32 s31, s8, s31
	s_mul_hi_u32 s44, s8, s0
	s_add_i32 s31, s44, s31
	s_mul_i32 s44, s9, s0
	s_add_i32 s31, s31, s44
	s_sub_i32 s46, s35, s31
	s_mul_i32 s0, s8, s0
	s_sub_u32 s0, s34, s0
	s_cselect_b64 s[44:45], -1, 0
	s_cmp_lg_u64 s[44:45], 0
	s_subb_u32 s34, s46, s9
	s_sub_u32 s48, s0, s8
	s_cselect_b64 s[46:47], -1, 0
	s_cmp_lg_u64 s[46:47], 0
	s_subb_u32 s49, s34, 0
	s_cmp_ge_u32 s49, s9
	s_cselect_b32 s51, -1, 0
	s_cmp_ge_u32 s48, s8
	s_cselect_b32 s52, -1, 0
	s_cmp_eq_u32 s49, s9
	s_cselect_b32 s51, s52, s51
	s_cmp_lg_u64 s[46:47], 0
	s_subb_u32 s34, s34, s9
	s_sub_u32 s52, s48, s8
	s_cselect_b64 s[46:47], -1, 0
	s_cmp_lg_u64 s[46:47], 0
	s_subb_u32 s34, s34, 0
	s_cmp_lg_u32 s51, 0
	s_cselect_b32 s46, s52, s48
	s_cselect_b32 s34, s34, s49
	s_cmp_lg_u64 s[44:45], 0
	s_subb_u32 s31, s35, s31
	s_cmp_ge_u32 s31, s9
	s_cselect_b32 s35, -1, 0
	s_cmp_ge_u32 s0, s8
	s_cselect_b32 s8, -1, 0
	s_cmp_eq_u32 s31, s9
	s_cselect_b32 s8, s8, s35
	s_cmp_lg_u32 s8, 0
	s_cselect_b32 s9, s34, s31
	s_cselect_b32 s8, s46, s0
	s_xor_b64 s[8:9], s[8:9], s[28:29]
	s_sub_u32 s8, s8, s28
	v_readlane_b32 s52, v56, 52
	s_subb_u32 s9, s9, s28
	s_cbranch_execnz .LBB22_214
.LBB22_213:                             ;   in Loop: Header=BB22_33 Depth=1
	v_cvt_f32_u32_e32 v4, s33
	s_sub_i32 s0, 0, s33
	v_rcp_iflag_f32_e32 v4, v4
	v_mul_f32_e32 v4, 0x4f7ffffe, v4
	v_cvt_u32_f32_e32 v4, v4
	v_readfirstlane_b32 s8, v4
	s_mul_i32 s0, s0, s8
	s_mul_hi_u32 s0, s8, s0
	s_add_i32 s8, s8, s0
	s_mul_hi_u32 s0, s30, s8
	s_mul_i32 s0, s0, s33
	s_sub_i32 s0, s30, s0
	s_sub_i32 s8, s0, s33
	s_cmp_ge_u32 s0, s33
	s_cselect_b32 s0, s8, s0
	s_sub_i32 s8, s0, s33
	s_cmp_ge_u32 s0, s33
	s_cselect_b32 s94, s8, s0
	s_mov_b64 s[8:9], s[94:95]
.LBB22_214:                             ;   in Loop: Header=BB22_33 Depth=1
	s_sub_u32 s8, s30, s8
	s_subb_u32 s9, s1, s9
	v_cmp_gt_i64_e32 vcc, s[8:9], v[0:1]
                                        ; implicit-def: $vgpr26
	s_and_saveexec_b64 s[0:1], vcc
	s_cbranch_execz .LBB22_223
; %bb.215:                              ;   in Loop: Header=BB22_33 Depth=1
	v_mov_b32_e32 v5, v1
	s_mov_b64 s[28:29], 0
	v_mov_b32_e32 v6, v14
	v_mov_b32_e32 v4, v0
                                        ; implicit-def: $sgpr30_sgpr31
	s_branch .LBB22_218
.LBB22_216:                             ;   in Loop: Header=BB22_218 Depth=2
	s_or_b64 exec, exec, s[34:35]
	s_waitcnt lgkmcnt(0)
	s_barrier
	ds_read_b64 v[25:26], v13 offset:3072
	s_mov_b64 s[34:35], -1
	s_mov_b64 s[44:45], -1
	s_waitcnt lgkmcnt(0)
	s_barrier
	v_cmp_eq_u32_e32 vcc, 0, v25
	s_cbranch_vccnz .LBB22_221
.LBB22_217:                             ;   in Loop: Header=BB22_218 Depth=2
	s_and_b64 s[34:35], exec, s[34:35]
	s_or_b64 s[28:29], s[34:35], s[28:29]
	s_andn2_b64 s[30:31], s[30:31], exec
	s_and_b64 s[34:35], s[44:45], exec
	s_or_b64 s[30:31], s[30:31], s[34:35]
	s_andn2_b64 exec, exec, s[28:29]
	s_cbranch_execz .LBB22_222
.LBB22_218:                             ;   Parent Loop BB22_33 Depth=1
                                        ; =>  This Inner Loop Header: Depth=2
	v_cmp_gt_u64_e32 vcc, s[40:41], v[4:5]
	s_and_saveexec_b64 s[34:35], vcc
	s_cbranch_execz .LBB22_216
; %bb.219:                              ;   in Loop: Header=BB22_218 Depth=2
	ds_read_b32 v25, v6
	s_waitcnt lgkmcnt(0)
	v_xor_b32_e32 v7, 0x80000000, v25
	v_and_b32_e32 v7, v7, v47
	v_cmp_eq_u32_e32 vcc, v7, v44
	s_and_b64 exec, exec, vcc
	s_cbranch_execz .LBB22_216
; %bb.220:                              ;   in Loop: Header=BB22_218 Depth=2
	ds_write_b64 v13, v[24:25] offset:3072
	s_branch .LBB22_216
.LBB22_221:                             ;   in Loop: Header=BB22_218 Depth=2
	v_add_co_u32_e32 v4, vcc, s33, v4
	v_addc_co_u32_e32 v5, vcc, 0, v5, vcc
	v_cmp_le_i64_e32 vcc, s[8:9], v[4:5]
	v_add_u32_e32 v6, s52, v6
	s_mov_b64 s[44:45], 0
	s_orn2_b64 s[34:35], vcc, exec
	s_branch .LBB22_217
.LBB22_222:                             ;   in Loop: Header=BB22_33 Depth=1
	s_or_b64 exec, exec, s[28:29]
	s_andn2_b64 s[8:9], s[42:43], exec
	s_and_b64 s[28:29], s[30:31], exec
	s_or_b64 s[42:43], s[8:9], s[28:29]
.LBB22_223:                             ;   in Loop: Header=BB22_33 Depth=1
	s_or_b64 exec, exec, s[0:1]
	s_mov_b64 s[30:31], 0
	s_mov_b64 s[34:35], -1
.LBB22_224:                             ;   in Loop: Header=BB22_33 Depth=1
	s_orn2_b64 s[0:1], s[42:43], exec
.LBB22_225:                             ;   in Loop: Header=BB22_33 Depth=1
	s_or_b64 exec, exec, s[36:37]
	s_mov_b64 s[8:9], 0
	s_and_saveexec_b64 s[36:37], s[0:1]
	s_cbranch_execz .LBB22_283
; %bb.226:                              ;   in Loop: Header=BB22_33 Depth=1
	v_mov_b32_e32 v4, 1
	s_xor_b64 s[28:29], s[38:39], -1
	v_mov_b32_e32 v12, 1
	v_mov_b32_e32 v5, 0
	s_and_saveexec_b64 s[0:1], s[28:29]
	s_cbranch_execz .LBB22_235
; %bb.227:                              ;   in Loop: Header=BB22_33 Depth=1
	v_cmp_ge_i64_e32 vcc, s[20:21], v[2:3]
	s_and_saveexec_b64 s[8:9], vcc
	s_xor_b64 s[8:9], exec, s[8:9]
	s_cbranch_execz .LBB22_232
; %bb.228:                              ;   in Loop: Header=BB22_33 Depth=1
	v_and_b32_e32 v4, s50, v44
	v_lshl_or_b32 v44, 2, s86, v4
	ds_read_b64 v[4:5], v13 offset:5120
	v_or_b32_e32 v47, s58, v47
	s_waitcnt lgkmcnt(0)
	v_cmp_ne_u64_e32 vcc, 0, v[4:5]
	s_cbranch_vccnz .LBB22_232
; %bb.229:                              ;   in Loop: Header=BB22_33 Depth=1
	s_mov_b64 s[28:29], exec
	v_readlane_b32 s38, v56, 32
	v_readlane_b32 s39, v56, 33
	s_and_b64 s[38:39], s[28:29], s[38:39]
	s_mov_b64 exec, s[38:39]
; %bb.230:                              ;   in Loop: Header=BB22_33 Depth=1
	v_mov_b32_e32 v4, s20
	v_mov_b32_e32 v5, s21
	ds_write_b64 v13, v[4:5] offset:5128
; %bb.231:                              ;   in Loop: Header=BB22_33 Depth=1
	s_or_b64 exec, exec, s[28:29]
	s_waitcnt lgkmcnt(0)
	s_barrier
.LBB22_232:                             ;   in Loop: Header=BB22_33 Depth=1
	s_or_saveexec_b64 s[8:9], s[8:9]
	s_mov_b64 s[28:29], 0
	v_mov_b32_e32 v12, 8
	s_xor_b64 exec, exec, s[8:9]
; %bb.233:                              ;   in Loop: Header=BB22_33 Depth=1
	v_subrev_co_u32_e32 v2, vcc, s20, v2
	v_mov_b32_e32 v4, s21
	v_subb_co_u32_e32 v3, vcc, v3, v4, vcc
	v_mov_b32_e32 v12, 0
	s_mov_b64 s[28:29], exec
; %bb.234:                              ;   in Loop: Header=BB22_33 Depth=1
	s_or_b64 exec, exec, s[8:9]
	v_mov_b32_e32 v5, v3
	s_and_b64 s[8:9], s[28:29], exec
	v_mov_b32_e32 v4, v2
.LBB22_235:                             ;   in Loop: Header=BB22_33 Depth=1
	s_or_b64 exec, exec, s[0:1]
	s_mov_b64 s[0:1], -1
                                        ; implicit-def: $sgpr46_sgpr47
                                        ; implicit-def: $sgpr44_sgpr45
	s_and_saveexec_b64 s[20:21], s[8:9]
	s_cbranch_execz .LBB22_282
; %bb.236:                              ;   in Loop: Header=BB22_33 Depth=1
	s_cmp_eq_u64 s[12:13], 1
	v_cmp_eq_u64_e32 vcc, 1, v[4:5]
	s_cselect_b64 s[0:1], -1, 0
	s_and_b64 s[38:39], s[0:1], vcc
	s_mov_b64 s[8:9], -1
                                        ; implicit-def: $sgpr46_sgpr47
                                        ; implicit-def: $sgpr44_sgpr45
	s_and_saveexec_b64 s[40:41], s[38:39]
	s_cbranch_execz .LBB22_270
; %bb.237:                              ;   in Loop: Header=BB22_33 Depth=1
	ds_read_b64 v[2:3], v13 offset:5120
	s_waitcnt lgkmcnt(0)
	s_barrier
	v_readfirstlane_b32 s42, v2
	v_readfirstlane_b32 s43, v3
	s_and_saveexec_b64 s[0:1], s[72:73]
; %bb.238:                              ;   in Loop: Header=BB22_33 Depth=1
	ds_write_b32 v45, v13
; %bb.239:                              ;   in Loop: Header=BB22_33 Depth=1
	s_or_b64 exec, exec, s[0:1]
	v_cmp_gt_i64_e64 s[0:1], s[42:43], 0
	v_or_b32_e32 v44, s58, v44
	v_or_b32_e32 v47, s58, v47
	s_mov_b64 s[44:45], -1
	s_mov_b64 s[46:47], 0
	s_and_b64 vcc, exec, s[0:1]
	s_mov_b64 s[48:49], 0
	s_mov_b64 s[0:1], -1
	s_waitcnt lgkmcnt(0)
	s_barrier
                                        ; implicit-def: $vgpr26
	s_cbranch_vccnz .LBB22_255
; %bb.240:                              ;   in Loop: Header=BB22_33 Depth=1
	s_mov_b32 s64, s95
	v_writelane_b32 v56, s68, 57
	s_cmp_lg_u64 s[64:65], 0
	v_writelane_b32 v56, s69, 58
	s_cbranch_scc0 .LBB22_289
; %bb.241:                              ;   in Loop: Header=BB22_33 Depth=1
	s_add_u32 s0, s33, 0
	s_addc_u32 s1, 0, 0
	s_xor_b64 s[0:1], s[0:1], 0
	v_cvt_f32_u32_e32 v2, s0
	v_cvt_f32_u32_e32 v3, s1
	s_sub_u32 s28, 0, s0
	s_subb_u32 s29, 0, s1
	v_readlane_b32 s2, v56, 51
	v_mac_f32_e32 v2, 0x4f800000, v3
	v_rcp_f32_e32 v2, v2
	v_mul_f32_e32 v2, 0x5f7ffffc, v2
	v_mul_f32_e32 v3, 0x2f800000, v2
	v_trunc_f32_e32 v3, v3
	v_mac_f32_e32 v2, 0xcf800000, v3
	v_cvt_u32_f32_e32 v3, v3
	v_cvt_u32_f32_e32 v2, v2
	v_readfirstlane_b32 s48, v3
	v_readfirstlane_b32 s8, v2
	s_mul_i32 s9, s28, s48
	s_mul_hi_u32 s50, s28, s8
	s_mul_i32 s49, s29, s8
	s_add_i32 s9, s50, s9
	s_mul_i32 s51, s28, s8
	s_add_i32 s9, s9, s49
	s_mul_i32 s50, s8, s9
	s_mul_hi_u32 s52, s8, s51
	s_mul_hi_u32 s49, s8, s9
	s_add_u32 s50, s52, s50
	s_addc_u32 s49, 0, s49
	s_mul_hi_u32 s53, s48, s51
	s_mul_i32 s51, s48, s51
	s_add_u32 s50, s50, s51
	s_mul_hi_u32 s52, s48, s9
	s_addc_u32 s49, s49, s53
	s_addc_u32 s50, s52, 0
	s_mul_i32 s9, s48, s9
	s_add_u32 s9, s49, s9
	s_addc_u32 s49, 0, s50
	s_add_u32 s50, s8, s9
	s_cselect_b64 s[8:9], -1, 0
	s_cmp_lg_u64 s[8:9], 0
	s_addc_u32 s48, s48, s49
	s_mul_i32 s8, s28, s48
	s_mul_hi_u32 s9, s28, s50
	s_add_i32 s8, s9, s8
	s_mul_i32 s29, s29, s50
	s_add_i32 s8, s8, s29
	s_mul_i32 s28, s28, s50
	s_mul_hi_u32 s29, s48, s28
	s_mul_i32 s49, s48, s28
	s_mul_i32 s52, s50, s8
	s_mul_hi_u32 s28, s50, s28
	s_mul_hi_u32 s51, s50, s8
	s_add_u32 s28, s28, s52
	s_addc_u32 s51, 0, s51
	s_add_u32 s28, s28, s49
	s_mul_hi_u32 s9, s48, s8
	s_addc_u32 s28, s51, s29
	s_addc_u32 s9, s9, 0
	s_mul_i32 s8, s48, s8
	s_add_u32 s8, s28, s8
	s_addc_u32 s28, 0, s9
	s_add_u32 s49, s50, s8
	s_cselect_b64 s[8:9], -1, 0
	s_cmp_lg_u64 s[8:9], 0
	s_addc_u32 s48, s48, s28
	s_ashr_i32 s8, s65, 31
	s_add_u32 s28, s2, s8
	s_mov_b32 s9, s8
	s_addc_u32 s29, s65, s8
	s_xor_b64 s[28:29], s[28:29], s[8:9]
	s_mul_i32 s51, s28, s48
	s_mul_hi_u32 s52, s28, s49
	s_mul_hi_u32 s50, s28, s48
	s_add_u32 s51, s52, s51
	s_addc_u32 s50, 0, s50
	s_mul_hi_u32 s53, s29, s49
	s_mul_i32 s49, s29, s49
	s_add_u32 s49, s51, s49
	s_mul_hi_u32 s52, s29, s48
	s_addc_u32 s49, s50, s53
	s_addc_u32 s50, s52, 0
	s_mul_i32 s48, s29, s48
	s_add_u32 s48, s49, s48
	s_addc_u32 s49, 0, s50
	s_mul_i32 s49, s0, s49
	s_mul_hi_u32 s50, s0, s48
	s_add_i32 s49, s50, s49
	s_mul_i32 s50, s1, s48
	s_add_i32 s52, s49, s50
	s_sub_i32 s50, s29, s52
	s_mul_i32 s48, s0, s48
	s_sub_u32 s28, s28, s48
	s_cselect_b64 s[48:49], -1, 0
	s_cmp_lg_u64 s[48:49], 0
	s_subb_u32 s53, s50, s1
	s_sub_u32 s54, s28, s0
	s_cselect_b64 s[50:51], -1, 0
	s_cmp_lg_u64 s[50:51], 0
	s_subb_u32 s55, s53, 0
	s_cmp_ge_u32 s55, s1
	s_cselect_b32 s59, -1, 0
	s_cmp_ge_u32 s54, s0
	s_cselect_b32 s68, -1, 0
	s_cmp_eq_u32 s55, s1
	s_cselect_b32 s59, s68, s59
	s_cmp_lg_u64 s[50:51], 0
	s_subb_u32 s53, s53, s1
	s_sub_u32 s68, s54, s0
	s_cselect_b64 s[50:51], -1, 0
	s_cmp_lg_u64 s[50:51], 0
	s_subb_u32 s50, s53, 0
	s_cmp_lg_u32 s59, 0
	s_cselect_b32 s51, s68, s54
	s_cselect_b32 s50, s50, s55
	s_cmp_lg_u64 s[48:49], 0
	s_subb_u32 s29, s29, s52
	s_cmp_ge_u32 s29, s1
	s_cselect_b32 s48, -1, 0
	s_cmp_ge_u32 s28, s0
	s_cselect_b32 s0, -1, 0
	s_cmp_eq_u32 s29, s1
	s_cselect_b32 s0, s0, s48
	s_cmp_lg_u32 s0, 0
	s_cselect_b32 s1, s50, s29
	s_cselect_b32 s0, s51, s28
	s_xor_b64 s[0:1], s[0:1], s[8:9]
	s_sub_u32 s0, s0, s8
	v_readlane_b32 s53, v56, 51
	s_subb_u32 s1, s1, s8
	s_cbranch_execnz .LBB22_243
.LBB22_242:                             ;   in Loop: Header=BB22_33 Depth=1
	v_cvt_f32_u32_e32 v2, s33
	s_sub_i32 s0, 0, s33
	v_rcp_iflag_f32_e32 v2, v2
	v_mul_f32_e32 v2, 0x4f7ffffe, v2
	v_cvt_u32_f32_e32 v2, v2
	v_readfirstlane_b32 s1, v2
	s_mul_i32 s0, s0, s1
	s_mul_hi_u32 s0, s1, s0
	s_add_i32 s1, s1, s0
	s_mul_hi_u32 s0, s53, s1
	s_mul_i32 s0, s0, s33
	s_sub_i32 s0, s53, s0
	s_sub_i32 s1, s0, s33
	s_cmp_ge_u32 s0, s33
	s_cselect_b32 s0, s1, s0
	s_sub_i32 s1, s0, s33
	s_cmp_ge_u32 s0, s33
	s_cselect_b32 s94, s1, s0
	s_mov_b64 s[0:1], s[94:95]
.LBB22_243:                             ;   in Loop: Header=BB22_33 Depth=1
	s_sub_u32 s28, s53, s0
	s_subb_u32 s29, s65, s1
	v_cmp_gt_i64_e32 vcc, s[28:29], v[0:1]
	s_mov_b64 s[0:1], 0
	s_mov_b64 s[48:49], 0
                                        ; implicit-def: $vgpr26
	s_and_saveexec_b64 s[8:9], vcc
	v_readlane_b32 s68, v56, 57
	v_readlane_b32 s69, v56, 58
	s_cbranch_execz .LBB22_254
; %bb.244:                              ;   in Loop: Header=BB22_33 Depth=1
	v_mov_b32_e32 v2, v10
	v_mov_b32_e32 v7, v1
	;; [unrolled: 1-line block ×4, first 2 shown]
                                        ; implicit-def: $sgpr50_sgpr51
	s_branch .LBB22_247
.LBB22_245:                             ;   in Loop: Header=BB22_247 Depth=2
	s_or_b64 exec, exec, s[52:53]
	s_waitcnt lgkmcnt(0)
	s_barrier
	ds_read_b64 v[25:26], v13 offset:3072
	s_mov_b64 s[52:53], -1
	s_mov_b64 s[54:55], -1
	s_waitcnt lgkmcnt(0)
	s_barrier
	v_cmp_ne_u32_e32 vcc, 0, v25
	s_cbranch_vccz .LBB22_250
.LBB22_246:                             ;   in Loop: Header=BB22_247 Depth=2
	s_and_b64 s[52:53], exec, s[52:53]
	s_or_b64 s[48:49], s[52:53], s[48:49]
	s_andn2_b64 s[50:51], s[50:51], exec
	s_and_b64 s[52:53], s[54:55], exec
	s_or_b64 s[50:51], s[50:51], s[52:53]
	s_andn2_b64 exec, exec, s[48:49]
	s_cbranch_execz .LBB22_253
.LBB22_247:                             ;   Parent Loop BB22_33 Depth=1
                                        ; =>  This Inner Loop Header: Depth=2
	v_cmp_gt_i64_e32 vcc, s[56:57], v[6:7]
	s_and_saveexec_b64 s[52:53], vcc
	s_cbranch_execz .LBB22_245
; %bb.248:                              ;   in Loop: Header=BB22_247 Depth=2
	global_load_dword v25, v[2:3], off
	s_waitcnt vmcnt(0)
	v_xor_b32_e32 v8, 0x80000000, v25
	v_and_b32_e32 v8, v8, v47
	v_cmp_eq_u32_e32 vcc, v8, v44
	s_and_b64 exec, exec, vcc
	s_cbranch_execz .LBB22_245
; %bb.249:                              ;   in Loop: Header=BB22_247 Depth=2
	ds_write_b64 v13, v[24:25] offset:3072
	s_branch .LBB22_245
.LBB22_250:                             ;   in Loop: Header=BB22_247 Depth=2
	v_add_co_u32_e32 v6, vcc, s33, v6
	v_addc_co_u32_e32 v7, vcc, 0, v7, vcc
	v_mov_b32_e32 v8, s89
	v_add_co_u32_e32 v2, vcc, s88, v2
	v_addc_co_u32_e32 v3, vcc, v3, v8, vcc
	v_cmp_le_i64_e32 vcc, s[28:29], v[6:7]
	s_mov_b64 s[54:55], 0
	s_orn2_b64 s[52:53], vcc, exec
	s_branch .LBB22_246
.LBB22_251:                             ;   in Loop: Header=BB22_33 Depth=1
                                        ; implicit-def: $sgpr0_sgpr1
	s_branch .LBB22_197
.LBB22_252:                             ;   in Loop: Header=BB22_33 Depth=1
                                        ; implicit-def: $sgpr8_sgpr9
	s_branch .LBB22_213
.LBB22_253:                             ;   in Loop: Header=BB22_33 Depth=1
	s_or_b64 exec, exec, s[48:49]
	s_and_b64 s[48:49], s[50:51], exec
	v_readlane_b32 s53, v56, 51
.LBB22_254:                             ;   in Loop: Header=BB22_33 Depth=1
	s_or_b64 exec, exec, s[8:9]
	v_readlane_b32 s52, v56, 52
.LBB22_255:                             ;   in Loop: Header=BB22_33 Depth=1
	s_and_b64 vcc, exec, s[0:1]
	s_cbranch_vccz .LBB22_269
; %bb.256:                              ;   in Loop: Header=BB22_33 Depth=1
	v_readlane_b32 s0, v56, 42
	s_add_u32 s44, s42, s0
	v_readlane_b32 s0, v56, 43
	s_addc_u32 s1, s43, s0
	s_mov_b32 s0, s95
	s_cmp_lg_u64 s[0:1], 0
	s_cbranch_scc0 .LBB22_290
; %bb.257:                              ;   in Loop: Header=BB22_33 Depth=1
	s_add_u32 s8, s33, 0
	s_addc_u32 s9, 0, 0
	s_xor_b64 s[8:9], s[8:9], 0
	v_cvt_f32_u32_e32 v2, s8
	v_cvt_f32_u32_e32 v3, s9
	s_sub_u32 s0, 0, s8
	s_subb_u32 s45, 0, s9
	s_mov_b64 s[2:3], s[68:69]
	v_mac_f32_e32 v2, 0x4f800000, v3
	v_rcp_f32_e32 v2, v2
	v_mul_f32_e32 v2, 0x5f7ffffc, v2
	v_mul_f32_e32 v3, 0x2f800000, v2
	v_trunc_f32_e32 v3, v3
	v_mac_f32_e32 v2, 0xcf800000, v3
	v_cvt_u32_f32_e32 v3, v3
	v_cvt_u32_f32_e32 v2, v2
	v_readfirstlane_b32 s46, v3
	v_readfirstlane_b32 s28, v2
	s_mul_i32 s29, s0, s46
	s_mul_hi_u32 s50, s0, s28
	s_mul_i32 s47, s45, s28
	s_add_i32 s29, s50, s29
	s_mul_i32 s51, s0, s28
	s_add_i32 s29, s29, s47
	s_mul_i32 s50, s28, s29
	s_mul_hi_u32 s52, s28, s51
	s_mul_hi_u32 s47, s28, s29
	s_add_u32 s50, s52, s50
	s_addc_u32 s47, 0, s47
	s_mul_hi_u32 s53, s46, s51
	s_mul_i32 s51, s46, s51
	s_add_u32 s50, s50, s51
	s_mul_hi_u32 s52, s46, s29
	s_addc_u32 s47, s47, s53
	s_addc_u32 s50, s52, 0
	s_mul_i32 s29, s46, s29
	s_add_u32 s29, s47, s29
	s_addc_u32 s47, 0, s50
	s_add_u32 s50, s28, s29
	s_cselect_b64 s[28:29], -1, 0
	s_cmp_lg_u64 s[28:29], 0
	s_addc_u32 s46, s46, s47
	s_mul_i32 s28, s0, s46
	s_mul_hi_u32 s29, s0, s50
	s_add_i32 s28, s29, s28
	s_mul_i32 s45, s45, s50
	s_add_i32 s28, s28, s45
	s_mul_i32 s0, s0, s50
	s_mul_hi_u32 s45, s46, s0
	s_mul_i32 s47, s46, s0
	s_mul_i32 s52, s50, s28
	s_mul_hi_u32 s0, s50, s0
	s_mul_hi_u32 s51, s50, s28
	s_add_u32 s0, s0, s52
	s_addc_u32 s51, 0, s51
	s_add_u32 s0, s0, s47
	s_mul_hi_u32 s29, s46, s28
	s_addc_u32 s0, s51, s45
	s_addc_u32 s29, s29, 0
	s_mul_i32 s28, s46, s28
	s_add_u32 s0, s0, s28
	s_addc_u32 s45, 0, s29
	s_add_u32 s0, s50, s0
	s_cselect_b64 s[28:29], -1, 0
	s_cmp_lg_u64 s[28:29], 0
	s_addc_u32 s45, s46, s45
	s_ashr_i32 s28, s1, 31
	s_add_u32 s46, s44, s28
	s_mov_b32 s29, s28
	s_addc_u32 s47, s1, s28
	s_xor_b64 s[46:47], s[46:47], s[28:29]
	s_mul_i32 s51, s46, s45
	s_mul_hi_u32 s52, s46, s0
	s_mul_hi_u32 s50, s46, s45
	s_add_u32 s51, s52, s51
	s_addc_u32 s50, 0, s50
	s_mul_hi_u32 s53, s47, s0
	s_mul_i32 s0, s47, s0
	s_add_u32 s0, s51, s0
	s_mul_hi_u32 s52, s47, s45
	s_addc_u32 s0, s50, s53
	s_addc_u32 s50, s52, 0
	s_mul_i32 s45, s47, s45
	s_add_u32 s0, s0, s45
	s_addc_u32 s45, 0, s50
	s_mul_i32 s45, s8, s45
	s_mul_hi_u32 s50, s8, s0
	s_add_i32 s45, s50, s45
	s_mul_i32 s50, s9, s0
	s_add_i32 s45, s45, s50
	s_sub_i32 s52, s47, s45
	s_mul_i32 s0, s8, s0
	s_sub_u32 s0, s46, s0
	s_cselect_b64 s[50:51], -1, 0
	s_cmp_lg_u64 s[50:51], 0
	s_subb_u32 s46, s52, s9
	s_sub_u32 s54, s0, s8
	s_cselect_b64 s[52:53], -1, 0
	s_cmp_lg_u64 s[52:53], 0
	s_subb_u32 s55, s46, 0
	s_cmp_ge_u32 s55, s9
	s_cselect_b32 s59, -1, 0
	s_cmp_ge_u32 s54, s8
	s_cselect_b32 s68, -1, 0
	s_cmp_eq_u32 s55, s9
	s_cselect_b32 s59, s68, s59
	s_cmp_lg_u64 s[52:53], 0
	s_subb_u32 s46, s46, s9
	s_sub_u32 s68, s54, s8
	s_cselect_b64 s[52:53], -1, 0
	s_cmp_lg_u64 s[52:53], 0
	s_subb_u32 s46, s46, 0
	s_cmp_lg_u32 s59, 0
	s_cselect_b32 s52, s68, s54
	s_cselect_b32 s46, s46, s55
	s_cmp_lg_u64 s[50:51], 0
	s_subb_u32 s45, s47, s45
	s_cmp_ge_u32 s45, s9
	s_cselect_b32 s47, -1, 0
	s_cmp_ge_u32 s0, s8
	s_cselect_b32 s8, -1, 0
	s_cmp_eq_u32 s45, s9
	s_cselect_b32 s8, s8, s47
	s_cmp_lg_u32 s8, 0
	s_cselect_b32 s9, s46, s45
	s_cselect_b32 s8, s52, s0
	s_xor_b64 s[8:9], s[8:9], s[28:29]
	s_sub_u32 s8, s8, s28
	s_mov_b64 s[68:69], s[2:3]
	v_readlane_b32 s52, v56, 52
	s_subb_u32 s9, s9, s28
	s_cbranch_execnz .LBB22_259
.LBB22_258:                             ;   in Loop: Header=BB22_33 Depth=1
	v_cvt_f32_u32_e32 v2, s33
	s_sub_i32 s0, 0, s33
	v_rcp_iflag_f32_e32 v2, v2
	v_mul_f32_e32 v2, 0x4f7ffffe, v2
	v_cvt_u32_f32_e32 v2, v2
	v_readfirstlane_b32 s8, v2
	s_mul_i32 s0, s0, s8
	s_mul_hi_u32 s0, s8, s0
	s_add_i32 s8, s8, s0
	s_mul_hi_u32 s0, s44, s8
	s_mul_i32 s0, s0, s33
	s_sub_i32 s0, s44, s0
	s_sub_i32 s8, s0, s33
	s_cmp_ge_u32 s0, s33
	s_cselect_b32 s0, s8, s0
	s_sub_i32 s8, s0, s33
	s_cmp_ge_u32 s0, s33
	s_cselect_b32 s94, s8, s0
	s_mov_b64 s[8:9], s[94:95]
.LBB22_259:                             ;   in Loop: Header=BB22_33 Depth=1
	s_sub_u32 s8, s44, s8
	s_subb_u32 s9, s1, s9
	v_cmp_gt_i64_e32 vcc, s[8:9], v[0:1]
                                        ; implicit-def: $vgpr26
	s_and_saveexec_b64 s[0:1], vcc
	v_readlane_b32 s53, v56, 51
	s_cbranch_execz .LBB22_268
; %bb.260:                              ;   in Loop: Header=BB22_33 Depth=1
	v_mov_b32_e32 v3, v1
	s_mov_b64 s[28:29], 0
	v_mov_b32_e32 v6, v14
	v_mov_b32_e32 v2, v0
                                        ; implicit-def: $sgpr44_sgpr45
	s_branch .LBB22_263
.LBB22_261:                             ;   in Loop: Header=BB22_263 Depth=2
	s_or_b64 exec, exec, s[46:47]
	s_waitcnt lgkmcnt(0)
	s_barrier
	ds_read_b64 v[25:26], v13 offset:3072
	s_mov_b64 s[46:47], -1
	s_mov_b64 s[50:51], -1
	s_waitcnt lgkmcnt(0)
	s_barrier
	v_cmp_eq_u32_e32 vcc, 0, v25
	s_cbranch_vccnz .LBB22_266
.LBB22_262:                             ;   in Loop: Header=BB22_263 Depth=2
	s_and_b64 s[46:47], exec, s[46:47]
	s_or_b64 s[28:29], s[46:47], s[28:29]
	s_andn2_b64 s[44:45], s[44:45], exec
	s_and_b64 s[46:47], s[50:51], exec
	s_or_b64 s[44:45], s[44:45], s[46:47]
	s_andn2_b64 exec, exec, s[28:29]
	s_cbranch_execz .LBB22_267
.LBB22_263:                             ;   Parent Loop BB22_33 Depth=1
                                        ; =>  This Inner Loop Header: Depth=2
	v_cmp_gt_u64_e32 vcc, s[42:43], v[2:3]
	s_and_saveexec_b64 s[46:47], vcc
	s_cbranch_execz .LBB22_261
; %bb.264:                              ;   in Loop: Header=BB22_263 Depth=2
	ds_read_b32 v25, v6
	s_waitcnt lgkmcnt(0)
	v_xor_b32_e32 v7, 0x80000000, v25
	v_and_b32_e32 v7, v7, v47
	v_cmp_eq_u32_e32 vcc, v7, v44
	s_and_b64 exec, exec, vcc
	s_cbranch_execz .LBB22_261
; %bb.265:                              ;   in Loop: Header=BB22_263 Depth=2
	ds_write_b64 v13, v[24:25] offset:3072
	s_branch .LBB22_261
.LBB22_266:                             ;   in Loop: Header=BB22_263 Depth=2
	v_add_co_u32_e32 v2, vcc, s33, v2
	v_addc_co_u32_e32 v3, vcc, 0, v3, vcc
	v_cmp_le_i64_e32 vcc, s[8:9], v[2:3]
	v_add_u32_e32 v6, s52, v6
	s_mov_b64 s[50:51], 0
	s_orn2_b64 s[46:47], vcc, exec
	s_branch .LBB22_262
.LBB22_267:                             ;   in Loop: Header=BB22_33 Depth=1
	s_or_b64 exec, exec, s[28:29]
	s_andn2_b64 s[8:9], s[48:49], exec
	s_and_b64 s[28:29], s[44:45], exec
	s_or_b64 s[48:49], s[8:9], s[28:29]
.LBB22_268:                             ;   in Loop: Header=BB22_33 Depth=1
	s_or_b64 exec, exec, s[0:1]
	s_mov_b64 s[44:45], 0
	s_mov_b64 s[46:47], -1
.LBB22_269:                             ;   in Loop: Header=BB22_33 Depth=1
	s_orn2_b64 s[8:9], s[48:49], exec
.LBB22_270:                             ;   in Loop: Header=BB22_33 Depth=1
	s_or_b64 exec, exec, s[40:41]
	s_mov_b64 s[28:29], 0
	s_and_saveexec_b64 s[0:1], s[8:9]
	s_cbranch_execz .LBB22_281
; %bb.271:                              ;   in Loop: Header=BB22_33 Depth=1
	v_mov_b32_e32 v2, 1
	s_xor_b64 s[28:29], s[38:39], -1
	v_mov_b32_e32 v3, 0
	v_mov_b32_e32 v12, 1
	s_and_saveexec_b64 s[8:9], s[28:29]
	s_cbranch_execz .LBB22_280
; %bb.272:                              ;   in Loop: Header=BB22_33 Depth=1
	v_cmp_ge_i64_e32 vcc, s[12:13], v[4:5]
	s_and_saveexec_b64 s[28:29], vcc
	s_xor_b64 s[28:29], exec, s[28:29]
	s_cbranch_execz .LBB22_277
; %bb.273:                              ;   in Loop: Header=BB22_33 Depth=1
	ds_read_b64 v[2:3], v13 offset:5120
	v_or_b32_e32 v44, s58, v44
	v_or_b32_e32 v47, s58, v47
	s_waitcnt lgkmcnt(0)
	v_cmp_ne_u64_e32 vcc, 0, v[2:3]
	s_cbranch_vccnz .LBB22_277
; %bb.274:                              ;   in Loop: Header=BB22_33 Depth=1
	s_mov_b64 s[38:39], exec
	v_readlane_b32 s40, v56, 32
	v_readlane_b32 s41, v56, 33
	s_and_b64 s[40:41], s[38:39], s[40:41]
	s_mov_b64 exec, s[40:41]
; %bb.275:                              ;   in Loop: Header=BB22_33 Depth=1
	v_mov_b32_e32 v2, s12
	v_mov_b32_e32 v3, s13
	ds_write_b64 v13, v[2:3] offset:5128
; %bb.276:                              ;   in Loop: Header=BB22_33 Depth=1
	s_or_b64 exec, exec, s[38:39]
	s_waitcnt lgkmcnt(0)
	s_barrier
.LBB22_277:                             ;   in Loop: Header=BB22_33 Depth=1
	s_andn2_saveexec_b64 s[28:29], s[28:29]
; %bb.278:                              ;   in Loop: Header=BB22_33 Depth=1
	v_mov_b32_e32 v2, s13
	v_subrev_co_u32_e32 v4, vcc, s12, v4
	v_subb_co_u32_e32 v5, vcc, v5, v2, vcc
; %bb.279:                              ;   in Loop: Header=BB22_33 Depth=1
	s_or_b64 exec, exec, s[28:29]
	v_mov_b32_e32 v2, v4
	v_mov_b32_e32 v12, 8
	;; [unrolled: 1-line block ×3, first 2 shown]
.LBB22_280:                             ;   in Loop: Header=BB22_33 Depth=1
	s_or_b64 exec, exec, s[8:9]
	v_mov_b32_e32 v5, v3
	s_mov_b64 s[28:29], exec
	v_mov_b32_e32 v4, v2
.LBB22_281:                             ;   in Loop: Header=BB22_33 Depth=1
	s_or_b64 exec, exec, s[0:1]
	s_orn2_b64 s[0:1], s[28:29], exec
.LBB22_282:                             ;   in Loop: Header=BB22_33 Depth=1
	s_or_b64 exec, exec, s[20:21]
	s_andn2_b64 s[8:9], s[34:35], exec
	s_and_b64 s[12:13], s[46:47], exec
	s_or_b64 s[34:35], s[8:9], s[12:13]
	s_andn2_b64 s[8:9], s[30:31], exec
	s_and_b64 s[12:13], s[44:45], exec
	v_mov_b32_e32 v2, v4
	s_or_b64 s[30:31], s[8:9], s[12:13]
	s_and_b64 s[8:9], s[0:1], exec
	v_mov_b32_e32 v3, v5
.LBB22_283:                             ;   in Loop: Header=BB22_33 Depth=1
	s_or_b64 exec, exec, s[36:37]
	s_orn2_b64 s[0:1], s[8:9], exec
.LBB22_284:                             ;   in Loop: Header=BB22_33 Depth=1
	s_or_b64 exec, exec, s[26:27]
	s_andn2_b64 s[8:9], s[22:23], exec
	s_and_b64 s[12:13], s[34:35], exec
	s_or_b64 s[22:23], s[8:9], s[12:13]
	s_andn2_b64 s[6:7], s[6:7], exec
	s_and_b64 s[8:9], s[30:31], exec
	v_mov_b32_e32 v7, v3
	s_or_b64 s[6:7], s[6:7], s[8:9]
	s_and_b64 s[8:9], s[0:1], exec
	v_mov_b32_e32 v6, v2
.LBB22_285:                             ;   in Loop: Header=BB22_33 Depth=1
	s_or_b64 exec, exec, s[24:25]
	s_orn2_b64 s[0:1], s[8:9], exec
.LBB22_286:                             ;   in Loop: Header=BB22_33 Depth=1
	s_or_b64 exec, exec, s[18:19]
	s_mov_b64 s[8:9], 0
	s_and_saveexec_b64 s[12:13], s[0:1]
	s_xor_b64 s[0:1], exec, s[12:13]
	s_cbranch_execz .LBB22_31
; %bb.287:                              ;   in Loop: Header=BB22_33 Depth=1
	v_and_b32_e32 v2, 7, v12
	v_cmp_eq_u32_e32 vcc, 0, v2
	s_mov_b64 s[12:13], -1
	s_mov_b64 s[8:9], -1
	s_and_saveexec_b64 s[16:17], vcc
	s_cbranch_execz .LBB22_30
; %bb.288:                              ;   in Loop: Header=BB22_33 Depth=1
	s_add_i32 s18, s86, -2
	s_cmp_eq_u32 s86, 0
	s_cselect_b64 s[12:13], -1, 0
	v_xor_b32_e32 v46, 1, v46
	s_xor_b64 s[8:9], exec, -1
	s_orn2_b64 s[12:13], s[12:13], exec
	s_mov_b32 s86, s18
	s_branch .LBB22_30
.LBB22_289:                             ;   in Loop: Header=BB22_33 Depth=1
                                        ; implicit-def: $sgpr0_sgpr1
	s_andn2_b64 vcc, exec, s[8:9]
	s_cbranch_vccz .LBB22_242
	s_branch .LBB22_243
.LBB22_290:                             ;   in Loop: Header=BB22_33 Depth=1
                                        ; implicit-def: $sgpr8_sgpr9
	s_branch .LBB22_258
.LBB22_291:
	s_or_b64 exec, exec, s[60:61]
	s_xor_b64 s[6:7], s[78:79], -1
	s_xor_b64 s[4:5], s[66:67], -1
	;; [unrolled: 1-line block ×3, first 2 shown]
	s_mov_b64 s[0:1], 0
	s_and_saveexec_b64 s[8:9], s[4:5]
	s_xor_b64 s[4:5], exec, s[8:9]
	s_cbranch_execnz .LBB22_296
; %bb.292:
	s_andn2_saveexec_b64 s[2:3], s[4:5]
	s_cbranch_execnz .LBB22_318
.LBB22_293:
	s_or_b64 exec, exec, s[2:3]
	s_and_saveexec_b64 s[2:3], s[0:1]
.LBB22_294:
	; divergent unreachable
.LBB22_295:
	s_endpgm
.LBB22_296:
	s_and_saveexec_b64 s[0:1], s[6:7]
	s_xor_b64 s[0:1], exec, s[0:1]
	s_cbranch_execz .LBB22_316
; %bb.297:
	s_and_saveexec_b64 s[6:7], s[2:3]
	s_xor_b64 s[2:3], exec, s[6:7]
; %bb.298:
	v_xor_b32_e32 v26, 0x80000000, v44
; %bb.299:
	s_or_b64 exec, exec, s[2:3]
	s_mov_b64 s[2:3], exec
	v_readlane_b32 s6, v56, 32
	v_readlane_b32 s7, v56, 33
	s_and_b64 s[6:7], s[2:3], s[6:7]
	v_readlane_b32 s24, v56, 34
	v_readlane_b32 s25, v56, 35
	s_mov_b64 exec, s[6:7]
; %bb.300:
	v_mov_b32_e32 v2, 0
	v_mov_b32_e32 v3, s56
	ds_write_b32 v2, v3 offset:5140
; %bb.301:
	s_or_b64 exec, exec, s[2:3]
	s_waitcnt lgkmcnt(0)
	s_barrier
	s_mov_b64 s[6:7], exec
	v_readlane_b32 s2, v56, 38
	v_readlane_b32 s3, v56, 39
	s_and_b64 s[2:3], s[6:7], s[2:3]
	s_mov_b64 exec, s[2:3]
	s_cbranch_execz .LBB22_313
; %bb.302:
	v_mov_b32_e32 v2, 0
	ds_read_b32 v4, v2 offset:5140
	s_mov_b64 s[8:9], 0
                                        ; implicit-def: $sgpr10_sgpr11
                                        ; implicit-def: $sgpr12_sgpr13
                                        ; implicit-def: $sgpr14_sgpr15
	s_waitcnt lgkmcnt(0)
	v_ashrrev_i32_e32 v5, 31, v4
	s_branch .LBB22_305
.LBB22_303:                             ;   in Loop: Header=BB22_305 Depth=1
	s_or_b64 exec, exec, s[20:21]
	s_andn2_b64 s[14:15], s[14:15], exec
	s_and_b64 s[18:19], s[18:19], exec
	s_andn2_b64 s[12:13], s[12:13], exec
	s_and_b64 s[2:3], s[2:3], exec
	s_or_b64 s[14:15], s[14:15], s[18:19]
	s_or_b64 s[12:13], s[12:13], s[2:3]
.LBB22_304:                             ;   in Loop: Header=BB22_305 Depth=1
	s_or_b64 exec, exec, s[16:17]
	s_and_b64 s[2:3], exec, s[12:13]
	s_or_b64 s[8:9], s[2:3], s[8:9]
	s_andn2_b64 s[2:3], s[10:11], exec
	s_and_b64 s[10:11], s[14:15], exec
	s_or_b64 s[10:11], s[2:3], s[10:11]
	s_andn2_b64 exec, exec, s[8:9]
	s_cbranch_execz .LBB22_308
.LBB22_305:                             ; =>This Inner Loop Header: Depth=1
	v_mov_b32_e32 v3, v1
	v_mov_b32_e32 v2, v0
	v_cmp_lt_i64_e32 vcc, v[2:3], v[4:5]
	s_or_b64 s[14:15], s[14:15], exec
	s_or_b64 s[12:13], s[12:13], exec
                                        ; implicit-def: $vgpr0_vgpr1
	s_and_saveexec_b64 s[16:17], vcc
	s_cbranch_execz .LBB22_304
; %bb.306:                              ;   in Loop: Header=BB22_305 Depth=1
	global_load_dword v0, v[10:11], off
	s_mov_b64 s[2:3], -1
	s_mov_b64 s[18:19], 0
	s_waitcnt vmcnt(0)
	v_cmp_ne_u32_e32 vcc, v0, v26
                                        ; implicit-def: $vgpr0_vgpr1
	s_and_saveexec_b64 s[20:21], vcc
	s_cbranch_execz .LBB22_303
; %bb.307:                              ;   in Loop: Header=BB22_305 Depth=1
	v_add_co_u32_e32 v0, vcc, s33, v2
	v_addc_co_u32_e32 v1, vcc, 0, v3, vcc
	v_mov_b32_e32 v3, s89
	v_cmp_le_i64_e32 vcc, s[56:57], v[0:1]
	v_add_co_u32_e64 v10, s[2:3], s88, v10
	v_addc_co_u32_e64 v11, s[2:3], v11, v3, s[2:3]
	s_mov_b64 s[18:19], exec
	s_orn2_b64 s[2:3], vcc, exec
	s_branch .LBB22_303
.LBB22_308:
	s_or_b64 exec, exec, s[8:9]
	s_xor_b64 s[2:3], s[10:11], -1
	s_and_saveexec_b64 s[8:9], s[2:3]
	s_xor_b64 s[8:9], exec, s[8:9]
	s_cbranch_execz .LBB22_313
; %bb.309:
	s_mov_b64 s[2:3], exec
	s_brev_b32 s8, -2
.LBB22_310:                             ; =>This Inner Loop Header: Depth=1
	s_ff1_i32_b64 s9, s[2:3]
	v_readlane_b32 s12, v2, s9
	s_lshl_b64 s[10:11], 1, s9
	s_min_i32 s8, s8, s12
	s_andn2_b64 s[2:3], s[2:3], s[10:11]
	s_cmp_lg_u64 s[2:3], 0
	s_cbranch_scc1 .LBB22_310
; %bb.311:
	v_mbcnt_lo_u32_b32 v0, exec_lo, 0
	v_mbcnt_hi_u32_b32 v0, exec_hi, v0
	v_cmp_eq_u32_e32 vcc, 0, v0
	s_and_saveexec_b64 s[2:3], vcc
	s_xor_b64 s[2:3], exec, s[2:3]
; %bb.312:
	v_mov_b32_e32 v0, 0
	v_mov_b32_e32 v1, s8
	ds_min_i32 v0, v1 offset:5140
.LBB22_313:
	s_or_b64 exec, exec, s[6:7]
	s_waitcnt lgkmcnt(0)
	s_barrier
	s_mov_b64 s[2:3], exec
	v_readlane_b32 s6, v56, 32
	v_readlane_b32 s7, v56, 33
	s_and_b64 s[6:7], s[2:3], s[6:7]
	s_mov_b64 exec, s[6:7]
	s_cbranch_execz .LBB22_315
; %bb.314:
	v_readlane_b32 s20, v56, 6
	v_readlane_b32 s22, v56, 8
	;; [unrolled: 1-line block ×5, first 2 shown]
	s_mul_i32 s6, s26, s23
	s_mul_hi_u32 s7, s26, s22
	s_add_i32 s6, s7, s6
	s_mul_i32 s7, s27, s22
	s_add_i32 s6, s6, s7
	s_mul_i32 s7, s26, s22
	v_readlane_b32 s10, v56, 14
	s_sub_u32 s8, s24, s7
	v_readlane_b32 s11, v56, 15
	s_subb_u32 s6, 0, s6
	s_mul_i32 s7, s8, s11
	s_mul_hi_u32 s9, s8, s10
	v_readlane_b32 s12, v56, 0
	s_add_i32 s7, s9, s7
	s_mul_i32 s6, s6, s10
	v_readlane_b32 s13, v56, 1
	v_readlane_b32 s18, v56, 10
	s_add_i32 s7, s7, s6
	s_mul_i32 s6, s8, s10
	v_readlane_b32 s19, v56, 11
	s_mul_i32 s8, s18, s13
	s_mul_hi_u32 s9, s18, s12
	s_add_i32 s8, s9, s8
	s_mul_i32 s9, s19, s12
	s_add_i32 s8, s8, s9
	s_mul_i32 s9, s18, s12
	v_readlane_b32 s16, v56, 4
	v_readlane_b32 s28, v56, 22
	;; [unrolled: 1-line block ×3, first 2 shown]
	s_sub_u32 s10, s16, s9
	v_readlane_b32 s30, v56, 24
	v_readlane_b32 s31, v56, 25
	s_subb_u32 s8, s17, s8
	s_mul_i32 s9, s10, s31
	s_mul_hi_u32 s11, s10, s30
	v_readlane_b32 s14, v56, 2
	v_readlane_b32 s15, v56, 3
	v_readlane_b32 s29, v56, 23
	s_add_i32 s9, s11, s9
	s_mul_i32 s8, s8, s30
	s_add_i32 s9, s9, s8
	s_mul_i32 s8, s10, s30
	s_mul_i32 s10, s18, s29
	s_mul_hi_u32 s11, s18, s28
	s_mul_i32 s12, s16, s15
	s_mul_hi_u32 s13, s16, s14
	s_add_i32 s10, s11, s10
	s_mul_i32 s11, s19, s28
	s_add_i32 s12, s13, s12
	s_mul_i32 s13, s17, s14
	s_add_i32 s11, s10, s11
	s_add_i32 s12, s12, s13
	s_mul_i32 s13, s16, s14
	v_readlane_b32 s16, v56, 20
	s_sub_u32 s14, s24, s13
	v_readlane_b32 s17, v56, 21
	s_subb_u32 s12, 0, s12
	s_mul_i32 s13, s14, s17
	s_mul_hi_u32 s15, s14, s16
	v_readlane_b32 s21, v56, 7
	s_mul_i32 s10, s18, s28
	s_add_i32 s13, s15, s13
	s_mul_i32 s12, s12, s16
	v_readlane_b32 s18, v56, 26
	s_add_i32 s13, s13, s12
	s_mul_i32 s12, s14, s16
	v_readlane_b32 s19, v56, 27
	s_mul_i32 s14, s18, s21
	s_mul_hi_u32 s15, s18, s20
	s_add_i32 s14, s15, s14
	s_mul_i32 s15, s19, s20
	s_add_i32 s14, s14, s15
	s_mul_i32 s15, s18, s20
	v_readlane_b32 s20, v56, 16
	s_sub_u32 s16, s26, s15
	v_readlane_b32 s22, v56, 18
	v_readlane_b32 s23, v56, 19
	s_subb_u32 s14, s27, s14
	s_mul_i32 s15, s16, s23
	s_mul_hi_u32 s17, s16, s22
	v_readlane_b32 s21, v56, 17
	s_add_i32 s15, s17, s15
	s_mul_i32 s14, s14, s22
	s_add_i32 s15, s15, s14
	s_mul_i32 s14, s16, s22
	s_mul_i32 s16, s18, s21
	s_mul_hi_u32 s17, s18, s20
	s_add_i32 s16, s17, s16
	s_mul_i32 s17, s19, s20
	s_add_i32 s17, s16, s17
	s_mul_i32 s16, s18, s20
	s_lshl_b64 s[10:11], s[10:11], 2
	v_readlane_b32 s18, v56, 30
	v_readlane_b32 s19, v56, 31
	s_add_u32 s10, s18, s10
	s_addc_u32 s11, s19, s11
	s_lshl_b64 s[8:9], s[8:9], 2
	s_add_u32 s10, s10, s8
	s_addc_u32 s11, s11, s9
	s_lshl_b64 s[8:9], s[12:13], 2
	;; [unrolled: 3-line block ×3, first 2 shown]
	v_readlane_b32 s12, v56, 28
	v_mov_b32_e32 v2, 0
	v_readlane_b32 s13, v56, 29
	s_add_u32 s12, s12, s10
	ds_read_b32 v0, v2 offset:5140
	s_addc_u32 s13, s13, s11
	s_lshl_b64 s[10:11], s[14:15], 3
	s_add_u32 s10, s12, s10
	s_addc_u32 s11, s13, s11
	s_lshl_b64 s[6:7], s[6:7], 3
	s_add_u32 s6, s10, s6
	s_addc_u32 s7, s11, s7
	s_waitcnt lgkmcnt(0)
	v_ashrrev_i32_e32 v1, 31, v0
	global_store_dwordx2 v2, v[0:1], s[6:7]
	global_store_dword v2, v26, s[8:9]
.LBB22_315:
	s_or_b64 exec, exec, s[2:3]
.LBB22_316:
	s_or_saveexec_b64 s[0:1], s[0:1]
	s_mov_b64 s[2:3], 0
	s_xor_b64 exec, exec, s[0:1]
	s_cbranch_execnz .LBB22_319
.LBB22_317:
	s_or_b64 exec, exec, s[0:1]
	s_and_b64 s[0:1], s[2:3], exec
	s_andn2_saveexec_b64 s[2:3], s[4:5]
	s_cbranch_execz .LBB22_293
.LBB22_318:
	s_or_b64 s[0:1], s[0:1], exec
	s_trap 2
	s_or_b64 exec, exec, s[2:3]
	s_and_saveexec_b64 s[2:3], s[0:1]
	s_cbranch_execnz .LBB22_294
	s_branch .LBB22_295
.LBB22_319:
	s_mov_b64 s[2:3], exec
	s_trap 2
	s_branch .LBB22_317
	.section	.rodata,"a",@progbits
	.p2align	6, 0x0
	.amdhsa_kernel _ZN2at6native12_GLOBAL__N_114gatherKthValueIilLi3EEEvNS_4cuda6detail10TensorInfoIKT_T0_EES8_S8_S8_S8_NS5_IS6_S8_EENS5_IlS8_EE
		.amdhsa_group_segment_fixed_size 5144
		.amdhsa_private_segment_fixed_size 0
		.amdhsa_kernarg_size 1536
		.amdhsa_user_sgpr_count 6
		.amdhsa_user_sgpr_private_segment_buffer 1
		.amdhsa_user_sgpr_dispatch_ptr 0
		.amdhsa_user_sgpr_queue_ptr 0
		.amdhsa_user_sgpr_kernarg_segment_ptr 1
		.amdhsa_user_sgpr_dispatch_id 0
		.amdhsa_user_sgpr_flat_scratch_init 0
		.amdhsa_user_sgpr_private_segment_size 0
		.amdhsa_uses_dynamic_stack 0
		.amdhsa_system_sgpr_private_segment_wavefront_offset 0
		.amdhsa_system_sgpr_workgroup_id_x 1
		.amdhsa_system_sgpr_workgroup_id_y 1
		.amdhsa_system_sgpr_workgroup_id_z 1
		.amdhsa_system_sgpr_workgroup_info 0
		.amdhsa_system_vgpr_workitem_id 0
		.amdhsa_next_free_vgpr 57
		.amdhsa_next_free_sgpr 96
		.amdhsa_reserve_vcc 1
		.amdhsa_reserve_flat_scratch 0
		.amdhsa_float_round_mode_32 0
		.amdhsa_float_round_mode_16_64 0
		.amdhsa_float_denorm_mode_32 3
		.amdhsa_float_denorm_mode_16_64 3
		.amdhsa_dx10_clamp 1
		.amdhsa_ieee_mode 1
		.amdhsa_fp16_overflow 0
		.amdhsa_exception_fp_ieee_invalid_op 0
		.amdhsa_exception_fp_denorm_src 0
		.amdhsa_exception_fp_ieee_div_zero 0
		.amdhsa_exception_fp_ieee_overflow 0
		.amdhsa_exception_fp_ieee_underflow 0
		.amdhsa_exception_fp_ieee_inexact 0
		.amdhsa_exception_int_div_zero 0
	.end_amdhsa_kernel
	.section	.text._ZN2at6native12_GLOBAL__N_114gatherKthValueIilLi3EEEvNS_4cuda6detail10TensorInfoIKT_T0_EES8_S8_S8_S8_NS5_IS6_S8_EENS5_IlS8_EE,"axG",@progbits,_ZN2at6native12_GLOBAL__N_114gatherKthValueIilLi3EEEvNS_4cuda6detail10TensorInfoIKT_T0_EES8_S8_S8_S8_NS5_IS6_S8_EENS5_IlS8_EE,comdat
.Lfunc_end22:
	.size	_ZN2at6native12_GLOBAL__N_114gatherKthValueIilLi3EEEvNS_4cuda6detail10TensorInfoIKT_T0_EES8_S8_S8_S8_NS5_IS6_S8_EENS5_IlS8_EE, .Lfunc_end22-_ZN2at6native12_GLOBAL__N_114gatherKthValueIilLi3EEEvNS_4cuda6detail10TensorInfoIKT_T0_EES8_S8_S8_S8_NS5_IS6_S8_EENS5_IlS8_EE
                                        ; -- End function
	.set _ZN2at6native12_GLOBAL__N_114gatherKthValueIilLi3EEEvNS_4cuda6detail10TensorInfoIKT_T0_EES8_S8_S8_S8_NS5_IS6_S8_EENS5_IlS8_EE.num_vgpr, 57
	.set _ZN2at6native12_GLOBAL__N_114gatherKthValueIilLi3EEEvNS_4cuda6detail10TensorInfoIKT_T0_EES8_S8_S8_S8_NS5_IS6_S8_EENS5_IlS8_EE.num_agpr, 0
	.set _ZN2at6native12_GLOBAL__N_114gatherKthValueIilLi3EEEvNS_4cuda6detail10TensorInfoIKT_T0_EES8_S8_S8_S8_NS5_IS6_S8_EENS5_IlS8_EE.numbered_sgpr, 96
	.set _ZN2at6native12_GLOBAL__N_114gatherKthValueIilLi3EEEvNS_4cuda6detail10TensorInfoIKT_T0_EES8_S8_S8_S8_NS5_IS6_S8_EENS5_IlS8_EE.num_named_barrier, 0
	.set _ZN2at6native12_GLOBAL__N_114gatherKthValueIilLi3EEEvNS_4cuda6detail10TensorInfoIKT_T0_EES8_S8_S8_S8_NS5_IS6_S8_EENS5_IlS8_EE.private_seg_size, 0
	.set _ZN2at6native12_GLOBAL__N_114gatherKthValueIilLi3EEEvNS_4cuda6detail10TensorInfoIKT_T0_EES8_S8_S8_S8_NS5_IS6_S8_EENS5_IlS8_EE.uses_vcc, 1
	.set _ZN2at6native12_GLOBAL__N_114gatherKthValueIilLi3EEEvNS_4cuda6detail10TensorInfoIKT_T0_EES8_S8_S8_S8_NS5_IS6_S8_EENS5_IlS8_EE.uses_flat_scratch, 0
	.set _ZN2at6native12_GLOBAL__N_114gatherKthValueIilLi3EEEvNS_4cuda6detail10TensorInfoIKT_T0_EES8_S8_S8_S8_NS5_IS6_S8_EENS5_IlS8_EE.has_dyn_sized_stack, 0
	.set _ZN2at6native12_GLOBAL__N_114gatherKthValueIilLi3EEEvNS_4cuda6detail10TensorInfoIKT_T0_EES8_S8_S8_S8_NS5_IS6_S8_EENS5_IlS8_EE.has_recursion, 0
	.set _ZN2at6native12_GLOBAL__N_114gatherKthValueIilLi3EEEvNS_4cuda6detail10TensorInfoIKT_T0_EES8_S8_S8_S8_NS5_IS6_S8_EENS5_IlS8_EE.has_indirect_call, 0
	.section	.AMDGPU.csdata,"",@progbits
; Kernel info:
; codeLenInByte = 20556
; TotalNumSgprs: 100
; NumVgprs: 57
; ScratchSize: 0
; MemoryBound: 0
; FloatMode: 240
; IeeeMode: 1
; LDSByteSize: 5144 bytes/workgroup (compile time only)
; SGPRBlocks: 12
; VGPRBlocks: 14
; NumSGPRsForWavesPerEU: 100
; NumVGPRsForWavesPerEU: 57
; Occupancy: 4
; WaveLimiterHint : 1
; COMPUTE_PGM_RSRC2:SCRATCH_EN: 0
; COMPUTE_PGM_RSRC2:USER_SGPR: 6
; COMPUTE_PGM_RSRC2:TRAP_HANDLER: 0
; COMPUTE_PGM_RSRC2:TGID_X_EN: 1
; COMPUTE_PGM_RSRC2:TGID_Y_EN: 1
; COMPUTE_PGM_RSRC2:TGID_Z_EN: 1
; COMPUTE_PGM_RSRC2:TIDIG_COMP_CNT: 0
	.section	.text._ZN2at6native12_GLOBAL__N_114gatherKthValueIilLin1EEEvNS_4cuda6detail10TensorInfoIKT_T0_EES8_S8_S8_S8_NS5_IS6_S8_EENS5_IlS8_EE,"axG",@progbits,_ZN2at6native12_GLOBAL__N_114gatherKthValueIilLin1EEEvNS_4cuda6detail10TensorInfoIKT_T0_EES8_S8_S8_S8_NS5_IS6_S8_EENS5_IlS8_EE,comdat
	.globl	_ZN2at6native12_GLOBAL__N_114gatherKthValueIilLin1EEEvNS_4cuda6detail10TensorInfoIKT_T0_EES8_S8_S8_S8_NS5_IS6_S8_EENS5_IlS8_EE ; -- Begin function _ZN2at6native12_GLOBAL__N_114gatherKthValueIilLin1EEEvNS_4cuda6detail10TensorInfoIKT_T0_EES8_S8_S8_S8_NS5_IS6_S8_EENS5_IlS8_EE
	.p2align	8
	.type	_ZN2at6native12_GLOBAL__N_114gatherKthValueIilLin1EEEvNS_4cuda6detail10TensorInfoIKT_T0_EES8_S8_S8_S8_NS5_IS6_S8_EENS5_IlS8_EE,@function
_ZN2at6native12_GLOBAL__N_114gatherKthValueIilLin1EEEvNS_4cuda6detail10TensorInfoIKT_T0_EES8_S8_S8_S8_NS5_IS6_S8_EENS5_IlS8_EE: ; @_ZN2at6native12_GLOBAL__N_114gatherKthValueIilLin1EEEvNS_4cuda6detail10TensorInfoIKT_T0_EES8_S8_S8_S8_NS5_IS6_S8_EENS5_IlS8_EE
; %bb.0:
	s_load_dwordx2 s[12:13], s[4:5], 0x500
	s_load_dwordx8 s[56:63], s[4:5], 0x1a0
	s_add_u32 s10, s4, 0x500
	s_addc_u32 s11, s5, 0
	s_mov_b32 s1, 0
	s_waitcnt lgkmcnt(0)
	s_mul_i32 s0, s13, s8
	s_add_i32 s0, s0, s7
	s_mul_i32 s0, s0, s12
	s_add_i32 s0, s0, s6
	v_mov_b32_e32 v2, s1
	v_mov_b32_e32 v1, s0
	v_cmp_le_i64_e32 vcc, s[60:61], v[1:2]
	s_cbranch_vccnz .LBB23_294
; %bb.1:
	s_load_dword s13, s[4:5], 0x198
	s_mov_b64 s[2:3], 0
	s_mov_b64 s[8:9], s[0:1]
	s_waitcnt lgkmcnt(0)
	s_cmp_lt_i32 s13, 2
	s_cbranch_scc1 .LBB23_9
; %bb.2:
	s_mov_b32 s14, 0
	s_add_i32 s2, s13, -1
	s_mov_b32 s3, s14
	s_add_i32 s7, s13, 1
	s_lshl_b64 s[2:3], s[2:3], 3
	s_add_u32 s2, s4, s2
	s_addc_u32 s3, s5, s3
	s_add_u32 s16, s2, 8
	s_addc_u32 s17, s3, 0
	s_mov_b64 s[2:3], 0
	s_mov_b64 s[18:19], s[0:1]
.LBB23_3:                               ; =>This Inner Loop Header: Depth=1
	s_load_dwordx2 s[20:21], s[16:17], 0x0
	s_waitcnt lgkmcnt(0)
	s_or_b64 s[8:9], s[18:19], s[20:21]
	s_mov_b32 s15, s9
	s_cmp_lg_u64 s[14:15], 0
	s_cbranch_scc0 .LBB23_8
; %bb.4:                                ;   in Loop: Header=BB23_3 Depth=1
	s_ashr_i32 s8, s21, 31
	s_add_u32 s22, s20, s8
	s_mov_b32 s9, s8
	s_addc_u32 s23, s21, s8
	s_xor_b64 s[22:23], s[22:23], s[8:9]
	v_cvt_f32_u32_e32 v1, s22
	v_cvt_f32_u32_e32 v2, s23
	s_sub_u32 s13, 0, s22
	s_subb_u32 s15, 0, s23
	v_mac_f32_e32 v1, 0x4f800000, v2
	v_rcp_f32_e32 v1, v1
	v_mul_f32_e32 v1, 0x5f7ffffc, v1
	v_mul_f32_e32 v2, 0x2f800000, v1
	v_trunc_f32_e32 v2, v2
	v_mac_f32_e32 v1, 0xcf800000, v2
	v_cvt_u32_f32_e32 v2, v2
	v_cvt_u32_f32_e32 v1, v1
	v_readfirstlane_b32 s26, v2
	v_readfirstlane_b32 s24, v1
	s_mul_i32 s25, s13, s26
	s_mul_hi_u32 s28, s13, s24
	s_mul_i32 s27, s15, s24
	s_add_i32 s25, s28, s25
	s_add_i32 s25, s25, s27
	s_mul_i32 s29, s13, s24
	s_mul_i32 s28, s24, s25
	s_mul_hi_u32 s30, s24, s29
	s_mul_hi_u32 s27, s24, s25
	s_add_u32 s28, s30, s28
	s_addc_u32 s27, 0, s27
	s_mul_hi_u32 s31, s26, s29
	s_mul_i32 s29, s26, s29
	s_add_u32 s28, s28, s29
	s_mul_hi_u32 s30, s26, s25
	s_addc_u32 s27, s27, s31
	s_addc_u32 s28, s30, 0
	s_mul_i32 s25, s26, s25
	s_add_u32 s25, s27, s25
	s_addc_u32 s27, 0, s28
	s_add_u32 s28, s24, s25
	s_cselect_b64 s[24:25], -1, 0
	s_cmp_lg_u64 s[24:25], 0
	s_addc_u32 s26, s26, s27
	s_mul_i32 s24, s13, s26
	s_mul_hi_u32 s25, s13, s28
	s_add_i32 s24, s25, s24
	s_mul_i32 s15, s15, s28
	s_add_i32 s24, s24, s15
	s_mul_i32 s13, s13, s28
	s_mul_hi_u32 s25, s26, s13
	s_mul_i32 s27, s26, s13
	s_mul_i32 s30, s28, s24
	s_mul_hi_u32 s13, s28, s13
	s_mul_hi_u32 s29, s28, s24
	s_add_u32 s13, s13, s30
	s_addc_u32 s29, 0, s29
	s_add_u32 s13, s13, s27
	s_mul_hi_u32 s15, s26, s24
	s_addc_u32 s13, s29, s25
	s_addc_u32 s15, s15, 0
	s_mul_i32 s24, s26, s24
	s_add_u32 s13, s13, s24
	s_addc_u32 s15, 0, s15
	s_add_u32 s13, s28, s13
	s_cselect_b64 s[24:25], -1, 0
	s_cmp_lg_u64 s[24:25], 0
	s_addc_u32 s15, s26, s15
	s_ashr_i32 s24, s19, 31
	s_add_u32 s26, s18, s24
	s_mov_b32 s25, s24
	s_addc_u32 s27, s19, s24
	s_xor_b64 s[26:27], s[26:27], s[24:25]
	s_mul_i32 s29, s26, s15
	s_mul_hi_u32 s30, s26, s13
	s_mul_hi_u32 s28, s26, s15
	s_add_u32 s29, s30, s29
	s_addc_u32 s28, 0, s28
	s_mul_hi_u32 s31, s27, s13
	s_mul_i32 s13, s27, s13
	s_add_u32 s13, s29, s13
	s_mul_hi_u32 s30, s27, s15
	s_addc_u32 s13, s28, s31
	s_addc_u32 s28, s30, 0
	s_mul_i32 s15, s27, s15
	s_add_u32 s13, s13, s15
	s_addc_u32 s15, 0, s28
	s_mul_i32 s28, s22, s15
	s_mul_hi_u32 s29, s22, s13
	s_add_i32 s28, s29, s28
	s_mul_i32 s29, s23, s13
	s_add_i32 s33, s28, s29
	s_sub_i32 s30, s27, s33
	s_mul_i32 s28, s22, s13
	s_sub_u32 s26, s26, s28
	s_cselect_b64 s[28:29], -1, 0
	s_cmp_lg_u64 s[28:29], 0
	s_subb_u32 s34, s30, s23
	s_sub_u32 s35, s26, s22
	s_cselect_b64 s[30:31], -1, 0
	s_cmp_lg_u64 s[30:31], 0
	s_subb_u32 s30, s34, 0
	s_cmp_ge_u32 s30, s23
	s_cselect_b32 s31, -1, 0
	s_cmp_ge_u32 s35, s22
	s_cselect_b32 s34, -1, 0
	s_cmp_eq_u32 s30, s23
	s_cselect_b32 s30, s34, s31
	s_add_u32 s31, s13, 1
	s_addc_u32 s34, s15, 0
	s_add_u32 s35, s13, 2
	s_addc_u32 s36, s15, 0
	s_cmp_lg_u32 s30, 0
	s_cselect_b32 s30, s35, s31
	s_cselect_b32 s31, s36, s34
	s_cmp_lg_u64 s[28:29], 0
	s_subb_u32 s27, s27, s33
	s_cmp_ge_u32 s27, s23
	s_cselect_b32 s28, -1, 0
	s_cmp_ge_u32 s26, s22
	s_cselect_b32 s22, -1, 0
	s_cmp_eq_u32 s27, s23
	s_cselect_b32 s22, s22, s28
	s_cmp_lg_u32 s22, 0
	s_cselect_b32 s23, s31, s15
	s_cselect_b32 s22, s30, s13
	s_xor_b64 s[8:9], s[24:25], s[8:9]
	s_xor_b64 s[22:23], s[22:23], s[8:9]
	s_sub_u32 s8, s22, s8
	s_subb_u32 s9, s23, s9
	s_cbranch_execnz .LBB23_6
.LBB23_5:                               ;   in Loop: Header=BB23_3 Depth=1
	v_cvt_f32_u32_e32 v1, s20
	s_sub_i32 s8, 0, s20
	v_rcp_iflag_f32_e32 v1, v1
	v_mul_f32_e32 v1, 0x4f7ffffe, v1
	v_cvt_u32_f32_e32 v1, v1
	v_readfirstlane_b32 s9, v1
	s_mul_i32 s8, s8, s9
	s_mul_hi_u32 s8, s9, s8
	s_add_i32 s9, s9, s8
	s_mul_hi_u32 s8, s18, s9
	s_mul_i32 s13, s8, s20
	s_sub_i32 s13, s18, s13
	s_add_i32 s9, s8, 1
	s_sub_i32 s15, s13, s20
	s_cmp_ge_u32 s13, s20
	s_cselect_b32 s8, s9, s8
	s_cselect_b32 s13, s15, s13
	s_add_i32 s9, s8, 1
	s_cmp_ge_u32 s13, s20
	s_cselect_b32 s8, s9, s8
	s_mov_b32 s9, s14
.LBB23_6:                               ;   in Loop: Header=BB23_3 Depth=1
	s_mul_i32 s13, s8, s21
	s_mul_hi_u32 s15, s8, s20
	s_load_dwordx2 s[22:23], s[16:17], 0xc8
	s_add_i32 s13, s15, s13
	s_mul_i32 s15, s9, s20
	s_add_i32 s13, s13, s15
	s_mul_i32 s15, s8, s20
	s_sub_u32 s15, s18, s15
	s_subb_u32 s13, s19, s13
	s_waitcnt lgkmcnt(0)
	s_mul_i32 s13, s22, s13
	s_mul_hi_u32 s18, s22, s15
	s_add_i32 s13, s18, s13
	s_mul_i32 s18, s23, s15
	s_add_i32 s13, s13, s18
	s_mul_i32 s15, s22, s15
	s_add_u32 s2, s15, s2
	s_addc_u32 s3, s13, s3
	s_add_i32 s7, s7, -1
	s_add_u32 s16, s16, -8
	s_addc_u32 s17, s17, -1
	s_cmp_gt_u32 s7, 2
	s_cbranch_scc0 .LBB23_9
; %bb.7:                                ;   in Loop: Header=BB23_3 Depth=1
	s_mov_b64 s[18:19], s[8:9]
	s_branch .LBB23_3
.LBB23_8:                               ;   in Loop: Header=BB23_3 Depth=1
                                        ; implicit-def: $sgpr8_sgpr9
	s_branch .LBB23_5
.LBB23_9:
	s_load_dword s13, s[4:5], 0x358
	s_load_dwordx2 s[14:15], s[4:5], 0xd0
	s_add_u32 s16, s4, 0x1c0
	s_addc_u32 s17, s5, 0
	s_mov_b64 s[44:45], 0
	s_waitcnt lgkmcnt(0)
	s_cmp_lt_i32 s13, 2
	s_mov_b64 s[28:29], s[0:1]
	s_cbranch_scc1 .LBB23_17
; %bb.10:
	s_mov_b32 s18, 0
	s_add_i32 s20, s13, -1
	s_mov_b32 s21, s18
	s_add_i32 s7, s13, 1
	s_lshl_b64 s[20:21], s[20:21], 3
	s_add_u32 s13, s16, s20
	s_addc_u32 s19, s17, s21
	s_add_u32 s20, s13, 8
	s_addc_u32 s21, s19, 0
	s_mov_b64 s[22:23], s[0:1]
.LBB23_11:                              ; =>This Inner Loop Header: Depth=1
	s_load_dwordx2 s[24:25], s[20:21], 0x0
	s_waitcnt lgkmcnt(0)
	s_or_b64 s[26:27], s[22:23], s[24:25]
	s_mov_b32 s19, s27
	s_cmp_lg_u64 s[18:19], 0
	s_cbranch_scc0 .LBB23_16
; %bb.12:                               ;   in Loop: Header=BB23_11 Depth=1
	s_ashr_i32 s26, s25, 31
	s_add_u32 s28, s24, s26
	s_mov_b32 s27, s26
	s_addc_u32 s29, s25, s26
	s_xor_b64 s[28:29], s[28:29], s[26:27]
	v_cvt_f32_u32_e32 v1, s28
	v_cvt_f32_u32_e32 v2, s29
	s_sub_u32 s13, 0, s28
	s_subb_u32 s19, 0, s29
	v_mac_f32_e32 v1, 0x4f800000, v2
	v_rcp_f32_e32 v1, v1
	v_mul_f32_e32 v1, 0x5f7ffffc, v1
	v_mul_f32_e32 v2, 0x2f800000, v1
	v_trunc_f32_e32 v2, v2
	v_mac_f32_e32 v1, 0xcf800000, v2
	v_cvt_u32_f32_e32 v2, v2
	v_cvt_u32_f32_e32 v1, v1
	v_readfirstlane_b32 s33, v2
	v_readfirstlane_b32 s30, v1
	s_mul_i32 s31, s13, s33
	s_mul_hi_u32 s35, s13, s30
	s_mul_i32 s34, s19, s30
	s_add_i32 s31, s35, s31
	s_add_i32 s31, s31, s34
	s_mul_i32 s36, s13, s30
	s_mul_i32 s35, s30, s31
	s_mul_hi_u32 s37, s30, s36
	s_mul_hi_u32 s34, s30, s31
	s_add_u32 s35, s37, s35
	s_addc_u32 s34, 0, s34
	s_mul_hi_u32 s38, s33, s36
	s_mul_i32 s36, s33, s36
	s_add_u32 s35, s35, s36
	s_mul_hi_u32 s37, s33, s31
	s_addc_u32 s34, s34, s38
	s_addc_u32 s35, s37, 0
	s_mul_i32 s31, s33, s31
	s_add_u32 s31, s34, s31
	s_addc_u32 s34, 0, s35
	s_add_u32 s35, s30, s31
	s_cselect_b64 s[30:31], -1, 0
	s_cmp_lg_u64 s[30:31], 0
	s_addc_u32 s33, s33, s34
	s_mul_i32 s30, s13, s33
	s_mul_hi_u32 s31, s13, s35
	s_add_i32 s30, s31, s30
	s_mul_i32 s19, s19, s35
	s_add_i32 s30, s30, s19
	s_mul_i32 s13, s13, s35
	s_mul_hi_u32 s31, s33, s13
	s_mul_i32 s34, s33, s13
	s_mul_i32 s37, s35, s30
	s_mul_hi_u32 s13, s35, s13
	s_mul_hi_u32 s36, s35, s30
	s_add_u32 s13, s13, s37
	s_addc_u32 s36, 0, s36
	s_add_u32 s13, s13, s34
	s_mul_hi_u32 s19, s33, s30
	s_addc_u32 s13, s36, s31
	s_addc_u32 s19, s19, 0
	s_mul_i32 s30, s33, s30
	s_add_u32 s13, s13, s30
	s_addc_u32 s19, 0, s19
	s_add_u32 s13, s35, s13
	s_cselect_b64 s[30:31], -1, 0
	s_cmp_lg_u64 s[30:31], 0
	s_addc_u32 s19, s33, s19
	s_ashr_i32 s30, s23, 31
	s_add_u32 s34, s22, s30
	s_mov_b32 s31, s30
	s_addc_u32 s35, s23, s30
	s_xor_b64 s[34:35], s[34:35], s[30:31]
	s_mul_i32 s36, s34, s19
	s_mul_hi_u32 s37, s34, s13
	s_mul_hi_u32 s33, s34, s19
	s_add_u32 s36, s37, s36
	s_addc_u32 s33, 0, s33
	s_mul_hi_u32 s38, s35, s13
	s_mul_i32 s13, s35, s13
	s_add_u32 s13, s36, s13
	s_mul_hi_u32 s37, s35, s19
	s_addc_u32 s13, s33, s38
	s_addc_u32 s33, s37, 0
	s_mul_i32 s19, s35, s19
	s_add_u32 s13, s13, s19
	s_addc_u32 s19, 0, s33
	s_mul_i32 s33, s28, s19
	s_mul_hi_u32 s36, s28, s13
	s_add_i32 s33, s36, s33
	s_mul_i32 s36, s29, s13
	s_add_i32 s33, s33, s36
	s_sub_i32 s38, s35, s33
	s_mul_i32 s36, s28, s13
	s_sub_u32 s34, s34, s36
	s_cselect_b64 s[36:37], -1, 0
	s_cmp_lg_u64 s[36:37], 0
	s_subb_u32 s40, s38, s29
	s_sub_u32 s41, s34, s28
	s_cselect_b64 s[38:39], -1, 0
	s_cmp_lg_u64 s[38:39], 0
	s_subb_u32 s38, s40, 0
	s_cmp_ge_u32 s38, s29
	s_cselect_b32 s39, -1, 0
	s_cmp_ge_u32 s41, s28
	s_cselect_b32 s40, -1, 0
	s_cmp_eq_u32 s38, s29
	s_cselect_b32 s38, s40, s39
	s_add_u32 s39, s13, 1
	s_addc_u32 s40, s19, 0
	s_add_u32 s41, s13, 2
	s_addc_u32 s42, s19, 0
	s_cmp_lg_u32 s38, 0
	s_cselect_b32 s38, s41, s39
	s_cselect_b32 s39, s42, s40
	s_cmp_lg_u64 s[36:37], 0
	s_subb_u32 s33, s35, s33
	s_cmp_ge_u32 s33, s29
	s_cselect_b32 s35, -1, 0
	s_cmp_ge_u32 s34, s28
	s_cselect_b32 s28, -1, 0
	s_cmp_eq_u32 s33, s29
	s_cselect_b32 s28, s28, s35
	s_cmp_lg_u32 s28, 0
	s_cselect_b32 s29, s39, s19
	s_cselect_b32 s28, s38, s13
	s_xor_b64 s[26:27], s[30:31], s[26:27]
	s_xor_b64 s[28:29], s[28:29], s[26:27]
	s_sub_u32 s28, s28, s26
	s_subb_u32 s29, s29, s27
	s_cbranch_execnz .LBB23_14
.LBB23_13:                              ;   in Loop: Header=BB23_11 Depth=1
	v_cvt_f32_u32_e32 v1, s24
	s_sub_i32 s13, 0, s24
	s_mov_b32 s29, s18
	v_rcp_iflag_f32_e32 v1, v1
	v_mul_f32_e32 v1, 0x4f7ffffe, v1
	v_cvt_u32_f32_e32 v1, v1
	v_readfirstlane_b32 s19, v1
	s_mul_i32 s13, s13, s19
	s_mul_hi_u32 s13, s19, s13
	s_add_i32 s19, s19, s13
	s_mul_hi_u32 s13, s22, s19
	s_mul_i32 s26, s13, s24
	s_sub_i32 s26, s22, s26
	s_add_i32 s19, s13, 1
	s_sub_i32 s27, s26, s24
	s_cmp_ge_u32 s26, s24
	s_cselect_b32 s13, s19, s13
	s_cselect_b32 s26, s27, s26
	s_add_i32 s19, s13, 1
	s_cmp_ge_u32 s26, s24
	s_cselect_b32 s28, s19, s13
.LBB23_14:                              ;   in Loop: Header=BB23_11 Depth=1
	s_mul_i32 s13, s28, s25
	s_mul_hi_u32 s19, s28, s24
	s_load_dwordx2 s[26:27], s[20:21], 0xc8
	s_add_i32 s13, s19, s13
	s_mul_i32 s19, s29, s24
	s_add_i32 s13, s13, s19
	s_mul_i32 s19, s28, s24
	s_sub_u32 s19, s22, s19
	s_subb_u32 s13, s23, s13
	s_waitcnt lgkmcnt(0)
	s_mul_i32 s13, s26, s13
	s_mul_hi_u32 s22, s26, s19
	s_add_i32 s13, s22, s13
	s_mul_i32 s22, s27, s19
	s_add_i32 s13, s13, s22
	s_mul_i32 s19, s26, s19
	s_add_u32 s44, s19, s44
	s_addc_u32 s45, s13, s45
	s_add_i32 s7, s7, -1
	s_add_u32 s20, s20, -8
	s_addc_u32 s21, s21, -1
	s_cmp_gt_u32 s7, 2
	s_cbranch_scc0 .LBB23_17
; %bb.15:                               ;   in Loop: Header=BB23_11 Depth=1
	s_mov_b64 s[22:23], s[28:29]
	s_branch .LBB23_11
.LBB23_16:                              ;   in Loop: Header=BB23_11 Depth=1
                                        ; implicit-def: $sgpr28_sgpr29
	s_branch .LBB23_13
.LBB23_17:
                                        ; implicit-def: $vgpr58 : SGPR spill to VGPR lane
	s_load_dword s18, s[4:5], 0x4f8
	s_load_dwordx2 s[20:21], s[16:17], 0xd0
	v_writelane_b32 v58, s44, 0
	v_writelane_b32 v58, s45, 1
	;; [unrolled: 1-line block ×3, first 2 shown]
	s_add_u32 s13, s4, 0x360
	v_writelane_b32 v58, s29, 3
                                        ; kill: killed $sgpr16 killed $sgpr17
	s_addc_u32 s17, s5, 0
	s_waitcnt lgkmcnt(0)
	v_writelane_b32 v58, s20, 4
	s_cmp_lt_i32 s18, 2
	v_writelane_b32 v58, s21, 5
	s_cbranch_scc1 .LBB23_25
; %bb.18:
	s_mov_b32 s16, 0
	s_add_i32 s7, s18, 1
	s_add_i32 s18, s18, -1
	s_mov_b32 s19, s16
	s_lshl_b64 s[18:19], s[18:19], 3
	s_add_u32 s13, s13, s18
	s_addc_u32 s17, s17, s19
	s_add_u32 s18, s13, 8
	s_mov_b64 s[20:21], 0
	s_addc_u32 s19, s17, 0
	v_writelane_b32 v58, s20, 6
	v_writelane_b32 v58, s21, 7
.LBB23_19:                              ; =>This Inner Loop Header: Depth=1
	s_load_dwordx2 s[20:21], s[18:19], 0x0
	s_waitcnt lgkmcnt(0)
	s_or_b64 s[22:23], s[0:1], s[20:21]
	s_mov_b32 s17, s23
	s_cmp_lg_u64 s[16:17], 0
	s_cbranch_scc0 .LBB23_24
; %bb.20:                               ;   in Loop: Header=BB23_19 Depth=1
	s_ashr_i32 s22, s21, 31
	s_add_u32 s24, s20, s22
	s_mov_b32 s23, s22
	s_addc_u32 s25, s21, s22
	s_xor_b64 s[24:25], s[24:25], s[22:23]
	v_cvt_f32_u32_e32 v1, s24
	v_cvt_f32_u32_e32 v2, s25
	s_sub_u32 s13, 0, s24
	s_subb_u32 s17, 0, s25
	v_mac_f32_e32 v1, 0x4f800000, v2
	v_rcp_f32_e32 v1, v1
	v_mul_f32_e32 v1, 0x5f7ffffc, v1
	v_mul_f32_e32 v2, 0x2f800000, v1
	v_trunc_f32_e32 v2, v2
	v_mac_f32_e32 v1, 0xcf800000, v2
	v_cvt_u32_f32_e32 v2, v2
	v_cvt_u32_f32_e32 v1, v1
	v_readfirstlane_b32 s28, v2
	v_readfirstlane_b32 s26, v1
	s_mul_i32 s27, s13, s28
	s_mul_hi_u32 s30, s13, s26
	s_mul_i32 s29, s17, s26
	s_add_i32 s27, s30, s27
	s_add_i32 s27, s27, s29
	s_mul_i32 s31, s13, s26
	s_mul_i32 s30, s26, s27
	s_mul_hi_u32 s33, s26, s31
	s_mul_hi_u32 s29, s26, s27
	s_add_u32 s30, s33, s30
	s_addc_u32 s29, 0, s29
	s_mul_hi_u32 s34, s28, s31
	s_mul_i32 s31, s28, s31
	s_add_u32 s30, s30, s31
	s_mul_hi_u32 s33, s28, s27
	s_addc_u32 s29, s29, s34
	s_addc_u32 s30, s33, 0
	s_mul_i32 s27, s28, s27
	s_add_u32 s27, s29, s27
	s_addc_u32 s29, 0, s30
	s_add_u32 s30, s26, s27
	s_cselect_b64 s[26:27], -1, 0
	s_cmp_lg_u64 s[26:27], 0
	s_addc_u32 s28, s28, s29
	s_mul_i32 s26, s13, s28
	s_mul_hi_u32 s27, s13, s30
	s_add_i32 s26, s27, s26
	s_mul_i32 s17, s17, s30
	s_add_i32 s26, s26, s17
	s_mul_i32 s13, s13, s30
	s_mul_hi_u32 s27, s28, s13
	s_mul_i32 s29, s28, s13
	s_mul_i32 s33, s30, s26
	s_mul_hi_u32 s13, s30, s13
	s_mul_hi_u32 s31, s30, s26
	s_add_u32 s13, s13, s33
	s_addc_u32 s31, 0, s31
	s_add_u32 s13, s13, s29
	s_mul_hi_u32 s17, s28, s26
	s_addc_u32 s13, s31, s27
	s_addc_u32 s17, s17, 0
	s_mul_i32 s26, s28, s26
	s_add_u32 s13, s13, s26
	s_addc_u32 s17, 0, s17
	s_add_u32 s13, s30, s13
	s_cselect_b64 s[26:27], -1, 0
	s_cmp_lg_u64 s[26:27], 0
	s_addc_u32 s17, s28, s17
	s_ashr_i32 s26, s1, 31
	s_add_u32 s28, s0, s26
	s_mov_b32 s27, s26
	s_addc_u32 s29, s1, s26
	s_xor_b64 s[28:29], s[28:29], s[26:27]
	s_mul_i32 s31, s28, s17
	s_mul_hi_u32 s33, s28, s13
	s_mul_hi_u32 s30, s28, s17
	s_add_u32 s31, s33, s31
	s_addc_u32 s30, 0, s30
	s_mul_hi_u32 s34, s29, s13
	s_mul_i32 s13, s29, s13
	s_add_u32 s13, s31, s13
	s_mul_hi_u32 s33, s29, s17
	s_addc_u32 s13, s30, s34
	s_addc_u32 s30, s33, 0
	s_mul_i32 s17, s29, s17
	s_add_u32 s13, s13, s17
	s_addc_u32 s17, 0, s30
	s_mul_i32 s30, s24, s17
	s_mul_hi_u32 s31, s24, s13
	s_add_i32 s30, s31, s30
	s_mul_i32 s31, s25, s13
	s_add_i32 s33, s30, s31
	s_sub_i32 s34, s29, s33
	s_mul_i32 s30, s24, s13
	s_sub_u32 s28, s28, s30
	s_cselect_b64 s[30:31], -1, 0
	s_cmp_lg_u64 s[30:31], 0
	s_subb_u32 s36, s34, s25
	s_sub_u32 s37, s28, s24
	s_cselect_b64 s[34:35], -1, 0
	s_cmp_lg_u64 s[34:35], 0
	s_subb_u32 s34, s36, 0
	s_cmp_ge_u32 s34, s25
	s_cselect_b32 s35, -1, 0
	s_cmp_ge_u32 s37, s24
	s_cselect_b32 s36, -1, 0
	s_cmp_eq_u32 s34, s25
	s_cselect_b32 s34, s36, s35
	s_add_u32 s35, s13, 1
	s_addc_u32 s36, s17, 0
	s_add_u32 s37, s13, 2
	s_addc_u32 s38, s17, 0
	s_cmp_lg_u32 s34, 0
	s_cselect_b32 s34, s37, s35
	s_cselect_b32 s35, s38, s36
	s_cmp_lg_u64 s[30:31], 0
	s_subb_u32 s29, s29, s33
	s_cmp_ge_u32 s29, s25
	s_cselect_b32 s30, -1, 0
	s_cmp_ge_u32 s28, s24
	s_cselect_b32 s24, -1, 0
	s_cmp_eq_u32 s29, s25
	s_cselect_b32 s24, s24, s30
	s_cmp_lg_u32 s24, 0
	s_cselect_b32 s25, s35, s17
	s_cselect_b32 s24, s34, s13
	s_xor_b64 s[22:23], s[26:27], s[22:23]
	s_xor_b64 s[24:25], s[24:25], s[22:23]
	s_sub_u32 s68, s24, s22
	s_subb_u32 s69, s25, s23
	s_cbranch_execnz .LBB23_22
.LBB23_21:                              ;   in Loop: Header=BB23_19 Depth=1
	v_cvt_f32_u32_e32 v1, s20
	s_sub_i32 s13, 0, s20
	s_mov_b32 s69, s16
	v_rcp_iflag_f32_e32 v1, v1
	v_mul_f32_e32 v1, 0x4f7ffffe, v1
	v_cvt_u32_f32_e32 v1, v1
	v_readfirstlane_b32 s17, v1
	s_mul_i32 s13, s13, s17
	s_mul_hi_u32 s13, s17, s13
	s_add_i32 s17, s17, s13
	s_mul_hi_u32 s13, s0, s17
	s_mul_i32 s22, s13, s20
	s_sub_i32 s22, s0, s22
	s_add_i32 s17, s13, 1
	s_sub_i32 s23, s22, s20
	s_cmp_ge_u32 s22, s20
	s_cselect_b32 s13, s17, s13
	s_cselect_b32 s22, s23, s22
	s_add_i32 s17, s13, 1
	s_cmp_ge_u32 s22, s20
	s_cselect_b32 s68, s17, s13
.LBB23_22:                              ;   in Loop: Header=BB23_19 Depth=1
	s_mul_i32 s13, s68, s21
	s_mul_hi_u32 s17, s68, s20
	s_load_dwordx2 s[22:23], s[18:19], 0xc8
	s_add_i32 s13, s17, s13
	s_mul_i32 s17, s69, s20
	s_add_i32 s13, s13, s17
	s_mul_i32 s17, s68, s20
	s_sub_u32 s0, s0, s17
	s_subb_u32 s1, s1, s13
	s_waitcnt lgkmcnt(0)
	s_mul_i32 s1, s22, s1
	s_mul_hi_u32 s13, s22, s0
	s_add_i32 s1, s13, s1
	s_mul_i32 s13, s23, s0
	s_add_i32 s1, s1, s13
	s_mul_i32 s0, s22, s0
	v_readlane_b32 s20, v58, 6
	v_readlane_b32 s21, v58, 7
	s_add_u32 s20, s0, s20
	s_addc_u32 s21, s1, s21
	s_add_i32 s7, s7, -1
	s_add_u32 s18, s18, -8
	s_addc_u32 s19, s19, -1
	v_writelane_b32 v58, s20, 6
	s_cmp_gt_u32 s7, 2
	v_writelane_b32 v58, s21, 7
	s_cbranch_scc0 .LBB23_26
; %bb.23:                               ;   in Loop: Header=BB23_19 Depth=1
	s_mov_b64 s[0:1], s[68:69]
	s_branch .LBB23_19
.LBB23_24:                              ;   in Loop: Header=BB23_19 Depth=1
                                        ; implicit-def: $sgpr68_sgpr69
	s_branch .LBB23_21
.LBB23_25:
	s_mov_b64 s[16:17], 0
	v_writelane_b32 v58, s16, 6
	s_mov_b64 s[68:69], s[0:1]
	v_writelane_b32 v58, s17, 7
.LBB23_26:
	s_load_dwordx2 s[0:1], s[4:5], 0x430
	s_mov_b32 s77, 0
                                        ; kill: killed $sgpr4 killed $sgpr5
	s_waitcnt lgkmcnt(0)
	v_writelane_b32 v58, s0, 8
	v_writelane_b32 v58, s1, 9
	s_load_dwordx2 s[0:1], s[4:5], 0x0
	s_load_dwordx2 s[16:17], s[4:5], 0x1c0
	s_waitcnt lgkmcnt(0)
	v_writelane_b32 v58, s16, 10
	v_writelane_b32 v58, s17, 11
	s_load_dwordx2 s[16:17], s[4:5], 0x360
	s_waitcnt lgkmcnt(0)
	v_writelane_b32 v58, s16, 12
	v_writelane_b32 v58, s17, 13
	v_cmp_eq_u32_e64 s[16:17], 0, v0
	s_mov_b64 s[4:5], exec
	v_writelane_b32 v58, s16, 14
	v_writelane_b32 v58, s17, 15
	s_and_b64 s[16:17], s[4:5], s[16:17]
	s_mov_b64 exec, s[16:17]
	s_cbranch_execz .LBB23_28
; %bb.27:
	v_mov_b32_e32 v1, 0
	v_mov_b32_e32 v3, s56
	v_mov_b32_e32 v4, s57
	v_mov_b32_e32 v2, v1
	ds_write_b32 v1, v1 offset:5136
	ds_write_b128 v1, v[1:4] offset:5120
.LBB23_28:
	s_or_b64 exec, exec, s[4:5]
	s_mul_i32 s4, s14, s9
	s_mul_hi_u32 s5, s14, s8
	s_add_i32 s4, s5, s4
	s_mul_i32 s5, s15, s8
	s_add_i32 s5, s4, s5
	s_mul_i32 s4, s14, s8
	s_lshl_b64 s[8:9], s[4:5], 2
	s_add_u32 s14, s0, s8
	v_mbcnt_lo_u32_b32 v1, -1, 0
	s_addc_u32 s15, s1, s9
	s_lshl_b64 s[78:79], s[2:3], 2
	v_mbcnt_hi_u32_b32 v41, -1, v1
	s_add_u32 s7, s14, s78
	v_cmp_gt_u32_e32 vcc, 64, v0
	v_cmp_gt_i32_e64 s[2:3], 4, v41
	s_addc_u32 s13, s15, s79
	s_and_b64 s[82:83], vcc, s[2:3]
	v_mad_u64_u32 v[4:5], s[2:3], s62, v0, 0
	v_mov_b32_e32 v13, 0
	v_mov_b32_e32 v1, v13
	v_mad_u64_u32 v[5:6], s[2:3], s63, v0, v[5:6]
	v_cmp_gt_u64_e64 s[2:3], s[56:57], v[0:1]
	s_waitcnt lgkmcnt(0)
	v_writelane_b32 v58, s2, 16
	v_writelane_b32 v58, s3, 17
	;; [unrolled: 1-line block ×3, first 2 shown]
	v_cmp_gt_i64_e64 s[2:3], s[56:57], v[0:1]
	v_writelane_b32 v58, s7, 19
	v_writelane_b32 v58, s2, 20
	s_barrier
	v_writelane_b32 v58, s3, 21
	s_load_dword s2, s[10:11], 0xc
	v_mov_b32_e32 v2, 0x300
	v_mov_b32_e32 v3, 0
	v_cmp_gt_i64_e64 s[92:93], s[56:57], v[2:3]
	v_lshlrev_b64 v[2:3], 2, v[4:5]
	s_waitcnt lgkmcnt(0)
	s_and_b32 s33, s2, 0xffff
	v_add_co_u32_e32 v16, vcc, s7, v2
	s_bfe_u32 s7, s2, 0xa0006
	s_cmp_gt_u32 s33, 63
	s_cselect_b64 s[94:95], -1, 0
	s_add_u32 s2, s33, -1
	s_addc_u32 s3, 0, -1
	v_mov_b32_e32 v6, s13
	s_add_u32 s73, s2, s56
	v_addc_co_u32_e32 v17, vcc, v6, v3, vcc
	v_lshlrev_b64 v[6:7], v41, -1
	s_addc_u32 s53, s3, s57
	s_cmp_lt_u32 s6, s12
	v_not_b32_e32 v45, v6
	v_writelane_b32 v58, s2, 22
	v_lshrrev_b32_e32 v6, 1, v0
	s_cselect_b32 s2, 12, 18
	v_and_b32_e32 v6, 0x1e0, v6
	s_add_u32 s48, s10, s2
	v_not_b32_e32 v44, v7
	v_or_b32_e32 v46, 0xc00, v6
	s_addc_u32 s49, s11, 0
	s_add_i32 s2, s7, -1
	v_lshlrev_b32_e32 v47, 4, v0
	v_mov_b32_e32 v6, s14
	s_bfe_u32 s6, s33, 0x30006
	s_and_b32 s2, s2, 0xffff
	v_or_b32_e32 v9, 12, v47
	v_mov_b32_e32 v7, s15
	v_writelane_b32 v58, s3, 23
	s_cmp_gt_u32 s2, 6
	v_mad_u64_u32 v[18:19], s[2:3], s62, v9, v[6:7]
	v_lshlrev_b32_e32 v8, 2, v41
	s_cselect_b64 s[2:3], -1, 0
	v_and_b32_e32 v43, 0x100, v8
	v_writelane_b32 v58, s2, 24
	v_mov_b32_e32 v8, v19
	v_writelane_b32 v58, s3, 25
	v_mad_u64_u32 v[8:9], s[2:3], s63, v9, v[8:9]
	v_or_b32_e32 v9, 8, v47
	v_mad_u64_u32 v[20:21], s[2:3], s62, v9, v[6:7]
	s_and_b32 s70, s7, 0x3f8
	s_cmp_lg_u32 s6, 0
	v_writelane_b32 v58, s6, 26
	s_cselect_b64 s[2:3], -1, 0
	v_writelane_b32 v58, s2, 27
	v_mov_b32_e32 v19, v8
	v_mov_b32_e32 v8, v21
	v_writelane_b32 v58, s3, 28
	v_mad_u64_u32 v[8:9], s[2:3], s63, v9, v[8:9]
	v_or_b32_e32 v9, 4, v47
	v_mad_u64_u32 v[22:23], s[2:3], s62, v9, v[6:7]
	s_add_u32 s6, s8, s78
	s_addc_u32 s7, s9, s79
	s_add_u32 s6, s0, s6
	v_mov_b32_e32 v6, v23
	s_addc_u32 s7, s1, s7
	v_mad_u64_u32 v[6:7], s[2:3], s63, v9, v[6:7]
	v_writelane_b32 v58, s6, 29
	v_writelane_b32 v58, s7, 30
	s_lshl_b64 s[2:3], s[62:63], 2
	v_writelane_b32 v58, s2, 31
	v_writelane_b32 v58, s3, 32
	s_lshl_b64 s[2:3], s[62:63], 4
	v_lshlrev_b64 v[4:5], 4, v[4:5]
	s_add_u32 s0, s0, s78
	s_addc_u32 s1, s1, s79
	v_mov_b32_e32 v23, v6
	v_mov_b32_e32 v6, s15
	v_add_co_u32_e32 v24, vcc, s14, v4
	s_add_u32 s0, s0, s8
	v_addc_co_u32_e32 v25, vcc, v6, v5, vcc
	s_addc_u32 s1, s1, s9
	v_mov_b32_e32 v4, s1
	v_add_co_u32_e32 v10, vcc, s0, v2
	v_writelane_b32 v58, s2, 33
	v_addc_co_u32_e32 v11, vcc, v4, v3, vcc
	v_writelane_b32 v58, s3, 34
	v_mov_b32_e32 v2, s57
	v_add_co_u32_e32 v48, vcc, s56, v0
	s_mul_i32 s0, s63, s33
	s_mul_hi_u32 s1, s62, s33
	v_lshlrev_b32_e32 v14, 2, v0
	v_addc_co_u32_e32 v49, vcc, 0, v2, vcc
	v_mov_b32_e32 v2, 0xc00
	s_add_i32 s1, s1, s0
	s_mul_i32 s0, s62, s33
	s_lshl_b32 s52, s33, 2
	v_mov_b32_e32 v29, s58
	v_writelane_b32 v58, s73, 35
	v_cmp_eq_u32_e64 s[4:5], 0, v41
	v_cmp_gt_u32_e64 s[60:61], 2, v0
	v_add_u32_e32 v42, 0xc00, v14
	v_mov_b32_e32 v15, v13
	v_mov_b32_e32 v21, v8
	v_lshl_or_b32 v51, v41, 3, v2
	s_lshl_b64 s[80:81], s[0:1], 2
	s_mov_b32 s71, 30
	s_mov_b64 s[66:67], 0
                                        ; implicit-def: $sgpr0_sgpr1
	v_mov_b32_e32 v52, 0
	v_mov_b32_e32 v50, 0
	;; [unrolled: 1-line block ×6, first 2 shown]
	v_writelane_b32 v58, s48, 36
	s_mov_b32 s74, s52
                                        ; implicit-def: $sgpr42_sgpr43
                                        ; kill: killed $sgpr0_sgpr1
                                        ; implicit-def: $sgpr0_sgpr1
                                        ; kill: killed $sgpr0_sgpr1
                                        ; implicit-def: $sgpr54_sgpr55
                                        ; implicit-def: $sgpr64_sgpr65
                                        ; implicit-def: $sgpr90_sgpr91
	v_writelane_b32 v58, s49, 37
	s_branch .LBB23_32
.LBB23_29:                              ;   in Loop: Header=BB23_32 Depth=1
	s_or_b64 exec, exec, s[16:17]
	s_and_b64 s[8:9], s[8:9], exec
	s_andn2_b64 s[22:23], s[22:23], exec
	s_andn2_b64 s[6:7], s[6:7], exec
	s_orn2_b64 s[16:17], s[12:13], exec
.LBB23_30:                              ;   in Loop: Header=BB23_32 Depth=1
	s_or_b64 exec, exec, s[0:1]
	s_andn2_b64 s[0:1], s[58:59], exec
	s_and_b64 s[8:9], s[8:9], exec
	s_or_b64 s[58:59], s[0:1], s[8:9]
	s_andn2_b64 s[0:1], s[54:55], exec
	s_and_b64 s[8:9], s[22:23], exec
	s_or_b64 s[54:55], s[0:1], s[8:9]
	;; [unrolled: 3-line block ×3, first 2 shown]
	s_orn2_b64 s[6:7], s[16:17], exec
.LBB23_31:                              ;   in Loop: Header=BB23_32 Depth=1
	s_or_b64 exec, exec, s[14:15]
	s_and_b64 s[0:1], exec, s[6:7]
	s_or_b64 s[66:67], s[0:1], s[66:67]
	v_readlane_b32 s0, v58, 38
	v_readlane_b32 s1, v58, 39
	s_andn2_b64 s[0:1], s[0:1], exec
	s_and_b64 s[6:7], s[58:59], exec
	s_or_b64 s[0:1], s[0:1], s[6:7]
	v_writelane_b32 v58, s0, 38
	v_writelane_b32 v58, s1, 39
	v_readlane_b32 s0, v58, 40
	v_readlane_b32 s1, v58, 41
	s_andn2_b64 s[0:1], s[0:1], exec
	s_and_b64 s[6:7], s[54:55], exec
	s_or_b64 s[0:1], s[0:1], s[6:7]
	s_mov_b64 s[2:3], s[90:91]
	v_writelane_b32 v58, s0, 40
	v_writelane_b32 v58, s1, 41
	s_andn2_b64 s[0:1], s[42:43], exec
	s_and_b64 s[6:7], s[2:3], exec
	v_mov_b32_e32 v30, v7
	s_mov_b64 s[90:91], s[58:59]
	s_mov_b64 s[64:65], s[54:55]
	;; [unrolled: 1-line block ×3, first 2 shown]
	s_or_b64 s[42:43], s[0:1], s[6:7]
	v_mov_b32_e32 v29, v6
	s_andn2_b64 exec, exec, s[66:67]
	s_cbranch_execz .LBB23_290
.LBB23_32:                              ; =>This Loop Header: Depth=1
                                        ;     Child Loop BB23_38 Depth 2
                                        ;     Child Loop BB23_51 Depth 2
	;; [unrolled: 1-line block ×16, first 2 shown]
	ds_read_b128 v[2:5], v13 offset:5120
	s_waitcnt lgkmcnt(0)
	v_readfirstlane_b32 s59, v3
	v_readfirstlane_b32 s58, v2
	v_cmp_gt_i64_e64 s[0:1], s[58:59], 0
	s_and_b64 vcc, exec, s[0:1]
	s_cbranch_vccnz .LBB23_59
; %bb.33:                               ;   in Loop: Header=BB23_32 Depth=1
	s_and_b64 vcc, exec, s[92:93]
	s_cbranch_vccz .LBB23_46
; %bb.34:                               ;   in Loop: Header=BB23_32 Depth=1
	s_mov_b64 s[0:1], 0x301
	v_cmp_gt_i64_e32 vcc, s[0:1], v[4:5]
	s_mov_b64 s[0:1], 0
	s_mov_b64 s[6:7], 0
	s_cbranch_vccz .LBB23_47
; %bb.35:                               ;   in Loop: Header=BB23_32 Depth=1
	v_readlane_b32 s2, v58, 16
	v_readlane_b32 s3, v58, 17
	s_and_saveexec_b64 s[8:9], s[2:3]
	s_cbranch_execz .LBB23_93
; %bb.36:                               ;   in Loop: Header=BB23_32 Depth=1
	global_load_ushort v6, v13, s[48:49]
	global_load_dword v7, v[16:17], off
	v_readlane_b32 s2, v58, 29
	v_readlane_b32 s3, v58, 30
	v_mov_b32_e32 v2, s2
	v_mov_b32_e32 v3, s3
	v_readlane_b32 s2, v58, 31
	v_readlane_b32 s3, v58, 32
	s_mov_b64 s[14:15], 0
	s_waitcnt vmcnt(1)
	v_readfirstlane_b32 s6, v6
	s_and_b32 s12, 0xffff, s6
	v_add_u32_e32 v4, s12, v0
	v_mad_u64_u32 v[2:3], s[6:7], s2, v4, v[2:3]
	s_mul_i32 s13, s3, s12
	s_mul_i32 s22, s2, s12
	v_mad_u64_u32 v[3:4], s[6:7], s3, v4, v[3:4]
	s_mul_hi_u32 s6, s2, s12
	v_mov_b32_e32 v5, v1
	s_add_i32 s23, s6, s13
	v_mov_b32_e32 v4, v0
	s_branch .LBB23_38
.LBB23_37:                              ;   in Loop: Header=BB23_38 Depth=2
	s_or_b64 exec, exec, s[6:7]
	v_mov_b32_e32 v7, s23
	v_add_co_u32_e32 v2, vcc, s22, v2
	v_addc_co_u32_e32 v3, vcc, v3, v7, vcc
	v_mov_b32_e32 v7, v8
	s_andn2_b64 exec, exec, s[14:15]
	s_cbranch_execz .LBB23_93
.LBB23_38:                              ;   Parent Loop BB23_32 Depth=1
                                        ; =>  This Inner Loop Header: Depth=2
	v_add_co_u32_sdwa v4, vcc, v4, v6 dst_sel:DWORD dst_unused:UNUSED_PAD src0_sel:DWORD src1_sel:WORD_0
	v_addc_co_u32_e32 v5, vcc, 0, v5, vcc
	v_cmp_gt_i64_e64 s[6:7], s[56:57], v[4:5]
	v_cmp_le_i64_e32 vcc, s[56:57], v[4:5]
	s_waitcnt lgkmcnt(0)
	v_mov_b32_e32 v9, 0
	v_mov_b32_e32 v8, 0
	s_and_saveexec_b64 s[12:13], s[6:7]
	s_cbranch_execz .LBB23_40
; %bb.39:                               ;   in Loop: Header=BB23_38 Depth=2
	global_load_dword v8, v[2:3], off
.LBB23_40:                              ;   in Loop: Header=BB23_38 Depth=2
	s_or_b64 exec, exec, s[12:13]
	s_waitcnt vmcnt(0)
	v_xor_b32_e32 v12, 0x80000000, v7
	v_and_b32_e32 v12, v12, v53
	v_cmp_eq_u32_e64 s[12:13], v12, v50
	s_cmp_lg_u64 s[12:13], 0
	s_cselect_b64 s[6:7], -1, 0
	s_and_b64 s[6:7], s[4:5], s[6:7]
	s_and_saveexec_b64 s[16:17], s[6:7]
	s_cbranch_execz .LBB23_44
; %bb.41:                               ;   in Loop: Header=BB23_38 Depth=2
	s_mov_b64 s[20:21], exec
	v_mbcnt_lo_u32_b32 v9, s20, 0
	v_mbcnt_hi_u32_b32 v9, s21, v9
	s_bcnt1_i32_b64 s24, s[12:13]
	v_cmp_eq_u32_e64 s[6:7], 0, v9
                                        ; implicit-def: $vgpr12
	s_and_saveexec_b64 s[18:19], s[6:7]
; %bb.42:                               ;   in Loop: Header=BB23_38 Depth=2
	s_bcnt1_i32_b64 s6, s[20:21]
	s_mul_i32 s6, s24, s6
	v_mov_b32_e32 v12, s6
	ds_add_rtn_u32 v12, v13, v12 offset:5136
; %bb.43:                               ;   in Loop: Header=BB23_38 Depth=2
	s_or_b64 exec, exec, s[18:19]
	s_waitcnt lgkmcnt(0)
	v_readfirstlane_b32 s6, v12
	v_mov_b32_e32 v12, s6
	v_mad_u32_u24 v9, s24, v9, v12
.LBB23_44:                              ;   in Loop: Header=BB23_38 Depth=2
	s_or_b64 exec, exec, s[16:17]
	ds_bpermute_b32 v9, v43, v9
	s_and_b64 s[6:7], exec, vcc
	s_or_b64 s[14:15], s[6:7], s[14:15]
	s_and_saveexec_b64 s[6:7], s[12:13]
	s_cbranch_execz .LBB23_37
; %bb.45:                               ;   in Loop: Header=BB23_38 Depth=2
	v_and_b32_e32 v27, s12, v45
	v_and_b32_e32 v12, s13, v44
	v_bcnt_u32_b32 v27, v27, 0
	v_bcnt_u32_b32 v12, v12, v27
	v_lshlrev_b32_e32 v12, 2, v12
	s_waitcnt lgkmcnt(0)
	v_lshl_add_u32 v9, v9, 2, v12
	ds_write_b32 v9, v7
	s_branch .LBB23_37
.LBB23_46:                              ;   in Loop: Header=BB23_32 Depth=1
	s_mov_b64 s[0:1], -1
	s_mov_b64 s[6:7], 0
.LBB23_47:                              ;   in Loop: Header=BB23_32 Depth=1
	s_and_b64 vcc, exec, s[0:1]
	s_cbranch_vccz .LBB23_57
.LBB23_48:                              ;   in Loop: Header=BB23_32 Depth=1
	s_mov_b64 s[0:1], exec
	v_readlane_b32 s6, v58, 20
	v_readlane_b32 s7, v58, 21
	s_and_b64 s[6:7], s[0:1], s[6:7]
	s_mov_b64 exec, s[6:7]
	s_cbranch_execz .LBB23_54
; %bb.49:                               ;   in Loop: Header=BB23_32 Depth=1
	global_load_ushort v2, v13, s[48:49]
	global_load_dword v8, v[16:17], off
	s_waitcnt vmcnt(1)
	v_add_u32_sdwa v12, v2, v0 dst_sel:DWORD dst_unused:UNUSED_PAD src0_sel:WORD_0 src1_sel:DWORD
	v_cmp_gt_i64_e32 vcc, s[56:57], v[12:13]
	v_readfirstlane_b32 s6, v2
	v_mov_b32_e32 v2, v0
	s_and_saveexec_b64 s[8:9], vcc
	s_cbranch_execz .LBB23_53
; %bb.50:                               ;   in Loop: Header=BB23_32 Depth=1
	v_readlane_b32 s2, v58, 29
	v_readlane_b32 s3, v58, 30
	v_mov_b32_e32 v2, s2
	v_mov_b32_e32 v3, s3
	v_readlane_b32 s2, v58, 31
	v_mad_u64_u32 v[2:3], s[12:13], s2, v12, v[2:3]
	v_readlane_b32 s3, v58, 32
	s_and_b32 s14, s6, 0xffff
	v_mad_u64_u32 v[3:4], s[6:7], s3, v12, v[3:4]
	s_mul_i32 s6, s3, s14
	s_mul_hi_u32 s7, s2, s14
	v_mov_b32_e32 v4, v12
	v_mov_b32_e32 v7, v1
	s_add_i32 s15, s7, s6
	s_mul_i32 s16, s2, s14
	s_mov_b64 s[12:13], 0
	v_mov_b32_e32 v5, v13
	v_mov_b32_e32 v6, v0
.LBB23_51:                              ;   Parent Loop BB23_32 Depth=1
                                        ; =>  This Inner Loop Header: Depth=2
	global_load_dword v9, v[2:3], off
	v_mov_b32_e32 v32, v5
	v_mov_b32_e32 v31, v4
	v_lshlrev_b32_e32 v4, 2, v6
	v_mov_b32_e32 v6, s15
	v_add_co_u32_e32 v2, vcc, s16, v2
	s_waitcnt vmcnt(1)
	ds_write_b32 v4, v8
	v_add_co_u32_e64 v4, s[6:7], s14, v31
	v_addc_co_u32_e64 v5, s[6:7], 0, v32, s[6:7]
	v_addc_co_u32_e32 v3, vcc, v3, v6, vcc
	v_cmp_le_i64_e32 vcc, s[56:57], v[4:5]
	v_mov_b32_e32 v6, v31
	s_or_b64 s[12:13], vcc, s[12:13]
	v_mov_b32_e32 v7, v32
	s_waitcnt vmcnt(0)
	v_mov_b32_e32 v8, v9
	s_andn2_b64 exec, exec, s[12:13]
	s_cbranch_execnz .LBB23_51
; %bb.52:                               ;   in Loop: Header=BB23_32 Depth=1
	s_or_b64 exec, exec, s[12:13]
	v_subrev_u32_e32 v2, s14, v4
	v_mov_b32_e32 v8, v9
.LBB23_53:                              ;   in Loop: Header=BB23_32 Depth=1
	s_or_b64 exec, exec, s[8:9]
	v_lshlrev_b32_e32 v2, 2, v2
	s_waitcnt vmcnt(0)
	ds_write_b32 v2, v8
.LBB23_54:                              ;   in Loop: Header=BB23_32 Depth=1
	s_or_b64 exec, exec, s[0:1]
	s_waitcnt lgkmcnt(0)
	s_barrier
	s_mov_b64 s[0:1], exec
	v_readlane_b32 s6, v58, 14
	v_readlane_b32 s7, v58, 15
	s_and_b64 s[6:7], s[0:1], s[6:7]
	s_mov_b64 exec, s[6:7]
; %bb.55:                               ;   in Loop: Header=BB23_32 Depth=1
	v_mov_b32_e32 v2, s56
	v_mov_b32_e32 v3, s57
	ds_write_b64 v13, v[2:3] offset:5120
; %bb.56:                               ;   in Loop: Header=BB23_32 Depth=1
	s_or_b64 exec, exec, s[0:1]
	s_waitcnt lgkmcnt(0)
	s_barrier
	s_mov_b64 s[6:7], -1
.LBB23_57:                              ;   in Loop: Header=BB23_32 Depth=1
	s_and_b64 vcc, exec, s[6:7]
	s_cbranch_vccz .LBB23_59
; %bb.58:                               ;   in Loop: Header=BB23_32 Depth=1
	ds_read_b64 v[2:3], v13 offset:5120
	s_waitcnt lgkmcnt(0)
	v_readfirstlane_b32 s58, v2
.LBB23_59:                              ;   in Loop: Header=BB23_32 Depth=1
	s_cmp_lt_i32 s58, 1
	s_mov_b64 s[0:1], -1
                                        ; implicit-def: $vgpr2_vgpr3
                                        ; implicit-def: $vgpr6_vgpr7
	s_cbranch_scc1 .LBB23_69
; %bb.60:                               ;   in Loop: Header=BB23_32 Depth=1
	s_and_b64 vcc, exec, s[0:1]
	s_cbranch_vccnz .LBB23_83
.LBB23_61:                              ;   in Loop: Header=BB23_32 Depth=1
	v_lshlrev_b32_e32 v12, 6, v52
	s_and_saveexec_b64 s[0:1], s[4:5]
	s_mov_b64 s[58:59], s[90:91]
	s_cbranch_execz .LBB23_63
.LBB23_62:                              ;   in Loop: Header=BB23_32 Depth=1
	v_lshl_add_u32 v27, v12, 3, v46
	ds_write_b128 v27, v[2:5]
	ds_write_b128 v27, v[6:9] offset:16
.LBB23_63:                              ;   in Loop: Header=BB23_32 Depth=1
	s_or_b64 exec, exec, s[0:1]
	s_waitcnt lgkmcnt(0)
	s_barrier
	s_and_saveexec_b64 s[0:1], s[82:83]
	s_cbranch_execz .LBB23_101
; %bb.64:                               ;   in Loop: Header=BB23_32 Depth=1
	v_mov_b32_e32 v2, 0
	v_mov_b32_e32 v3, 0
	s_andn2_b64 vcc, exec, s[94:95]
	s_cbranch_vccnz .LBB23_100
; %bb.65:                               ;   in Loop: Header=BB23_32 Depth=1
	v_readlane_b32 s2, v58, 24
	v_readlane_b32 s3, v58, 25
	s_andn2_b64 vcc, exec, s[2:3]
	s_cbranch_vccnz .LBB23_96
; %bb.66:                               ;   in Loop: Header=BB23_32 Depth=1
	v_mov_b32_e32 v2, 0
	v_lshl_add_u32 v4, v52, 9, v51
	v_mov_b32_e32 v3, 0
	s_mov_b32 s6, 0
.LBB23_67:                              ;   Parent Loop BB23_32 Depth=1
                                        ; =>  This Inner Loop Header: Depth=2
	ds_read2_b64 v[5:8], v4 offset1:4
	ds_read2_b64 v[31:34], v4 offset0:8 offset1:12
	ds_read2_b64 v[35:38], v4 offset0:16 offset1:20
	;; [unrolled: 1-line block ×3, first 2 shown]
	s_add_i32 s6, s6, 8
	s_waitcnt lgkmcnt(3)
	v_add_co_u32_e32 v2, vcc, v5, v2
	v_addc_co_u32_e32 v3, vcc, v6, v3, vcc
	v_add_co_u32_e32 v2, vcc, v7, v2
	v_addc_co_u32_e32 v3, vcc, v8, v3, vcc
	s_waitcnt lgkmcnt(2)
	v_add_co_u32_e32 v2, vcc, v31, v2
	v_addc_co_u32_e32 v3, vcc, v32, v3, vcc
	v_add_co_u32_e32 v2, vcc, v33, v2
	v_addc_co_u32_e32 v3, vcc, v34, v3, vcc
	s_waitcnt lgkmcnt(1)
	v_add_co_u32_e32 v2, vcc, v35, v2
	v_addc_co_u32_e32 v3, vcc, v36, v3, vcc
	v_add_co_u32_e32 v2, vcc, v37, v2
	v_addc_co_u32_e32 v3, vcc, v38, v3, vcc
	s_waitcnt lgkmcnt(0)
	v_add_co_u32_e32 v2, vcc, v54, v2
	v_addc_co_u32_e32 v3, vcc, v55, v3, vcc
	v_add_co_u32_e32 v2, vcc, v56, v2
	v_add_u32_e32 v4, 0x100, v4
	s_cmp_eq_u32 s70, s6
	v_addc_co_u32_e32 v3, vcc, v57, v3, vcc
	s_cbranch_scc0 .LBB23_67
; %bb.68:                               ;   in Loop: Header=BB23_32 Depth=1
	s_mov_b32 s6, s70
	s_branch .LBB23_97
.LBB23_69:                              ;   in Loop: Header=BB23_32 Depth=1
	global_load_ushort v2, v13, s[48:49]
	s_mov_b32 s0, s77
	s_waitcnt vmcnt(0)
	v_readfirstlane_b32 s1, v2
	s_and_b32 s28, s1, 0xffff
	s_lshl_b32 s8, s28, 2
	s_mov_b32 s1, s57
	s_cmp_lg_u64 s[0:1], 0
	s_cbranch_scc0 .LBB23_92
; %bb.70:                               ;   in Loop: Header=BB23_32 Depth=1
	s_add_u32 s0, s8, 0
	s_addc_u32 s1, 0, 0
	s_xor_b64 s[0:1], s[0:1], 0
	v_cvt_f32_u32_e32 v2, s0
	v_cvt_f32_u32_e32 v3, s1
	s_sub_u32 s9, 0, s0
	s_subb_u32 s12, 0, s1
	v_mac_f32_e32 v2, 0x4f800000, v3
	v_rcp_f32_e32 v2, v2
	v_mul_f32_e32 v2, 0x5f7ffffc, v2
	v_mul_f32_e32 v3, 0x2f800000, v2
	v_trunc_f32_e32 v3, v3
	v_mac_f32_e32 v2, 0xcf800000, v3
	v_cvt_u32_f32_e32 v3, v3
	v_cvt_u32_f32_e32 v2, v2
	v_readfirstlane_b32 s13, v3
	v_readfirstlane_b32 s6, v2
	s_mul_i32 s7, s9, s13
	s_mul_hi_u32 s15, s9, s6
	s_mul_i32 s14, s12, s6
	s_add_i32 s7, s15, s7
	s_mul_i32 s16, s9, s6
	s_add_i32 s7, s7, s14
	s_mul_i32 s15, s6, s7
	s_mul_hi_u32 s17, s6, s16
	s_mul_hi_u32 s14, s6, s7
	s_add_u32 s15, s17, s15
	s_addc_u32 s14, 0, s14
	s_mul_hi_u32 s18, s13, s16
	s_mul_i32 s16, s13, s16
	s_add_u32 s15, s15, s16
	s_mul_hi_u32 s17, s13, s7
	s_addc_u32 s14, s14, s18
	s_addc_u32 s15, s17, 0
	s_mul_i32 s7, s13, s7
	s_add_u32 s7, s14, s7
	s_addc_u32 s14, 0, s15
	s_add_u32 s15, s6, s7
	s_cselect_b64 s[6:7], -1, 0
	s_cmp_lg_u64 s[6:7], 0
	s_addc_u32 s13, s13, s14
	s_mul_i32 s6, s9, s13
	s_mul_hi_u32 s7, s9, s15
	s_add_i32 s6, s7, s6
	s_mul_i32 s12, s12, s15
	s_add_i32 s6, s6, s12
	s_mul_i32 s9, s9, s15
	s_mul_hi_u32 s12, s13, s9
	s_mul_i32 s14, s13, s9
	s_mul_i32 s17, s15, s6
	s_mul_hi_u32 s9, s15, s9
	s_mul_hi_u32 s16, s15, s6
	s_add_u32 s9, s9, s17
	s_addc_u32 s16, 0, s16
	s_add_u32 s9, s9, s14
	s_mul_hi_u32 s7, s13, s6
	s_addc_u32 s9, s16, s12
	s_addc_u32 s7, s7, 0
	s_mul_i32 s6, s13, s6
	s_add_u32 s6, s9, s6
	s_addc_u32 s9, 0, s7
	s_add_u32 s14, s15, s6
	s_cselect_b64 s[6:7], -1, 0
	s_cmp_lg_u64 s[6:7], 0
	s_addc_u32 s9, s13, s9
	s_ashr_i32 s6, s57, 31
	s_add_u32 s12, s56, s6
	s_mov_b32 s7, s6
	s_addc_u32 s13, s57, s6
	s_xor_b64 s[12:13], s[12:13], s[6:7]
	s_mul_i32 s16, s12, s9
	s_mul_hi_u32 s17, s12, s14
	s_mul_hi_u32 s15, s12, s9
	s_add_u32 s16, s17, s16
	s_addc_u32 s15, 0, s15
	s_mul_hi_u32 s18, s13, s14
	s_mul_i32 s14, s13, s14
	s_add_u32 s14, s16, s14
	s_mul_hi_u32 s17, s13, s9
	s_addc_u32 s14, s15, s18
	s_addc_u32 s15, s17, 0
	s_mul_i32 s9, s13, s9
	s_add_u32 s9, s14, s9
	s_addc_u32 s14, 0, s15
	s_mul_i32 s14, s0, s14
	s_mul_hi_u32 s15, s0, s9
	s_add_i32 s14, s15, s14
	s_mul_i32 s15, s1, s9
	s_add_i32 s18, s14, s15
	s_sub_i32 s16, s13, s18
	s_mul_i32 s9, s0, s9
	s_sub_u32 s9, s12, s9
	s_cselect_b64 s[14:15], -1, 0
	s_cmp_lg_u64 s[14:15], 0
	s_subb_u32 s12, s16, s1
	s_sub_u32 s19, s9, s0
	s_cselect_b64 s[16:17], -1, 0
	s_cmp_lg_u64 s[16:17], 0
	s_subb_u32 s20, s12, 0
	s_cmp_ge_u32 s20, s1
	s_cselect_b32 s21, -1, 0
	s_cmp_ge_u32 s19, s0
	s_cselect_b32 s22, -1, 0
	s_cmp_eq_u32 s20, s1
	s_cselect_b32 s21, s22, s21
	s_cmp_lg_u64 s[16:17], 0
	s_subb_u32 s12, s12, s1
	s_sub_u32 s22, s19, s0
	s_cselect_b64 s[16:17], -1, 0
	s_cmp_lg_u64 s[16:17], 0
	s_subb_u32 s12, s12, 0
	s_cmp_lg_u32 s21, 0
	s_cselect_b32 s16, s22, s19
	s_cselect_b32 s12, s12, s20
	s_cmp_lg_u64 s[14:15], 0
	s_subb_u32 s13, s13, s18
	s_cmp_ge_u32 s13, s1
	s_cselect_b32 s14, -1, 0
	s_cmp_ge_u32 s9, s0
	s_cselect_b32 s0, -1, 0
	s_cmp_eq_u32 s13, s1
	s_cselect_b32 s0, s0, s14
	s_cmp_lg_u32 s0, 0
	s_cselect_b32 s1, s12, s13
	s_cselect_b32 s0, s16, s9
	s_xor_b64 s[0:1], s[0:1], s[6:7]
	s_sub_u32 s18, s0, s6
	s_subb_u32 s19, s1, s6
	s_cbranch_execnz .LBB23_72
.LBB23_71:                              ;   in Loop: Header=BB23_32 Depth=1
	v_cvt_f32_u32_e32 v2, s8
	s_sub_i32 s0, 0, s8
	v_rcp_iflag_f32_e32 v2, v2
	v_mul_f32_e32 v2, 0x4f7ffffe, v2
	v_cvt_u32_f32_e32 v2, v2
	v_readfirstlane_b32 s1, v2
	s_mul_i32 s0, s0, s1
	s_mul_hi_u32 s0, s1, s0
	s_add_i32 s1, s1, s0
	s_mul_hi_u32 s0, s56, s1
	s_mul_i32 s0, s0, s8
	s_sub_i32 s0, s56, s0
	s_sub_i32 s1, s0, s8
	s_cmp_ge_u32 s0, s8
	s_cselect_b32 s0, s1, s0
	s_sub_i32 s1, s0, s8
	s_cmp_ge_u32 s0, s8
	s_cselect_b32 s76, s1, s0
	s_mov_b64 s[18:19], s[76:77]
.LBB23_72:                              ;   in Loop: Header=BB23_32 Depth=1
	s_sub_u32 s20, s56, s18
	s_subb_u32 s21, s57, s19
	v_cmp_gt_i64_e32 vcc, s[20:21], v[14:15]
	v_mov_b32_e32 v2, 0
	v_mov_b32_e32 v4, 0
	;; [unrolled: 1-line block ×8, first 2 shown]
	s_and_saveexec_b64 s[22:23], vcc
	s_cbranch_execz .LBB23_76
; %bb.73:                               ;   in Loop: Header=BB23_32 Depth=1
	v_readlane_b32 s2, v58, 33
	v_readlane_b32 s3, v58, 34
	s_mul_i32 s0, s3, s28
	s_mul_hi_u32 s1, s2, s28
	v_mov_b32_e32 v32, v25
	v_mov_b32_e32 v34, v23
	;; [unrolled: 1-line block ×5, first 2 shown]
	s_mov_b64 s[46:47], s[42:43]
	s_add_i32 s0, s1, s0
	s_mul_i32 s1, s2, s28
	s_mov_b64 s[24:25], 0
	v_mov_b32_e32 v31, v24
	v_mov_b32_e32 v33, v22
	;; [unrolled: 1-line block ×4, first 2 shown]
	s_mov_b64 s[26:27], 0
	s_mov_b64 s[30:31], 0
	;; [unrolled: 1-line block ×4, first 2 shown]
	v_mov_b32_e32 v39, v14
.LBB23_74:                              ;   Parent Loop BB23_32 Depth=1
                                        ; =>  This Inner Loop Header: Depth=2
	v_add_co_u32_e32 v2, vcc, s78, v31
	v_mov_b32_e32 v4, s79
	v_addc_co_u32_e32 v3, vcc, v32, v4, vcc
	global_load_dword v5, v[2:3], off
	v_add_co_u32_e32 v2, vcc, s78, v33
	v_addc_co_u32_e32 v3, vcc, v34, v4, vcc
	global_load_dword v6, v[2:3], off
	v_add_co_u32_e32 v2, vcc, s78, v35
	;; [unrolled: 3-line block ×3, first 2 shown]
	v_addc_co_u32_e32 v3, vcc, v38, v4, vcc
	global_load_dword v2, v[2:3], off
	s_waitcnt vmcnt(3)
	v_xor_b32_e32 v3, 0x80000000, v5
	s_waitcnt vmcnt(2)
	v_xor_b32_e32 v4, 0x80000000, v6
	v_and_b32_e32 v6, v3, v53
	v_bfe_u32 v3, v3, s71, 2
	v_cmp_eq_u32_e32 vcc, v6, v50
	v_and_b32_e32 v6, v4, v53
	s_waitcnt vmcnt(1)
	v_xor_b32_e32 v5, 0x80000000, v7
	v_bfe_u32 v4, v4, s71, 2
	v_cmp_eq_u32_e64 s[16:17], 0, v3
	v_cmp_eq_u32_e64 s[6:7], v6, v50
	v_and_b32_e32 v6, v5, v53
	s_waitcnt vmcnt(0)
	v_xor_b32_e32 v2, 0x80000000, v2
	v_bfe_u32 v5, v5, s71, 2
	s_and_b64 s[38:39], vcc, s[16:17]
	v_cmp_eq_u32_e64 s[16:17], 0, v4
	v_cmp_eq_u32_e64 s[12:13], v6, v50
	v_and_b32_e32 v6, v2, v53
	v_bfe_u32 v2, v2, s71, 2
	s_and_b64 s[40:41], s[6:7], s[16:17]
	v_cmp_eq_u32_e64 s[16:17], 0, v5
	v_cmp_eq_u32_e64 s[14:15], v6, v50
	s_and_b64 s[42:43], s[12:13], s[16:17]
	v_cmp_eq_u32_e64 s[16:17], 0, v2
	v_cndmask_b32_e64 v6, 0, 1, s[38:39]
	s_and_b64 s[44:45], s[14:15], s[16:17]
	v_cmp_ne_u32_e64 s[16:17], 0, v6
	v_cndmask_b32_e64 v6, 0, 1, s[40:41]
	s_bcnt1_i32_b64 s9, s[16:17]
	v_cmp_ne_u32_e64 s[16:17], 0, v6
	v_cndmask_b32_e64 v6, 0, 1, s[42:43]
	s_bcnt1_i32_b64 s29, s[16:17]
	;; [unrolled: 3-line block ×3, first 2 shown]
	v_cmp_ne_u32_e64 s[16:17], 0, v6
	s_bcnt1_i32_b64 s16, s[16:17]
	s_add_u32 s9, s9, s36
	s_addc_u32 s17, 0, s37
	s_add_u32 s9, s9, s29
	s_addc_u32 s17, s17, 0
	;; [unrolled: 2-line block ×4, first 2 shown]
	v_cmp_eq_u32_e64 s[16:17], 1, v3
	s_and_b64 s[38:39], vcc, s[16:17]
	v_cmp_eq_u32_e64 s[16:17], 1, v4
	s_and_b64 s[40:41], s[6:7], s[16:17]
	v_cmp_eq_u32_e64 s[16:17], 1, v5
	s_and_b64 s[42:43], s[12:13], s[16:17]
	v_cmp_eq_u32_e64 s[16:17], 1, v2
	v_cndmask_b32_e64 v6, 0, 1, s[38:39]
	s_and_b64 s[44:45], s[14:15], s[16:17]
	v_cmp_ne_u32_e64 s[16:17], 0, v6
	v_cndmask_b32_e64 v6, 0, 1, s[40:41]
	s_bcnt1_i32_b64 s9, s[16:17]
	v_cmp_ne_u32_e64 s[16:17], 0, v6
	v_cndmask_b32_e64 v6, 0, 1, s[42:43]
	s_bcnt1_i32_b64 s29, s[16:17]
	;; [unrolled: 3-line block ×3, first 2 shown]
	v_cmp_ne_u32_e64 s[16:17], 0, v6
	s_bcnt1_i32_b64 s16, s[16:17]
	s_add_u32 s9, s9, s34
	s_addc_u32 s17, 0, s35
	s_add_u32 s9, s9, s29
	s_addc_u32 s17, s17, 0
	;; [unrolled: 2-line block ×4, first 2 shown]
	v_cmp_eq_u32_e64 s[16:17], 2, v3
	s_and_b64 s[38:39], vcc, s[16:17]
	v_cmp_eq_u32_e64 s[16:17], 2, v4
	s_and_b64 s[40:41], s[6:7], s[16:17]
	v_cmp_eq_u32_e64 s[16:17], 2, v5
	s_and_b64 s[42:43], s[12:13], s[16:17]
	v_cmp_eq_u32_e64 s[16:17], 2, v2
	v_cndmask_b32_e64 v6, 0, 1, s[38:39]
	s_and_b64 s[44:45], s[14:15], s[16:17]
	v_cmp_ne_u32_e64 s[16:17], 0, v6
	v_cndmask_b32_e64 v6, 0, 1, s[40:41]
	s_bcnt1_i32_b64 s9, s[16:17]
	v_cmp_ne_u32_e64 s[16:17], 0, v6
	v_cndmask_b32_e64 v6, 0, 1, s[42:43]
	s_bcnt1_i32_b64 s29, s[16:17]
	;; [unrolled: 3-line block ×3, first 2 shown]
	v_cmp_ne_u32_e64 s[16:17], 0, v6
	s_bcnt1_i32_b64 s16, s[16:17]
	s_add_u32 s9, s9, s30
	s_addc_u32 s17, 0, s31
	s_add_u32 s9, s9, s29
	s_addc_u32 s17, s17, 0
	;; [unrolled: 2-line block ×4, first 2 shown]
	v_cmp_eq_u32_e64 s[16:17], 3, v3
	s_and_b64 s[16:17], vcc, s[16:17]
	v_cmp_eq_u32_e32 vcc, 3, v4
	s_and_b64 s[6:7], s[6:7], vcc
	v_cmp_eq_u32_e32 vcc, 3, v5
	s_and_b64 s[12:13], s[12:13], vcc
	v_cmp_eq_u32_e32 vcc, 3, v2
	v_cndmask_b32_e64 v2, 0, 1, s[16:17]
	s_and_b64 s[14:15], s[14:15], vcc
	v_cmp_ne_u32_e32 vcc, 0, v2
	v_cndmask_b32_e64 v2, 0, 1, s[6:7]
	s_bcnt1_i32_b64 s9, vcc
	v_cmp_ne_u32_e32 vcc, 0, v2
	v_cndmask_b32_e64 v2, 0, 1, s[12:13]
	s_bcnt1_i32_b64 s6, vcc
	;; [unrolled: 3-line block ×3, first 2 shown]
	v_cmp_ne_u32_e32 vcc, 0, v2
	s_bcnt1_i32_b64 s12, vcc
	v_add_co_u32_e32 v39, vcc, s8, v39
	v_addc_co_u32_e32 v40, vcc, 0, v40, vcc
	v_add_co_u32_e32 v37, vcc, s1, v37
	v_mov_b32_e32 v2, s0
	v_addc_co_u32_e32 v38, vcc, v38, v2, vcc
	s_add_u32 s9, s9, s26
	v_add_co_u32_e32 v35, vcc, s1, v35
	s_addc_u32 s13, 0, s27
	v_addc_co_u32_e32 v36, vcc, v36, v2, vcc
	s_add_u32 s6, s9, s6
	v_add_co_u32_e32 v33, vcc, s1, v33
	s_addc_u32 s9, s13, 0
	;; [unrolled: 4-line block ×3, first 2 shown]
	v_addc_co_u32_e32 v32, vcc, v32, v2, vcc
	s_add_u32 s26, s6, s12
	v_cmp_le_i64_e32 vcc, s[20:21], v[39:40]
	s_addc_u32 s27, s7, 0
	v_mov_b32_e32 v2, s36
	v_mov_b32_e32 v4, s34
	;; [unrolled: 1-line block ×4, first 2 shown]
	s_or_b64 s[24:25], vcc, s[24:25]
	v_mov_b32_e32 v3, s37
	v_mov_b32_e32 v5, s35
	;; [unrolled: 1-line block ×4, first 2 shown]
	s_andn2_b64 exec, exec, s[24:25]
	s_cbranch_execnz .LBB23_74
; %bb.75:                               ;   in Loop: Header=BB23_32 Depth=1
	s_or_b64 exec, exec, s[24:25]
	s_mov_b64 s[42:43], s[46:47]
.LBB23_76:                              ;   in Loop: Header=BB23_32 Depth=1
	s_or_b64 exec, exec, s[22:23]
	v_mov_b32_e32 v12, s21
	v_add_co_u32_e32 v31, vcc, s20, v0
	v_addc_co_u32_e32 v32, vcc, 0, v12, vcc
	v_cmp_gt_i64_e32 vcc, s[56:57], v[31:32]
	s_and_saveexec_b64 s[0:1], vcc
	s_cbranch_execz .LBB23_82
; %bb.77:                               ;   in Loop: Header=BB23_32 Depth=1
	v_mul_lo_u32 v12, v32, s62
	v_mul_lo_u32 v27, v31, s63
	v_mad_u64_u32 v[33:34], s[6:7], v31, s62, 0
	v_readlane_b32 s6, v58, 18
	v_readlane_b32 s2, v58, 29
	v_add3_u32 v34, v34, v27, v12
	v_lshlrev_b64 v[33:34], 2, v[33:34]
	v_mov_b32_e32 v12, s6
	v_readlane_b32 s6, v58, 19
	v_add_co_u32_e32 v33, vcc, s6, v33
	v_addc_co_u32_e32 v34, vcc, v12, v34, vcc
	global_load_dword v12, v[33:34], off
	v_add_co_u32_e32 v27, vcc, s28, v48
	v_addc_co_u32_e32 v33, vcc, 0, v49, vcc
	v_mov_b32_e32 v34, s19
	v_subrev_co_u32_e32 v27, vcc, s18, v27
	v_subb_co_u32_e32 v33, vcc, v33, v34, vcc
	v_readlane_b32 s8, v58, 31
	v_readlane_b32 s3, v58, 30
	v_mul_lo_u32 v35, s8, v33
	v_mov_b32_e32 v34, s3
	v_readlane_b32 s9, v58, 32
	v_mov_b32_e32 v33, s2
	v_mul_lo_u32 v36, s9, v27
	v_mad_u64_u32 v[33:34], s[6:7], s8, v27, v[33:34]
	s_mul_i32 s6, s9, s28
	s_mul_hi_u32 s7, s8, s28
	v_add3_u32 v34, v36, v34, v35
	s_add_i32 s14, s7, s6
	s_mul_i32 s15, s8, s28
	s_mov_b64 s[8:9], 0
	s_branch .LBB23_79
.LBB23_78:                              ;   in Loop: Header=BB23_79 Depth=2
	s_or_b64 exec, exec, s[12:13]
	s_waitcnt vmcnt(0)
	v_xor_b32_e32 v12, 0x80000000, v12
	s_and_b64 s[6:7], exec, vcc
	v_and_b32_e32 v35, v12, v53
	v_bfe_u32 v12, v12, s71, 2
	s_or_b64 s[8:9], s[6:7], s[8:9]
	v_cmp_eq_u32_e32 vcc, v35, v50
	v_cmp_eq_u32_e64 s[6:7], 0, v12
	s_and_b64 s[6:7], vcc, s[6:7]
	v_cndmask_b32_e64 v35, 0, 1, s[6:7]
	v_cmp_ne_u32_e64 s[6:7], 0, v35
	s_bcnt1_i32_b64 s6, s[6:7]
	v_add_co_u32_e64 v2, s[6:7], s6, v2
	v_addc_co_u32_e64 v3, s[6:7], 0, v3, s[6:7]
	v_cmp_eq_u32_e64 s[6:7], 1, v12
	s_and_b64 s[6:7], vcc, s[6:7]
	v_cndmask_b32_e64 v35, 0, 1, s[6:7]
	v_cmp_ne_u32_e64 s[6:7], 0, v35
	s_bcnt1_i32_b64 s6, s[6:7]
	v_add_co_u32_e64 v4, s[6:7], s6, v4
	v_addc_co_u32_e64 v5, s[6:7], 0, v5, s[6:7]
	;; [unrolled: 7-line block ×3, first 2 shown]
	v_cmp_eq_u32_e64 s[6:7], 3, v12
	s_and_b64 s[6:7], vcc, s[6:7]
	v_cndmask_b32_e64 v12, 0, 1, s[6:7]
	v_cmp_ne_u32_e32 vcc, 0, v12
	s_bcnt1_i32_b64 s6, vcc
	v_add_co_u32_e32 v8, vcc, s6, v8
	v_addc_co_u32_e32 v9, vcc, 0, v9, vcc
	v_mov_b32_e32 v12, s14
	v_add_co_u32_e32 v33, vcc, s15, v33
	v_addc_co_u32_e32 v34, vcc, v34, v12, vcc
	v_mov_b32_e32 v12, v27
	s_andn2_b64 exec, exec, s[8:9]
	s_cbranch_execz .LBB23_81
.LBB23_79:                              ;   Parent Loop BB23_32 Depth=1
                                        ; =>  This Inner Loop Header: Depth=2
	v_add_co_u32_e32 v31, vcc, s28, v31
	v_addc_co_u32_e32 v32, vcc, 0, v32, vcc
	v_cmp_gt_i64_e64 s[6:7], s[56:57], v[31:32]
	v_cmp_le_i64_e32 vcc, s[56:57], v[31:32]
	v_mov_b32_e32 v27, 0
	s_and_saveexec_b64 s[12:13], s[6:7]
	s_cbranch_execz .LBB23_78
; %bb.80:                               ;   in Loop: Header=BB23_79 Depth=2
	global_load_dword v27, v[33:34], off
	s_branch .LBB23_78
.LBB23_81:                              ;   in Loop: Header=BB23_32 Depth=1
	s_or_b64 exec, exec, s[8:9]
.LBB23_82:                              ;   in Loop: Header=BB23_32 Depth=1
	s_or_b64 exec, exec, s[0:1]
	s_branch .LBB23_61
.LBB23_83:                              ;   in Loop: Header=BB23_32 Depth=1
	global_load_ushort v12, v13, s[48:49]
	v_mov_b32_e32 v6, 0
	v_mov_b32_e32 v7, 0
	s_waitcnt vmcnt(0)
	v_readfirstlane_b32 s0, v12
	s_and_b32 s6, 0xffff, s0
	s_lshl_b32 s59, s6, 2
	v_cvt_f32_u32_e32 v2, s59
	s_sub_i32 s0, 0, s59
	v_rcp_iflag_f32_e32 v4, v2
	v_mov_b32_e32 v2, 0
	v_mov_b32_e32 v3, 0
	v_mul_f32_e32 v4, 0x4f7ffffe, v4
	v_cvt_u32_f32_e32 v8, v4
	v_mov_b32_e32 v4, 0
	v_mov_b32_e32 v5, 0
	v_readfirstlane_b32 s1, v8
	s_mul_i32 s0, s0, s1
	s_mul_hi_u32 s0, s1, s0
	s_add_i32 s1, s1, s0
	s_mul_hi_u32 s0, s58, s1
	s_mul_i32 s1, s0, s59
	s_sub_i32 s1, s58, s1
	s_add_i32 s7, s0, 1
	s_sub_i32 s8, s1, s59
	s_cmp_ge_u32 s1, s59
	s_cselect_b32 s0, s7, s0
	s_cselect_b32 s1, s8, s1
	s_add_i32 s7, s0, 1
	s_cmp_ge_u32 s1, s59
	s_cselect_b32 s0, s7, s0
	s_mul_hi_u32 s1, s6, s0
	s_mul_i32 s0, s6, s0
	s_lshl_b64 s[8:9], s[0:1], 2
	v_cmp_gt_u64_e32 vcc, s[8:9], v[14:15]
	v_mov_b32_e32 v8, 0
	v_mov_b32_e32 v9, 0
	s_and_saveexec_b64 s[84:85], vcc
	s_cbranch_execz .LBB23_87
; %bb.84:                               ;   in Loop: Header=BB23_32 Depth=1
	v_mov_b32_e32 v32, v15
	s_mov_b64 s[10:11], s[42:43]
	s_mov_b32 s75, s53
	s_mov_b64 s[2:3], s[80:81]
	s_mov_b64 s[80:81], s[68:69]
	;; [unrolled: 1-line block ×5, first 2 shown]
	s_lshl_b32 s1, s6, 4
	s_mov_b64 s[28:29], 0
	v_mov_b32_e32 v27, v47
	s_mov_b64 s[72:73], 0
	s_mov_b64 s[82:83], 0
	;; [unrolled: 1-line block ×4, first 2 shown]
	v_mov_b32_e32 v31, v14
.LBB23_85:                              ;   Parent Loop BB23_32 Depth=1
                                        ; =>  This Inner Loop Header: Depth=2
	ds_read_b128 v[2:5], v27
	v_add_co_u32_e32 v31, vcc, s59, v31
	v_addc_co_u32_e32 v32, vcc, 0, v32, vcc
	s_waitcnt lgkmcnt(0)
	v_xor_b32_e32 v2, 0x80000000, v2
	v_xor_b32_e32 v3, 0x80000000, v3
	v_and_b32_e32 v6, v2, v53
	v_bfe_u32 v2, v2, s71, 2
	v_xor_b32_e32 v4, 0x80000000, v4
	v_and_b32_e32 v7, v3, v53
	v_bfe_u32 v3, v3, s71, 2
	v_cmp_eq_u32_e64 s[18:19], v6, v50
	v_cmp_eq_u32_e64 s[6:7], 0, v2
	v_xor_b32_e32 v5, 0x80000000, v5
	v_and_b32_e32 v8, v4, v53
	v_bfe_u32 v4, v4, s71, 2
	v_cmp_eq_u32_e64 s[16:17], v7, v50
	v_cmp_eq_u32_e64 s[30:31], 0, v3
	s_and_b64 s[6:7], s[18:19], s[6:7]
	v_and_b32_e32 v9, v5, v53
	v_bfe_u32 v5, v5, s71, 2
	v_cmp_eq_u32_e64 s[14:15], v8, v50
	v_cmp_eq_u32_e64 s[34:35], 0, v4
	;; [unrolled: 1-line block ×5, first 2 shown]
	v_cndmask_b32_e64 v2, 0, 1, s[6:7]
	s_and_b64 s[6:7], s[16:17], s[30:31]
	v_cmp_eq_u32_e64 s[12:13], v9, v50
	v_cmp_eq_u32_e64 s[36:37], 0, v5
	;; [unrolled: 1-line block ×5, first 2 shown]
	v_cndmask_b32_e64 v3, 0, 1, s[6:7]
	s_and_b64 s[6:7], s[14:15], s[34:35]
	v_cmp_eq_u32_e64 s[42:43], 1, v4
	v_cmp_eq_u32_e64 s[50:51], 2, v4
	;; [unrolled: 1-line block ×3, first 2 shown]
	v_cndmask_b32_e64 v4, 0, 1, s[6:7]
	s_and_b64 s[6:7], s[12:13], s[36:37]
	v_cmp_eq_u32_e64 s[44:45], 1, v5
	v_cmp_eq_u32_e64 s[52:53], 2, v5
	v_cmp_eq_u32_e64 s[20:21], 3, v5
	v_cndmask_b32_e64 v5, 0, 1, s[6:7]
	v_cmp_ne_u32_e64 s[6:7], 0, v2
	v_cmp_ne_u32_e64 s[30:31], 0, v3
	v_cmp_ne_u32_e64 s[34:35], 0, v4
	v_cmp_ne_u32_e64 s[36:37], 0, v5
	s_bcnt1_i32_b64 s6, s[6:7]
	s_bcnt1_i32_b64 s7, s[30:31]
	s_bcnt1_i32_b64 s30, s[34:35]
	s_bcnt1_i32_b64 s31, s[36:37]
	s_add_u32 s6, s6, s86
	s_addc_u32 s34, 0, s87
	s_add_u32 s6, s6, s7
	s_addc_u32 s7, s34, 0
	s_add_u32 s6, s6, s30
	s_addc_u32 s7, s7, 0
	s_add_u32 s86, s6, s31
	s_addc_u32 s87, s7, 0
	s_and_b64 s[6:7], s[18:19], s[38:39]
	v_cndmask_b32_e64 v4, 0, 1, s[6:7]
	s_and_b64 s[6:7], s[16:17], s[40:41]
	v_cndmask_b32_e64 v5, 0, 1, s[6:7]
	s_and_b64 s[6:7], s[14:15], s[42:43]
	v_cndmask_b32_e64 v6, 0, 1, s[6:7]
	s_and_b64 s[6:7], s[12:13], s[44:45]
	v_cndmask_b32_e64 v7, 0, 1, s[6:7]
	v_cmp_ne_u32_e64 s[6:7], 0, v4
	v_cmp_ne_u32_e64 s[30:31], 0, v5
	v_cmp_ne_u32_e64 s[34:35], 0, v6
	v_cmp_ne_u32_e64 s[36:37], 0, v7
	s_bcnt1_i32_b64 s6, s[6:7]
	s_bcnt1_i32_b64 s7, s[30:31]
	s_bcnt1_i32_b64 s30, s[34:35]
	s_bcnt1_i32_b64 s31, s[36:37]
	s_add_u32 s6, s6, s88
	s_addc_u32 s34, 0, s89
	s_add_u32 s6, s6, s7
	s_addc_u32 s7, s34, 0
	s_add_u32 s6, s6, s30
	s_addc_u32 s7, s7, 0
	s_add_u32 s88, s6, s31
	s_addc_u32 s89, s7, 0
	s_and_b64 s[6:7], s[18:19], s[46:47]
	v_cndmask_b32_e64 v6, 0, 1, s[6:7]
	s_and_b64 s[6:7], s[16:17], s[48:49]
	v_cndmask_b32_e64 v7, 0, 1, s[6:7]
	s_and_b64 s[6:7], s[14:15], s[50:51]
	v_cndmask_b32_e64 v8, 0, 1, s[6:7]
	s_and_b64 s[6:7], s[12:13], s[52:53]
	v_cndmask_b32_e64 v9, 0, 1, s[6:7]
	v_cmp_ne_u32_e64 s[6:7], 0, v6
	v_cmp_ne_u32_e64 s[30:31], 0, v7
	v_cmp_ne_u32_e64 s[34:35], 0, v8
	v_cmp_ne_u32_e64 s[36:37], 0, v9
	s_bcnt1_i32_b64 s6, s[6:7]
	s_bcnt1_i32_b64 s7, s[30:31]
	s_bcnt1_i32_b64 s30, s[34:35]
	s_bcnt1_i32_b64 s31, s[36:37]
	s_add_u32 s6, s6, s82
	s_addc_u32 s34, 0, s83
	s_add_u32 s6, s6, s7
	s_addc_u32 s7, s34, 0
	s_add_u32 s6, s6, s30
	s_addc_u32 s7, s7, 0
	s_add_u32 s82, s6, s31
	s_addc_u32 s83, s7, 0
	s_and_b64 s[6:7], s[18:19], s[26:27]
	v_cndmask_b32_e64 v8, 0, 1, s[6:7]
	s_and_b64 s[6:7], s[16:17], s[24:25]
	v_cndmask_b32_e64 v9, 0, 1, s[6:7]
	s_and_b64 s[6:7], s[14:15], s[22:23]
	v_cndmask_b32_e64 v33, 0, 1, s[6:7]
	s_and_b64 s[6:7], s[12:13], s[20:21]
	v_cndmask_b32_e64 v34, 0, 1, s[6:7]
	v_cmp_ne_u32_e64 s[6:7], 0, v8
	v_cmp_ne_u32_e64 s[12:13], 0, v9
	v_cmp_ne_u32_e64 s[14:15], 0, v33
	v_cmp_ne_u32_e64 s[16:17], 0, v34
	s_bcnt1_i32_b64 s6, s[6:7]
	s_bcnt1_i32_b64 s7, s[12:13]
	;; [unrolled: 1-line block ×4, first 2 shown]
	s_add_u32 s6, s6, s72
	s_addc_u32 s14, 0, s73
	s_add_u32 s6, s6, s7
	s_addc_u32 s7, s14, 0
	;; [unrolled: 2-line block ×3, first 2 shown]
	v_cmp_le_u64_e32 vcc, s[8:9], v[31:32]
	s_add_u32 s72, s6, s13
	v_mov_b32_e32 v2, s86
	v_mov_b32_e32 v4, s88
	;; [unrolled: 1-line block ×3, first 2 shown]
	s_addc_u32 s73, s7, 0
	v_mov_b32_e32 v8, s72
	v_add_u32_e32 v27, s1, v27
	v_mov_b32_e32 v3, s87
	v_mov_b32_e32 v5, s89
	;; [unrolled: 1-line block ×3, first 2 shown]
	s_or_b64 s[28:29], vcc, s[28:29]
	v_mov_b32_e32 v9, s73
	s_andn2_b64 exec, exec, s[28:29]
	s_cbranch_execnz .LBB23_85
; %bb.86:                               ;   in Loop: Header=BB23_32 Depth=1
	s_or_b64 exec, exec, s[28:29]
	v_readlane_b32 s48, v58, 36
	s_mov_b64 s[82:83], s[4:5]
	s_mov_b64 s[4:5], s[60:61]
	;; [unrolled: 1-line block ×5, first 2 shown]
	v_readlane_b32 s73, v58, 35
	s_mov_b32 s53, s75
	v_readlane_b32 s49, v58, 37
	s_mov_b32 s52, s74
	s_mov_b64 s[42:43], s[10:11]
.LBB23_87:                              ;   in Loop: Header=BB23_32 Depth=1
	s_or_b64 exec, exec, s[84:85]
	v_mov_b32_e32 v27, s9
	v_add_co_u32_e32 v31, vcc, s8, v0
	s_and_b32 s76, s58, 0x7fffffff
	v_addc_co_u32_e32 v32, vcc, 0, v27, vcc
	v_cmp_gt_u64_e32 vcc, s[76:77], v[31:32]
	s_and_saveexec_b64 s[8:9], vcc
	s_cbranch_execz .LBB23_91
; %bb.88:                               ;   in Loop: Header=BB23_32 Depth=1
	v_lshl_add_u32 v27, s0, 4, v14
	s_mov_b64 s[0:1], 0
.LBB23_89:                              ;   Parent Loop BB23_32 Depth=1
                                        ; =>  This Inner Loop Header: Depth=2
	ds_read_b32 v33, v27
	v_add_co_u32_sdwa v31, vcc, v31, v12 dst_sel:DWORD dst_unused:UNUSED_PAD src0_sel:DWORD src1_sel:WORD_0
	v_addc_co_u32_e32 v32, vcc, 0, v32, vcc
	s_waitcnt lgkmcnt(0)
	v_xor_b32_e32 v33, 0x80000000, v33
	v_and_b32_e32 v34, v33, v53
	v_bfe_u32 v33, v33, s71, 2
	v_cmp_eq_u32_e64 s[6:7], v34, v50
	v_cmp_eq_u32_e64 s[12:13], 0, v33
	;; [unrolled: 1-line block ×3, first 2 shown]
	s_and_b64 s[12:13], s[6:7], s[12:13]
	v_cmp_eq_u32_e64 s[16:17], 2, v33
	v_cmp_eq_u32_e64 s[18:19], 3, v33
	v_cndmask_b32_e64 v33, 0, 1, s[12:13]
	s_and_b64 s[12:13], s[6:7], s[14:15]
	v_cndmask_b32_e64 v34, 0, 1, s[12:13]
	s_and_b64 s[12:13], s[6:7], s[16:17]
	s_and_b64 s[6:7], s[6:7], s[18:19]
	v_cndmask_b32_e64 v35, 0, 1, s[12:13]
	v_cndmask_b32_e64 v36, 0, 1, s[6:7]
	v_cmp_le_u64_e32 vcc, s[76:77], v[31:32]
	v_cmp_ne_u32_e64 s[6:7], 0, v33
	v_cmp_ne_u32_e64 s[12:13], 0, v34
	;; [unrolled: 1-line block ×4, first 2 shown]
	s_bcnt1_i32_b64 s6, s[6:7]
	s_bcnt1_i32_b64 s7, s[12:13]
	;; [unrolled: 1-line block ×4, first 2 shown]
	s_or_b64 s[0:1], vcc, s[0:1]
	v_add_co_u32_e32 v2, vcc, s6, v2
	v_addc_co_u32_e32 v3, vcc, 0, v3, vcc
	v_add_co_u32_e32 v4, vcc, s7, v4
	v_addc_co_u32_e32 v5, vcc, 0, v5, vcc
	;; [unrolled: 2-line block ×3, first 2 shown]
	v_add_co_u32_e32 v8, vcc, s13, v8
	v_add_u32_e32 v27, s59, v27
	v_addc_co_u32_e32 v9, vcc, 0, v9, vcc
	s_andn2_b64 exec, exec, s[0:1]
	s_cbranch_execnz .LBB23_89
; %bb.90:                               ;   in Loop: Header=BB23_32 Depth=1
	s_or_b64 exec, exec, s[0:1]
.LBB23_91:                              ;   in Loop: Header=BB23_32 Depth=1
	s_or_b64 exec, exec, s[8:9]
	v_lshlrev_b32_e32 v12, 6, v52
	s_and_saveexec_b64 s[0:1], s[4:5]
	s_mov_b64 s[58:59], s[90:91]
	s_cbranch_execnz .LBB23_62
	s_branch .LBB23_63
.LBB23_92:                              ;   in Loop: Header=BB23_32 Depth=1
                                        ; implicit-def: $sgpr18_sgpr19
	s_branch .LBB23_71
.LBB23_93:                              ;   in Loop: Header=BB23_32 Depth=1
	s_or_b64 exec, exec, s[8:9]
	s_waitcnt lgkmcnt(0)
	s_barrier
	s_mov_b64 s[6:7], exec
	v_readlane_b32 s8, v58, 14
	v_readlane_b32 s9, v58, 15
	s_and_b64 s[8:9], s[6:7], s[8:9]
	s_mov_b64 exec, s[8:9]
	s_cbranch_execz .LBB23_95
; %bb.94:                               ;   in Loop: Header=BB23_32 Depth=1
	ds_read_b32 v2, v13 offset:5136
	s_waitcnt lgkmcnt(0)
	v_ashrrev_i32_e32 v3, 31, v2
	ds_write_b64 v13, v[2:3] offset:5120
.LBB23_95:                              ;   in Loop: Header=BB23_32 Depth=1
	s_or_b64 exec, exec, s[6:7]
	s_waitcnt lgkmcnt(0)
	s_barrier
	s_mov_b64 s[6:7], -1
	s_and_b64 vcc, exec, s[0:1]
	s_cbranch_vccnz .LBB23_48
	s_branch .LBB23_57
.LBB23_96:                              ;   in Loop: Header=BB23_32 Depth=1
	v_mov_b32_e32 v2, 0
	v_mov_b32_e32 v3, 0
	s_mov_b32 s6, 0
.LBB23_97:                              ;   in Loop: Header=BB23_32 Depth=1
	v_readlane_b32 s2, v58, 27
	v_readlane_b32 s3, v58, 28
	s_andn2_b64 vcc, exec, s[2:3]
	s_cbranch_vccnz .LBB23_100
; %bb.98:                               ;   in Loop: Header=BB23_32 Depth=1
	v_lshlrev_b32_e32 v4, 9, v52
	s_lshl_b32 s6, s6, 5
	v_add_u32_e32 v4, s6, v4
	v_add_u32_e32 v4, v51, v4
	v_readlane_b32 s6, v58, 26
.LBB23_99:                              ;   Parent Loop BB23_32 Depth=1
                                        ; =>  This Inner Loop Header: Depth=2
	ds_read_b64 v[5:6], v4
	s_add_i32 s6, s6, -1
	v_add_u32_e32 v4, 32, v4
	s_cmp_lg_u32 s6, 0
	s_waitcnt lgkmcnt(0)
	v_add_co_u32_e32 v2, vcc, v5, v2
	v_addc_co_u32_e32 v3, vcc, v6, v3, vcc
	s_cbranch_scc1 .LBB23_99
.LBB23_100:                             ;   in Loop: Header=BB23_32 Depth=1
	v_add_lshl_u32 v4, v12, v41, 3
	ds_write_b64 v4, v[2:3] offset:3072
.LBB23_101:                             ;   in Loop: Header=BB23_32 Depth=1
	s_or_b64 exec, exec, s[0:1]
	v_lshlrev_b32_e32 v2, 3, v12
	s_waitcnt lgkmcnt(0)
	s_barrier
	ds_read_b128 v[6:9], v2 offset:3088
	ds_read_b128 v[2:5], v2 offset:3072
	v_cmp_eq_u64_e64 s[6:7], 1, v[29:30]
	s_lshl_b32 s72, 3, s71
	s_not_b32 s50, s72
	s_waitcnt lgkmcnt(1)
	v_readfirstlane_b32 s20, v6
	s_waitcnt lgkmcnt(0)
	v_cmp_eq_u64_e32 vcc, 1, v[2:3]
	v_readfirstlane_b32 s21, v7
	v_readfirstlane_b32 s12, v8
	;; [unrolled: 1-line block ×3, first 2 shown]
	s_and_b64 s[16:17], vcc, s[6:7]
	s_mov_b64 s[6:7], -1
	s_mov_b64 s[8:9], -1
                                        ; implicit-def: $sgpr22_sgpr23
                                        ; implicit-def: $sgpr0_sgpr1
	s_and_saveexec_b64 s[14:15], s[16:17]
	s_cbranch_execz .LBB23_133
; %bb.102:                              ;   in Loop: Header=BB23_32 Depth=1
	ds_read_b64 v[6:7], v13 offset:5120
	s_waitcnt lgkmcnt(0)
	s_barrier
	v_readfirstlane_b32 s18, v6
	v_readfirstlane_b32 s19, v7
	s_and_saveexec_b64 s[0:1], s[60:61]
; %bb.103:                              ;   in Loop: Header=BB23_32 Depth=1
	ds_write_b32 v42, v13
; %bb.104:                              ;   in Loop: Header=BB23_32 Depth=1
	s_or_b64 exec, exec, s[0:1]
	v_cmp_lt_i64_e64 s[8:9], s[18:19], 1
	v_and_b32_e32 v50, s50, v50
	v_or_b32_e32 v53, s72, v53
	s_mov_b64 s[0:1], -1
	s_mov_b64 s[22:23], 0
	s_and_b64 vcc, exec, s[8:9]
	s_mov_b64 s[8:9], 0
	s_mov_b64 s[24:25], -1
	s_waitcnt lgkmcnt(0)
	s_barrier
                                        ; implicit-def: $vgpr28
	s_cbranch_vccz .LBB23_118
; %bb.105:                              ;   in Loop: Header=BB23_32 Depth=1
	s_mov_b32 s52, s77
	s_cmp_lg_u64 s[52:53], 0
	s_cbranch_scc0 .LBB23_159
; %bb.106:                              ;   in Loop: Header=BB23_32 Depth=1
	s_add_u32 s8, s33, 0
	s_addc_u32 s9, 0, 0
	s_xor_b64 s[8:9], s[8:9], 0
	v_cvt_f32_u32_e32 v6, s8
	v_cvt_f32_u32_e32 v7, s9
	s_sub_u32 s26, 0, s8
	s_subb_u32 s27, 0, s9
	v_mac_f32_e32 v6, 0x4f800000, v7
	v_rcp_f32_e32 v6, v6
	v_mul_f32_e32 v6, 0x5f7ffffc, v6
	v_mul_f32_e32 v7, 0x2f800000, v6
	v_trunc_f32_e32 v7, v7
	v_mac_f32_e32 v6, 0xcf800000, v7
	v_cvt_u32_f32_e32 v7, v7
	v_cvt_u32_f32_e32 v6, v6
	v_readfirstlane_b32 s28, v7
	v_readfirstlane_b32 s24, v6
	s_mul_i32 s25, s26, s28
	s_mul_hi_u32 s30, s26, s24
	s_mul_i32 s29, s27, s24
	s_add_i32 s25, s30, s25
	s_mul_i32 s31, s26, s24
	s_add_i32 s25, s25, s29
	s_mul_i32 s30, s24, s25
	s_mul_hi_u32 s34, s24, s31
	s_mul_hi_u32 s29, s24, s25
	s_add_u32 s30, s34, s30
	s_addc_u32 s29, 0, s29
	s_mul_hi_u32 s35, s28, s31
	s_mul_i32 s31, s28, s31
	s_add_u32 s30, s30, s31
	s_mul_hi_u32 s34, s28, s25
	s_addc_u32 s29, s29, s35
	s_addc_u32 s30, s34, 0
	s_mul_i32 s25, s28, s25
	s_add_u32 s25, s29, s25
	s_addc_u32 s29, 0, s30
	s_add_u32 s30, s24, s25
	s_cselect_b64 s[24:25], -1, 0
	s_cmp_lg_u64 s[24:25], 0
	s_addc_u32 s28, s28, s29
	s_mul_i32 s24, s26, s28
	s_mul_hi_u32 s25, s26, s30
	s_add_i32 s24, s25, s24
	s_mul_i32 s27, s27, s30
	s_add_i32 s24, s24, s27
	s_mul_i32 s26, s26, s30
	s_mul_hi_u32 s27, s28, s26
	s_mul_i32 s29, s28, s26
	s_mul_i32 s34, s30, s24
	s_mul_hi_u32 s26, s30, s26
	s_mul_hi_u32 s31, s30, s24
	s_add_u32 s26, s26, s34
	s_addc_u32 s31, 0, s31
	s_add_u32 s26, s26, s29
	s_mul_hi_u32 s25, s28, s24
	s_addc_u32 s26, s31, s27
	s_addc_u32 s25, s25, 0
	s_mul_i32 s24, s28, s24
	s_add_u32 s24, s26, s24
	s_addc_u32 s26, 0, s25
	s_add_u32 s29, s30, s24
	s_cselect_b64 s[24:25], -1, 0
	s_cmp_lg_u64 s[24:25], 0
	s_addc_u32 s28, s28, s26
	s_ashr_i32 s24, s53, 31
	s_add_u32 s26, s73, s24
	s_mov_b32 s25, s24
	s_addc_u32 s27, s53, s24
	s_xor_b64 s[26:27], s[26:27], s[24:25]
	s_mul_i32 s31, s26, s28
	s_mul_hi_u32 s34, s26, s29
	s_mul_hi_u32 s30, s26, s28
	s_add_u32 s31, s34, s31
	s_addc_u32 s30, 0, s30
	s_mul_hi_u32 s35, s27, s29
	s_mul_i32 s29, s27, s29
	s_add_u32 s29, s31, s29
	s_mul_hi_u32 s34, s27, s28
	s_addc_u32 s29, s30, s35
	s_addc_u32 s30, s34, 0
	s_mul_i32 s28, s27, s28
	s_add_u32 s28, s29, s28
	s_addc_u32 s29, 0, s30
	s_mul_i32 s29, s8, s29
	s_mul_hi_u32 s30, s8, s28
	s_add_i32 s29, s30, s29
	s_mul_i32 s30, s9, s28
	s_add_i32 s34, s29, s30
	s_sub_i32 s30, s27, s34
	s_mul_i32 s28, s8, s28
	s_sub_u32 s26, s26, s28
	s_cselect_b64 s[28:29], -1, 0
	s_cmp_lg_u64 s[28:29], 0
	s_subb_u32 s35, s30, s9
	s_sub_u32 s36, s26, s8
	s_cselect_b64 s[30:31], -1, 0
	s_cmp_lg_u64 s[30:31], 0
	s_subb_u32 s37, s35, 0
	s_cmp_ge_u32 s37, s9
	s_cselect_b32 s38, -1, 0
	s_cmp_ge_u32 s36, s8
	s_cselect_b32 s39, -1, 0
	s_cmp_eq_u32 s37, s9
	s_cselect_b32 s38, s39, s38
	s_cmp_lg_u64 s[30:31], 0
	s_subb_u32 s35, s35, s9
	s_sub_u32 s39, s36, s8
	s_cselect_b64 s[30:31], -1, 0
	s_cmp_lg_u64 s[30:31], 0
	s_subb_u32 s30, s35, 0
	s_cmp_lg_u32 s38, 0
	s_cselect_b32 s31, s39, s36
	s_cselect_b32 s30, s30, s37
	s_cmp_lg_u64 s[28:29], 0
	s_subb_u32 s27, s27, s34
	s_cmp_ge_u32 s27, s9
	s_cselect_b32 s28, -1, 0
	s_cmp_ge_u32 s26, s8
	s_cselect_b32 s8, -1, 0
	s_cmp_eq_u32 s27, s9
	s_cselect_b32 s8, s8, s28
	s_cmp_lg_u32 s8, 0
	s_cselect_b32 s9, s30, s27
	s_cselect_b32 s8, s31, s26
	s_xor_b64 s[8:9], s[8:9], s[24:25]
	s_sub_u32 s8, s8, s24
	s_subb_u32 s9, s9, s24
	s_mov_b32 s52, s74
	s_cbranch_execnz .LBB23_108
.LBB23_107:                             ;   in Loop: Header=BB23_32 Depth=1
	v_cvt_f32_u32_e32 v6, s33
	s_sub_i32 s8, 0, s33
	v_rcp_iflag_f32_e32 v6, v6
	v_mul_f32_e32 v6, 0x4f7ffffe, v6
	v_cvt_u32_f32_e32 v6, v6
	v_readfirstlane_b32 s9, v6
	s_mul_i32 s8, s8, s9
	s_mul_hi_u32 s8, s9, s8
	s_add_i32 s9, s9, s8
	s_mul_hi_u32 s8, s73, s9
	s_mul_i32 s8, s8, s33
	s_sub_i32 s8, s73, s8
	s_sub_i32 s9, s8, s33
	s_cmp_ge_u32 s8, s33
	s_cselect_b32 s8, s9, s8
	s_sub_i32 s9, s8, s33
	s_cmp_ge_u32 s8, s33
	s_cselect_b32 s76, s9, s8
	s_mov_b64 s[8:9], s[76:77]
.LBB23_108:                             ;   in Loop: Header=BB23_32 Depth=1
	s_sub_u32 s28, s73, s8
	s_subb_u32 s29, s53, s9
	v_cmp_gt_i64_e32 vcc, s[28:29], v[0:1]
	s_mov_b64 s[24:25], 0
	s_mov_b64 s[8:9], 0
                                        ; implicit-def: $vgpr28
	s_and_saveexec_b64 s[26:27], vcc
	s_cbranch_execz .LBB23_117
; %bb.109:                              ;   in Loop: Header=BB23_32 Depth=1
	v_mov_b32_e32 v6, v10
	v_mov_b32_e32 v9, v1
	v_mov_b32_e32 v7, v11
	v_mov_b32_e32 v8, v0
                                        ; implicit-def: $sgpr30_sgpr31
	s_branch .LBB23_112
.LBB23_110:                             ;   in Loop: Header=BB23_112 Depth=2
	s_or_b64 exec, exec, s[34:35]
	s_waitcnt lgkmcnt(0)
	s_barrier
	ds_read_b64 v[27:28], v13 offset:3072
	s_mov_b64 s[34:35], -1
	s_mov_b64 s[36:37], -1
	s_waitcnt lgkmcnt(0)
	s_barrier
	v_cmp_ne_u32_e32 vcc, 0, v27
	s_cbranch_vccz .LBB23_115
.LBB23_111:                             ;   in Loop: Header=BB23_112 Depth=2
	s_and_b64 s[34:35], exec, s[34:35]
	s_or_b64 s[8:9], s[34:35], s[8:9]
	s_andn2_b64 s[30:31], s[30:31], exec
	s_and_b64 s[34:35], s[36:37], exec
	s_or_b64 s[30:31], s[30:31], s[34:35]
	s_andn2_b64 exec, exec, s[8:9]
	s_cbranch_execz .LBB23_116
.LBB23_112:                             ;   Parent Loop BB23_32 Depth=1
                                        ; =>  This Inner Loop Header: Depth=2
	v_cmp_gt_i64_e32 vcc, s[56:57], v[8:9]
	s_and_saveexec_b64 s[34:35], vcc
	s_cbranch_execz .LBB23_110
; %bb.113:                              ;   in Loop: Header=BB23_112 Depth=2
	global_load_dword v27, v[6:7], off
	s_waitcnt vmcnt(0)
	v_xor_b32_e32 v12, 0x80000000, v27
	v_and_b32_e32 v12, v12, v53
	v_cmp_eq_u32_e32 vcc, v12, v50
	s_and_b64 exec, exec, vcc
	s_cbranch_execz .LBB23_110
; %bb.114:                              ;   in Loop: Header=BB23_112 Depth=2
	ds_write_b64 v13, v[26:27] offset:3072
	s_branch .LBB23_110
.LBB23_115:                             ;   in Loop: Header=BB23_112 Depth=2
	v_add_co_u32_e32 v8, vcc, s33, v8
	v_addc_co_u32_e32 v9, vcc, 0, v9, vcc
	v_mov_b32_e32 v12, s81
	v_add_co_u32_e32 v6, vcc, s80, v6
	v_addc_co_u32_e32 v7, vcc, v7, v12, vcc
	v_cmp_le_i64_e32 vcc, s[28:29], v[8:9]
	s_mov_b64 s[36:37], 0
	s_orn2_b64 s[34:35], vcc, exec
	s_branch .LBB23_111
.LBB23_116:                             ;   in Loop: Header=BB23_32 Depth=1
	s_or_b64 exec, exec, s[8:9]
	s_and_b64 s[8:9], s[30:31], exec
.LBB23_117:                             ;   in Loop: Header=BB23_32 Depth=1
	s_or_b64 exec, exec, s[26:27]
.LBB23_118:                             ;   in Loop: Header=BB23_32 Depth=1
	s_and_b64 vcc, exec, s[24:25]
	s_cbranch_vccz .LBB23_132
; %bb.119:                              ;   in Loop: Header=BB23_32 Depth=1
	v_readlane_b32 s0, v58, 22
	s_add_u32 s26, s18, s0
	v_readlane_b32 s0, v58, 23
	s_addc_u32 s1, s19, s0
	s_mov_b32 s0, s77
	s_cmp_lg_u64 s[0:1], 0
	s_cbranch_scc0 .LBB23_160
; %bb.120:                              ;   in Loop: Header=BB23_32 Depth=1
	s_add_u32 s22, s33, 0
	s_addc_u32 s23, 0, 0
	s_xor_b64 s[22:23], s[22:23], 0
	v_cvt_f32_u32_e32 v6, s22
	v_cvt_f32_u32_e32 v7, s23
	s_sub_u32 s0, 0, s22
	s_subb_u32 s27, 0, s23
	v_mac_f32_e32 v6, 0x4f800000, v7
	v_rcp_f32_e32 v6, v6
	v_mul_f32_e32 v6, 0x5f7ffffc, v6
	v_mul_f32_e32 v7, 0x2f800000, v6
	v_trunc_f32_e32 v7, v7
	v_mac_f32_e32 v6, 0xcf800000, v7
	v_cvt_u32_f32_e32 v7, v7
	v_cvt_u32_f32_e32 v6, v6
	v_readfirstlane_b32 s28, v7
	v_readfirstlane_b32 s24, v6
	s_mul_i32 s25, s0, s28
	s_mul_hi_u32 s30, s0, s24
	s_mul_i32 s29, s27, s24
	s_add_i32 s25, s30, s25
	s_mul_i32 s31, s0, s24
	s_add_i32 s25, s25, s29
	s_mul_i32 s30, s24, s25
	s_mul_hi_u32 s34, s24, s31
	s_mul_hi_u32 s29, s24, s25
	s_add_u32 s30, s34, s30
	s_addc_u32 s29, 0, s29
	s_mul_hi_u32 s35, s28, s31
	s_mul_i32 s31, s28, s31
	s_add_u32 s30, s30, s31
	s_mul_hi_u32 s34, s28, s25
	s_addc_u32 s29, s29, s35
	s_addc_u32 s30, s34, 0
	s_mul_i32 s25, s28, s25
	s_add_u32 s25, s29, s25
	s_addc_u32 s29, 0, s30
	s_add_u32 s30, s24, s25
	s_cselect_b64 s[24:25], -1, 0
	s_cmp_lg_u64 s[24:25], 0
	s_addc_u32 s28, s28, s29
	s_mul_i32 s24, s0, s28
	s_mul_hi_u32 s25, s0, s30
	s_add_i32 s24, s25, s24
	s_mul_i32 s27, s27, s30
	s_add_i32 s24, s24, s27
	s_mul_i32 s0, s0, s30
	s_mul_hi_u32 s27, s28, s0
	s_mul_i32 s29, s28, s0
	s_mul_i32 s34, s30, s24
	s_mul_hi_u32 s0, s30, s0
	s_mul_hi_u32 s31, s30, s24
	s_add_u32 s0, s0, s34
	s_addc_u32 s31, 0, s31
	s_add_u32 s0, s0, s29
	s_mul_hi_u32 s25, s28, s24
	s_addc_u32 s0, s31, s27
	s_addc_u32 s25, s25, 0
	s_mul_i32 s24, s28, s24
	s_add_u32 s0, s0, s24
	s_addc_u32 s27, 0, s25
	s_add_u32 s0, s30, s0
	s_cselect_b64 s[24:25], -1, 0
	s_cmp_lg_u64 s[24:25], 0
	s_addc_u32 s27, s28, s27
	s_ashr_i32 s24, s1, 31
	s_add_u32 s28, s26, s24
	s_mov_b32 s25, s24
	s_addc_u32 s29, s1, s24
	s_xor_b64 s[28:29], s[28:29], s[24:25]
	s_mul_i32 s31, s28, s27
	s_mul_hi_u32 s34, s28, s0
	s_mul_hi_u32 s30, s28, s27
	s_add_u32 s31, s34, s31
	s_addc_u32 s30, 0, s30
	s_mul_hi_u32 s35, s29, s0
	s_mul_i32 s0, s29, s0
	s_add_u32 s0, s31, s0
	s_mul_hi_u32 s34, s29, s27
	s_addc_u32 s0, s30, s35
	s_addc_u32 s30, s34, 0
	s_mul_i32 s27, s29, s27
	s_add_u32 s0, s0, s27
	s_addc_u32 s27, 0, s30
	s_mul_i32 s27, s22, s27
	s_mul_hi_u32 s30, s22, s0
	s_add_i32 s27, s30, s27
	s_mul_i32 s30, s23, s0
	s_add_i32 s27, s27, s30
	s_sub_i32 s34, s29, s27
	s_mul_i32 s0, s22, s0
	s_sub_u32 s0, s28, s0
	s_cselect_b64 s[30:31], -1, 0
	s_cmp_lg_u64 s[30:31], 0
	s_subb_u32 s28, s34, s23
	s_sub_u32 s36, s0, s22
	s_cselect_b64 s[34:35], -1, 0
	s_cmp_lg_u64 s[34:35], 0
	s_subb_u32 s37, s28, 0
	s_cmp_ge_u32 s37, s23
	s_cselect_b32 s38, -1, 0
	s_cmp_ge_u32 s36, s22
	s_cselect_b32 s39, -1, 0
	s_cmp_eq_u32 s37, s23
	s_cselect_b32 s38, s39, s38
	s_cmp_lg_u64 s[34:35], 0
	s_subb_u32 s28, s28, s23
	s_sub_u32 s39, s36, s22
	s_cselect_b64 s[34:35], -1, 0
	s_cmp_lg_u64 s[34:35], 0
	s_subb_u32 s28, s28, 0
	s_cmp_lg_u32 s38, 0
	s_cselect_b32 s34, s39, s36
	s_cselect_b32 s28, s28, s37
	s_cmp_lg_u64 s[30:31], 0
	s_subb_u32 s27, s29, s27
	s_cmp_ge_u32 s27, s23
	s_cselect_b32 s29, -1, 0
	s_cmp_ge_u32 s0, s22
	s_cselect_b32 s22, -1, 0
	s_cmp_eq_u32 s27, s23
	s_cselect_b32 s22, s22, s29
	s_cmp_lg_u32 s22, 0
	s_cselect_b32 s23, s28, s27
	s_cselect_b32 s22, s34, s0
	s_xor_b64 s[22:23], s[22:23], s[24:25]
	s_sub_u32 s22, s22, s24
	s_subb_u32 s23, s23, s24
	s_cbranch_execnz .LBB23_122
.LBB23_121:                             ;   in Loop: Header=BB23_32 Depth=1
	v_cvt_f32_u32_e32 v6, s33
	s_sub_i32 s0, 0, s33
	v_rcp_iflag_f32_e32 v6, v6
	v_mul_f32_e32 v6, 0x4f7ffffe, v6
	v_cvt_u32_f32_e32 v6, v6
	v_readfirstlane_b32 s22, v6
	s_mul_i32 s0, s0, s22
	s_mul_hi_u32 s0, s22, s0
	s_add_i32 s22, s22, s0
	s_mul_hi_u32 s0, s26, s22
	s_mul_i32 s0, s0, s33
	s_sub_i32 s0, s26, s0
	s_sub_i32 s22, s0, s33
	s_cmp_ge_u32 s0, s33
	s_cselect_b32 s0, s22, s0
	s_sub_i32 s22, s0, s33
	s_cmp_ge_u32 s0, s33
	s_cselect_b32 s76, s22, s0
	s_mov_b64 s[22:23], s[76:77]
.LBB23_122:                             ;   in Loop: Header=BB23_32 Depth=1
	s_sub_u32 s22, s26, s22
	s_subb_u32 s23, s1, s23
	v_cmp_gt_i64_e32 vcc, s[22:23], v[0:1]
                                        ; implicit-def: $vgpr28
	s_and_saveexec_b64 s[0:1], vcc
	s_cbranch_execz .LBB23_131
; %bb.123:                              ;   in Loop: Header=BB23_32 Depth=1
	v_mov_b32_e32 v7, v1
	s_mov_b64 s[24:25], 0
	v_mov_b32_e32 v8, v14
	v_mov_b32_e32 v6, v0
                                        ; implicit-def: $sgpr26_sgpr27
	s_branch .LBB23_126
.LBB23_124:                             ;   in Loop: Header=BB23_126 Depth=2
	s_or_b64 exec, exec, s[28:29]
	s_waitcnt lgkmcnt(0)
	s_barrier
	ds_read_b64 v[27:28], v13 offset:3072
	s_mov_b64 s[28:29], -1
	s_mov_b64 s[30:31], -1
	s_waitcnt lgkmcnt(0)
	s_barrier
	v_cmp_ne_u32_e32 vcc, 0, v27
	s_cbranch_vccz .LBB23_129
.LBB23_125:                             ;   in Loop: Header=BB23_126 Depth=2
	s_and_b64 s[28:29], exec, s[28:29]
	s_or_b64 s[24:25], s[28:29], s[24:25]
	s_andn2_b64 s[26:27], s[26:27], exec
	s_and_b64 s[28:29], s[30:31], exec
	s_or_b64 s[26:27], s[26:27], s[28:29]
	s_andn2_b64 exec, exec, s[24:25]
	s_cbranch_execz .LBB23_130
.LBB23_126:                             ;   Parent Loop BB23_32 Depth=1
                                        ; =>  This Inner Loop Header: Depth=2
	v_cmp_gt_u64_e32 vcc, s[18:19], v[6:7]
	s_and_saveexec_b64 s[28:29], vcc
	s_cbranch_execz .LBB23_124
; %bb.127:                              ;   in Loop: Header=BB23_126 Depth=2
	ds_read_b32 v27, v8
	s_waitcnt lgkmcnt(0)
	v_xor_b32_e32 v9, 0x80000000, v27
	v_and_b32_e32 v9, v9, v53
	v_cmp_eq_u32_e32 vcc, v9, v50
	s_and_b64 exec, exec, vcc
	s_cbranch_execz .LBB23_124
; %bb.128:                              ;   in Loop: Header=BB23_126 Depth=2
	ds_write_b64 v13, v[26:27] offset:3072
	s_branch .LBB23_124
.LBB23_129:                             ;   in Loop: Header=BB23_126 Depth=2
	v_add_co_u32_e32 v6, vcc, s33, v6
	v_addc_co_u32_e32 v7, vcc, 0, v7, vcc
	v_cmp_le_i64_e32 vcc, s[22:23], v[6:7]
	v_add_u32_e32 v8, s52, v8
	s_mov_b64 s[30:31], 0
	s_orn2_b64 s[28:29], vcc, exec
	s_branch .LBB23_125
.LBB23_130:                             ;   in Loop: Header=BB23_32 Depth=1
	s_or_b64 exec, exec, s[24:25]
	s_andn2_b64 s[8:9], s[8:9], exec
	s_and_b64 s[18:19], s[26:27], exec
	s_or_b64 s[8:9], s[8:9], s[18:19]
.LBB23_131:                             ;   in Loop: Header=BB23_32 Depth=1
	s_or_b64 exec, exec, s[0:1]
	s_mov_b64 s[0:1], 0
	s_mov_b64 s[22:23], -1
.LBB23_132:                             ;   in Loop: Header=BB23_32 Depth=1
	s_orn2_b64 s[8:9], s[8:9], exec
.LBB23_133:                             ;   in Loop: Header=BB23_32 Depth=1
	s_or_b64 exec, exec, s[14:15]
	s_andn2_b64 s[14:15], s[64:65], exec
	s_and_b64 s[18:19], s[22:23], exec
	s_or_b64 s[10:11], s[14:15], s[18:19]
	s_andn2_b64 s[2:3], s[54:55], exec
	s_and_b64 s[0:1], s[0:1], exec
	s_andn2_b64 s[58:59], s[58:59], exec
	s_mov_b64 s[54:55], s[10:11]
	s_or_b64 s[90:91], s[2:3], s[0:1]
                                        ; implicit-def: $vgpr6_vgpr7
	s_and_saveexec_b64 s[14:15], s[8:9]
	s_cbranch_execz .LBB23_31
; %bb.134:                              ;   in Loop: Header=BB23_32 Depth=1
	v_mov_b32_e32 v6, 1
	s_xor_b64 s[6:7], s[16:17], -1
	v_mov_b32_e32 v12, 1
	v_mov_b32_e32 v7, 0
	s_mov_b64 s[8:9], 0
	s_and_saveexec_b64 s[0:1], s[6:7]
	s_cbranch_execz .LBB23_143
; %bb.135:                              ;   in Loop: Header=BB23_32 Depth=1
	v_cmp_le_i64_e32 vcc, v[29:30], v[2:3]
	s_and_saveexec_b64 s[6:7], vcc
	s_xor_b64 s[6:7], exec, s[6:7]
	s_cbranch_execz .LBB23_140
; %bb.136:                              ;   in Loop: Header=BB23_32 Depth=1
	ds_read_b64 v[6:7], v13 offset:5120
	v_and_b32_e32 v50, s50, v50
	v_or_b32_e32 v53, s72, v53
	s_waitcnt lgkmcnt(0)
	v_cmp_ne_u64_e32 vcc, 0, v[6:7]
	s_cbranch_vccnz .LBB23_140
; %bb.137:                              ;   in Loop: Header=BB23_32 Depth=1
	s_mov_b64 s[8:9], exec
	v_readlane_b32 s16, v58, 14
	v_readlane_b32 s17, v58, 15
	s_and_b64 s[16:17], s[8:9], s[16:17]
	s_mov_b64 exec, s[16:17]
; %bb.138:                              ;   in Loop: Header=BB23_32 Depth=1
	ds_write_b64 v13, v[2:3] offset:5128
; %bb.139:                              ;   in Loop: Header=BB23_32 Depth=1
	s_or_b64 exec, exec, s[8:9]
	s_waitcnt lgkmcnt(0)
	s_barrier
.LBB23_140:                             ;   in Loop: Header=BB23_32 Depth=1
	s_or_saveexec_b64 s[6:7], s[6:7]
	s_mov_b64 s[8:9], 0
	v_mov_b32_e32 v12, 8
	s_xor_b64 exec, exec, s[6:7]
; %bb.141:                              ;   in Loop: Header=BB23_32 Depth=1
	v_sub_co_u32_e32 v29, vcc, v29, v2
	s_mov_b64 s[8:9], exec
	v_subb_co_u32_e32 v30, vcc, v30, v3, vcc
	v_mov_b32_e32 v12, 0
; %bb.142:                              ;   in Loop: Header=BB23_32 Depth=1
	s_or_b64 exec, exec, s[6:7]
	v_mov_b32_e32 v6, v29
	s_and_b64 s[8:9], s[8:9], exec
	v_mov_b32_e32 v7, v30
.LBB23_143:                             ;   in Loop: Header=BB23_32 Depth=1
	s_or_b64 exec, exec, s[0:1]
	s_mov_b64 s[16:17], -1
	s_mov_b64 s[0:1], -1
                                        ; implicit-def: $sgpr6_sgpr7
                                        ; implicit-def: $sgpr22_sgpr23
	s_and_saveexec_b64 s[18:19], s[8:9]
	s_xor_b64 s[18:19], exec, s[18:19]
	s_cbranch_execz .LBB23_285
; %bb.144:                              ;   in Loop: Header=BB23_32 Depth=1
	v_cmp_eq_u64_e32 vcc, 1, v[4:5]
	v_cmp_eq_u64_e64 s[6:7], 1, v[6:7]
                                        ; implicit-def: $sgpr22_sgpr23
	s_and_b64 s[26:27], vcc, s[6:7]
                                        ; implicit-def: $sgpr6_sgpr7
	s_and_saveexec_b64 s[24:25], s[26:27]
	s_cbranch_execz .LBB23_178
; %bb.145:                              ;   in Loop: Header=BB23_32 Depth=1
	ds_read_b64 v[2:3], v13 offset:5120
	s_waitcnt lgkmcnt(0)
	s_barrier
	v_readfirstlane_b32 s30, v2
	v_readfirstlane_b32 s31, v3
	s_and_saveexec_b64 s[0:1], s[60:61]
; %bb.146:                              ;   in Loop: Header=BB23_32 Depth=1
	ds_write_b32 v42, v13
; %bb.147:                              ;   in Loop: Header=BB23_32 Depth=1
	s_or_b64 exec, exec, s[0:1]
	v_cmp_gt_i64_e64 s[0:1], s[30:31], 0
	v_and_b32_e32 v2, s50, v50
	v_lshl_or_b32 v50, 1, s71, v2
	v_or_b32_e32 v53, s72, v53
	s_mov_b64 s[6:7], -1
	s_mov_b64 s[22:23], 0
	s_and_b64 vcc, exec, s[0:1]
	s_mov_b64 s[0:1], 0
	s_mov_b64 s[8:9], -1
	s_waitcnt lgkmcnt(0)
	s_barrier
                                        ; implicit-def: $vgpr28
	s_cbranch_vccnz .LBB23_163
; %bb.148:                              ;   in Loop: Header=BB23_32 Depth=1
	s_mov_b32 s52, s77
	s_mov_b64 s[2:3], s[42:43]
	s_cmp_lg_u64 s[52:53], 0
	s_cbranch_scc0 .LBB23_205
; %bb.149:                              ;   in Loop: Header=BB23_32 Depth=1
	s_add_u32 s0, s33, 0
	s_addc_u32 s1, 0, 0
	s_xor_b64 s[0:1], s[0:1], 0
	v_cvt_f32_u32_e32 v2, s0
	v_cvt_f32_u32_e32 v3, s1
	s_sub_u32 s28, 0, s0
	s_subb_u32 s29, 0, s1
	v_mac_f32_e32 v2, 0x4f800000, v3
	v_rcp_f32_e32 v2, v2
	v_mul_f32_e32 v2, 0x5f7ffffc, v2
	v_mul_f32_e32 v3, 0x2f800000, v2
	v_trunc_f32_e32 v3, v3
	v_mac_f32_e32 v2, 0xcf800000, v3
	v_cvt_u32_f32_e32 v3, v3
	v_cvt_u32_f32_e32 v2, v2
	v_readfirstlane_b32 s34, v3
	v_readfirstlane_b32 s8, v2
	s_mul_i32 s9, s28, s34
	s_mul_hi_u32 s36, s28, s8
	s_mul_i32 s35, s29, s8
	s_add_i32 s9, s36, s9
	s_mul_i32 s37, s28, s8
	s_add_i32 s9, s9, s35
	s_mul_i32 s36, s8, s9
	s_mul_hi_u32 s38, s8, s37
	s_mul_hi_u32 s35, s8, s9
	s_add_u32 s36, s38, s36
	s_addc_u32 s35, 0, s35
	s_mul_hi_u32 s39, s34, s37
	s_mul_i32 s37, s34, s37
	s_add_u32 s36, s36, s37
	s_mul_hi_u32 s38, s34, s9
	s_addc_u32 s35, s35, s39
	s_addc_u32 s36, s38, 0
	s_mul_i32 s9, s34, s9
	s_add_u32 s9, s35, s9
	s_addc_u32 s35, 0, s36
	s_add_u32 s36, s8, s9
	s_cselect_b64 s[8:9], -1, 0
	s_cmp_lg_u64 s[8:9], 0
	s_addc_u32 s34, s34, s35
	s_mul_i32 s8, s28, s34
	s_mul_hi_u32 s9, s28, s36
	s_add_i32 s8, s9, s8
	s_mul_i32 s29, s29, s36
	s_add_i32 s8, s8, s29
	s_mul_i32 s28, s28, s36
	s_mul_hi_u32 s29, s34, s28
	s_mul_i32 s35, s34, s28
	s_mul_i32 s38, s36, s8
	s_mul_hi_u32 s28, s36, s28
	s_mul_hi_u32 s37, s36, s8
	s_add_u32 s28, s28, s38
	s_addc_u32 s37, 0, s37
	s_add_u32 s28, s28, s35
	s_mul_hi_u32 s9, s34, s8
	s_addc_u32 s28, s37, s29
	s_addc_u32 s9, s9, 0
	s_mul_i32 s8, s34, s8
	s_add_u32 s8, s28, s8
	s_addc_u32 s28, 0, s9
	s_add_u32 s35, s36, s8
	s_cselect_b64 s[8:9], -1, 0
	s_cmp_lg_u64 s[8:9], 0
	s_addc_u32 s34, s34, s28
	s_ashr_i32 s8, s53, 31
	s_add_u32 s28, s73, s8
	s_mov_b32 s9, s8
	s_addc_u32 s29, s53, s8
	s_xor_b64 s[28:29], s[28:29], s[8:9]
	s_mul_i32 s37, s28, s34
	s_mul_hi_u32 s38, s28, s35
	s_mul_hi_u32 s36, s28, s34
	s_add_u32 s37, s38, s37
	s_addc_u32 s36, 0, s36
	s_mul_hi_u32 s39, s29, s35
	s_mul_i32 s35, s29, s35
	s_add_u32 s35, s37, s35
	s_mul_hi_u32 s38, s29, s34
	s_addc_u32 s35, s36, s39
	s_addc_u32 s36, s38, 0
	s_mul_i32 s34, s29, s34
	s_add_u32 s34, s35, s34
	s_addc_u32 s35, 0, s36
	s_mul_i32 s35, s0, s35
	s_mul_hi_u32 s36, s0, s34
	s_add_i32 s35, s36, s35
	s_mul_i32 s36, s1, s34
	s_add_i32 s38, s35, s36
	s_sub_i32 s36, s29, s38
	s_mul_i32 s34, s0, s34
	s_sub_u32 s28, s28, s34
	s_cselect_b64 s[34:35], -1, 0
	s_cmp_lg_u64 s[34:35], 0
	s_subb_u32 s39, s36, s1
	s_sub_u32 s40, s28, s0
	s_cselect_b64 s[36:37], -1, 0
	s_cmp_lg_u64 s[36:37], 0
	s_subb_u32 s41, s39, 0
	s_cmp_ge_u32 s41, s1
	s_cselect_b32 s42, -1, 0
	s_cmp_ge_u32 s40, s0
	s_cselect_b32 s43, -1, 0
	s_cmp_eq_u32 s41, s1
	s_cselect_b32 s42, s43, s42
	s_cmp_lg_u64 s[36:37], 0
	s_subb_u32 s39, s39, s1
	s_sub_u32 s43, s40, s0
	s_cselect_b64 s[36:37], -1, 0
	s_cmp_lg_u64 s[36:37], 0
	s_subb_u32 s36, s39, 0
	s_cmp_lg_u32 s42, 0
	s_cselect_b32 s37, s43, s40
	s_cselect_b32 s36, s36, s41
	s_cmp_lg_u64 s[34:35], 0
	s_subb_u32 s29, s29, s38
	s_cmp_ge_u32 s29, s1
	s_cselect_b32 s34, -1, 0
	s_cmp_ge_u32 s28, s0
	s_cselect_b32 s0, -1, 0
	s_cmp_eq_u32 s29, s1
	s_cselect_b32 s0, s0, s34
	s_cmp_lg_u32 s0, 0
	s_cselect_b32 s1, s36, s29
	s_cselect_b32 s0, s37, s28
	s_xor_b64 s[0:1], s[0:1], s[8:9]
	s_sub_u32 s0, s0, s8
	s_subb_u32 s1, s1, s8
	s_mov_b32 s52, s74
	s_cbranch_execnz .LBB23_151
.LBB23_150:                             ;   in Loop: Header=BB23_32 Depth=1
	v_cvt_f32_u32_e32 v2, s33
	s_sub_i32 s0, 0, s33
	v_rcp_iflag_f32_e32 v2, v2
	v_mul_f32_e32 v2, 0x4f7ffffe, v2
	v_cvt_u32_f32_e32 v2, v2
	v_readfirstlane_b32 s1, v2
	s_mul_i32 s0, s0, s1
	s_mul_hi_u32 s0, s1, s0
	s_add_i32 s1, s1, s0
	s_mul_hi_u32 s0, s73, s1
	s_mul_i32 s0, s0, s33
	s_sub_i32 s0, s73, s0
	s_sub_i32 s1, s0, s33
	s_cmp_ge_u32 s0, s33
	s_cselect_b32 s0, s1, s0
	s_sub_i32 s1, s0, s33
	s_cmp_ge_u32 s0, s33
	s_cselect_b32 s76, s1, s0
	s_mov_b64 s[0:1], s[76:77]
.LBB23_151:                             ;   in Loop: Header=BB23_32 Depth=1
	s_sub_u32 s34, s73, s0
	s_subb_u32 s35, s53, s1
	v_cmp_gt_i64_e32 vcc, s[34:35], v[0:1]
	s_mov_b64 s[8:9], 0
	s_mov_b64 s[0:1], 0
                                        ; implicit-def: $vgpr28
	s_and_saveexec_b64 s[28:29], vcc
	s_mov_b64 s[42:43], s[2:3]
	s_cbranch_execz .LBB23_162
; %bb.152:                              ;   in Loop: Header=BB23_32 Depth=1
	v_mov_b32_e32 v2, v10
	v_mov_b32_e32 v9, v1
	v_mov_b32_e32 v3, v11
	v_mov_b32_e32 v8, v0
                                        ; implicit-def: $sgpr36_sgpr37
	s_branch .LBB23_155
.LBB23_153:                             ;   in Loop: Header=BB23_155 Depth=2
	s_or_b64 exec, exec, s[38:39]
	s_waitcnt lgkmcnt(0)
	s_barrier
	ds_read_b64 v[27:28], v13 offset:3072
	s_mov_b64 s[38:39], -1
	s_mov_b64 s[40:41], -1
	s_waitcnt lgkmcnt(0)
	s_barrier
	v_cmp_ne_u32_e32 vcc, 0, v27
	s_cbranch_vccz .LBB23_158
.LBB23_154:                             ;   in Loop: Header=BB23_155 Depth=2
	s_and_b64 s[38:39], exec, s[38:39]
	s_or_b64 s[0:1], s[38:39], s[0:1]
	s_andn2_b64 s[36:37], s[36:37], exec
	s_and_b64 s[38:39], s[40:41], exec
	s_or_b64 s[36:37], s[36:37], s[38:39]
	s_andn2_b64 exec, exec, s[0:1]
	s_cbranch_execz .LBB23_161
.LBB23_155:                             ;   Parent Loop BB23_32 Depth=1
                                        ; =>  This Inner Loop Header: Depth=2
	v_cmp_gt_i64_e32 vcc, s[56:57], v[8:9]
	s_and_saveexec_b64 s[38:39], vcc
	s_cbranch_execz .LBB23_153
; %bb.156:                              ;   in Loop: Header=BB23_155 Depth=2
	global_load_dword v27, v[2:3], off
	s_waitcnt vmcnt(0)
	v_xor_b32_e32 v28, 0x80000000, v27
	v_and_b32_e32 v28, v28, v53
	v_cmp_eq_u32_e32 vcc, v28, v50
	s_and_b64 exec, exec, vcc
	s_cbranch_execz .LBB23_153
; %bb.157:                              ;   in Loop: Header=BB23_155 Depth=2
	ds_write_b64 v13, v[26:27] offset:3072
	s_branch .LBB23_153
.LBB23_158:                             ;   in Loop: Header=BB23_155 Depth=2
	v_add_co_u32_e32 v8, vcc, s33, v8
	v_addc_co_u32_e32 v9, vcc, 0, v9, vcc
	v_mov_b32_e32 v27, s81
	v_add_co_u32_e32 v2, vcc, s80, v2
	v_addc_co_u32_e32 v3, vcc, v3, v27, vcc
	v_cmp_le_i64_e32 vcc, s[34:35], v[8:9]
	s_mov_b64 s[40:41], 0
	s_orn2_b64 s[38:39], vcc, exec
	s_branch .LBB23_154
.LBB23_159:                             ;   in Loop: Header=BB23_32 Depth=1
                                        ; implicit-def: $sgpr8_sgpr9
	s_andn2_b64 vcc, exec, s[24:25]
	s_mov_b32 s52, s74
	s_cbranch_vccz .LBB23_107
	s_branch .LBB23_108
.LBB23_160:                             ;   in Loop: Header=BB23_32 Depth=1
                                        ; implicit-def: $sgpr22_sgpr23
	s_branch .LBB23_121
.LBB23_161:                             ;   in Loop: Header=BB23_32 Depth=1
	s_or_b64 exec, exec, s[0:1]
	s_and_b64 s[0:1], s[36:37], exec
.LBB23_162:                             ;   in Loop: Header=BB23_32 Depth=1
	s_or_b64 exec, exec, s[28:29]
.LBB23_163:                             ;   in Loop: Header=BB23_32 Depth=1
	s_and_b64 vcc, exec, s[8:9]
	s_cbranch_vccz .LBB23_177
; %bb.164:                              ;   in Loop: Header=BB23_32 Depth=1
	v_readlane_b32 s2, v58, 22
	s_add_u32 s28, s30, s2
	v_readlane_b32 s2, v58, 23
	s_addc_u32 s7, s31, s2
	s_mov_b32 s6, s77
	s_cmp_lg_u64 s[6:7], 0
	s_cbranch_scc0 .LBB23_206
; %bb.165:                              ;   in Loop: Header=BB23_32 Depth=1
	s_add_u32 s8, s33, 0
	s_addc_u32 s9, 0, 0
	s_xor_b64 s[8:9], s[8:9], 0
	v_cvt_f32_u32_e32 v2, s8
	v_cvt_f32_u32_e32 v3, s9
	s_sub_u32 s6, 0, s8
	s_subb_u32 s29, 0, s9
	s_mov_b64 s[2:3], s[42:43]
	v_mac_f32_e32 v2, 0x4f800000, v3
	v_rcp_f32_e32 v2, v2
	v_mul_f32_e32 v2, 0x5f7ffffc, v2
	v_mul_f32_e32 v3, 0x2f800000, v2
	v_trunc_f32_e32 v3, v3
	v_mac_f32_e32 v2, 0xcf800000, v3
	v_cvt_u32_f32_e32 v3, v3
	v_cvt_u32_f32_e32 v2, v2
	v_readfirstlane_b32 s34, v3
	v_readfirstlane_b32 s22, v2
	s_mul_i32 s23, s6, s34
	s_mul_hi_u32 s36, s6, s22
	s_mul_i32 s35, s29, s22
	s_add_i32 s23, s36, s23
	s_mul_i32 s37, s6, s22
	s_add_i32 s23, s23, s35
	s_mul_i32 s36, s22, s23
	s_mul_hi_u32 s38, s22, s37
	s_mul_hi_u32 s35, s22, s23
	s_add_u32 s36, s38, s36
	s_addc_u32 s35, 0, s35
	s_mul_hi_u32 s39, s34, s37
	s_mul_i32 s37, s34, s37
	s_add_u32 s36, s36, s37
	s_mul_hi_u32 s38, s34, s23
	s_addc_u32 s35, s35, s39
	s_addc_u32 s36, s38, 0
	s_mul_i32 s23, s34, s23
	s_add_u32 s23, s35, s23
	s_addc_u32 s35, 0, s36
	s_add_u32 s36, s22, s23
	s_cselect_b64 s[22:23], -1, 0
	s_cmp_lg_u64 s[22:23], 0
	s_addc_u32 s34, s34, s35
	s_mul_i32 s22, s6, s34
	s_mul_hi_u32 s23, s6, s36
	s_add_i32 s22, s23, s22
	s_mul_i32 s29, s29, s36
	s_add_i32 s22, s22, s29
	s_mul_i32 s6, s6, s36
	s_mul_hi_u32 s29, s34, s6
	s_mul_i32 s35, s34, s6
	s_mul_i32 s38, s36, s22
	s_mul_hi_u32 s6, s36, s6
	s_mul_hi_u32 s37, s36, s22
	s_add_u32 s6, s6, s38
	s_addc_u32 s37, 0, s37
	s_add_u32 s6, s6, s35
	s_mul_hi_u32 s23, s34, s22
	s_addc_u32 s6, s37, s29
	s_addc_u32 s23, s23, 0
	s_mul_i32 s22, s34, s22
	s_add_u32 s6, s6, s22
	s_addc_u32 s29, 0, s23
	s_add_u32 s6, s36, s6
	s_cselect_b64 s[22:23], -1, 0
	s_cmp_lg_u64 s[22:23], 0
	s_addc_u32 s29, s34, s29
	s_ashr_i32 s22, s7, 31
	s_add_u32 s34, s28, s22
	s_mov_b32 s23, s22
	s_addc_u32 s35, s7, s22
	s_xor_b64 s[34:35], s[34:35], s[22:23]
	s_mul_i32 s37, s34, s29
	s_mul_hi_u32 s38, s34, s6
	s_mul_hi_u32 s36, s34, s29
	s_add_u32 s37, s38, s37
	s_addc_u32 s36, 0, s36
	s_mul_hi_u32 s39, s35, s6
	s_mul_i32 s6, s35, s6
	s_add_u32 s6, s37, s6
	s_mul_hi_u32 s38, s35, s29
	s_addc_u32 s6, s36, s39
	s_addc_u32 s36, s38, 0
	s_mul_i32 s29, s35, s29
	s_add_u32 s6, s6, s29
	s_addc_u32 s29, 0, s36
	s_mul_i32 s29, s8, s29
	s_mul_hi_u32 s36, s8, s6
	s_add_i32 s29, s36, s29
	s_mul_i32 s36, s9, s6
	s_add_i32 s29, s29, s36
	s_sub_i32 s38, s35, s29
	s_mul_i32 s6, s8, s6
	s_sub_u32 s6, s34, s6
	s_cselect_b64 s[36:37], -1, 0
	s_cmp_lg_u64 s[36:37], 0
	s_subb_u32 s34, s38, s9
	s_sub_u32 s40, s6, s8
	s_cselect_b64 s[38:39], -1, 0
	s_cmp_lg_u64 s[38:39], 0
	s_subb_u32 s41, s34, 0
	s_cmp_ge_u32 s41, s9
	s_cselect_b32 s42, -1, 0
	s_cmp_ge_u32 s40, s8
	s_cselect_b32 s43, -1, 0
	s_cmp_eq_u32 s41, s9
	s_cselect_b32 s42, s43, s42
	s_cmp_lg_u64 s[38:39], 0
	s_subb_u32 s34, s34, s9
	s_sub_u32 s43, s40, s8
	s_cselect_b64 s[38:39], -1, 0
	s_cmp_lg_u64 s[38:39], 0
	s_subb_u32 s34, s34, 0
	s_cmp_lg_u32 s42, 0
	s_cselect_b32 s38, s43, s40
	s_cselect_b32 s34, s34, s41
	s_cmp_lg_u64 s[36:37], 0
	s_subb_u32 s29, s35, s29
	s_cmp_ge_u32 s29, s9
	s_cselect_b32 s35, -1, 0
	s_cmp_ge_u32 s6, s8
	s_cselect_b32 s8, -1, 0
	s_cmp_eq_u32 s29, s9
	s_cselect_b32 s8, s8, s35
	s_cmp_lg_u32 s8, 0
	s_cselect_b32 s9, s34, s29
	s_cselect_b32 s8, s38, s6
	s_xor_b64 s[8:9], s[8:9], s[22:23]
	s_sub_u32 s8, s8, s22
	s_mov_b64 s[42:43], s[2:3]
	s_subb_u32 s9, s9, s22
	s_cbranch_execnz .LBB23_167
.LBB23_166:                             ;   in Loop: Header=BB23_32 Depth=1
	v_cvt_f32_u32_e32 v2, s33
	s_sub_i32 s6, 0, s33
	v_rcp_iflag_f32_e32 v2, v2
	v_mul_f32_e32 v2, 0x4f7ffffe, v2
	v_cvt_u32_f32_e32 v2, v2
	v_readfirstlane_b32 s8, v2
	s_mul_i32 s6, s6, s8
	s_mul_hi_u32 s6, s8, s6
	s_add_i32 s8, s8, s6
	s_mul_hi_u32 s6, s28, s8
	s_mul_i32 s6, s6, s33
	s_sub_i32 s6, s28, s6
	s_sub_i32 s8, s6, s33
	s_cmp_ge_u32 s6, s33
	s_cselect_b32 s6, s8, s6
	s_sub_i32 s8, s6, s33
	s_cmp_ge_u32 s6, s33
	s_cselect_b32 s76, s8, s6
	s_mov_b64 s[8:9], s[76:77]
.LBB23_167:                             ;   in Loop: Header=BB23_32 Depth=1
	s_sub_u32 s8, s28, s8
	s_subb_u32 s9, s7, s9
	v_cmp_gt_i64_e32 vcc, s[8:9], v[0:1]
                                        ; implicit-def: $vgpr28
	s_and_saveexec_b64 s[6:7], vcc
	s_cbranch_execz .LBB23_176
; %bb.168:                              ;   in Loop: Header=BB23_32 Depth=1
	v_mov_b32_e32 v3, v1
	s_mov_b64 s[22:23], 0
	v_mov_b32_e32 v8, v14
	v_mov_b32_e32 v2, v0
                                        ; implicit-def: $sgpr28_sgpr29
	s_branch .LBB23_171
.LBB23_169:                             ;   in Loop: Header=BB23_171 Depth=2
	s_or_b64 exec, exec, s[34:35]
	s_waitcnt lgkmcnt(0)
	s_barrier
	ds_read_b64 v[27:28], v13 offset:3072
	s_mov_b64 s[34:35], -1
	s_mov_b64 s[36:37], -1
	s_waitcnt lgkmcnt(0)
	s_barrier
	v_cmp_eq_u32_e32 vcc, 0, v27
	s_cbranch_vccnz .LBB23_174
.LBB23_170:                             ;   in Loop: Header=BB23_171 Depth=2
	s_and_b64 s[34:35], exec, s[34:35]
	s_or_b64 s[22:23], s[34:35], s[22:23]
	s_andn2_b64 s[28:29], s[28:29], exec
	s_and_b64 s[34:35], s[36:37], exec
	s_or_b64 s[28:29], s[28:29], s[34:35]
	s_andn2_b64 exec, exec, s[22:23]
	s_cbranch_execz .LBB23_175
.LBB23_171:                             ;   Parent Loop BB23_32 Depth=1
                                        ; =>  This Inner Loop Header: Depth=2
	v_cmp_gt_u64_e32 vcc, s[30:31], v[2:3]
	s_and_saveexec_b64 s[34:35], vcc
	s_cbranch_execz .LBB23_169
; %bb.172:                              ;   in Loop: Header=BB23_171 Depth=2
	ds_read_b32 v27, v8
	s_waitcnt lgkmcnt(0)
	v_xor_b32_e32 v9, 0x80000000, v27
	v_and_b32_e32 v9, v9, v53
	v_cmp_eq_u32_e32 vcc, v9, v50
	s_and_b64 exec, exec, vcc
	s_cbranch_execz .LBB23_169
; %bb.173:                              ;   in Loop: Header=BB23_171 Depth=2
	ds_write_b64 v13, v[26:27] offset:3072
	s_branch .LBB23_169
.LBB23_174:                             ;   in Loop: Header=BB23_171 Depth=2
	v_add_co_u32_e32 v2, vcc, s33, v2
	v_addc_co_u32_e32 v3, vcc, 0, v3, vcc
	v_cmp_le_i64_e32 vcc, s[8:9], v[2:3]
	v_add_u32_e32 v8, s52, v8
	s_mov_b64 s[36:37], 0
	s_orn2_b64 s[34:35], vcc, exec
	s_branch .LBB23_170
.LBB23_175:                             ;   in Loop: Header=BB23_32 Depth=1
	s_or_b64 exec, exec, s[22:23]
	s_andn2_b64 s[0:1], s[0:1], exec
	s_and_b64 s[8:9], s[28:29], exec
	s_or_b64 s[0:1], s[0:1], s[8:9]
.LBB23_176:                             ;   in Loop: Header=BB23_32 Depth=1
	s_or_b64 exec, exec, s[6:7]
	s_mov_b64 s[6:7], 0
	s_mov_b64 s[22:23], -1
.LBB23_177:                             ;   in Loop: Header=BB23_32 Depth=1
	s_orn2_b64 s[0:1], s[0:1], exec
.LBB23_178:                             ;   in Loop: Header=BB23_32 Depth=1
	s_or_b64 exec, exec, s[24:25]
	s_mov_b64 s[8:9], 0
	s_and_saveexec_b64 s[24:25], s[0:1]
	s_cbranch_execz .LBB23_284
; %bb.179:                              ;   in Loop: Header=BB23_32 Depth=1
	v_mov_b32_e32 v2, 1
	s_xor_b64 s[26:27], s[26:27], -1
	v_mov_b32_e32 v12, 1
	v_mov_b32_e32 v3, 0
	s_and_saveexec_b64 s[0:1], s[26:27]
	s_cbranch_execz .LBB23_189
; %bb.180:                              ;   in Loop: Header=BB23_32 Depth=1
	v_cmp_le_i64_e32 vcc, v[6:7], v[4:5]
	s_and_saveexec_b64 s[8:9], vcc
	s_xor_b64 s[8:9], exec, s[8:9]
	s_cbranch_execz .LBB23_186
; %bb.181:                              ;   in Loop: Header=BB23_32 Depth=1
	v_and_b32_e32 v2, s50, v50
	v_lshl_or_b32 v50, 1, s71, v2
	ds_read_b64 v[2:3], v13 offset:5120
	v_or_b32_e32 v53, s72, v53
	s_waitcnt lgkmcnt(0)
	v_cmp_ne_u64_e32 vcc, 0, v[2:3]
	s_cbranch_vccnz .LBB23_185
; %bb.182:                              ;   in Loop: Header=BB23_32 Depth=1
	s_mov_b64 s[26:27], exec
	v_readlane_b32 s28, v58, 14
	v_readlane_b32 s29, v58, 15
	s_and_b64 s[28:29], s[26:27], s[28:29]
	s_mov_b64 exec, s[28:29]
; %bb.183:                              ;   in Loop: Header=BB23_32 Depth=1
	ds_write_b64 v13, v[4:5] offset:5128
; %bb.184:                              ;   in Loop: Header=BB23_32 Depth=1
	s_or_b64 exec, exec, s[26:27]
	s_waitcnt lgkmcnt(0)
	s_barrier
.LBB23_185:                             ;   in Loop: Header=BB23_32 Depth=1
                                        ; implicit-def: $vgpr2_vgpr3_vgpr4_vgpr5
.LBB23_186:                             ;   in Loop: Header=BB23_32 Depth=1
	s_or_saveexec_b64 s[8:9], s[8:9]
	s_mov_b64 s[26:27], 0
	v_mov_b32_e32 v12, 8
	s_xor_b64 exec, exec, s[8:9]
; %bb.187:                              ;   in Loop: Header=BB23_32 Depth=1
	v_sub_co_u32_e32 v6, vcc, v6, v4
	v_subb_co_u32_e32 v7, vcc, v7, v5, vcc
	v_mov_b32_e32 v12, 0
	s_mov_b64 s[26:27], exec
; %bb.188:                              ;   in Loop: Header=BB23_32 Depth=1
	s_or_b64 exec, exec, s[8:9]
	v_mov_b32_e32 v2, v6
	s_and_b64 s[8:9], s[26:27], exec
	v_mov_b32_e32 v3, v7
.LBB23_189:                             ;   in Loop: Header=BB23_32 Depth=1
	s_or_b64 exec, exec, s[0:1]
	s_mov_b64 s[0:1], -1
                                        ; implicit-def: $sgpr30_sgpr31
                                        ; implicit-def: $sgpr34_sgpr35
	s_and_saveexec_b64 s[26:27], s[8:9]
	s_cbranch_execz .LBB23_283
; %bb.190:                              ;   in Loop: Header=BB23_32 Depth=1
	s_cmp_eq_u64 s[20:21], 1
	v_cmp_eq_u64_e32 vcc, 1, v[2:3]
	s_cselect_b64 s[0:1], -1, 0
	s_and_b64 s[38:39], s[0:1], vcc
	s_mov_b64 s[0:1], -1
                                        ; implicit-def: $sgpr34_sgpr35
                                        ; implicit-def: $sgpr30_sgpr31
	s_and_saveexec_b64 s[36:37], s[38:39]
	s_cbranch_execz .LBB23_224
; %bb.191:                              ;   in Loop: Header=BB23_32 Depth=1
	ds_read_b64 v[4:5], v13 offset:5120
	s_waitcnt lgkmcnt(0)
	s_barrier
	v_readfirstlane_b32 s40, v4
	v_readfirstlane_b32 s41, v5
	s_and_saveexec_b64 s[0:1], s[60:61]
; %bb.192:                              ;   in Loop: Header=BB23_32 Depth=1
	ds_write_b32 v42, v13
; %bb.193:                              ;   in Loop: Header=BB23_32 Depth=1
	s_or_b64 exec, exec, s[0:1]
	v_cmp_gt_i64_e64 s[0:1], s[40:41], 0
	v_and_b32_e32 v4, s50, v50
	v_lshl_or_b32 v50, 2, s71, v4
	v_or_b32_e32 v53, s72, v53
	s_mov_b64 s[30:31], -1
	s_mov_b64 s[34:35], 0
	s_and_b64 vcc, exec, s[0:1]
	s_mov_b64 s[0:1], 0
	s_mov_b64 s[8:9], -1
	s_waitcnt lgkmcnt(0)
	s_barrier
                                        ; implicit-def: $vgpr28
	s_cbranch_vccnz .LBB23_209
; %bb.194:                              ;   in Loop: Header=BB23_32 Depth=1
	s_mov_b32 s52, s77
	s_mov_b64 s[10:11], s[42:43]
	s_cmp_lg_u64 s[52:53], 0
	s_cbranch_scc0 .LBB23_250
; %bb.195:                              ;   in Loop: Header=BB23_32 Depth=1
	s_add_u32 s0, s33, 0
	s_addc_u32 s1, 0, 0
	s_xor_b64 s[0:1], s[0:1], 0
	v_cvt_f32_u32_e32 v4, s0
	v_cvt_f32_u32_e32 v5, s1
	s_sub_u32 s28, 0, s0
	s_subb_u32 s29, 0, s1
	s_mov_b32 s3, s53
	v_mac_f32_e32 v4, 0x4f800000, v5
	v_rcp_f32_e32 v4, v4
	v_mul_f32_e32 v4, 0x5f7ffffc, v4
	v_mul_f32_e32 v5, 0x2f800000, v4
	v_trunc_f32_e32 v5, v5
	v_mac_f32_e32 v4, 0xcf800000, v5
	v_cvt_u32_f32_e32 v5, v5
	v_cvt_u32_f32_e32 v4, v4
	v_readfirstlane_b32 s42, v5
	v_readfirstlane_b32 s8, v4
	s_mul_i32 s9, s28, s42
	s_mul_hi_u32 s44, s28, s8
	s_mul_i32 s43, s29, s8
	s_add_i32 s9, s44, s9
	s_mul_i32 s45, s28, s8
	s_add_i32 s9, s9, s43
	s_mul_i32 s44, s8, s9
	s_mul_hi_u32 s46, s8, s45
	s_mul_hi_u32 s43, s8, s9
	s_add_u32 s44, s46, s44
	s_addc_u32 s43, 0, s43
	s_mul_hi_u32 s47, s42, s45
	s_mul_i32 s45, s42, s45
	s_add_u32 s44, s44, s45
	s_mul_hi_u32 s46, s42, s9
	s_addc_u32 s43, s43, s47
	s_addc_u32 s44, s46, 0
	s_mul_i32 s9, s42, s9
	s_add_u32 s9, s43, s9
	s_addc_u32 s43, 0, s44
	s_add_u32 s44, s8, s9
	s_cselect_b64 s[8:9], -1, 0
	s_cmp_lg_u64 s[8:9], 0
	s_addc_u32 s42, s42, s43
	s_mul_i32 s8, s28, s42
	s_mul_hi_u32 s9, s28, s44
	s_add_i32 s8, s9, s8
	s_mul_i32 s29, s29, s44
	s_add_i32 s8, s8, s29
	s_mul_i32 s28, s28, s44
	s_mul_hi_u32 s29, s42, s28
	s_mul_i32 s43, s42, s28
	s_mul_i32 s46, s44, s8
	s_mul_hi_u32 s28, s44, s28
	s_mul_hi_u32 s45, s44, s8
	s_add_u32 s28, s28, s46
	s_addc_u32 s45, 0, s45
	s_add_u32 s28, s28, s43
	s_mul_hi_u32 s9, s42, s8
	s_addc_u32 s28, s45, s29
	s_addc_u32 s9, s9, 0
	s_mul_i32 s8, s42, s8
	s_add_u32 s8, s28, s8
	s_addc_u32 s28, 0, s9
	s_add_u32 s43, s44, s8
	s_cselect_b64 s[8:9], -1, 0
	s_cmp_lg_u64 s[8:9], 0
	s_addc_u32 s42, s42, s28
	s_ashr_i32 s8, s53, 31
	s_add_u32 s28, s73, s8
	s_mov_b32 s9, s8
	s_addc_u32 s29, s53, s8
	s_xor_b64 s[28:29], s[28:29], s[8:9]
	s_mul_i32 s45, s28, s42
	s_mul_hi_u32 s46, s28, s43
	s_mul_hi_u32 s44, s28, s42
	s_add_u32 s45, s46, s45
	s_addc_u32 s44, 0, s44
	s_mul_hi_u32 s47, s29, s43
	s_mul_i32 s43, s29, s43
	s_add_u32 s43, s45, s43
	s_mul_hi_u32 s46, s29, s42
	s_addc_u32 s43, s44, s47
	s_addc_u32 s44, s46, 0
	s_mul_i32 s42, s29, s42
	s_add_u32 s42, s43, s42
	s_addc_u32 s43, 0, s44
	s_mul_i32 s43, s0, s43
	s_mul_hi_u32 s44, s0, s42
	s_add_i32 s43, s44, s43
	s_mul_i32 s44, s1, s42
	s_add_i32 s46, s43, s44
	s_sub_i32 s44, s29, s46
	s_mul_i32 s42, s0, s42
	s_sub_u32 s28, s28, s42
	s_cselect_b64 s[42:43], -1, 0
	s_cmp_lg_u64 s[42:43], 0
	s_subb_u32 s47, s44, s1
	s_sub_u32 s48, s28, s0
	s_cselect_b64 s[44:45], -1, 0
	s_cmp_lg_u64 s[44:45], 0
	s_subb_u32 s49, s47, 0
	s_cmp_ge_u32 s49, s1
	s_cselect_b32 s51, -1, 0
	s_cmp_ge_u32 s48, s0
	s_cselect_b32 s52, -1, 0
	s_cmp_eq_u32 s49, s1
	s_cselect_b32 s51, s52, s51
	s_cmp_lg_u64 s[44:45], 0
	s_subb_u32 s47, s47, s1
	s_sub_u32 s52, s48, s0
	s_cselect_b64 s[44:45], -1, 0
	s_cmp_lg_u64 s[44:45], 0
	s_subb_u32 s44, s47, 0
	s_cmp_lg_u32 s51, 0
	s_cselect_b32 s45, s52, s48
	s_cselect_b32 s44, s44, s49
	s_cmp_lg_u64 s[42:43], 0
	s_subb_u32 s29, s29, s46
	s_cmp_ge_u32 s29, s1
	s_cselect_b32 s42, -1, 0
	s_cmp_ge_u32 s28, s0
	s_cselect_b32 s0, -1, 0
	s_cmp_eq_u32 s29, s1
	s_cselect_b32 s0, s0, s42
	s_cmp_lg_u32 s0, 0
	s_cselect_b32 s1, s44, s29
	s_cselect_b32 s0, s45, s28
	s_xor_b64 s[0:1], s[0:1], s[8:9]
	s_sub_u32 s0, s0, s8
	s_subb_u32 s1, s1, s8
	s_mov_b32 s52, s74
	s_cbranch_execnz .LBB23_197
.LBB23_196:                             ;   in Loop: Header=BB23_32 Depth=1
	v_cvt_f32_u32_e32 v4, s33
	s_sub_i32 s0, 0, s33
	v_rcp_iflag_f32_e32 v4, v4
	v_mul_f32_e32 v4, 0x4f7ffffe, v4
	v_cvt_u32_f32_e32 v4, v4
	v_readfirstlane_b32 s1, v4
	s_mul_i32 s0, s0, s1
	s_mul_hi_u32 s0, s1, s0
	s_add_i32 s1, s1, s0
	s_mul_hi_u32 s0, s73, s1
	s_mul_i32 s0, s0, s33
	s_sub_i32 s0, s73, s0
	s_sub_i32 s1, s0, s33
	s_cmp_ge_u32 s0, s33
	s_cselect_b32 s0, s1, s0
	s_sub_i32 s1, s0, s33
	s_cmp_ge_u32 s0, s33
	s_cselect_b32 s76, s1, s0
	s_mov_b64 s[0:1], s[76:77]
.LBB23_197:                             ;   in Loop: Header=BB23_32 Depth=1
	s_sub_u32 s42, s73, s0
	s_subb_u32 s43, s3, s1
	v_cmp_gt_i64_e32 vcc, s[42:43], v[0:1]
	s_mov_b32 s53, s3
	s_mov_b64 s[8:9], 0
	s_mov_b64 s[0:1], 0
                                        ; implicit-def: $vgpr28
	s_and_saveexec_b64 s[28:29], vcc
	s_cbranch_execz .LBB23_208
; %bb.198:                              ;   in Loop: Header=BB23_32 Depth=1
	v_mov_b32_e32 v4, v10
	v_mov_b32_e32 v7, v1
	;; [unrolled: 1-line block ×4, first 2 shown]
                                        ; implicit-def: $sgpr44_sgpr45
	s_branch .LBB23_201
.LBB23_199:                             ;   in Loop: Header=BB23_201 Depth=2
	s_or_b64 exec, exec, s[46:47]
	s_waitcnt lgkmcnt(0)
	s_barrier
	ds_read_b64 v[27:28], v13 offset:3072
	s_mov_b64 s[46:47], -1
	s_mov_b64 s[48:49], -1
	s_waitcnt lgkmcnt(0)
	s_barrier
	v_cmp_ne_u32_e32 vcc, 0, v27
	s_cbranch_vccz .LBB23_204
.LBB23_200:                             ;   in Loop: Header=BB23_201 Depth=2
	s_and_b64 s[46:47], exec, s[46:47]
	s_or_b64 s[0:1], s[46:47], s[0:1]
	s_andn2_b64 s[44:45], s[44:45], exec
	s_and_b64 s[46:47], s[48:49], exec
	s_or_b64 s[44:45], s[44:45], s[46:47]
	s_andn2_b64 exec, exec, s[0:1]
	s_cbranch_execz .LBB23_207
.LBB23_201:                             ;   Parent Loop BB23_32 Depth=1
                                        ; =>  This Inner Loop Header: Depth=2
	v_cmp_gt_i64_e32 vcc, s[56:57], v[6:7]
	s_and_saveexec_b64 s[46:47], vcc
	s_cbranch_execz .LBB23_199
; %bb.202:                              ;   in Loop: Header=BB23_201 Depth=2
	global_load_dword v27, v[4:5], off
	s_waitcnt vmcnt(0)
	v_xor_b32_e32 v8, 0x80000000, v27
	v_and_b32_e32 v8, v8, v53
	v_cmp_eq_u32_e32 vcc, v8, v50
	s_and_b64 exec, exec, vcc
	s_cbranch_execz .LBB23_199
; %bb.203:                              ;   in Loop: Header=BB23_201 Depth=2
	ds_write_b64 v13, v[26:27] offset:3072
	s_branch .LBB23_199
.LBB23_204:                             ;   in Loop: Header=BB23_201 Depth=2
	v_add_co_u32_e32 v6, vcc, s33, v6
	v_addc_co_u32_e32 v7, vcc, 0, v7, vcc
	v_mov_b32_e32 v8, s81
	v_add_co_u32_e32 v4, vcc, s80, v4
	v_addc_co_u32_e32 v5, vcc, v5, v8, vcc
	v_cmp_le_i64_e32 vcc, s[42:43], v[6:7]
	s_mov_b64 s[48:49], 0
	s_orn2_b64 s[46:47], vcc, exec
	s_branch .LBB23_200
.LBB23_205:                             ;   in Loop: Header=BB23_32 Depth=1
                                        ; implicit-def: $sgpr0_sgpr1
	s_andn2_b64 vcc, exec, s[8:9]
	s_mov_b32 s52, s74
	s_cbranch_vccz .LBB23_150
	s_branch .LBB23_151
.LBB23_206:                             ;   in Loop: Header=BB23_32 Depth=1
                                        ; implicit-def: $sgpr8_sgpr9
	s_branch .LBB23_166
.LBB23_207:                             ;   in Loop: Header=BB23_32 Depth=1
	s_or_b64 exec, exec, s[0:1]
	s_and_b64 s[0:1], s[44:45], exec
.LBB23_208:                             ;   in Loop: Header=BB23_32 Depth=1
	s_or_b64 exec, exec, s[28:29]
	v_readlane_b32 s48, v58, 36
	v_readlane_b32 s49, v58, 37
	s_mov_b64 s[42:43], s[10:11]
.LBB23_209:                             ;   in Loop: Header=BB23_32 Depth=1
	s_and_b64 vcc, exec, s[8:9]
	s_cbranch_vccz .LBB23_223
; %bb.210:                              ;   in Loop: Header=BB23_32 Depth=1
	v_readlane_b32 s2, v58, 22
	s_add_u32 s34, s40, s2
	v_readlane_b32 s2, v58, 23
	s_addc_u32 s9, s41, s2
	s_mov_b32 s8, s77
	s_cmp_lg_u64 s[8:9], 0
	s_cbranch_scc0 .LBB23_251
; %bb.211:                              ;   in Loop: Header=BB23_32 Depth=1
	s_add_u32 s28, s33, 0
	s_addc_u32 s29, 0, 0
	s_xor_b64 s[28:29], s[28:29], 0
	v_cvt_f32_u32_e32 v4, s28
	v_cvt_f32_u32_e32 v5, s29
	s_sub_u32 s8, 0, s28
	s_mov_b64 s[2:3], s[42:43]
	s_subb_u32 s35, 0, s29
	v_mac_f32_e32 v4, 0x4f800000, v5
	v_rcp_f32_e32 v4, v4
	v_mul_f32_e32 v4, 0x5f7ffffc, v4
	v_mul_f32_e32 v5, 0x2f800000, v4
	v_trunc_f32_e32 v5, v5
	v_mac_f32_e32 v4, 0xcf800000, v5
	v_cvt_u32_f32_e32 v5, v5
	v_cvt_u32_f32_e32 v4, v4
	v_readfirstlane_b32 s42, v5
	v_readfirstlane_b32 s30, v4
	s_mul_i32 s31, s8, s42
	s_mul_hi_u32 s44, s8, s30
	s_mul_i32 s43, s35, s30
	s_add_i32 s31, s44, s31
	s_mul_i32 s45, s8, s30
	s_add_i32 s31, s31, s43
	s_mul_i32 s44, s30, s31
	s_mul_hi_u32 s46, s30, s45
	s_mul_hi_u32 s43, s30, s31
	s_add_u32 s44, s46, s44
	s_addc_u32 s43, 0, s43
	s_mul_hi_u32 s47, s42, s45
	s_mul_i32 s45, s42, s45
	s_add_u32 s44, s44, s45
	s_mul_hi_u32 s46, s42, s31
	s_addc_u32 s43, s43, s47
	s_addc_u32 s44, s46, 0
	s_mul_i32 s31, s42, s31
	s_add_u32 s31, s43, s31
	s_addc_u32 s43, 0, s44
	s_add_u32 s44, s30, s31
	s_cselect_b64 s[30:31], -1, 0
	s_cmp_lg_u64 s[30:31], 0
	s_addc_u32 s42, s42, s43
	s_mul_i32 s30, s8, s42
	s_mul_hi_u32 s31, s8, s44
	s_add_i32 s30, s31, s30
	s_mul_i32 s35, s35, s44
	s_add_i32 s30, s30, s35
	s_mul_i32 s8, s8, s44
	s_mul_hi_u32 s35, s42, s8
	s_mul_i32 s43, s42, s8
	s_mul_i32 s46, s44, s30
	s_mul_hi_u32 s8, s44, s8
	s_mul_hi_u32 s45, s44, s30
	s_add_u32 s8, s8, s46
	s_addc_u32 s45, 0, s45
	s_add_u32 s8, s8, s43
	s_mul_hi_u32 s31, s42, s30
	s_addc_u32 s8, s45, s35
	s_addc_u32 s31, s31, 0
	s_mul_i32 s30, s42, s30
	s_add_u32 s8, s8, s30
	s_addc_u32 s35, 0, s31
	s_add_u32 s8, s44, s8
	s_cselect_b64 s[30:31], -1, 0
	s_cmp_lg_u64 s[30:31], 0
	s_addc_u32 s35, s42, s35
	s_ashr_i32 s30, s9, 31
	s_add_u32 s42, s34, s30
	s_mov_b32 s31, s30
	s_addc_u32 s43, s9, s30
	s_xor_b64 s[42:43], s[42:43], s[30:31]
	s_mul_i32 s45, s42, s35
	s_mul_hi_u32 s46, s42, s8
	s_mul_hi_u32 s44, s42, s35
	s_add_u32 s45, s46, s45
	s_addc_u32 s44, 0, s44
	s_mul_hi_u32 s47, s43, s8
	s_mul_i32 s8, s43, s8
	s_add_u32 s8, s45, s8
	s_mul_hi_u32 s46, s43, s35
	s_addc_u32 s8, s44, s47
	s_addc_u32 s44, s46, 0
	s_mul_i32 s35, s43, s35
	s_add_u32 s8, s8, s35
	s_addc_u32 s35, 0, s44
	s_mul_i32 s35, s28, s35
	s_mul_hi_u32 s44, s28, s8
	s_add_i32 s35, s44, s35
	s_mul_i32 s44, s29, s8
	s_add_i32 s35, s35, s44
	s_sub_i32 s46, s43, s35
	s_mul_i32 s8, s28, s8
	s_sub_u32 s8, s42, s8
	s_cselect_b64 s[44:45], -1, 0
	s_cmp_lg_u64 s[44:45], 0
	s_subb_u32 s42, s46, s29
	s_sub_u32 s48, s8, s28
	s_cselect_b64 s[46:47], -1, 0
	s_cmp_lg_u64 s[46:47], 0
	s_subb_u32 s49, s42, 0
	s_cmp_ge_u32 s49, s29
	s_cselect_b32 s51, -1, 0
	s_cmp_ge_u32 s48, s28
	s_cselect_b32 s52, -1, 0
	s_cmp_eq_u32 s49, s29
	s_cselect_b32 s51, s52, s51
	s_cmp_lg_u64 s[46:47], 0
	s_subb_u32 s42, s42, s29
	s_sub_u32 s52, s48, s28
	s_cselect_b64 s[46:47], -1, 0
	s_cmp_lg_u64 s[46:47], 0
	s_subb_u32 s42, s42, 0
	s_cmp_lg_u32 s51, 0
	s_cselect_b32 s46, s52, s48
	s_cselect_b32 s42, s42, s49
	s_cmp_lg_u64 s[44:45], 0
	s_subb_u32 s35, s43, s35
	s_cmp_ge_u32 s35, s29
	s_cselect_b32 s43, -1, 0
	s_cmp_ge_u32 s8, s28
	s_cselect_b32 s28, -1, 0
	s_cmp_eq_u32 s35, s29
	s_cselect_b32 s28, s28, s43
	s_cmp_lg_u32 s28, 0
	s_cselect_b32 s29, s42, s35
	s_cselect_b32 s28, s46, s8
	s_xor_b64 s[28:29], s[28:29], s[30:31]
	v_readlane_b32 s48, v58, 36
	s_sub_u32 s28, s28, s30
	s_mov_b32 s52, s74
	v_readlane_b32 s49, v58, 37
	s_mov_b64 s[42:43], s[2:3]
	s_subb_u32 s29, s29, s30
	s_cbranch_execnz .LBB23_213
.LBB23_212:                             ;   in Loop: Header=BB23_32 Depth=1
	v_cvt_f32_u32_e32 v4, s33
	s_sub_i32 s8, 0, s33
	v_rcp_iflag_f32_e32 v4, v4
	v_mul_f32_e32 v4, 0x4f7ffffe, v4
	v_cvt_u32_f32_e32 v4, v4
	v_readfirstlane_b32 s28, v4
	s_mul_i32 s8, s8, s28
	s_mul_hi_u32 s8, s28, s8
	s_add_i32 s28, s28, s8
	s_mul_hi_u32 s8, s34, s28
	s_mul_i32 s8, s8, s33
	s_sub_i32 s8, s34, s8
	s_sub_i32 s28, s8, s33
	s_cmp_ge_u32 s8, s33
	s_cselect_b32 s8, s28, s8
	s_sub_i32 s28, s8, s33
	s_cmp_ge_u32 s8, s33
	s_cselect_b32 s76, s28, s8
	s_mov_b64 s[28:29], s[76:77]
.LBB23_213:                             ;   in Loop: Header=BB23_32 Depth=1
	s_sub_u32 s28, s34, s28
	s_subb_u32 s29, s9, s29
	v_cmp_gt_i64_e32 vcc, s[28:29], v[0:1]
                                        ; implicit-def: $vgpr28
	s_and_saveexec_b64 s[8:9], vcc
	s_cbranch_execz .LBB23_222
; %bb.214:                              ;   in Loop: Header=BB23_32 Depth=1
	v_mov_b32_e32 v5, v1
	s_mov_b64 s[2:3], s[42:43]
	s_mov_b64 s[30:31], 0
	v_mov_b32_e32 v6, v14
	v_mov_b32_e32 v4, v0
                                        ; implicit-def: $sgpr34_sgpr35
	s_branch .LBB23_217
.LBB23_215:                             ;   in Loop: Header=BB23_217 Depth=2
	s_or_b64 exec, exec, s[42:43]
	s_waitcnt lgkmcnt(0)
	s_barrier
	ds_read_b64 v[27:28], v13 offset:3072
	s_mov_b64 s[42:43], -1
	s_mov_b64 s[44:45], -1
	s_waitcnt lgkmcnt(0)
	s_barrier
	v_cmp_eq_u32_e32 vcc, 0, v27
	s_cbranch_vccnz .LBB23_220
.LBB23_216:                             ;   in Loop: Header=BB23_217 Depth=2
	s_and_b64 s[42:43], exec, s[42:43]
	s_or_b64 s[30:31], s[42:43], s[30:31]
	s_andn2_b64 s[34:35], s[34:35], exec
	s_and_b64 s[42:43], s[44:45], exec
	s_or_b64 s[34:35], s[34:35], s[42:43]
	s_andn2_b64 exec, exec, s[30:31]
	s_cbranch_execz .LBB23_221
.LBB23_217:                             ;   Parent Loop BB23_32 Depth=1
                                        ; =>  This Inner Loop Header: Depth=2
	v_cmp_gt_u64_e32 vcc, s[40:41], v[4:5]
	s_and_saveexec_b64 s[42:43], vcc
	s_cbranch_execz .LBB23_215
; %bb.218:                              ;   in Loop: Header=BB23_217 Depth=2
	ds_read_b32 v27, v6
	s_waitcnt lgkmcnt(0)
	v_xor_b32_e32 v7, 0x80000000, v27
	v_and_b32_e32 v7, v7, v53
	v_cmp_eq_u32_e32 vcc, v7, v50
	s_and_b64 exec, exec, vcc
	s_cbranch_execz .LBB23_215
; %bb.219:                              ;   in Loop: Header=BB23_217 Depth=2
	ds_write_b64 v13, v[26:27] offset:3072
	s_branch .LBB23_215
.LBB23_220:                             ;   in Loop: Header=BB23_217 Depth=2
	v_add_co_u32_e32 v4, vcc, s33, v4
	v_addc_co_u32_e32 v5, vcc, 0, v5, vcc
	v_cmp_le_i64_e32 vcc, s[28:29], v[4:5]
	v_add_u32_e32 v6, s52, v6
	s_mov_b64 s[44:45], 0
	s_orn2_b64 s[42:43], vcc, exec
	s_branch .LBB23_216
.LBB23_221:                             ;   in Loop: Header=BB23_32 Depth=1
	s_or_b64 exec, exec, s[30:31]
	s_andn2_b64 s[0:1], s[0:1], exec
	s_and_b64 s[28:29], s[34:35], exec
	s_or_b64 s[0:1], s[0:1], s[28:29]
	s_mov_b64 s[42:43], s[2:3]
.LBB23_222:                             ;   in Loop: Header=BB23_32 Depth=1
	s_or_b64 exec, exec, s[8:9]
	s_mov_b64 s[30:31], 0
	s_mov_b64 s[34:35], -1
.LBB23_223:                             ;   in Loop: Header=BB23_32 Depth=1
	s_orn2_b64 s[0:1], s[0:1], exec
.LBB23_224:                             ;   in Loop: Header=BB23_32 Depth=1
	s_or_b64 exec, exec, s[36:37]
	s_mov_b64 s[8:9], 0
	s_and_saveexec_b64 s[36:37], s[0:1]
	s_cbranch_execz .LBB23_282
; %bb.225:                              ;   in Loop: Header=BB23_32 Depth=1
	v_mov_b32_e32 v4, 1
	s_xor_b64 s[28:29], s[38:39], -1
	v_mov_b32_e32 v12, 1
	v_mov_b32_e32 v5, 0
	s_and_saveexec_b64 s[0:1], s[28:29]
	s_cbranch_execz .LBB23_234
; %bb.226:                              ;   in Loop: Header=BB23_32 Depth=1
	v_cmp_ge_i64_e32 vcc, s[20:21], v[2:3]
	s_and_saveexec_b64 s[8:9], vcc
	s_xor_b64 s[8:9], exec, s[8:9]
	s_cbranch_execz .LBB23_231
; %bb.227:                              ;   in Loop: Header=BB23_32 Depth=1
	v_and_b32_e32 v4, s50, v50
	v_lshl_or_b32 v50, 2, s71, v4
	ds_read_b64 v[4:5], v13 offset:5120
	v_or_b32_e32 v53, s72, v53
	s_waitcnt lgkmcnt(0)
	v_cmp_ne_u64_e32 vcc, 0, v[4:5]
	s_cbranch_vccnz .LBB23_231
; %bb.228:                              ;   in Loop: Header=BB23_32 Depth=1
	s_mov_b64 s[28:29], exec
	v_readlane_b32 s38, v58, 14
	v_readlane_b32 s39, v58, 15
	s_and_b64 s[38:39], s[28:29], s[38:39]
	s_mov_b64 exec, s[38:39]
; %bb.229:                              ;   in Loop: Header=BB23_32 Depth=1
	v_mov_b32_e32 v4, s20
	v_mov_b32_e32 v5, s21
	ds_write_b64 v13, v[4:5] offset:5128
; %bb.230:                              ;   in Loop: Header=BB23_32 Depth=1
	s_or_b64 exec, exec, s[28:29]
	s_waitcnt lgkmcnt(0)
	s_barrier
.LBB23_231:                             ;   in Loop: Header=BB23_32 Depth=1
	s_or_saveexec_b64 s[8:9], s[8:9]
	s_mov_b64 s[28:29], 0
	v_mov_b32_e32 v12, 8
	s_xor_b64 exec, exec, s[8:9]
; %bb.232:                              ;   in Loop: Header=BB23_32 Depth=1
	v_subrev_co_u32_e32 v2, vcc, s20, v2
	v_mov_b32_e32 v4, s21
	v_subb_co_u32_e32 v3, vcc, v3, v4, vcc
	v_mov_b32_e32 v12, 0
	s_mov_b64 s[28:29], exec
; %bb.233:                              ;   in Loop: Header=BB23_32 Depth=1
	s_or_b64 exec, exec, s[8:9]
	v_mov_b32_e32 v5, v3
	s_and_b64 s[8:9], s[28:29], exec
	v_mov_b32_e32 v4, v2
.LBB23_234:                             ;   in Loop: Header=BB23_32 Depth=1
	s_or_b64 exec, exec, s[0:1]
	s_mov_b64 s[0:1], -1
                                        ; implicit-def: $sgpr46_sgpr47
                                        ; implicit-def: $sgpr44_sgpr45
	s_and_saveexec_b64 s[20:21], s[8:9]
	s_cbranch_execz .LBB23_281
; %bb.235:                              ;   in Loop: Header=BB23_32 Depth=1
	s_cmp_eq_u64 s[12:13], 1
	v_cmp_eq_u64_e32 vcc, 1, v[4:5]
	s_cselect_b64 s[0:1], -1, 0
	s_and_b64 s[38:39], s[0:1], vcc
	s_mov_b64 s[8:9], -1
                                        ; implicit-def: $sgpr46_sgpr47
                                        ; implicit-def: $sgpr44_sgpr45
	s_and_saveexec_b64 s[40:41], s[38:39]
	s_cbranch_execz .LBB23_269
; %bb.236:                              ;   in Loop: Header=BB23_32 Depth=1
	ds_read_b64 v[2:3], v13 offset:5120
	s_mov_b64 s[84:85], s[42:43]
	s_waitcnt lgkmcnt(0)
	s_barrier
	v_readfirstlane_b32 s42, v2
	v_readfirstlane_b32 s43, v3
	s_and_saveexec_b64 s[0:1], s[60:61]
; %bb.237:                              ;   in Loop: Header=BB23_32 Depth=1
	ds_write_b32 v42, v13
; %bb.238:                              ;   in Loop: Header=BB23_32 Depth=1
	s_or_b64 exec, exec, s[0:1]
	v_cmp_gt_i64_e64 s[0:1], s[42:43], 0
	v_or_b32_e32 v50, s72, v50
	v_or_b32_e32 v53, s72, v53
	s_mov_b64 s[44:45], -1
	s_mov_b64 s[46:47], 0
	s_and_b64 vcc, exec, s[0:1]
	s_mov_b64 s[0:1], 0
	s_waitcnt lgkmcnt(0)
	s_barrier
                                        ; implicit-def: $vgpr28
	s_cbranch_vccnz .LBB23_254
; %bb.239:                              ;   in Loop: Header=BB23_32 Depth=1
	s_mov_b32 s52, s77
	s_mov_b64 s[10:11], s[58:59]
	s_cmp_lg_u64 s[52:53], 0
	s_mov_b32 s59, s53
	s_cbranch_scc0 .LBB23_288
; %bb.240:                              ;   in Loop: Header=BB23_32 Depth=1
	s_add_u32 s0, s33, 0
	s_addc_u32 s1, 0, 0
	s_xor_b64 s[0:1], s[0:1], 0
	v_cvt_f32_u32_e32 v2, s0
	v_cvt_f32_u32_e32 v3, s1
	s_sub_u32 s28, 0, s0
	s_subb_u32 s29, 0, s1
	s_mov_b32 s3, s59
	v_mac_f32_e32 v2, 0x4f800000, v3
	v_rcp_f32_e32 v2, v2
	v_mul_f32_e32 v2, 0x5f7ffffc, v2
	v_mul_f32_e32 v3, 0x2f800000, v2
	v_trunc_f32_e32 v3, v3
	v_mac_f32_e32 v2, 0xcf800000, v3
	v_cvt_u32_f32_e32 v3, v3
	v_cvt_u32_f32_e32 v2, v2
	v_readfirstlane_b32 s48, v3
	v_readfirstlane_b32 s8, v2
	s_mul_i32 s9, s28, s48
	s_mul_hi_u32 s50, s28, s8
	s_mul_i32 s49, s29, s8
	s_add_i32 s9, s50, s9
	s_mul_i32 s51, s28, s8
	s_add_i32 s9, s9, s49
	s_mul_i32 s50, s8, s9
	s_mul_hi_u32 s52, s8, s51
	s_mul_hi_u32 s49, s8, s9
	s_add_u32 s50, s52, s50
	s_addc_u32 s49, 0, s49
	s_mul_hi_u32 s53, s48, s51
	s_mul_i32 s51, s48, s51
	s_add_u32 s50, s50, s51
	s_mul_hi_u32 s52, s48, s9
	s_addc_u32 s49, s49, s53
	s_addc_u32 s50, s52, 0
	s_mul_i32 s9, s48, s9
	s_add_u32 s9, s49, s9
	s_addc_u32 s49, 0, s50
	s_add_u32 s50, s8, s9
	s_cselect_b64 s[8:9], -1, 0
	s_cmp_lg_u64 s[8:9], 0
	s_addc_u32 s48, s48, s49
	s_mul_i32 s8, s28, s48
	s_mul_hi_u32 s9, s28, s50
	s_add_i32 s8, s9, s8
	s_mul_i32 s29, s29, s50
	s_add_i32 s8, s8, s29
	s_mul_i32 s28, s28, s50
	s_mul_hi_u32 s29, s48, s28
	s_mul_i32 s49, s48, s28
	s_mul_i32 s52, s50, s8
	s_mul_hi_u32 s28, s50, s28
	s_mul_hi_u32 s51, s50, s8
	s_add_u32 s28, s28, s52
	s_addc_u32 s51, 0, s51
	s_add_u32 s28, s28, s49
	s_mul_hi_u32 s9, s48, s8
	s_addc_u32 s28, s51, s29
	s_addc_u32 s9, s9, 0
	s_mul_i32 s8, s48, s8
	s_add_u32 s8, s28, s8
	s_addc_u32 s28, 0, s9
	s_add_u32 s49, s50, s8
	s_cselect_b64 s[8:9], -1, 0
	s_cmp_lg_u64 s[8:9], 0
	s_addc_u32 s48, s48, s28
	s_ashr_i32 s8, s59, 31
	s_add_u32 s28, s73, s8
	s_mov_b32 s9, s8
	s_addc_u32 s29, s59, s8
	s_xor_b64 s[28:29], s[28:29], s[8:9]
	s_mul_i32 s51, s28, s48
	s_mul_hi_u32 s52, s28, s49
	s_mul_hi_u32 s50, s28, s48
	s_add_u32 s51, s52, s51
	s_addc_u32 s50, 0, s50
	s_mul_hi_u32 s53, s29, s49
	s_mul_i32 s49, s29, s49
	s_add_u32 s49, s51, s49
	s_mul_hi_u32 s52, s29, s48
	s_addc_u32 s49, s50, s53
	s_addc_u32 s50, s52, 0
	s_mul_i32 s48, s29, s48
	s_add_u32 s48, s49, s48
	s_addc_u32 s49, 0, s50
	s_mul_i32 s49, s0, s49
	s_mul_hi_u32 s50, s0, s48
	s_add_i32 s49, s50, s49
	s_mul_i32 s50, s1, s48
	s_add_i32 s52, s49, s50
	s_sub_i32 s50, s29, s52
	s_mul_i32 s48, s0, s48
	s_sub_u32 s28, s28, s48
	s_cselect_b64 s[48:49], -1, 0
	s_cmp_lg_u64 s[48:49], 0
	s_subb_u32 s53, s50, s1
	s_sub_u32 s58, s28, s0
	s_cselect_b64 s[50:51], -1, 0
	s_cmp_lg_u64 s[50:51], 0
	s_subb_u32 s59, s53, 0
	s_cmp_ge_u32 s59, s1
	s_cselect_b32 s73, -1, 0
	s_cmp_ge_u32 s58, s0
	s_cselect_b32 s76, -1, 0
	s_cmp_eq_u32 s59, s1
	s_cselect_b32 s73, s76, s73
	s_cmp_lg_u64 s[50:51], 0
	s_subb_u32 s53, s53, s1
	s_sub_u32 s76, s58, s0
	s_cselect_b64 s[50:51], -1, 0
	s_cmp_lg_u64 s[50:51], 0
	s_subb_u32 s50, s53, 0
	s_cmp_lg_u32 s73, 0
	s_cselect_b32 s51, s76, s58
	s_cselect_b32 s50, s50, s59
	s_cmp_lg_u64 s[48:49], 0
	s_subb_u32 s29, s29, s52
	s_cmp_ge_u32 s29, s1
	s_cselect_b32 s48, -1, 0
	s_cmp_ge_u32 s28, s0
	s_cselect_b32 s0, -1, 0
	s_cmp_eq_u32 s29, s1
	s_cselect_b32 s0, s0, s48
	s_cmp_lg_u32 s0, 0
	s_cselect_b32 s1, s50, s29
	s_cselect_b32 s0, s51, s28
	s_xor_b64 s[0:1], s[0:1], s[8:9]
	s_sub_u32 s0, s0, s8
	v_readlane_b32 s73, v58, 35
	s_subb_u32 s1, s1, s8
	s_mov_b32 s52, s74
	s_mov_b64 s[58:59], s[10:11]
	s_cbranch_execnz .LBB23_242
.LBB23_241:                             ;   in Loop: Header=BB23_32 Depth=1
	v_cvt_f32_u32_e32 v2, s33
	s_sub_i32 s0, 0, s33
	v_rcp_iflag_f32_e32 v2, v2
	v_mul_f32_e32 v2, 0x4f7ffffe, v2
	v_cvt_u32_f32_e32 v2, v2
	v_readfirstlane_b32 s1, v2
	s_mul_i32 s0, s0, s1
	s_mul_hi_u32 s0, s1, s0
	s_add_i32 s1, s1, s0
	s_mul_hi_u32 s0, s73, s1
	s_mul_i32 s0, s0, s33
	s_sub_i32 s0, s73, s0
	s_sub_i32 s1, s0, s33
	s_cmp_ge_u32 s0, s33
	s_cselect_b32 s0, s1, s0
	s_sub_i32 s1, s0, s33
	s_cmp_ge_u32 s0, s33
	s_cselect_b32 s76, s1, s0
	s_mov_b64 s[0:1], s[76:77]
.LBB23_242:                             ;   in Loop: Header=BB23_32 Depth=1
	s_sub_u32 s48, s73, s0
	s_subb_u32 s49, s3, s1
	v_cmp_gt_i64_e32 vcc, s[48:49], v[0:1]
	s_mov_b32 s53, s3
	s_mov_b64 s[8:9], 0
	s_mov_b64 s[0:1], 0
                                        ; implicit-def: $vgpr28
	s_and_saveexec_b64 s[28:29], vcc
	s_cbranch_execz .LBB23_253
; %bb.243:                              ;   in Loop: Header=BB23_32 Depth=1
	v_mov_b32_e32 v2, v10
	v_mov_b32_e32 v7, v1
	s_mov_b32 s3, s53
	v_mov_b32_e32 v3, v11
	v_mov_b32_e32 v6, v0
                                        ; implicit-def: $sgpr50_sgpr51
	s_branch .LBB23_246
.LBB23_244:                             ;   in Loop: Header=BB23_246 Depth=2
	s_or_b64 exec, exec, s[52:53]
	s_waitcnt lgkmcnt(0)
	s_barrier
	ds_read_b64 v[27:28], v13 offset:3072
	s_mov_b64 s[52:53], -1
	s_mov_b64 s[58:59], -1
	s_waitcnt lgkmcnt(0)
	s_barrier
	v_cmp_ne_u32_e32 vcc, 0, v27
	s_cbranch_vccz .LBB23_249
.LBB23_245:                             ;   in Loop: Header=BB23_246 Depth=2
	s_and_b64 s[52:53], exec, s[52:53]
	s_or_b64 s[0:1], s[52:53], s[0:1]
	s_andn2_b64 s[50:51], s[50:51], exec
	s_and_b64 s[52:53], s[58:59], exec
	s_or_b64 s[50:51], s[50:51], s[52:53]
	s_andn2_b64 exec, exec, s[0:1]
	s_cbranch_execz .LBB23_252
.LBB23_246:                             ;   Parent Loop BB23_32 Depth=1
                                        ; =>  This Inner Loop Header: Depth=2
	v_cmp_gt_i64_e32 vcc, s[56:57], v[6:7]
	s_and_saveexec_b64 s[52:53], vcc
	s_cbranch_execz .LBB23_244
; %bb.247:                              ;   in Loop: Header=BB23_246 Depth=2
	global_load_dword v27, v[2:3], off
	s_waitcnt vmcnt(0)
	v_xor_b32_e32 v8, 0x80000000, v27
	v_and_b32_e32 v8, v8, v53
	v_cmp_eq_u32_e32 vcc, v8, v50
	s_and_b64 exec, exec, vcc
	s_cbranch_execz .LBB23_244
; %bb.248:                              ;   in Loop: Header=BB23_246 Depth=2
	ds_write_b64 v13, v[26:27] offset:3072
	s_branch .LBB23_244
.LBB23_249:                             ;   in Loop: Header=BB23_246 Depth=2
	v_add_co_u32_e32 v6, vcc, s33, v6
	v_addc_co_u32_e32 v7, vcc, 0, v7, vcc
	v_mov_b32_e32 v8, s81
	v_add_co_u32_e32 v2, vcc, s80, v2
	v_addc_co_u32_e32 v3, vcc, v3, v8, vcc
	v_cmp_le_i64_e32 vcc, s[48:49], v[6:7]
	s_mov_b64 s[58:59], 0
	s_orn2_b64 s[52:53], vcc, exec
	s_branch .LBB23_245
.LBB23_250:                             ;   in Loop: Header=BB23_32 Depth=1
	s_mov_b32 s3, s53
                                        ; implicit-def: $sgpr0_sgpr1
	s_andn2_b64 vcc, exec, s[8:9]
	s_mov_b32 s52, s74
	s_cbranch_vccz .LBB23_196
	s_branch .LBB23_197
.LBB23_251:                             ;   in Loop: Header=BB23_32 Depth=1
                                        ; implicit-def: $sgpr28_sgpr29
	s_branch .LBB23_212
.LBB23_252:                             ;   in Loop: Header=BB23_32 Depth=1
	s_or_b64 exec, exec, s[0:1]
	s_and_b64 s[0:1], s[50:51], exec
	s_mov_b32 s53, s3
	s_mov_b32 s52, s74
	s_mov_b64 s[58:59], s[10:11]
.LBB23_253:                             ;   in Loop: Header=BB23_32 Depth=1
	s_or_b64 exec, exec, s[28:29]
	v_readlane_b32 s48, v58, 36
	v_readlane_b32 s49, v58, 37
.LBB23_254:                             ;   in Loop: Header=BB23_32 Depth=1
	s_and_b64 vcc, exec, s[8:9]
	s_cbranch_vccz .LBB23_268
; %bb.255:                              ;   in Loop: Header=BB23_32 Depth=1
	v_readlane_b32 s2, v58, 22
	s_add_u32 s46, s42, s2
	v_readlane_b32 s2, v58, 23
	s_addc_u32 s9, s43, s2
	s_mov_b32 s8, s77
	s_mov_b32 s3, s53
	s_cmp_lg_u64 s[8:9], 0
	s_cbranch_scc0 .LBB23_289
; %bb.256:                              ;   in Loop: Header=BB23_32 Depth=1
	s_add_u32 s28, s33, 0
	s_addc_u32 s29, 0, 0
	s_xor_b64 s[28:29], s[28:29], 0
	v_cvt_f32_u32_e32 v2, s28
	v_cvt_f32_u32_e32 v3, s29
	s_sub_u32 s8, 0, s28
	s_subb_u32 s47, 0, s29
	s_mov_b64 s[10:11], s[58:59]
	v_mac_f32_e32 v2, 0x4f800000, v3
	v_rcp_f32_e32 v2, v2
	v_mul_f32_e32 v2, 0x5f7ffffc, v2
	v_mul_f32_e32 v3, 0x2f800000, v2
	v_trunc_f32_e32 v3, v3
	v_mac_f32_e32 v2, 0xcf800000, v3
	v_cvt_u32_f32_e32 v3, v3
	v_cvt_u32_f32_e32 v2, v2
	v_readfirstlane_b32 s48, v3
	v_readfirstlane_b32 s44, v2
	s_mul_i32 s45, s8, s48
	s_mul_hi_u32 s50, s8, s44
	s_mul_i32 s49, s47, s44
	s_add_i32 s45, s50, s45
	s_mul_i32 s51, s8, s44
	s_add_i32 s45, s45, s49
	s_mul_i32 s50, s44, s45
	s_mul_hi_u32 s52, s44, s51
	s_mul_hi_u32 s49, s44, s45
	s_add_u32 s50, s52, s50
	s_addc_u32 s49, 0, s49
	s_mul_hi_u32 s53, s48, s51
	s_mul_i32 s51, s48, s51
	s_add_u32 s50, s50, s51
	s_mul_hi_u32 s52, s48, s45
	s_addc_u32 s49, s49, s53
	s_addc_u32 s50, s52, 0
	s_mul_i32 s45, s48, s45
	s_add_u32 s45, s49, s45
	s_addc_u32 s49, 0, s50
	s_add_u32 s50, s44, s45
	s_cselect_b64 s[44:45], -1, 0
	s_cmp_lg_u64 s[44:45], 0
	s_addc_u32 s48, s48, s49
	s_mul_i32 s44, s8, s48
	s_mul_hi_u32 s45, s8, s50
	s_add_i32 s44, s45, s44
	s_mul_i32 s47, s47, s50
	s_add_i32 s44, s44, s47
	s_mul_i32 s8, s8, s50
	s_mul_hi_u32 s47, s48, s8
	s_mul_i32 s49, s48, s8
	s_mul_i32 s52, s50, s44
	s_mul_hi_u32 s8, s50, s8
	s_mul_hi_u32 s51, s50, s44
	s_add_u32 s8, s8, s52
	s_addc_u32 s51, 0, s51
	s_add_u32 s8, s8, s49
	s_mul_hi_u32 s45, s48, s44
	s_addc_u32 s8, s51, s47
	s_addc_u32 s45, s45, 0
	s_mul_i32 s44, s48, s44
	s_add_u32 s8, s8, s44
	s_addc_u32 s47, 0, s45
	s_add_u32 s8, s50, s8
	s_cselect_b64 s[44:45], -1, 0
	s_cmp_lg_u64 s[44:45], 0
	s_addc_u32 s47, s48, s47
	s_ashr_i32 s44, s9, 31
	s_add_u32 s48, s46, s44
	s_mov_b32 s45, s44
	s_addc_u32 s49, s9, s44
	s_xor_b64 s[48:49], s[48:49], s[44:45]
	s_mul_i32 s51, s48, s47
	s_mul_hi_u32 s52, s48, s8
	s_mul_hi_u32 s50, s48, s47
	s_add_u32 s51, s52, s51
	s_addc_u32 s50, 0, s50
	s_mul_hi_u32 s53, s49, s8
	s_mul_i32 s8, s49, s8
	s_add_u32 s8, s51, s8
	s_mul_hi_u32 s52, s49, s47
	s_addc_u32 s8, s50, s53
	s_addc_u32 s50, s52, 0
	s_mul_i32 s47, s49, s47
	s_add_u32 s8, s8, s47
	s_addc_u32 s47, 0, s50
	s_mul_i32 s47, s28, s47
	s_mul_hi_u32 s50, s28, s8
	s_add_i32 s47, s50, s47
	s_mul_i32 s50, s29, s8
	s_add_i32 s47, s47, s50
	s_sub_i32 s52, s49, s47
	s_mul_i32 s8, s28, s8
	s_sub_u32 s8, s48, s8
	s_cselect_b64 s[50:51], -1, 0
	s_cmp_lg_u64 s[50:51], 0
	s_subb_u32 s48, s52, s29
	s_sub_u32 s58, s8, s28
	s_cselect_b64 s[52:53], -1, 0
	s_cmp_lg_u64 s[52:53], 0
	s_subb_u32 s59, s48, 0
	s_cmp_ge_u32 s59, s29
	s_cselect_b32 s73, -1, 0
	s_cmp_ge_u32 s58, s28
	s_cselect_b32 s76, -1, 0
	s_cmp_eq_u32 s59, s29
	s_cselect_b32 s73, s76, s73
	s_cmp_lg_u64 s[52:53], 0
	s_subb_u32 s48, s48, s29
	s_sub_u32 s76, s58, s28
	s_cselect_b64 s[52:53], -1, 0
	s_cmp_lg_u64 s[52:53], 0
	s_subb_u32 s48, s48, 0
	s_cmp_lg_u32 s73, 0
	s_cselect_b32 s52, s76, s58
	s_cselect_b32 s48, s48, s59
	s_cmp_lg_u64 s[50:51], 0
	s_subb_u32 s47, s49, s47
	s_cmp_ge_u32 s47, s29
	s_cselect_b32 s49, -1, 0
	s_cmp_ge_u32 s8, s28
	s_cselect_b32 s28, -1, 0
	s_cmp_eq_u32 s47, s29
	s_cselect_b32 s28, s28, s49
	s_cmp_lg_u32 s28, 0
	s_cselect_b32 s29, s48, s47
	s_cselect_b32 s28, s52, s8
	s_xor_b64 s[28:29], s[28:29], s[44:45]
	v_readlane_b32 s48, v58, 36
	s_sub_u32 s28, s28, s44
	s_mov_b64 s[58:59], s[10:11]
	v_readlane_b32 s49, v58, 37
	s_mov_b32 s52, s74
	s_subb_u32 s29, s29, s44
	s_cbranch_execnz .LBB23_258
.LBB23_257:                             ;   in Loop: Header=BB23_32 Depth=1
	v_cvt_f32_u32_e32 v2, s33
	s_sub_i32 s8, 0, s33
	v_rcp_iflag_f32_e32 v2, v2
	v_mul_f32_e32 v2, 0x4f7ffffe, v2
	v_cvt_u32_f32_e32 v2, v2
	v_readfirstlane_b32 s28, v2
	s_mul_i32 s8, s8, s28
	s_mul_hi_u32 s8, s28, s8
	s_add_i32 s28, s28, s8
	s_mul_hi_u32 s8, s46, s28
	s_mul_i32 s8, s8, s33
	s_sub_i32 s8, s46, s8
	s_sub_i32 s28, s8, s33
	s_cmp_ge_u32 s8, s33
	s_cselect_b32 s8, s28, s8
	s_sub_i32 s28, s8, s33
	s_cmp_ge_u32 s8, s33
	s_cselect_b32 s76, s28, s8
	s_mov_b64 s[28:29], s[76:77]
.LBB23_258:                             ;   in Loop: Header=BB23_32 Depth=1
	s_sub_u32 s28, s46, s28
	s_subb_u32 s29, s9, s29
	v_cmp_gt_i64_e32 vcc, s[28:29], v[0:1]
                                        ; implicit-def: $vgpr28
	s_and_saveexec_b64 s[8:9], vcc
	v_readlane_b32 s73, v58, 35
	s_mov_b32 s53, s3
	s_cbranch_execz .LBB23_267
; %bb.259:                              ;   in Loop: Header=BB23_32 Depth=1
	v_mov_b32_e32 v3, v1
	s_mov_b64 s[44:45], 0
	v_mov_b32_e32 v6, v14
	v_mov_b32_e32 v2, v0
                                        ; implicit-def: $sgpr46_sgpr47
	s_branch .LBB23_262
.LBB23_260:                             ;   in Loop: Header=BB23_262 Depth=2
	s_or_b64 exec, exec, s[48:49]
	s_waitcnt lgkmcnt(0)
	s_barrier
	ds_read_b64 v[27:28], v13 offset:3072
	s_mov_b64 s[48:49], -1
	s_mov_b64 s[50:51], -1
	s_waitcnt lgkmcnt(0)
	s_barrier
	v_cmp_eq_u32_e32 vcc, 0, v27
	s_cbranch_vccnz .LBB23_265
.LBB23_261:                             ;   in Loop: Header=BB23_262 Depth=2
	s_and_b64 s[48:49], exec, s[48:49]
	s_or_b64 s[44:45], s[48:49], s[44:45]
	s_andn2_b64 s[46:47], s[46:47], exec
	s_and_b64 s[48:49], s[50:51], exec
	s_or_b64 s[46:47], s[46:47], s[48:49]
	s_andn2_b64 exec, exec, s[44:45]
	s_cbranch_execz .LBB23_266
.LBB23_262:                             ;   Parent Loop BB23_32 Depth=1
                                        ; =>  This Inner Loop Header: Depth=2
	v_cmp_gt_u64_e32 vcc, s[42:43], v[2:3]
	s_and_saveexec_b64 s[48:49], vcc
	s_cbranch_execz .LBB23_260
; %bb.263:                              ;   in Loop: Header=BB23_262 Depth=2
	ds_read_b32 v27, v6
	s_waitcnt lgkmcnt(0)
	v_xor_b32_e32 v7, 0x80000000, v27
	v_and_b32_e32 v7, v7, v53
	v_cmp_eq_u32_e32 vcc, v7, v50
	s_and_b64 exec, exec, vcc
	s_cbranch_execz .LBB23_260
; %bb.264:                              ;   in Loop: Header=BB23_262 Depth=2
	ds_write_b64 v13, v[26:27] offset:3072
	s_branch .LBB23_260
.LBB23_265:                             ;   in Loop: Header=BB23_262 Depth=2
	v_add_co_u32_e32 v2, vcc, s33, v2
	v_addc_co_u32_e32 v3, vcc, 0, v3, vcc
	v_cmp_le_i64_e32 vcc, s[28:29], v[2:3]
	v_add_u32_e32 v6, s52, v6
	s_mov_b64 s[50:51], 0
	s_orn2_b64 s[48:49], vcc, exec
	s_branch .LBB23_261
.LBB23_266:                             ;   in Loop: Header=BB23_32 Depth=1
	s_or_b64 exec, exec, s[44:45]
	s_andn2_b64 s[0:1], s[0:1], exec
	s_and_b64 s[28:29], s[46:47], exec
	v_readlane_b32 s48, v58, 36
	s_or_b64 s[0:1], s[0:1], s[28:29]
	v_readlane_b32 s49, v58, 37
.LBB23_267:                             ;   in Loop: Header=BB23_32 Depth=1
	s_or_b64 exec, exec, s[8:9]
	s_mov_b64 s[44:45], 0
	s_mov_b64 s[46:47], -1
.LBB23_268:                             ;   in Loop: Header=BB23_32 Depth=1
	s_orn2_b64 s[8:9], s[0:1], exec
	s_mov_b64 s[42:43], s[84:85]
.LBB23_269:                             ;   in Loop: Header=BB23_32 Depth=1
	s_or_b64 exec, exec, s[40:41]
	s_mov_b64 s[28:29], 0
	s_and_saveexec_b64 s[0:1], s[8:9]
	s_cbranch_execz .LBB23_280
; %bb.270:                              ;   in Loop: Header=BB23_32 Depth=1
	v_mov_b32_e32 v2, 1
	s_xor_b64 s[28:29], s[38:39], -1
	v_mov_b32_e32 v3, 0
	v_mov_b32_e32 v12, 1
	s_and_saveexec_b64 s[8:9], s[28:29]
	s_cbranch_execz .LBB23_279
; %bb.271:                              ;   in Loop: Header=BB23_32 Depth=1
	v_cmp_ge_i64_e32 vcc, s[12:13], v[4:5]
	s_and_saveexec_b64 s[28:29], vcc
	s_xor_b64 s[28:29], exec, s[28:29]
	s_cbranch_execz .LBB23_276
; %bb.272:                              ;   in Loop: Header=BB23_32 Depth=1
	ds_read_b64 v[2:3], v13 offset:5120
	v_or_b32_e32 v50, s72, v50
	v_or_b32_e32 v53, s72, v53
	s_waitcnt lgkmcnt(0)
	v_cmp_ne_u64_e32 vcc, 0, v[2:3]
	s_cbranch_vccnz .LBB23_276
; %bb.273:                              ;   in Loop: Header=BB23_32 Depth=1
	s_mov_b64 s[38:39], exec
	v_readlane_b32 s40, v58, 14
	v_readlane_b32 s41, v58, 15
	s_and_b64 s[40:41], s[38:39], s[40:41]
	s_mov_b64 exec, s[40:41]
; %bb.274:                              ;   in Loop: Header=BB23_32 Depth=1
	v_mov_b32_e32 v2, s12
	v_mov_b32_e32 v3, s13
	ds_write_b64 v13, v[2:3] offset:5128
; %bb.275:                              ;   in Loop: Header=BB23_32 Depth=1
	s_or_b64 exec, exec, s[38:39]
	s_waitcnt lgkmcnt(0)
	s_barrier
.LBB23_276:                             ;   in Loop: Header=BB23_32 Depth=1
	s_andn2_saveexec_b64 s[28:29], s[28:29]
; %bb.277:                              ;   in Loop: Header=BB23_32 Depth=1
	v_mov_b32_e32 v2, s13
	v_subrev_co_u32_e32 v4, vcc, s12, v4
	v_subb_co_u32_e32 v5, vcc, v5, v2, vcc
; %bb.278:                              ;   in Loop: Header=BB23_32 Depth=1
	s_or_b64 exec, exec, s[28:29]
	v_mov_b32_e32 v2, v4
	v_mov_b32_e32 v12, 8
	;; [unrolled: 1-line block ×3, first 2 shown]
.LBB23_279:                             ;   in Loop: Header=BB23_32 Depth=1
	s_or_b64 exec, exec, s[8:9]
	v_mov_b32_e32 v5, v3
	s_mov_b64 s[28:29], exec
	v_mov_b32_e32 v4, v2
.LBB23_280:                             ;   in Loop: Header=BB23_32 Depth=1
	s_or_b64 exec, exec, s[0:1]
	s_orn2_b64 s[0:1], s[28:29], exec
.LBB23_281:                             ;   in Loop: Header=BB23_32 Depth=1
	s_or_b64 exec, exec, s[20:21]
	s_andn2_b64 s[8:9], s[34:35], exec
	s_and_b64 s[12:13], s[46:47], exec
	s_or_b64 s[34:35], s[8:9], s[12:13]
	s_andn2_b64 s[8:9], s[30:31], exec
	s_and_b64 s[12:13], s[44:45], exec
	v_mov_b32_e32 v2, v4
	s_or_b64 s[30:31], s[8:9], s[12:13]
	s_and_b64 s[8:9], s[0:1], exec
	v_mov_b32_e32 v3, v5
.LBB23_282:                             ;   in Loop: Header=BB23_32 Depth=1
	s_or_b64 exec, exec, s[36:37]
	s_orn2_b64 s[0:1], s[8:9], exec
.LBB23_283:                             ;   in Loop: Header=BB23_32 Depth=1
	s_or_b64 exec, exec, s[26:27]
	s_andn2_b64 s[8:9], s[22:23], exec
	s_and_b64 s[12:13], s[34:35], exec
	s_or_b64 s[22:23], s[8:9], s[12:13]
	s_andn2_b64 s[6:7], s[6:7], exec
	s_and_b64 s[8:9], s[30:31], exec
	v_mov_b32_e32 v7, v3
	s_or_b64 s[6:7], s[6:7], s[8:9]
	s_and_b64 s[8:9], s[0:1], exec
	v_mov_b32_e32 v6, v2
.LBB23_284:                             ;   in Loop: Header=BB23_32 Depth=1
	s_or_b64 exec, exec, s[24:25]
	s_orn2_b64 s[0:1], s[8:9], exec
.LBB23_285:                             ;   in Loop: Header=BB23_32 Depth=1
	s_or_b64 exec, exec, s[18:19]
	s_mov_b64 s[8:9], 0
	s_and_saveexec_b64 s[12:13], s[0:1]
	s_xor_b64 s[0:1], exec, s[12:13]
	s_cbranch_execz .LBB23_30
; %bb.286:                              ;   in Loop: Header=BB23_32 Depth=1
	v_and_b32_e32 v2, 7, v12
	v_cmp_eq_u32_e32 vcc, 0, v2
	s_mov_b64 s[12:13], -1
	s_mov_b64 s[8:9], -1
	s_and_saveexec_b64 s[16:17], vcc
	s_cbranch_execz .LBB23_29
; %bb.287:                              ;   in Loop: Header=BB23_32 Depth=1
	s_add_i32 s18, s71, -2
	s_cmp_eq_u32 s71, 0
	s_cselect_b64 s[12:13], -1, 0
	v_xor_b32_e32 v52, 1, v52
	s_xor_b64 s[8:9], exec, -1
	s_orn2_b64 s[12:13], s[12:13], exec
	s_mov_b32 s71, s18
	s_branch .LBB23_29
.LBB23_288:                             ;   in Loop: Header=BB23_32 Depth=1
	s_mov_b32 s3, s59
                                        ; implicit-def: $sgpr0_sgpr1
	s_andn2_b64 vcc, exec, s[8:9]
	s_mov_b32 s52, s74
	s_mov_b64 s[58:59], s[10:11]
	s_cbranch_vccz .LBB23_241
	s_branch .LBB23_242
.LBB23_289:                             ;   in Loop: Header=BB23_32 Depth=1
                                        ; implicit-def: $sgpr28_sgpr29
	s_branch .LBB23_257
.LBB23_290:
	s_or_b64 exec, exec, s[66:67]
	v_readlane_b32 s0, v58, 40
	v_readlane_b32 s2, v58, 38
	;; [unrolled: 1-line block ×4, first 2 shown]
	s_xor_b64 s[4:5], s[0:1], -1
	s_xor_b64 s[0:1], s[42:43], -1
	;; [unrolled: 1-line block ×3, first 2 shown]
	s_mov_b64 s[2:3], 0
	s_and_saveexec_b64 s[8:9], s[0:1]
	s_xor_b64 s[0:1], exec, s[8:9]
	s_cbranch_execnz .LBB23_295
; %bb.291:
	s_andn2_saveexec_b64 s[0:1], s[0:1]
	s_cbranch_execnz .LBB23_317
.LBB23_292:
	s_or_b64 exec, exec, s[0:1]
	s_and_saveexec_b64 s[0:1], s[2:3]
.LBB23_293:
	; divergent unreachable
.LBB23_294:
	s_endpgm
.LBB23_295:
	s_and_saveexec_b64 s[2:3], s[4:5]
	s_xor_b64 s[4:5], exec, s[2:3]
	s_cbranch_execz .LBB23_315
; %bb.296:
	s_and_saveexec_b64 s[2:3], s[6:7]
	s_xor_b64 s[2:3], exec, s[2:3]
; %bb.297:
	v_xor_b32_e32 v28, 0x80000000, v50
; %bb.298:
	s_or_b64 exec, exec, s[2:3]
	s_mov_b64 s[2:3], exec
	v_readlane_b32 s6, v58, 14
	v_readlane_b32 s7, v58, 15
	s_and_b64 s[6:7], s[2:3], s[6:7]
	s_mov_b64 exec, s[6:7]
; %bb.299:
	v_mov_b32_e32 v2, 0
	v_mov_b32_e32 v3, s56
	ds_write_b32 v2, v3 offset:5140
; %bb.300:
	s_or_b64 exec, exec, s[2:3]
	s_waitcnt lgkmcnt(0)
	s_barrier
	s_mov_b64 s[6:7], exec
	v_readlane_b32 s2, v58, 20
	v_readlane_b32 s3, v58, 21
	s_and_b64 s[2:3], s[6:7], s[2:3]
	s_mov_b64 exec, s[2:3]
	s_cbranch_execz .LBB23_312
; %bb.301:
	v_mov_b32_e32 v2, 0
	ds_read_b32 v4, v2 offset:5140
	s_mov_b64 s[8:9], 0
                                        ; implicit-def: $sgpr10_sgpr11
                                        ; implicit-def: $sgpr12_sgpr13
                                        ; implicit-def: $sgpr14_sgpr15
	s_waitcnt lgkmcnt(0)
	v_ashrrev_i32_e32 v5, 31, v4
	s_branch .LBB23_304
.LBB23_302:                             ;   in Loop: Header=BB23_304 Depth=1
	s_or_b64 exec, exec, s[20:21]
	s_andn2_b64 s[14:15], s[14:15], exec
	s_and_b64 s[18:19], s[18:19], exec
	s_andn2_b64 s[12:13], s[12:13], exec
	s_and_b64 s[2:3], s[2:3], exec
	s_or_b64 s[14:15], s[14:15], s[18:19]
	s_or_b64 s[12:13], s[12:13], s[2:3]
.LBB23_303:                             ;   in Loop: Header=BB23_304 Depth=1
	s_or_b64 exec, exec, s[16:17]
	s_and_b64 s[2:3], exec, s[12:13]
	s_or_b64 s[8:9], s[2:3], s[8:9]
	s_andn2_b64 s[2:3], s[10:11], exec
	s_and_b64 s[10:11], s[14:15], exec
	s_or_b64 s[10:11], s[2:3], s[10:11]
	s_andn2_b64 exec, exec, s[8:9]
	s_cbranch_execz .LBB23_307
.LBB23_304:                             ; =>This Inner Loop Header: Depth=1
	v_mov_b32_e32 v3, v1
	v_mov_b32_e32 v2, v0
	v_cmp_lt_i64_e32 vcc, v[2:3], v[4:5]
	s_or_b64 s[14:15], s[14:15], exec
	s_or_b64 s[12:13], s[12:13], exec
                                        ; implicit-def: $vgpr0_vgpr1
	s_and_saveexec_b64 s[16:17], vcc
	s_cbranch_execz .LBB23_303
; %bb.305:                              ;   in Loop: Header=BB23_304 Depth=1
	global_load_dword v0, v[10:11], off
	s_mov_b64 s[2:3], -1
	s_mov_b64 s[18:19], 0
	s_waitcnt vmcnt(0)
	v_cmp_ne_u32_e32 vcc, v0, v28
                                        ; implicit-def: $vgpr0_vgpr1
	s_and_saveexec_b64 s[20:21], vcc
	s_cbranch_execz .LBB23_302
; %bb.306:                              ;   in Loop: Header=BB23_304 Depth=1
	v_add_co_u32_e32 v0, vcc, s33, v2
	v_addc_co_u32_e32 v1, vcc, 0, v3, vcc
	v_mov_b32_e32 v3, s81
	v_cmp_le_i64_e32 vcc, s[56:57], v[0:1]
	v_add_co_u32_e64 v10, s[2:3], s80, v10
	v_addc_co_u32_e64 v11, s[2:3], v11, v3, s[2:3]
	s_mov_b64 s[18:19], exec
	s_orn2_b64 s[2:3], vcc, exec
	s_branch .LBB23_302
.LBB23_307:
	s_or_b64 exec, exec, s[8:9]
	s_xor_b64 s[2:3], s[10:11], -1
	s_and_saveexec_b64 s[8:9], s[2:3]
	s_xor_b64 s[8:9], exec, s[8:9]
	s_cbranch_execz .LBB23_312
; %bb.308:
	s_mov_b64 s[2:3], exec
	s_brev_b32 s8, -2
.LBB23_309:                             ; =>This Inner Loop Header: Depth=1
	s_ff1_i32_b64 s9, s[2:3]
	v_readlane_b32 s12, v2, s9
	s_lshl_b64 s[10:11], 1, s9
	s_min_i32 s8, s8, s12
	s_andn2_b64 s[2:3], s[2:3], s[10:11]
	s_cmp_lg_u64 s[2:3], 0
	s_cbranch_scc1 .LBB23_309
; %bb.310:
	v_mbcnt_lo_u32_b32 v0, exec_lo, 0
	v_mbcnt_hi_u32_b32 v0, exec_hi, v0
	v_cmp_eq_u32_e32 vcc, 0, v0
	s_and_saveexec_b64 s[2:3], vcc
	s_xor_b64 s[2:3], exec, s[2:3]
; %bb.311:
	v_mov_b32_e32 v0, 0
	v_mov_b32_e32 v1, s8
	ds_min_i32 v0, v1 offset:5140
.LBB23_312:
	s_or_b64 exec, exec, s[6:7]
	s_waitcnt lgkmcnt(0)
	s_barrier
	s_mov_b64 s[2:3], exec
	v_readlane_b32 s6, v58, 14
	v_readlane_b32 s7, v58, 15
	s_and_b64 s[6:7], s[2:3], s[6:7]
	s_mov_b64 exec, s[6:7]
	s_cbranch_execz .LBB23_314
; %bb.313:
	v_readlane_b32 s10, v58, 2
	v_readlane_b32 s8, v58, 4
	;; [unrolled: 1-line block ×4, first 2 shown]
	s_mul_i32 s6, s8, s11
	s_mul_hi_u32 s7, s8, s10
	s_add_i32 s6, s7, s6
	s_mul_i32 s7, s9, s10
	s_add_i32 s7, s6, s7
	s_mul_i32 s6, s8, s10
	v_readlane_b32 s10, v58, 8
	v_readlane_b32 s11, v58, 9
	s_mul_i32 s8, s10, s69
	s_mul_hi_u32 s9, s10, s68
	s_add_i32 s8, s9, s8
	s_mul_i32 s9, s11, s68
	s_add_i32 s9, s8, s9
	s_mul_i32 s8, s10, s68
	s_lshl_b64 s[6:7], s[6:7], 2
	v_readlane_b32 s10, v58, 10
	v_readlane_b32 s11, v58, 11
	s_add_u32 s10, s10, s6
	s_addc_u32 s11, s11, s7
	v_readlane_b32 s6, v58, 0
	v_readlane_b32 s7, v58, 1
	s_lshl_b64 s[6:7], s[6:7], 2
	s_add_u32 s6, s10, s6
	s_addc_u32 s7, s11, s7
	s_lshl_b64 s[8:9], s[8:9], 3
	v_readlane_b32 s10, v58, 12
	v_mov_b32_e32 v2, 0
	v_readlane_b32 s11, v58, 13
	s_add_u32 s10, s10, s8
	ds_read_b32 v0, v2 offset:5140
	s_addc_u32 s11, s11, s9
	v_readlane_b32 s8, v58, 6
	v_readlane_b32 s9, v58, 7
	s_lshl_b64 s[8:9], s[8:9], 3
	s_add_u32 s8, s10, s8
	s_addc_u32 s9, s11, s9
	s_waitcnt lgkmcnt(0)
	v_ashrrev_i32_e32 v1, 31, v0
	global_store_dwordx2 v2, v[0:1], s[8:9]
	global_store_dword v2, v28, s[6:7]
.LBB23_314:
	s_or_b64 exec, exec, s[2:3]
.LBB23_315:
	s_or_saveexec_b64 s[2:3], s[4:5]
	s_mov_b64 s[4:5], 0
	s_xor_b64 exec, exec, s[2:3]
	s_cbranch_execnz .LBB23_318
.LBB23_316:
	s_or_b64 exec, exec, s[2:3]
	s_and_b64 s[2:3], s[4:5], exec
	s_andn2_saveexec_b64 s[0:1], s[0:1]
	s_cbranch_execz .LBB23_292
.LBB23_317:
	s_or_b64 s[2:3], s[2:3], exec
	s_trap 2
	s_or_b64 exec, exec, s[0:1]
	s_and_saveexec_b64 s[0:1], s[2:3]
	s_cbranch_execnz .LBB23_293
	s_branch .LBB23_294
.LBB23_318:
	s_mov_b64 s[4:5], exec
	s_trap 2
	s_branch .LBB23_316
	.section	.rodata,"a",@progbits
	.p2align	6, 0x0
	.amdhsa_kernel _ZN2at6native12_GLOBAL__N_114gatherKthValueIilLin1EEEvNS_4cuda6detail10TensorInfoIKT_T0_EES8_S8_S8_S8_NS5_IS6_S8_EENS5_IlS8_EE
		.amdhsa_group_segment_fixed_size 5144
		.amdhsa_private_segment_fixed_size 0
		.amdhsa_kernarg_size 1536
		.amdhsa_user_sgpr_count 6
		.amdhsa_user_sgpr_private_segment_buffer 1
		.amdhsa_user_sgpr_dispatch_ptr 0
		.amdhsa_user_sgpr_queue_ptr 0
		.amdhsa_user_sgpr_kernarg_segment_ptr 1
		.amdhsa_user_sgpr_dispatch_id 0
		.amdhsa_user_sgpr_flat_scratch_init 0
		.amdhsa_user_sgpr_private_segment_size 0
		.amdhsa_uses_dynamic_stack 0
		.amdhsa_system_sgpr_private_segment_wavefront_offset 0
		.amdhsa_system_sgpr_workgroup_id_x 1
		.amdhsa_system_sgpr_workgroup_id_y 1
		.amdhsa_system_sgpr_workgroup_id_z 1
		.amdhsa_system_sgpr_workgroup_info 0
		.amdhsa_system_vgpr_workitem_id 0
		.amdhsa_next_free_vgpr 59
		.amdhsa_next_free_sgpr 96
		.amdhsa_reserve_vcc 1
		.amdhsa_reserve_flat_scratch 0
		.amdhsa_float_round_mode_32 0
		.amdhsa_float_round_mode_16_64 0
		.amdhsa_float_denorm_mode_32 3
		.amdhsa_float_denorm_mode_16_64 3
		.amdhsa_dx10_clamp 1
		.amdhsa_ieee_mode 1
		.amdhsa_fp16_overflow 0
		.amdhsa_exception_fp_ieee_invalid_op 0
		.amdhsa_exception_fp_denorm_src 0
		.amdhsa_exception_fp_ieee_div_zero 0
		.amdhsa_exception_fp_ieee_overflow 0
		.amdhsa_exception_fp_ieee_underflow 0
		.amdhsa_exception_fp_ieee_inexact 0
		.amdhsa_exception_int_div_zero 0
	.end_amdhsa_kernel
	.section	.text._ZN2at6native12_GLOBAL__N_114gatherKthValueIilLin1EEEvNS_4cuda6detail10TensorInfoIKT_T0_EES8_S8_S8_S8_NS5_IS6_S8_EENS5_IlS8_EE,"axG",@progbits,_ZN2at6native12_GLOBAL__N_114gatherKthValueIilLin1EEEvNS_4cuda6detail10TensorInfoIKT_T0_EES8_S8_S8_S8_NS5_IS6_S8_EENS5_IlS8_EE,comdat
.Lfunc_end23:
	.size	_ZN2at6native12_GLOBAL__N_114gatherKthValueIilLin1EEEvNS_4cuda6detail10TensorInfoIKT_T0_EES8_S8_S8_S8_NS5_IS6_S8_EENS5_IlS8_EE, .Lfunc_end23-_ZN2at6native12_GLOBAL__N_114gatherKthValueIilLin1EEEvNS_4cuda6detail10TensorInfoIKT_T0_EES8_S8_S8_S8_NS5_IS6_S8_EENS5_IlS8_EE
                                        ; -- End function
	.set _ZN2at6native12_GLOBAL__N_114gatherKthValueIilLin1EEEvNS_4cuda6detail10TensorInfoIKT_T0_EES8_S8_S8_S8_NS5_IS6_S8_EENS5_IlS8_EE.num_vgpr, 59
	.set _ZN2at6native12_GLOBAL__N_114gatherKthValueIilLin1EEEvNS_4cuda6detail10TensorInfoIKT_T0_EES8_S8_S8_S8_NS5_IS6_S8_EENS5_IlS8_EE.num_agpr, 0
	.set _ZN2at6native12_GLOBAL__N_114gatherKthValueIilLin1EEEvNS_4cuda6detail10TensorInfoIKT_T0_EES8_S8_S8_S8_NS5_IS6_S8_EENS5_IlS8_EE.numbered_sgpr, 96
	.set _ZN2at6native12_GLOBAL__N_114gatherKthValueIilLin1EEEvNS_4cuda6detail10TensorInfoIKT_T0_EES8_S8_S8_S8_NS5_IS6_S8_EENS5_IlS8_EE.num_named_barrier, 0
	.set _ZN2at6native12_GLOBAL__N_114gatherKthValueIilLin1EEEvNS_4cuda6detail10TensorInfoIKT_T0_EES8_S8_S8_S8_NS5_IS6_S8_EENS5_IlS8_EE.private_seg_size, 0
	.set _ZN2at6native12_GLOBAL__N_114gatherKthValueIilLin1EEEvNS_4cuda6detail10TensorInfoIKT_T0_EES8_S8_S8_S8_NS5_IS6_S8_EENS5_IlS8_EE.uses_vcc, 1
	.set _ZN2at6native12_GLOBAL__N_114gatherKthValueIilLin1EEEvNS_4cuda6detail10TensorInfoIKT_T0_EES8_S8_S8_S8_NS5_IS6_S8_EENS5_IlS8_EE.uses_flat_scratch, 0
	.set _ZN2at6native12_GLOBAL__N_114gatherKthValueIilLin1EEEvNS_4cuda6detail10TensorInfoIKT_T0_EES8_S8_S8_S8_NS5_IS6_S8_EENS5_IlS8_EE.has_dyn_sized_stack, 0
	.set _ZN2at6native12_GLOBAL__N_114gatherKthValueIilLin1EEEvNS_4cuda6detail10TensorInfoIKT_T0_EES8_S8_S8_S8_NS5_IS6_S8_EENS5_IlS8_EE.has_recursion, 0
	.set _ZN2at6native12_GLOBAL__N_114gatherKthValueIilLin1EEEvNS_4cuda6detail10TensorInfoIKT_T0_EES8_S8_S8_S8_NS5_IS6_S8_EENS5_IlS8_EE.has_indirect_call, 0
	.section	.AMDGPU.csdata,"",@progbits
; Kernel info:
; codeLenInByte = 18656
; TotalNumSgprs: 100
; NumVgprs: 59
; ScratchSize: 0
; MemoryBound: 0
; FloatMode: 240
; IeeeMode: 1
; LDSByteSize: 5144 bytes/workgroup (compile time only)
; SGPRBlocks: 12
; VGPRBlocks: 14
; NumSGPRsForWavesPerEU: 100
; NumVGPRsForWavesPerEU: 59
; Occupancy: 4
; WaveLimiterHint : 1
; COMPUTE_PGM_RSRC2:SCRATCH_EN: 0
; COMPUTE_PGM_RSRC2:USER_SGPR: 6
; COMPUTE_PGM_RSRC2:TRAP_HANDLER: 0
; COMPUTE_PGM_RSRC2:TGID_X_EN: 1
; COMPUTE_PGM_RSRC2:TGID_Y_EN: 1
; COMPUTE_PGM_RSRC2:TGID_Z_EN: 1
; COMPUTE_PGM_RSRC2:TIDIG_COMP_CNT: 0
	.section	.text._ZN2at6native12_GLOBAL__N_114gatherKthValueIliLi1EEEvNS_4cuda6detail10TensorInfoIKT_T0_EES8_S8_S8_S8_NS5_IS6_S8_EENS5_IlS8_EE,"axG",@progbits,_ZN2at6native12_GLOBAL__N_114gatherKthValueIliLi1EEEvNS_4cuda6detail10TensorInfoIKT_T0_EES8_S8_S8_S8_NS5_IS6_S8_EENS5_IlS8_EE,comdat
	.globl	_ZN2at6native12_GLOBAL__N_114gatherKthValueIliLi1EEEvNS_4cuda6detail10TensorInfoIKT_T0_EES8_S8_S8_S8_NS5_IS6_S8_EENS5_IlS8_EE ; -- Begin function _ZN2at6native12_GLOBAL__N_114gatherKthValueIliLi1EEEvNS_4cuda6detail10TensorInfoIKT_T0_EES8_S8_S8_S8_NS5_IS6_S8_EENS5_IlS8_EE
	.p2align	8
	.type	_ZN2at6native12_GLOBAL__N_114gatherKthValueIliLi1EEEvNS_4cuda6detail10TensorInfoIKT_T0_EES8_S8_S8_S8_NS5_IS6_S8_EENS5_IlS8_EE,@function
_ZN2at6native12_GLOBAL__N_114gatherKthValueIliLi1EEEvNS_4cuda6detail10TensorInfoIKT_T0_EES8_S8_S8_S8_NS5_IS6_S8_EENS5_IlS8_EE: ; @_ZN2at6native12_GLOBAL__N_114gatherKthValueIliLi1EEEvNS_4cuda6detail10TensorInfoIKT_T0_EES8_S8_S8_S8_NS5_IS6_S8_EENS5_IlS8_EE
; %bb.0:
	s_load_dwordx2 s[12:13], s[4:5], 0x298
	s_load_dwordx4 s[28:31], s[4:5], 0xd8
	s_add_u32 s10, s4, 0x298
	s_addc_u32 s11, s5, 0
	s_waitcnt lgkmcnt(0)
	s_mul_i32 s0, s13, s8
	s_add_i32 s0, s0, s7
	s_mul_i32 s0, s0, s12
	s_add_i32 s13, s0, s6
	s_cmp_ge_i32 s13, s30
	s_cbranch_scc1 .LBB24_235
; %bb.1:
	s_load_dwordx2 s[94:95], s[4:5], 0x1c0
	s_load_dwordx2 s[0:1], s[4:5], 0xe8
	s_load_dword s7, s[4:5], 0x6c
	s_load_dwordx2 s[2:3], s[4:5], 0x0
                                        ; implicit-def: $vgpr46 : SGPR spill to VGPR lane
	s_mov_b32 s46, 0
	s_waitcnt lgkmcnt(0)
	v_writelane_b32 v46, s0, 0
	v_writelane_b32 v46, s1, 1
	v_cmp_eq_u32_e64 s[0:1], 0, v0
	s_and_saveexec_b64 s[8:9], s[0:1]
; %bb.2:
	v_mov_b32_e32 v1, 0
	v_mov_b32_e32 v2, s28
	;; [unrolled: 1-line block ×3, first 2 shown]
	ds_write_b96 v1, v[1:3] offset:4096
; %bb.3:
	s_or_b64 exec, exec, s[8:9]
	s_load_dword s8, s[4:5], 0x22c
	v_mul_lo_u32 v10, s31, v0
                                        ; kill: killed $sgpr4 killed $sgpr5
	s_waitcnt lgkmcnt(0)
	s_barrier
	v_writelane_b32 v46, s8, 2
	s_load_dword s8, s[4:5], 0x154
	s_mul_i32 s4, s7, s13
	s_load_dword s7, s[10:11], 0xc
	s_ashr_i32 s5, s4, 31
	v_mov_b32_e32 v12, 0
	s_lshl_b64 s[4:5], s[4:5], 3
	v_mbcnt_lo_u32_b32 v1, -1, 0
	v_mov_b32_e32 v11, v12
	s_add_u32 s30, s2, s4
	v_mbcnt_hi_u32_b32 v26, -1, v1
	v_lshlrev_b64 v[1:2], 3, v[10:11]
	s_addc_u32 s37, s3, s5
	v_cmp_gt_u32_e32 vcc, 64, v0
	v_cmp_gt_i32_e64 s[4:5], 4, v26
	s_and_b64 s[38:39], vcc, s[4:5]
	v_mov_b32_e32 v3, s37
	v_add_co_u32_e32 v13, vcc, s30, v1
	s_waitcnt lgkmcnt(0)
	s_and_b32 s36, s7, 0xffff
	v_addc_co_u32_e32 v14, vcc, v3, v2, vcc
	v_lshlrev_b64 v[2:3], v26, -1
	v_writelane_b32 v46, s8, 3
	s_add_i32 s8, s36, -1
	v_writelane_b32 v46, s13, 4
	s_lshl_b32 s33, s36, 2
	s_bfe_u32 s7, s7, 0xa0006
	s_add_i32 s49, s8, s28
	v_not_b32_e32 v31, v2
	v_lshrrev_b32_e32 v2, 2, v0
	v_writelane_b32 v46, s8, 5
	s_cmpk_gt_i32 s28, 0x180
	v_cmp_gt_u32_e64 s[8:9], s28, v0
	v_and_b32_e32 v2, 0xf0, v2
	s_cselect_b64 s[40:41], -1, 0
	v_writelane_b32 v46, s8, 6
	s_cmp_gt_u32 s36, 63
	v_or_b32_e32 v32, 0xc00, v2
	v_cvt_f32_u32_e32 v2, s33
	v_writelane_b32 v46, s9, 7
	v_cmp_gt_i32_e64 s[8:9], s28, v0
	s_cselect_b64 s[42:43], -1, 0
	s_cmp_lt_u32 s6, s12
	v_writelane_b32 v46, s8, 8
	s_cselect_b32 s6, 12, 18
	v_writelane_b32 v46, s9, 9
	s_add_u32 s8, s10, s6
	s_addc_u32 s9, s11, 0
	v_rcp_iflag_f32_e32 v2, v2
	v_writelane_b32 v46, s8, 10
	s_add_i32 s6, s7, -1
	v_writelane_b32 v46, s9, 11
	s_bfe_u32 s8, s36, 0x30006
	s_and_b32 s6, s6, 0xffff
	s_cmp_gt_u32 s6, 6
	s_cselect_b64 s[10:11], -1, 0
	v_mul_f32_e32 v2, 0x4f7ffffe, v2
	v_writelane_b32 v46, s10, 12
	s_and_b32 s47, s7, 0x3f8
	v_cvt_u32_f32_e32 v2, v2
	v_writelane_b32 v46, s11, 13
	s_cmp_lg_u32 s8, 0
	v_writelane_b32 v46, s8, 14
	s_cselect_b64 s[6:7], -1, 0
	v_writelane_b32 v46, s6, 15
	v_writelane_b32 v46, s7, 16
	s_sub_i32 s6, 0, s33
	v_readfirstlane_b32 s7, v2
	s_mul_i32 s6, s6, s7
	s_mul_hi_u32 s6, s7, s6
	s_add_i32 s8, s7, s6
	s_mul_hi_u32 s6, s28, s8
	s_mul_i32 s6, s6, s33
	s_sub_i32 s6, s28, s6
	s_sub_i32 s7, s6, s33
	s_cmp_ge_u32 s6, s33
	s_cselect_b32 s6, s7, s6
	s_sub_i32 s7, s6, s33
	s_cmp_ge_u32 s6, s33
	s_cselect_b32 s6, s7, s6
	s_sub_i32 s9, s28, s6
	v_add_u32_e32 v33, s9, v0
	v_cvt_f32_u32_e32 v4, s36
	v_mul_lo_u32 v2, v33, s31
	v_not_b32_e32 v30, v3
	s_sub_i32 s17, 0, s36
	v_rcp_iflag_f32_e32 v4, v4
	v_ashrrev_i32_e32 v3, 31, v2
	v_lshlrev_b64 v[2:3], 3, v[2:3]
	s_abs_i32 s16, s49
	v_add_co_u32_e32 v15, vcc, s30, v2
	v_mul_f32_e32 v2, 0x4f7ffffe, v4
	v_cvt_u32_f32_e32 v2, v2
	s_ashr_i32 s7, s49, 31
	v_lshlrev_b32_e32 v25, 2, v0
	v_mov_b32_e32 v5, s37
	v_readfirstlane_b32 s18, v2
	s_mul_i32 s17, s17, s18
	s_mul_hi_u32 s17, s18, s17
	s_add_i32 s17, s18, s17
	v_writelane_b32 v46, s17, 17
	s_mul_hi_u32 s17, s16, s17
	s_mul_i32 s17, s17, s36
	s_sub_i32 s16, s16, s17
	s_sub_i32 s17, s16, s36
	s_cmp_ge_u32 s16, s36
	s_cselect_b32 s16, s17, s16
	s_sub_i32 s17, s16, s36
	v_mul_lo_u32 v2, s31, v25
	s_cmp_ge_u32 s16, s36
	s_cselect_b32 s16, s17, s16
	s_xor_b32 s16, s16, s7
	s_sub_i32 s7, s7, s16
	v_add_u32_e32 v34, s31, v2
	v_or_b32_e32 v2, 2, v25
	s_add_i32 s49, s49, s7
	v_mul_lo_u32 v35, s31, v2
	v_or_b32_e32 v2, 3, v25
	s_add_i32 s7, s36, s28
	v_mul_lo_u32 v36, s31, v2
	v_add_u32_e32 v2, s7, v0
	v_subrev_u32_e32 v2, s6, v2
	v_mul_lo_u32 v38, s31, v2
	v_cmp_gt_i32_e64 s[16:17], s49, v0
	v_lshlrev_b32_e32 v27, 3, v0
	v_lshlrev_b32_e32 v1, 2, v26
	v_addc_co_u32_e32 v16, vcc, v5, v3, vcc
	v_writelane_b32 v46, s16, 18
	s_mul_i32 s44, s31, s36
	v_mov_b32_e32 v17, 0
	v_mov_b32_e32 v19, 0
	;; [unrolled: 1-line block ×3, first 2 shown]
	v_cmp_eq_u32_e64 s[2:3], 0, v26
	v_cmp_gt_u32_e64 s[4:5], 2, v0
	v_add_u32_e32 v28, 0xc00, v27
	v_and_b32_e32 v29, 0x100, v1
	v_cmp_gt_i32_e64 s[10:11], s9, v25
	v_cmp_gt_u32_e64 s[12:13], s28, v33
	v_cmp_gt_i32_e64 s[14:15], s28, v33
	v_writelane_b32 v46, s17, 19
	s_lshl_b32 s16, s44, 2
	v_lshlrev_b32_e32 v37, 2, v10
	v_lshlrev_b32_e32 v39, 5, v0
	s_lshl_b32 s17, s36, 5
	s_lshl_b32 s45, s36, 3
	v_or_b32_e32 v40, 0xc00, v1
	s_mov_b32 s48, 62
	s_mov_b64 s[50:51], 0
	v_mov_b32_e32 v41, s29
	v_mov_b32_e32 v18, 0
	v_mov_b32_e32 v20, 0
	v_mov_b32_e32 v5, 0
	v_mov_b32_e32 v1, 1
                                        ; implicit-def: $sgpr52_sgpr53
                                        ; implicit-def: $sgpr56_sgpr57
                                        ; implicit-def: $sgpr54_sgpr55
                                        ; implicit-def: $sgpr60_sgpr61
                                        ; implicit-def: $sgpr62_sgpr63
                                        ; implicit-def: $sgpr58_sgpr59
	s_branch .LBB24_7
.LBB24_4:                               ;   in Loop: Header=BB24_7 Depth=1
	s_or_b64 exec, exec, s[66:67]
	s_and_b64 s[22:23], s[22:23], exec
	s_andn2_b64 s[64:65], s[64:65], exec
	s_andn2_b64 s[26:27], s[26:27], exec
	s_orn2_b64 s[20:21], s[20:21], exec
.LBB24_5:                               ;   in Loop: Header=BB24_7 Depth=1
	s_or_b64 exec, exec, s[6:7]
	s_andn2_b64 s[6:7], s[58:59], exec
	s_and_b64 s[22:23], s[22:23], exec
	s_or_b64 s[58:59], s[6:7], s[22:23]
	s_andn2_b64 s[6:7], s[62:63], exec
	s_and_b64 s[22:23], s[64:65], exec
	s_or_b64 s[62:63], s[6:7], s[22:23]
	;; [unrolled: 3-line block ×3, first 2 shown]
	s_orn2_b64 s[20:21], s[20:21], exec
.LBB24_6:                               ;   in Loop: Header=BB24_7 Depth=1
	s_or_b64 exec, exec, s[18:19]
	s_and_b64 s[6:7], exec, s[20:21]
	s_or_b64 s[50:51], s[6:7], s[50:51]
	s_andn2_b64 s[6:7], s[54:55], exec
	s_and_b64 s[18:19], s[58:59], exec
	s_or_b64 s[54:55], s[6:7], s[18:19]
	s_andn2_b64 s[6:7], s[56:57], exec
	s_and_b64 s[18:19], s[62:63], exec
	;; [unrolled: 3-line block ×3, first 2 shown]
	s_or_b64 s[52:53], s[6:7], s[18:19]
	s_mov_b32 s46, s25
	s_mov_b32 s48, s24
	v_mov_b32_e32 v41, v9
	s_andn2_b64 exec, exec, s[50:51]
	s_cbranch_execz .LBB24_231
.LBB24_7:                               ; =>This Loop Header: Depth=1
                                        ;     Child Loop BB24_13 Depth 2
                                        ;     Child Loop BB24_28 Depth 2
	;; [unrolled: 1-line block ×16, first 2 shown]
	ds_read_b64 v[2:3], v12 offset:4096
	s_waitcnt lgkmcnt(0)
	v_readfirstlane_b32 s29, v2
	s_cmp_gt_i32 s29, 0
	s_cbranch_scc1 .LBB24_35
; %bb.8:                                ;   in Loop: Header=BB24_7 Depth=1
	s_and_b64 vcc, exec, s[40:41]
	s_cbranch_vccz .LBB24_21
; %bb.9:                                ;   in Loop: Header=BB24_7 Depth=1
	s_movk_i32 s6, 0x181
	v_cmp_gt_i32_e32 vcc, s6, v3
	s_mov_b64 s[18:19], 0
	s_mov_b64 s[6:7], 0
	s_cbranch_vccz .LBB24_22
; %bb.10:                               ;   in Loop: Header=BB24_7 Depth=1
	s_mov_b64 s[20:21], exec
	v_readlane_b32 s6, v46, 6
	v_readlane_b32 s7, v46, 7
	s_and_b64 s[6:7], s[20:21], s[6:7]
	s_mov_b64 exec, s[6:7]
	s_cbranch_execz .LBB24_67
; %bb.11:                               ;   in Loop: Header=BB24_7 Depth=1
	v_readlane_b32 s6, v46, 10
	v_readlane_b32 s7, v46, 11
	s_nop 4
	global_load_ushort v8, v12, s[6:7]
	global_load_dwordx2 v[2:3], v[13:14], off
	s_mov_b64 s[22:23], 0
	v_mov_b32_e32 v21, v0
	s_waitcnt vmcnt(1)
	v_add_u32_e32 v6, v0, v8
	v_mul_lo_u32 v11, s31, v6
	v_mul_lo_u32 v9, s31, v8
	s_branch .LBB24_13
.LBB24_12:                              ;   in Loop: Header=BB24_13 Depth=2
	s_or_b64 exec, exec, s[6:7]
	v_cmp_le_i32_e32 vcc, s28, v21
	v_mov_b32_e32 v2, v6
	v_add_u32_e32 v11, v11, v9
	s_or_b64 s[22:23], vcc, s[22:23]
	v_mov_b32_e32 v3, v7
	s_andn2_b64 exec, exec, s[22:23]
	s_cbranch_execz .LBB24_67
.LBB24_13:                              ;   Parent Loop BB24_7 Depth=1
                                        ; =>  This Inner Loop Header: Depth=2
	v_add_u32_e32 v21, v21, v8
	v_mov_b32_e32 v6, 0
	v_mov_b32_e32 v7, 0
	v_cmp_gt_u32_e32 vcc, s28, v21
	s_and_saveexec_b64 s[6:7], vcc
	s_cbranch_execz .LBB24_15
; %bb.14:                               ;   in Loop: Header=BB24_13 Depth=2
	v_lshlrev_b64 v[6:7], 3, v[11:12]
	s_waitcnt lgkmcnt(0)
	v_mov_b32_e32 v22, s37
	v_add_co_u32_e32 v6, vcc, s30, v6
	v_addc_co_u32_e32 v7, vcc, v22, v7, vcc
	global_load_dwordx2 v[6:7], v[6:7], off
.LBB24_15:                              ;   in Loop: Header=BB24_13 Depth=2
	s_or_b64 exec, exec, s[6:7]
	s_waitcnt vmcnt(0) lgkmcnt(0)
	v_xor_b32_e32 v22, 0x80000000, v3
	v_and_b32_e32 v23, v22, v20
	v_and_b32_e32 v22, v2, v19
	v_cmp_eq_u64_e32 vcc, v[22:23], v[17:18]
	v_mov_b32_e32 v22, 0
	s_cmp_lg_u64 vcc, 0
	s_cselect_b64 s[6:7], -1, 0
	s_and_b64 s[6:7], s[2:3], s[6:7]
	s_and_saveexec_b64 s[26:27], s[6:7]
	s_cbranch_execz .LBB24_19
; %bb.16:                               ;   in Loop: Header=BB24_13 Depth=2
	s_mov_b64 s[64:65], exec
	v_mbcnt_lo_u32_b32 v22, s64, 0
	v_mbcnt_hi_u32_b32 v22, s65, v22
	s_bcnt1_i32_b64 s24, vcc
	v_cmp_eq_u32_e64 s[6:7], 0, v22
                                        ; implicit-def: $vgpr23
	s_and_saveexec_b64 s[34:35], s[6:7]
; %bb.17:                               ;   in Loop: Header=BB24_13 Depth=2
	s_bcnt1_i32_b64 s6, s[64:65]
	s_mul_i32 s6, s24, s6
	v_mov_b32_e32 v23, s6
	ds_add_rtn_u32 v23, v12, v23 offset:4104
; %bb.18:                               ;   in Loop: Header=BB24_13 Depth=2
	s_or_b64 exec, exec, s[34:35]
	s_waitcnt lgkmcnt(0)
	v_readfirstlane_b32 s6, v23
	v_mov_b32_e32 v23, s6
	v_mad_u32_u24 v22, s24, v22, v23
.LBB24_19:                              ;   in Loop: Header=BB24_13 Depth=2
	s_or_b64 exec, exec, s[26:27]
	ds_bpermute_b32 v22, v29, v22
	s_and_saveexec_b64 s[6:7], vcc
	s_cbranch_execz .LBB24_12
; %bb.20:                               ;   in Loop: Header=BB24_13 Depth=2
	v_and_b32_e32 v24, vcc_lo, v31
	v_and_b32_e32 v23, vcc_hi, v30
	v_bcnt_u32_b32 v24, v24, 0
	v_bcnt_u32_b32 v23, v23, v24
	v_lshlrev_b32_e32 v23, 3, v23
	s_waitcnt lgkmcnt(0)
	v_lshl_add_u32 v22, v22, 3, v23
	ds_write_b64 v22, v[2:3]
	s_branch .LBB24_12
.LBB24_21:                              ;   in Loop: Header=BB24_7 Depth=1
	s_mov_b64 s[18:19], -1
	s_mov_b64 s[6:7], 0
.LBB24_22:                              ;   in Loop: Header=BB24_7 Depth=1
	s_and_b64 vcc, exec, s[18:19]
	s_cbranch_vccz .LBB24_33
.LBB24_23:                              ;   in Loop: Header=BB24_7 Depth=1
	v_mov_b32_e32 v2, 0
	v_mov_b32_e32 v3, 0
	s_mov_b64 s[6:7], exec
	v_readlane_b32 s18, v46, 6
	v_readlane_b32 s19, v46, 7
	s_and_b64 s[18:19], s[6:7], s[18:19]
	s_mov_b64 exec, s[18:19]
	s_cbranch_execz .LBB24_25
; %bb.24:                               ;   in Loop: Header=BB24_7 Depth=1
	global_load_dwordx2 v[2:3], v[13:14], off
.LBB24_25:                              ;   in Loop: Header=BB24_7 Depth=1
	s_or_b64 exec, exec, s[6:7]
	s_mov_b64 s[6:7], exec
	v_readlane_b32 s18, v46, 8
	v_readlane_b32 s19, v46, 9
	s_and_b64 s[18:19], s[6:7], s[18:19]
	s_mov_b64 exec, s[18:19]
	s_cbranch_execz .LBB24_30
; %bb.26:                               ;   in Loop: Header=BB24_7 Depth=1
	v_readlane_b32 s18, v46, 10
	v_readlane_b32 s19, v46, 11
	v_mov_b32_e32 v22, v27
	v_mov_b32_e32 v23, v0
	s_nop 2
	global_load_ushort v8, v12, s[18:19]
	s_mov_b64 s[18:19], 0
	s_waitcnt vmcnt(0)
	v_add_u32_e32 v6, v0, v8
	v_mul_lo_u32 v11, s31, v6
	v_mul_lo_u32 v21, s31, v8
	v_lshlrev_b32_e32 v9, 3, v8
	s_branch .LBB24_28
.LBB24_27:                              ;   in Loop: Header=BB24_28 Depth=2
	s_or_b64 exec, exec, s[20:21]
	ds_write_b64 v22, v[2:3]
	v_cmp_le_i32_e32 vcc, s28, v23
	s_waitcnt vmcnt(0)
	v_mov_b32_e32 v2, v6
	v_add_u32_e32 v22, v22, v9
	v_add_u32_e32 v11, v11, v21
	s_or_b64 s[18:19], vcc, s[18:19]
	v_mov_b32_e32 v3, v7
	s_andn2_b64 exec, exec, s[18:19]
	s_cbranch_execz .LBB24_30
.LBB24_28:                              ;   Parent Loop BB24_7 Depth=1
                                        ; =>  This Inner Loop Header: Depth=2
	v_add_u32_e32 v23, v23, v8
	v_mov_b32_e32 v6, 0
	v_mov_b32_e32 v7, 0
	v_cmp_gt_u32_e32 vcc, s28, v23
	s_and_saveexec_b64 s[20:21], vcc
	s_cbranch_execz .LBB24_27
; %bb.29:                               ;   in Loop: Header=BB24_28 Depth=2
	v_lshlrev_b64 v[6:7], 3, v[11:12]
	v_mov_b32_e32 v24, s37
	v_add_co_u32_e32 v6, vcc, s30, v6
	v_addc_co_u32_e32 v7, vcc, v24, v7, vcc
	global_load_dwordx2 v[6:7], v[6:7], off
	s_branch .LBB24_27
.LBB24_30:                              ;   in Loop: Header=BB24_7 Depth=1
	s_or_b64 exec, exec, s[6:7]
	s_waitcnt vmcnt(0) lgkmcnt(0)
	s_barrier
	s_and_saveexec_b64 s[6:7], s[0:1]
; %bb.31:                               ;   in Loop: Header=BB24_7 Depth=1
	v_mov_b32_e32 v2, s28
	ds_write_b32 v12, v2 offset:4096
; %bb.32:                               ;   in Loop: Header=BB24_7 Depth=1
	s_or_b64 exec, exec, s[6:7]
	s_mov_b64 s[6:7], -1
	s_waitcnt lgkmcnt(0)
	s_barrier
.LBB24_33:                              ;   in Loop: Header=BB24_7 Depth=1
	s_and_b64 vcc, exec, s[6:7]
	s_cbranch_vccz .LBB24_35
; %bb.34:                               ;   in Loop: Header=BB24_7 Depth=1
	ds_read_b32 v2, v12 offset:4096
	s_waitcnt lgkmcnt(0)
	v_readfirstlane_b32 s29, v2
.LBB24_35:                              ;   in Loop: Header=BB24_7 Depth=1
	s_cmp_lt_i32 s29, 1
	s_mov_b64 s[6:7], -1
                                        ; implicit-def: $vgpr6
	s_cbranch_scc1 .LBB24_45
; %bb.36:                               ;   in Loop: Header=BB24_7 Depth=1
	s_and_b64 vcc, exec, s[6:7]
	s_cbranch_vccnz .LBB24_58
.LBB24_37:                              ;   in Loop: Header=BB24_7 Depth=1
	s_lshl_b32 s18, s46, 6
	s_and_saveexec_b64 s[6:7], s[2:3]
.LBB24_38:                              ;   in Loop: Header=BB24_7 Depth=1
	v_lshl_add_u32 v2, s18, 2, v32
	ds_write_b128 v2, v[6:9]
.LBB24_39:                              ;   in Loop: Header=BB24_7 Depth=1
	s_or_b64 exec, exec, s[6:7]
	s_waitcnt vmcnt(0) lgkmcnt(0)
	s_barrier
	s_and_saveexec_b64 s[6:7], s[38:39]
	s_cbranch_execz .LBB24_75
; %bb.40:                               ;   in Loop: Header=BB24_7 Depth=1
	s_andn2_b64 vcc, exec, s[42:43]
	v_mov_b32_e32 v2, 0
	s_cbranch_vccnz .LBB24_74
; %bb.41:                               ;   in Loop: Header=BB24_7 Depth=1
	v_readlane_b32 s20, v46, 12
	v_readlane_b32 s21, v46, 13
	s_andn2_b64 vcc, exec, s[20:21]
	s_cbranch_vccnz .LBB24_70
; %bb.42:                               ;   in Loop: Header=BB24_7 Depth=1
	v_lshl_add_u32 v3, s46, 8, v40
	s_mov_b32 s19, 0
	v_mov_b32_e32 v2, 0
.LBB24_43:                              ;   Parent Loop BB24_7 Depth=1
                                        ; =>  This Inner Loop Header: Depth=2
	ds_read2_b32 v[6:7], v3 offset1:4
	ds_read2_b32 v[8:9], v3 offset0:8 offset1:12
	ds_read2_b32 v[21:22], v3 offset0:16 offset1:20
	;; [unrolled: 1-line block ×3, first 2 shown]
	s_add_i32 s19, s19, 8
	s_waitcnt lgkmcnt(3)
	v_add3_u32 v2, v6, v2, v7
	s_waitcnt lgkmcnt(2)
	v_add3_u32 v2, v8, v2, v9
	s_waitcnt lgkmcnt(1)
	v_add3_u32 v2, v21, v2, v22
	v_add_u32_e32 v3, 0x80, v3
	s_cmp_eq_u32 s47, s19
	s_waitcnt lgkmcnt(0)
	v_add3_u32 v2, v23, v2, v24
	s_cbranch_scc0 .LBB24_43
; %bb.44:                               ;   in Loop: Header=BB24_7 Depth=1
	s_mov_b32 s19, s47
	s_branch .LBB24_71
.LBB24_45:                              ;   in Loop: Header=BB24_7 Depth=1
	v_mov_b32_e32 v6, 0
	v_mov_b32_e32 v7, 0
	v_mov_b32_e32 v8, 0
	v_mov_b32_e32 v9, 0
	s_and_saveexec_b64 s[26:27], s[10:11]
	s_cbranch_execz .LBB24_49
; %bb.46:                               ;   in Loop: Header=BB24_7 Depth=1
	s_mov_b32 s34, 0
	s_mov_b64 s[64:65], 0
	s_mov_b32 s35, 0
	s_mov_b32 s66, 0
	;; [unrolled: 1-line block ×4, first 2 shown]
	v_mov_b32_e32 v21, v25
.LBB24_47:                              ;   Parent Loop BB24_7 Depth=1
                                        ; =>  This Inner Loop Header: Depth=2
	v_add_u32_e32 v2, s34, v37
	v_ashrrev_i32_e32 v3, 31, v2
	v_lshlrev_b64 v[2:3], 3, v[2:3]
	v_add_u32_e32 v6, s34, v34
	v_ashrrev_i32_e32 v7, 31, v6
	v_add_co_u32_e32 v2, vcc, s30, v2
	v_mov_b32_e32 v11, s37
	v_lshlrev_b64 v[6:7], 3, v[6:7]
	v_addc_co_u32_e32 v3, vcc, v11, v3, vcc
	v_add_co_u32_e32 v6, vcc, s30, v6
	v_addc_co_u32_e32 v7, vcc, v11, v7, vcc
	global_load_dwordx2 v[2:3], v[2:3], off
	v_add_u32_e32 v8, s34, v36
	global_load_dwordx2 v[22:23], v[6:7], off
	v_add_u32_e32 v6, s34, v35
	v_ashrrev_i32_e32 v7, 31, v6
	v_lshlrev_b64 v[6:7], 3, v[6:7]
	v_ashrrev_i32_e32 v9, 31, v8
	v_add_co_u32_e32 v6, vcc, s30, v6
	v_lshlrev_b64 v[8:9], 3, v[8:9]
	v_addc_co_u32_e32 v7, vcc, v11, v7, vcc
	global_load_dwordx2 v[6:7], v[6:7], off
	v_add_co_u32_e32 v8, vcc, s30, v8
	v_addc_co_u32_e32 v9, vcc, v11, v9, vcc
	global_load_dwordx2 v[8:9], v[8:9], off
	v_add_u32_e32 v21, s33, v21
	s_add_i32 s34, s34, s16
	s_waitcnt vmcnt(3)
	v_xor_b32_e32 v3, 0x80000000, v3
	v_and_b32_e32 v43, v3, v20
	v_and_b32_e32 v42, v2, v19
	v_lshrrev_b64 v[2:3], s48, v[2:3]
	s_waitcnt vmcnt(2)
	v_xor_b32_e32 v23, 0x80000000, v23
	v_and_b32_e32 v11, 3, v2
	v_lshrrev_b64 v[2:3], s48, v[22:23]
	v_cmp_eq_u64_e32 vcc, v[42:43], v[17:18]
	v_and_b32_e32 v43, v23, v20
	v_and_b32_e32 v42, v22, v19
	v_cmp_eq_u64_e64 s[6:7], 0, v[11:12]
	v_cmp_eq_u64_e64 s[18:19], v[42:43], v[17:18]
	s_waitcnt vmcnt(1)
	v_xor_b32_e32 v7, 0x80000000, v7
	v_and_b32_e32 v43, v7, v20
	v_and_b32_e32 v42, v6, v19
	;; [unrolled: 1-line block ×3, first 2 shown]
	v_mov_b32_e32 v3, v12
	v_lshrrev_b64 v[6:7], s48, v[6:7]
	s_waitcnt vmcnt(0)
	v_xor_b32_e32 v9, 0x80000000, v9
	s_and_b64 s[24:25], vcc, s[6:7]
	v_cmp_eq_u64_e64 s[6:7], 0, v[2:3]
	v_cmp_eq_u64_e64 s[20:21], v[42:43], v[17:18]
	v_and_b32_e32 v43, v9, v20
	v_and_b32_e32 v42, v8, v19
	;; [unrolled: 1-line block ×3, first 2 shown]
	v_mov_b32_e32 v7, v12
	v_lshrrev_b64 v[8:9], s48, v[8:9]
	s_and_b64 s[70:71], s[18:19], s[6:7]
	v_cmp_eq_u64_e64 s[6:7], 0, v[6:7]
	v_and_b32_e32 v8, 3, v8
	v_mov_b32_e32 v9, v12
	v_cmp_eq_u64_e64 s[22:23], v[42:43], v[17:18]
	s_and_b64 s[72:73], s[20:21], s[6:7]
	v_cmp_eq_u64_e64 s[6:7], 0, v[8:9]
	v_cndmask_b32_e64 v22, 0, 1, s[24:25]
	s_and_b64 s[74:75], s[22:23], s[6:7]
	v_cmp_ne_u32_e64 s[6:7], 0, v22
	v_cndmask_b32_e64 v22, 0, 1, s[70:71]
	s_bcnt1_i32_b64 s24, s[6:7]
	v_cmp_ne_u32_e64 s[6:7], 0, v22
	v_cndmask_b32_e64 v22, 0, 1, s[72:73]
	s_bcnt1_i32_b64 s25, s[6:7]
	;; [unrolled: 3-line block ×3, first 2 shown]
	v_cmp_ne_u32_e64 s[6:7], 0, v22
	s_bcnt1_i32_b64 s6, s[6:7]
	s_add_i32 s7, s68, s24
	s_add_i32 s7, s7, s25
	;; [unrolled: 1-line block ×4, first 2 shown]
	v_cmp_eq_u64_e64 s[6:7], 1, v[11:12]
	s_and_b64 s[24:25], vcc, s[6:7]
	v_cmp_eq_u64_e64 s[6:7], 1, v[2:3]
	v_cndmask_b32_e64 v22, 0, 1, s[24:25]
	s_and_b64 s[70:71], s[18:19], s[6:7]
	v_cmp_eq_u64_e64 s[6:7], 1, v[6:7]
	s_and_b64 s[72:73], s[20:21], s[6:7]
	v_cmp_eq_u64_e64 s[6:7], 1, v[8:9]
	s_and_b64 s[74:75], s[22:23], s[6:7]
	v_cmp_ne_u32_e64 s[6:7], 0, v22
	v_cndmask_b32_e64 v22, 0, 1, s[70:71]
	s_bcnt1_i32_b64 s24, s[6:7]
	v_cmp_ne_u32_e64 s[6:7], 0, v22
	v_cndmask_b32_e64 v22, 0, 1, s[72:73]
	s_bcnt1_i32_b64 s25, s[6:7]
	;; [unrolled: 3-line block ×3, first 2 shown]
	v_cmp_ne_u32_e64 s[6:7], 0, v22
	s_bcnt1_i32_b64 s6, s[6:7]
	s_add_i32 s7, s67, s24
	s_add_i32 s7, s7, s25
	;; [unrolled: 1-line block ×4, first 2 shown]
	v_cmp_eq_u64_e64 s[6:7], 2, v[11:12]
	s_and_b64 s[24:25], vcc, s[6:7]
	v_cmp_eq_u64_e64 s[6:7], 2, v[2:3]
	v_cndmask_b32_e64 v22, 0, 1, s[24:25]
	s_and_b64 s[70:71], s[18:19], s[6:7]
	v_cmp_eq_u64_e64 s[6:7], 2, v[6:7]
	s_and_b64 s[72:73], s[20:21], s[6:7]
	v_cmp_eq_u64_e64 s[6:7], 2, v[8:9]
	s_and_b64 s[74:75], s[22:23], s[6:7]
	v_cmp_ne_u32_e64 s[6:7], 0, v22
	v_cndmask_b32_e64 v22, 0, 1, s[70:71]
	s_bcnt1_i32_b64 s24, s[6:7]
	v_cmp_ne_u32_e64 s[6:7], 0, v22
	v_cndmask_b32_e64 v22, 0, 1, s[72:73]
	s_bcnt1_i32_b64 s25, s[6:7]
	;; [unrolled: 3-line block ×3, first 2 shown]
	v_cmp_ne_u32_e64 s[6:7], 0, v22
	s_bcnt1_i32_b64 s6, s[6:7]
	s_add_i32 s7, s66, s24
	s_add_i32 s7, s7, s25
	;; [unrolled: 1-line block ×4, first 2 shown]
	v_cmp_eq_u64_e64 s[6:7], 3, v[11:12]
	s_and_b64 s[6:7], vcc, s[6:7]
	v_cmp_eq_u64_e32 vcc, 3, v[2:3]
	v_cndmask_b32_e64 v2, 0, 1, s[6:7]
	s_and_b64 s[18:19], s[18:19], vcc
	v_cmp_eq_u64_e32 vcc, 3, v[6:7]
	v_mov_b32_e32 v6, s68
	s_and_b64 s[20:21], s[20:21], vcc
	v_cmp_eq_u64_e32 vcc, 3, v[8:9]
	v_mov_b32_e32 v7, s67
	s_and_b64 s[22:23], s[22:23], vcc
	v_cmp_ne_u32_e32 vcc, 0, v2
	v_cndmask_b32_e64 v2, 0, 1, s[18:19]
	s_bcnt1_i32_b64 s6, vcc
	v_cmp_ne_u32_e32 vcc, 0, v2
	v_cndmask_b32_e64 v2, 0, 1, s[20:21]
	s_bcnt1_i32_b64 s7, vcc
	v_cmp_ne_u32_e32 vcc, 0, v2
	v_cndmask_b32_e64 v2, 0, 1, s[22:23]
	s_add_i32 s6, s35, s6
	s_bcnt1_i32_b64 s18, vcc
	v_cmp_ne_u32_e32 vcc, 0, v2
	s_add_i32 s6, s6, s7
	s_bcnt1_i32_b64 s19, vcc
	s_add_i32 s6, s6, s18
	s_add_i32 s35, s6, s19
	v_cmp_le_i32_e32 vcc, s9, v21
	s_or_b64 s[64:65], vcc, s[64:65]
	v_mov_b32_e32 v8, s66
	v_mov_b32_e32 v9, s35
	s_andn2_b64 exec, exec, s[64:65]
	s_cbranch_execnz .LBB24_47
; %bb.48:                               ;   in Loop: Header=BB24_7 Depth=1
	s_or_b64 exec, exec, s[64:65]
.LBB24_49:                              ;   in Loop: Header=BB24_7 Depth=1
	s_or_b64 exec, exec, s[26:27]
	v_mov_b32_e32 v21, 0
	v_mov_b32_e32 v22, 0
	s_and_saveexec_b64 s[6:7], s[12:13]
	s_cbranch_execz .LBB24_51
; %bb.50:                               ;   in Loop: Header=BB24_7 Depth=1
	global_load_dwordx2 v[21:22], v[15:16], off
.LBB24_51:                              ;   in Loop: Header=BB24_7 Depth=1
	s_or_b64 exec, exec, s[6:7]
	s_and_saveexec_b64 s[18:19], s[14:15]
	s_cbranch_execz .LBB24_57
; %bb.52:                               ;   in Loop: Header=BB24_7 Depth=1
	s_mov_b64 s[20:21], 0
	v_mov_b32_e32 v2, v38
	v_mov_b32_e32 v42, v33
	s_branch .LBB24_54
.LBB24_53:                              ;   in Loop: Header=BB24_54 Depth=2
	s_or_b64 exec, exec, s[6:7]
	s_waitcnt vmcnt(0)
	v_xor_b32_e32 v22, 0x80000000, v22
	v_and_b32_e32 v44, v22, v20
	v_and_b32_e32 v43, v21, v19
	v_lshrrev_b64 v[21:22], s48, v[21:22]
	v_cmp_eq_u64_e32 vcc, v[43:44], v[17:18]
	v_and_b32_e32 v11, 3, v21
	v_cmp_eq_u64_e64 s[6:7], 0, v[11:12]
	v_mov_b32_e32 v21, v23
	s_and_b64 s[6:7], vcc, s[6:7]
	v_cndmask_b32_e64 v3, 0, 1, s[6:7]
	v_cmp_ne_u32_e64 s[6:7], 0, v3
	s_bcnt1_i32_b64 s22, s[6:7]
	v_cmp_eq_u64_e64 s[6:7], 1, v[11:12]
	v_add_u32_e32 v6, s22, v6
	s_and_b64 s[6:7], vcc, s[6:7]
	v_cndmask_b32_e64 v3, 0, 1, s[6:7]
	v_cmp_ne_u32_e64 s[6:7], 0, v3
	s_bcnt1_i32_b64 s22, s[6:7]
	v_cmp_eq_u64_e64 s[6:7], 2, v[11:12]
	v_add_u32_e32 v7, s22, v7
	;; [unrolled: 6-line block ×3, first 2 shown]
	s_and_b64 s[6:7], vcc, s[6:7]
	v_cndmask_b32_e64 v3, 0, 1, s[6:7]
	v_cmp_ne_u32_e32 vcc, 0, v3
	s_bcnt1_i32_b64 s6, vcc
	v_cmp_le_i32_e32 vcc, s28, v42
	v_add_u32_e32 v9, s6, v9
	v_add_u32_e32 v2, s44, v2
	s_or_b64 s[20:21], vcc, s[20:21]
	v_mov_b32_e32 v22, v24
	s_andn2_b64 exec, exec, s[20:21]
	s_cbranch_execz .LBB24_56
.LBB24_54:                              ;   Parent Loop BB24_7 Depth=1
                                        ; =>  This Inner Loop Header: Depth=2
	v_add_u32_e32 v42, s36, v42
	v_mov_b32_e32 v23, 0
	v_mov_b32_e32 v24, 0
	v_cmp_gt_u32_e32 vcc, s28, v42
	s_and_saveexec_b64 s[6:7], vcc
	s_cbranch_execz .LBB24_53
; %bb.55:                               ;   in Loop: Header=BB24_54 Depth=2
	v_ashrrev_i32_e32 v3, 31, v2
	v_lshlrev_b64 v[23:24], 3, v[2:3]
	v_mov_b32_e32 v3, s37
	v_add_co_u32_e32 v23, vcc, s30, v23
	v_addc_co_u32_e32 v24, vcc, v3, v24, vcc
	global_load_dwordx2 v[23:24], v[23:24], off
	s_branch .LBB24_53
.LBB24_56:                              ;   in Loop: Header=BB24_7 Depth=1
	s_or_b64 exec, exec, s[20:21]
.LBB24_57:                              ;   in Loop: Header=BB24_7 Depth=1
	s_or_b64 exec, exec, s[18:19]
	s_branch .LBB24_37
.LBB24_58:                              ;   in Loop: Header=BB24_7 Depth=1
	s_mul_hi_u32 s6, s29, s8
	s_mul_i32 s6, s6, s33
	s_sub_i32 s6, s29, s6
	s_sub_i32 s7, s6, s33
	s_cmp_ge_u32 s6, s33
	s_cselect_b32 s6, s7, s6
	s_sub_i32 s7, s6, s33
	s_cmp_ge_u32 s6, s33
	s_cselect_b32 s6, s7, s6
	s_sub_i32 s34, s29, s6
	v_cmp_gt_u32_e32 vcc, s34, v25
	v_mov_b32_e32 v6, 0
	v_mov_b32_e32 v7, 0
	;; [unrolled: 1-line block ×4, first 2 shown]
	s_and_saveexec_b64 s[26:27], vcc
	s_cbranch_execz .LBB24_62
; %bb.59:                               ;   in Loop: Header=BB24_7 Depth=1
	s_mov_b32 s35, 0
	s_mov_b64 s[64:65], 0
	s_waitcnt vmcnt(0)
	v_mov_b32_e32 v21, v39
	s_mov_b32 s66, 0
	s_mov_b32 s67, 0
	;; [unrolled: 1-line block ×3, first 2 shown]
	v_mov_b32_e32 v22, v25
.LBB24_60:                              ;   Parent Loop BB24_7 Depth=1
                                        ; =>  This Inner Loop Header: Depth=2
	ds_read_b128 v[42:45], v21
	ds_read_b128 v[6:9], v21 offset:16
	v_add_u32_e32 v22, s33, v22
	v_add_u32_e32 v21, s17, v21
	s_waitcnt lgkmcnt(1)
	v_xor_b32_e32 v43, 0x80000000, v43
	v_xor_b32_e32 v45, 0x80000000, v45
	v_and_b32_e32 v3, v43, v20
	v_and_b32_e32 v2, v42, v19
	s_waitcnt lgkmcnt(0)
	v_xor_b32_e32 v7, 0x80000000, v7
	v_cmp_eq_u64_e32 vcc, v[2:3], v[17:18]
	v_and_b32_e32 v3, v45, v20
	v_and_b32_e32 v2, v44, v19
	v_xor_b32_e32 v9, 0x80000000, v9
	v_cmp_eq_u64_e64 s[18:19], v[2:3], v[17:18]
	v_and_b32_e32 v3, v7, v20
	v_and_b32_e32 v2, v6, v19
	v_cmp_eq_u64_e64 s[20:21], v[2:3], v[17:18]
	v_and_b32_e32 v3, v9, v20
	v_and_b32_e32 v2, v8, v19
	v_cmp_eq_u64_e64 s[22:23], v[2:3], v[17:18]
	v_lshrrev_b64 v[2:3], s48, v[42:43]
	v_lshrrev_b64 v[6:7], s48, v[6:7]
	v_and_b32_e32 v11, 3, v2
	v_lshrrev_b64 v[2:3], s48, v[44:45]
	v_cmp_eq_u64_e64 s[6:7], 0, v[11:12]
	v_and_b32_e32 v2, 3, v2
	v_mov_b32_e32 v3, v12
	s_and_b64 s[24:25], vcc, s[6:7]
	v_cmp_eq_u64_e64 s[6:7], 0, v[2:3]
	v_and_b32_e32 v6, 3, v6
	v_mov_b32_e32 v7, v12
	v_lshrrev_b64 v[8:9], s48, v[8:9]
	s_and_b64 s[70:71], s[18:19], s[6:7]
	v_cmp_eq_u64_e64 s[6:7], 0, v[6:7]
	v_and_b32_e32 v8, 3, v8
	v_mov_b32_e32 v9, v12
	s_and_b64 s[72:73], s[20:21], s[6:7]
	v_cmp_eq_u64_e64 s[6:7], 0, v[8:9]
	v_cndmask_b32_e64 v23, 0, 1, s[24:25]
	s_and_b64 s[74:75], s[22:23], s[6:7]
	v_cmp_ne_u32_e64 s[6:7], 0, v23
	v_cndmask_b32_e64 v23, 0, 1, s[70:71]
	s_bcnt1_i32_b64 s24, s[6:7]
	v_cmp_ne_u32_e64 s[6:7], 0, v23
	v_cndmask_b32_e64 v23, 0, 1, s[72:73]
	s_bcnt1_i32_b64 s25, s[6:7]
	;; [unrolled: 3-line block ×3, first 2 shown]
	v_cmp_ne_u32_e64 s[6:7], 0, v23
	s_bcnt1_i32_b64 s6, s[6:7]
	s_add_i32 s7, s68, s24
	s_add_i32 s7, s7, s25
	;; [unrolled: 1-line block ×4, first 2 shown]
	v_cmp_eq_u64_e64 s[6:7], 1, v[11:12]
	s_and_b64 s[24:25], vcc, s[6:7]
	v_cmp_eq_u64_e64 s[6:7], 1, v[2:3]
	v_cndmask_b32_e64 v23, 0, 1, s[24:25]
	s_and_b64 s[70:71], s[18:19], s[6:7]
	v_cmp_eq_u64_e64 s[6:7], 1, v[6:7]
	s_and_b64 s[72:73], s[20:21], s[6:7]
	v_cmp_eq_u64_e64 s[6:7], 1, v[8:9]
	s_and_b64 s[74:75], s[22:23], s[6:7]
	v_cmp_ne_u32_e64 s[6:7], 0, v23
	v_cndmask_b32_e64 v23, 0, 1, s[70:71]
	s_bcnt1_i32_b64 s24, s[6:7]
	v_cmp_ne_u32_e64 s[6:7], 0, v23
	v_cndmask_b32_e64 v23, 0, 1, s[72:73]
	s_bcnt1_i32_b64 s25, s[6:7]
	v_cmp_ne_u32_e64 s[6:7], 0, v23
	v_cndmask_b32_e64 v23, 0, 1, s[74:75]
	s_bcnt1_i32_b64 s69, s[6:7]
	v_cmp_ne_u32_e64 s[6:7], 0, v23
	s_bcnt1_i32_b64 s6, s[6:7]
	s_add_i32 s7, s67, s24
	s_add_i32 s7, s7, s25
	;; [unrolled: 1-line block ×4, first 2 shown]
	v_cmp_eq_u64_e64 s[6:7], 2, v[11:12]
	s_and_b64 s[24:25], vcc, s[6:7]
	v_cmp_eq_u64_e64 s[6:7], 2, v[2:3]
	v_cndmask_b32_e64 v23, 0, 1, s[24:25]
	s_and_b64 s[70:71], s[18:19], s[6:7]
	v_cmp_eq_u64_e64 s[6:7], 2, v[6:7]
	s_and_b64 s[72:73], s[20:21], s[6:7]
	v_cmp_eq_u64_e64 s[6:7], 2, v[8:9]
	s_and_b64 s[74:75], s[22:23], s[6:7]
	v_cmp_ne_u32_e64 s[6:7], 0, v23
	v_cndmask_b32_e64 v23, 0, 1, s[70:71]
	s_bcnt1_i32_b64 s24, s[6:7]
	v_cmp_ne_u32_e64 s[6:7], 0, v23
	v_cndmask_b32_e64 v23, 0, 1, s[72:73]
	s_bcnt1_i32_b64 s25, s[6:7]
	;; [unrolled: 3-line block ×3, first 2 shown]
	v_cmp_ne_u32_e64 s[6:7], 0, v23
	s_bcnt1_i32_b64 s6, s[6:7]
	s_add_i32 s7, s66, s24
	s_add_i32 s7, s7, s25
	;; [unrolled: 1-line block ×4, first 2 shown]
	v_cmp_eq_u64_e64 s[6:7], 3, v[11:12]
	s_and_b64 s[6:7], vcc, s[6:7]
	v_cmp_eq_u64_e32 vcc, 3, v[2:3]
	v_cndmask_b32_e64 v2, 0, 1, s[6:7]
	s_and_b64 s[18:19], s[18:19], vcc
	v_cmp_eq_u64_e32 vcc, 3, v[6:7]
	v_mov_b32_e32 v6, s68
	s_and_b64 s[20:21], s[20:21], vcc
	v_cmp_eq_u64_e32 vcc, 3, v[8:9]
	v_mov_b32_e32 v7, s67
	s_and_b64 s[22:23], s[22:23], vcc
	v_cmp_ne_u32_e32 vcc, 0, v2
	v_cndmask_b32_e64 v2, 0, 1, s[18:19]
	s_bcnt1_i32_b64 s6, vcc
	v_cmp_ne_u32_e32 vcc, 0, v2
	v_cndmask_b32_e64 v2, 0, 1, s[20:21]
	s_bcnt1_i32_b64 s7, vcc
	v_cmp_ne_u32_e32 vcc, 0, v2
	v_cndmask_b32_e64 v2, 0, 1, s[22:23]
	s_add_i32 s6, s35, s6
	s_bcnt1_i32_b64 s18, vcc
	v_cmp_ne_u32_e32 vcc, 0, v2
	s_add_i32 s6, s6, s7
	s_bcnt1_i32_b64 s19, vcc
	s_add_i32 s6, s6, s18
	s_add_i32 s35, s6, s19
	v_cmp_le_i32_e32 vcc, s34, v22
	s_or_b64 s[64:65], vcc, s[64:65]
	v_mov_b32_e32 v8, s66
	v_mov_b32_e32 v9, s35
	s_andn2_b64 exec, exec, s[64:65]
	s_cbranch_execnz .LBB24_60
; %bb.61:                               ;   in Loop: Header=BB24_7 Depth=1
	s_or_b64 exec, exec, s[64:65]
.LBB24_62:                              ;   in Loop: Header=BB24_7 Depth=1
	s_or_b64 exec, exec, s[26:27]
	v_add_u32_e32 v2, s34, v0
	v_cmp_gt_i32_e32 vcc, s29, v2
	s_and_saveexec_b64 s[64:65], vcc
	s_cbranch_execz .LBB24_66
; %bb.63:                               ;   in Loop: Header=BB24_7 Depth=1
	v_lshlrev_b32_e32 v3, 3, v2
	s_mov_b64 s[66:67], 0
.LBB24_64:                              ;   Parent Loop BB24_7 Depth=1
                                        ; =>  This Inner Loop Header: Depth=2
	s_waitcnt vmcnt(0)
	ds_read_b64 v[21:22], v3
	v_add_u32_e32 v2, s36, v2
	v_cmp_le_i32_e32 vcc, s29, v2
	v_add_u32_e32 v3, s45, v3
	s_waitcnt lgkmcnt(0)
	v_xor_b32_e32 v22, 0x80000000, v22
	v_and_b32_e32 v23, v21, v19
	v_and_b32_e32 v24, v22, v20
	v_lshrrev_b64 v[21:22], s48, v[21:22]
	v_cmp_eq_u64_e64 s[6:7], v[23:24], v[17:18]
	v_and_b32_e32 v11, 3, v21
	v_cmp_eq_u64_e64 s[18:19], 0, v[11:12]
	v_cmp_eq_u64_e64 s[20:21], 1, v[11:12]
	v_cmp_eq_u64_e64 s[22:23], 2, v[11:12]
	v_cmp_eq_u64_e64 s[26:27], 3, v[11:12]
	s_and_b64 s[18:19], s[6:7], s[18:19]
	v_cndmask_b32_e64 v11, 0, 1, s[18:19]
	s_and_b64 s[18:19], s[6:7], s[20:21]
	v_cndmask_b32_e64 v21, 0, 1, s[18:19]
	s_and_b64 s[18:19], s[6:7], s[22:23]
	s_and_b64 s[6:7], s[6:7], s[26:27]
	v_cndmask_b32_e64 v22, 0, 1, s[18:19]
	v_cndmask_b32_e64 v23, 0, 1, s[6:7]
	v_cmp_ne_u32_e64 s[6:7], 0, v11
	v_cmp_ne_u32_e64 s[18:19], 0, v21
	;; [unrolled: 1-line block ×4, first 2 shown]
	s_bcnt1_i32_b64 s6, s[6:7]
	s_bcnt1_i32_b64 s7, s[18:19]
	s_bcnt1_i32_b64 s18, s[20:21]
	s_bcnt1_i32_b64 s19, s[22:23]
	v_add_u32_e32 v6, s6, v6
	v_add_u32_e32 v7, s7, v7
	;; [unrolled: 1-line block ×3, first 2 shown]
	s_or_b64 s[66:67], vcc, s[66:67]
	v_add_u32_e32 v9, s19, v9
	s_andn2_b64 exec, exec, s[66:67]
	s_cbranch_execnz .LBB24_64
; %bb.65:                               ;   in Loop: Header=BB24_7 Depth=1
	s_or_b64 exec, exec, s[66:67]
.LBB24_66:                              ;   in Loop: Header=BB24_7 Depth=1
	s_or_b64 exec, exec, s[64:65]
	s_lshl_b32 s18, s46, 6
	s_and_saveexec_b64 s[6:7], s[2:3]
	s_cbranch_execnz .LBB24_38
	s_branch .LBB24_39
.LBB24_67:                              ;   in Loop: Header=BB24_7 Depth=1
	s_or_b64 exec, exec, s[20:21]
	s_waitcnt lgkmcnt(0)
	s_barrier
	s_and_saveexec_b64 s[6:7], s[0:1]
	s_cbranch_execz .LBB24_69
; %bb.68:                               ;   in Loop: Header=BB24_7 Depth=1
	ds_read_b32 v2, v12 offset:4104
	s_waitcnt lgkmcnt(0)
	ds_write_b32 v12, v2 offset:4096
.LBB24_69:                              ;   in Loop: Header=BB24_7 Depth=1
	s_or_b64 exec, exec, s[6:7]
	s_waitcnt lgkmcnt(0)
	s_barrier
	s_mov_b64 s[6:7], -1
	s_and_b64 vcc, exec, s[18:19]
	s_cbranch_vccnz .LBB24_23
	s_branch .LBB24_33
.LBB24_70:                              ;   in Loop: Header=BB24_7 Depth=1
	v_mov_b32_e32 v2, 0
	s_mov_b32 s19, 0
.LBB24_71:                              ;   in Loop: Header=BB24_7 Depth=1
	v_readlane_b32 s20, v46, 15
	v_readlane_b32 s21, v46, 16
	s_andn2_b64 vcc, exec, s[20:21]
	s_cbranch_vccnz .LBB24_74
; %bb.72:                               ;   in Loop: Header=BB24_7 Depth=1
	s_lshl_b32 s20, s46, 8
	s_lshl_b32 s19, s19, 4
	s_add_i32 s20, s20, s19
	v_add_u32_e32 v3, s20, v40
	v_readlane_b32 s19, v46, 14
.LBB24_73:                              ;   Parent Loop BB24_7 Depth=1
                                        ; =>  This Inner Loop Header: Depth=2
	ds_read_b32 v6, v3
	s_add_i32 s19, s19, -1
	v_add_u32_e32 v3, 16, v3
	s_cmp_lg_u32 s19, 0
	s_waitcnt lgkmcnt(0)
	v_add_u32_e32 v2, v6, v2
	s_cbranch_scc1 .LBB24_73
.LBB24_74:                              ;   in Loop: Header=BB24_7 Depth=1
	v_add_lshl_u32 v3, s18, v26, 2
	ds_write_b32 v3, v2 offset:3072
.LBB24_75:                              ;   in Loop: Header=BB24_7 Depth=1
	s_or_b64 exec, exec, s[6:7]
	s_lshl_b32 s6, s18, 2
	v_mov_b32_e32 v2, s6
	s_waitcnt lgkmcnt(0)
	s_barrier
	ds_read_b128 v[6:9], v2 offset:3072
	s_lshl_b64 s[6:7], 3, s48
	s_not_b64 s[66:67], s[6:7]
	v_cmp_eq_u32_e32 vcc, 1, v41
	s_mov_b64 s[20:21], -1
	s_waitcnt lgkmcnt(0)
	v_readfirstlane_b32 s34, v6
	s_cmp_eq_u32 s34, 1
	s_cselect_b64 s[18:19], -1, 0
	v_readfirstlane_b32 s84, v7
	v_readfirstlane_b32 s92, v8
	;; [unrolled: 1-line block ×3, first 2 shown]
	s_and_b64 s[22:23], s[18:19], vcc
	s_mov_b64 s[68:69], -1
                                        ; implicit-def: $sgpr64_sgpr65
                                        ; implicit-def: $sgpr26_sgpr27
	s_and_saveexec_b64 s[18:19], s[22:23]
	s_cbranch_execz .LBB24_101
; %bb.76:                               ;   in Loop: Header=BB24_7 Depth=1
	ds_read_b32 v2, v12 offset:4096
	s_waitcnt lgkmcnt(0)
	s_barrier
	v_readfirstlane_b32 s24, v2
	s_and_saveexec_b64 s[26:27], s[4:5]
; %bb.77:                               ;   in Loop: Header=BB24_7 Depth=1
	v_mov_b32_e32 v11, v12
	ds_write_b64 v28, v[11:12]
; %bb.78:                               ;   in Loop: Header=BB24_7 Depth=1
	s_or_b64 exec, exec, s[26:27]
	v_and_b32_e32 v18, s67, v18
	v_and_b32_e32 v17, s66, v17
	v_or_b32_e32 v20, s7, v20
	v_or_b32_e32 v19, s6, v19
	s_mov_b64 s[26:27], -1
	s_mov_b64 s[64:65], 0
	s_cmp_lt_i32 s24, 1
	s_mov_b64 s[68:69], 0
	s_mov_b64 s[70:71], -1
	s_waitcnt lgkmcnt(0)
	s_barrier
                                        ; implicit-def: $vgpr4_vgpr5
	s_cbranch_scc0 .LBB24_89
; %bb.79:                               ;   in Loop: Header=BB24_7 Depth=1
	s_mov_b64 s[70:71], 0
                                        ; implicit-def: $vgpr4_vgpr5
	s_mov_b64 s[72:73], exec
	v_readlane_b32 s74, v46, 18
	v_readlane_b32 s75, v46, 19
	s_and_b64 s[74:75], s[72:73], s[74:75]
	s_mov_b64 exec, s[74:75]
	s_cbranch_execz .LBB24_88
; %bb.80:                               ;   in Loop: Header=BB24_7 Depth=1
	v_mov_b32_e32 v6, v10
	v_mov_b32_e32 v8, v0
                                        ; implicit-def: $sgpr74_sgpr75
	s_branch .LBB24_83
.LBB24_81:                              ;   in Loop: Header=BB24_83 Depth=2
	s_or_b64 exec, exec, s[76:77]
	s_waitcnt lgkmcnt(0)
	s_barrier
	ds_read_b128 v[2:5], v12 offset:3072
	s_mov_b64 s[76:77], -1
	s_mov_b64 s[78:79], -1
	s_waitcnt lgkmcnt(0)
	s_barrier
	v_cmp_ne_u64_e32 vcc, 0, v[2:3]
	s_cbranch_vccz .LBB24_86
.LBB24_82:                              ;   in Loop: Header=BB24_83 Depth=2
	s_and_b64 s[76:77], exec, s[76:77]
	s_or_b64 s[68:69], s[76:77], s[68:69]
	s_andn2_b64 s[74:75], s[74:75], exec
	s_and_b64 s[76:77], s[78:79], exec
	s_or_b64 s[74:75], s[74:75], s[76:77]
	s_andn2_b64 exec, exec, s[68:69]
	s_cbranch_execz .LBB24_87
.LBB24_83:                              ;   Parent Loop BB24_7 Depth=1
                                        ; =>  This Inner Loop Header: Depth=2
	v_cmp_gt_i32_e32 vcc, s28, v8
	s_and_saveexec_b64 s[76:77], vcc
	s_cbranch_execz .LBB24_81
; %bb.84:                               ;   in Loop: Header=BB24_83 Depth=2
	v_ashrrev_i32_e32 v7, 31, v6
	v_lshlrev_b64 v[2:3], 3, v[6:7]
	v_mov_b32_e32 v4, s37
	v_add_co_u32_e32 v2, vcc, s30, v2
	v_addc_co_u32_e32 v3, vcc, v4, v3, vcc
	global_load_dwordx2 v[3:4], v[2:3], off
	s_waitcnt vmcnt(0)
	v_xor_b32_e32 v2, 0x80000000, v4
	v_and_b32_e32 v22, v2, v20
	v_and_b32_e32 v21, v3, v19
	v_cmp_eq_u64_e32 vcc, v[21:22], v[17:18]
	s_and_b64 exec, exec, vcc
	s_cbranch_execz .LBB24_81
; %bb.85:                               ;   in Loop: Header=BB24_83 Depth=2
	v_mov_b32_e32 v2, v12
	ds_write_b128 v12, v[1:4] offset:3072
	s_branch .LBB24_81
.LBB24_86:                              ;   in Loop: Header=BB24_83 Depth=2
	v_add_u32_e32 v8, s36, v8
	v_cmp_le_i32_e32 vcc, s49, v8
	v_add_u32_e32 v6, s44, v6
	s_mov_b64 s[78:79], 0
	s_orn2_b64 s[76:77], vcc, exec
	s_branch .LBB24_82
.LBB24_87:                              ;   in Loop: Header=BB24_7 Depth=1
	s_or_b64 exec, exec, s[68:69]
	s_and_b64 s[68:69], s[74:75], exec
.LBB24_88:                              ;   in Loop: Header=BB24_7 Depth=1
	s_or_b64 exec, exec, s[72:73]
.LBB24_89:                              ;   in Loop: Header=BB24_7 Depth=1
	s_and_b64 vcc, exec, s[70:71]
	s_cbranch_vccz .LBB24_100
; %bb.90:                               ;   in Loop: Header=BB24_7 Depth=1
	v_readlane_b32 s25, v46, 5
	s_add_i32 s25, s24, s25
	s_abs_i32 s27, s25
	v_readlane_b32 s35, v46, 17
	s_mul_hi_u32 s35, s27, s35
	s_mul_i32 s35, s35, s36
	s_sub_i32 s27, s27, s35
	s_ashr_i32 s26, s25, 31
	s_sub_i32 s35, s27, s36
	s_cmp_ge_u32 s27, s36
	s_cselect_b32 s27, s35, s27
	s_sub_i32 s35, s27, s36
	s_cmp_ge_u32 s27, s36
	s_cselect_b32 s27, s35, s27
	s_xor_b32 s27, s27, s26
	s_sub_i32 s26, s26, s27
	s_add_i32 s25, s25, s26
	v_cmp_gt_i32_e32 vcc, s25, v0
                                        ; implicit-def: $vgpr4_vgpr5
	s_and_saveexec_b64 s[26:27], vcc
	s_cbranch_execz .LBB24_99
; %bb.91:                               ;   in Loop: Header=BB24_7 Depth=1
	s_mov_b64 s[70:71], 0
	v_mov_b32_e32 v6, v27
	v_mov_b32_e32 v7, v0
                                        ; implicit-def: $sgpr64_sgpr65
	s_branch .LBB24_94
.LBB24_92:                              ;   in Loop: Header=BB24_94 Depth=2
	s_or_b64 exec, exec, s[72:73]
	s_waitcnt lgkmcnt(0)
	s_barrier
	ds_read_b128 v[2:5], v12 offset:3072
	s_mov_b64 s[72:73], -1
	s_mov_b64 s[74:75], -1
	s_waitcnt lgkmcnt(0)
	s_barrier
	v_cmp_ne_u64_e32 vcc, 0, v[2:3]
	s_cbranch_vccz .LBB24_97
.LBB24_93:                              ;   in Loop: Header=BB24_94 Depth=2
	s_and_b64 s[72:73], exec, s[72:73]
	s_or_b64 s[70:71], s[72:73], s[70:71]
	s_andn2_b64 s[64:65], s[64:65], exec
	s_and_b64 s[72:73], s[74:75], exec
	s_or_b64 s[64:65], s[64:65], s[72:73]
	s_andn2_b64 exec, exec, s[70:71]
	s_cbranch_execz .LBB24_98
.LBB24_94:                              ;   Parent Loop BB24_7 Depth=1
                                        ; =>  This Inner Loop Header: Depth=2
	v_cmp_gt_i32_e32 vcc, s24, v7
	s_and_saveexec_b64 s[72:73], vcc
	s_cbranch_execz .LBB24_92
; %bb.95:                               ;   in Loop: Header=BB24_94 Depth=2
	ds_read_b64 v[3:4], v6
	s_waitcnt lgkmcnt(0)
	v_xor_b32_e32 v2, 0x80000000, v4
	v_and_b32_e32 v9, v2, v20
	v_and_b32_e32 v8, v3, v19
	v_cmp_eq_u64_e32 vcc, v[8:9], v[17:18]
	s_and_b64 exec, exec, vcc
	s_cbranch_execz .LBB24_92
; %bb.96:                               ;   in Loop: Header=BB24_94 Depth=2
	v_mov_b32_e32 v2, v12
	ds_write_b128 v12, v[1:4] offset:3072
	s_branch .LBB24_92
.LBB24_97:                              ;   in Loop: Header=BB24_94 Depth=2
	v_add_u32_e32 v7, s36, v7
	v_cmp_le_i32_e32 vcc, s25, v7
	v_add_u32_e32 v6, s45, v6
	s_mov_b64 s[74:75], 0
	s_orn2_b64 s[72:73], vcc, exec
	s_branch .LBB24_93
.LBB24_98:                              ;   in Loop: Header=BB24_7 Depth=1
	s_or_b64 exec, exec, s[70:71]
	s_andn2_b64 s[24:25], s[68:69], exec
	s_and_b64 s[64:65], s[64:65], exec
	s_or_b64 s[68:69], s[24:25], s[64:65]
.LBB24_99:                              ;   in Loop: Header=BB24_7 Depth=1
	s_or_b64 exec, exec, s[26:27]
	s_mov_b64 s[26:27], 0
	s_mov_b64 s[64:65], -1
.LBB24_100:                             ;   in Loop: Header=BB24_7 Depth=1
	s_orn2_b64 s[68:69], s[68:69], exec
.LBB24_101:                             ;   in Loop: Header=BB24_7 Depth=1
	s_or_b64 exec, exec, s[18:19]
	s_andn2_b64 s[18:19], s[62:63], exec
	s_and_b64 s[62:63], s[64:65], exec
	s_or_b64 s[62:63], s[18:19], s[62:63]
	s_andn2_b64 s[18:19], s[60:61], exec
	s_and_b64 s[26:27], s[26:27], exec
	v_readfirstlane_b32 s24, v0
	v_readfirstlane_b32 s25, v0
	s_andn2_b64 s[58:59], s[58:59], exec
	s_or_b64 s[60:61], s[18:19], s[26:27]
                                        ; implicit-def: $vgpr9
	s_and_saveexec_b64 s[18:19], s[68:69]
	s_cbranch_execz .LBB24_6
; %bb.102:                              ;   in Loop: Header=BB24_7 Depth=1
	s_xor_b64 s[24:25], s[22:23], -1
	s_mov_b64 s[22:23], 0
	v_mov_b32_e32 v9, 1
	v_mov_b32_e32 v8, 1
	s_and_saveexec_b64 s[20:21], s[24:25]
	s_cbranch_execz .LBB24_111
; %bb.103:                              ;   in Loop: Header=BB24_7 Depth=1
	v_cmp_ge_i32_e32 vcc, s34, v41
	s_and_saveexec_b64 s[22:23], vcc
	s_xor_b64 s[22:23], exec, s[22:23]
	s_cbranch_execz .LBB24_108
; %bb.104:                              ;   in Loop: Header=BB24_7 Depth=1
	ds_read_b32 v2, v12 offset:4096
	v_and_b32_e32 v18, s67, v18
	v_and_b32_e32 v17, s66, v17
	v_or_b32_e32 v20, s7, v20
	v_or_b32_e32 v19, s6, v19
	s_waitcnt lgkmcnt(0)
	v_cmp_ne_u32_e32 vcc, 0, v2
	s_cbranch_vccnz .LBB24_108
; %bb.105:                              ;   in Loop: Header=BB24_7 Depth=1
	s_and_saveexec_b64 s[26:27], s[0:1]
; %bb.106:                              ;   in Loop: Header=BB24_7 Depth=1
	v_mov_b32_e32 v2, s34
	ds_write_b32 v12, v2 offset:4100
; %bb.107:                              ;   in Loop: Header=BB24_7 Depth=1
	s_or_b64 exec, exec, s[26:27]
	s_waitcnt lgkmcnt(0)
	s_barrier
.LBB24_108:                             ;   in Loop: Header=BB24_7 Depth=1
	s_or_saveexec_b64 s[22:23], s[22:23]
	s_mov_b64 s[26:27], 0
	v_mov_b32_e32 v8, 8
	s_xor_b64 exec, exec, s[22:23]
; %bb.109:                              ;   in Loop: Header=BB24_7 Depth=1
	s_mov_b64 s[26:27], exec
	v_subrev_u32_e32 v41, s34, v41
	v_mov_b32_e32 v8, 0
; %bb.110:                              ;   in Loop: Header=BB24_7 Depth=1
	s_or_b64 exec, exec, s[22:23]
	s_and_b64 s[22:23], s[26:27], exec
	v_mov_b32_e32 v9, v41
.LBB24_111:                             ;   in Loop: Header=BB24_7 Depth=1
	s_or_b64 exec, exec, s[20:21]
	s_mov_b64 s[20:21], -1
	s_mov_b64 s[68:69], -1
                                        ; implicit-def: $sgpr26_sgpr27
                                        ; implicit-def: $sgpr64_sgpr65
	s_and_saveexec_b64 s[24:25], s[22:23]
	s_xor_b64 s[22:23], exec, s[24:25]
	s_cbranch_execz .LBB24_228
; %bb.112:                              ;   in Loop: Header=BB24_7 Depth=1
	s_cmp_eq_u32 s84, 1
	s_cselect_b64 s[24:25], -1, 0
	v_cmp_eq_u32_e32 vcc, 1, v9
	s_and_b64 s[70:71], s[24:25], vcc
	s_mov_b64 s[72:73], -1
                                        ; implicit-def: $sgpr64_sgpr65
                                        ; implicit-def: $sgpr26_sgpr27
	s_and_saveexec_b64 s[68:69], s[70:71]
	s_cbranch_execz .LBB24_138
; %bb.113:                              ;   in Loop: Header=BB24_7 Depth=1
	ds_read_b32 v2, v12 offset:4096
	s_waitcnt lgkmcnt(0)
	s_barrier
	v_readfirstlane_b32 s34, v2
	s_and_saveexec_b64 s[26:27], s[4:5]
; %bb.114:                              ;   in Loop: Header=BB24_7 Depth=1
	v_mov_b32_e32 v11, v12
	ds_write_b64 v28, v[11:12]
; %bb.115:                              ;   in Loop: Header=BB24_7 Depth=1
	s_or_b64 exec, exec, s[26:27]
	s_lshl_b64 s[24:25], 1, s48
	v_and_b32_e32 v2, s67, v18
	v_and_b32_e32 v3, s66, v17
	v_or_b32_e32 v18, s25, v2
	v_or_b32_e32 v17, s24, v3
	;; [unrolled: 1-line block ×4, first 2 shown]
	s_mov_b64 s[26:27], -1
	s_mov_b64 s[64:65], 0
	s_cmp_gt_i32 s34, 0
	s_mov_b64 s[72:73], 0
	s_mov_b64 s[74:75], -1
	s_waitcnt lgkmcnt(0)
	s_barrier
                                        ; implicit-def: $vgpr4_vgpr5
	s_cbranch_scc1 .LBB24_126
; %bb.116:                              ;   in Loop: Header=BB24_7 Depth=1
	s_mov_b64 s[74:75], 0
                                        ; implicit-def: $vgpr4_vgpr5
	s_mov_b64 s[76:77], exec
	v_readlane_b32 s24, v46, 18
	v_readlane_b32 s25, v46, 19
	s_and_b64 s[24:25], s[76:77], s[24:25]
	s_mov_b64 exec, s[24:25]
	s_cbranch_execz .LBB24_125
; %bb.117:                              ;   in Loop: Header=BB24_7 Depth=1
	v_mov_b32_e32 v6, v10
	v_mov_b32_e32 v11, v0
                                        ; implicit-def: $sgpr78_sgpr79
	s_branch .LBB24_120
.LBB24_118:                             ;   in Loop: Header=BB24_120 Depth=2
	s_or_b64 exec, exec, s[80:81]
	s_waitcnt lgkmcnt(0)
	s_barrier
	ds_read_b128 v[2:5], v12 offset:3072
	s_mov_b64 s[80:81], -1
	s_mov_b64 s[82:83], -1
	s_waitcnt lgkmcnt(0)
	s_barrier
	v_cmp_ne_u64_e32 vcc, 0, v[2:3]
	s_cbranch_vccz .LBB24_123
.LBB24_119:                             ;   in Loop: Header=BB24_120 Depth=2
	s_and_b64 s[24:25], exec, s[80:81]
	s_or_b64 s[72:73], s[24:25], s[72:73]
	s_andn2_b64 s[24:25], s[78:79], exec
	s_and_b64 s[78:79], s[82:83], exec
	s_or_b64 s[78:79], s[24:25], s[78:79]
	s_andn2_b64 exec, exec, s[72:73]
	s_cbranch_execz .LBB24_124
.LBB24_120:                             ;   Parent Loop BB24_7 Depth=1
                                        ; =>  This Inner Loop Header: Depth=2
	v_cmp_gt_i32_e32 vcc, s28, v11
	s_and_saveexec_b64 s[80:81], vcc
	s_cbranch_execz .LBB24_118
; %bb.121:                              ;   in Loop: Header=BB24_120 Depth=2
	v_ashrrev_i32_e32 v7, 31, v6
	v_lshlrev_b64 v[2:3], 3, v[6:7]
	v_mov_b32_e32 v4, s37
	v_add_co_u32_e32 v2, vcc, s30, v2
	v_addc_co_u32_e32 v3, vcc, v4, v3, vcc
	global_load_dwordx2 v[3:4], v[2:3], off
	s_waitcnt vmcnt(0)
	v_xor_b32_e32 v2, 0x80000000, v4
	v_and_b32_e32 v22, v2, v20
	v_and_b32_e32 v21, v3, v19
	v_cmp_eq_u64_e32 vcc, v[21:22], v[17:18]
	s_and_b64 exec, exec, vcc
	s_cbranch_execz .LBB24_118
; %bb.122:                              ;   in Loop: Header=BB24_120 Depth=2
	v_mov_b32_e32 v2, v12
	ds_write_b128 v12, v[1:4] offset:3072
	s_branch .LBB24_118
.LBB24_123:                             ;   in Loop: Header=BB24_120 Depth=2
	v_add_u32_e32 v11, s36, v11
	v_cmp_le_i32_e32 vcc, s49, v11
	v_add_u32_e32 v6, s44, v6
	s_mov_b64 s[82:83], 0
	s_orn2_b64 s[80:81], vcc, exec
	s_branch .LBB24_119
.LBB24_124:                             ;   in Loop: Header=BB24_7 Depth=1
	s_or_b64 exec, exec, s[72:73]
	s_and_b64 s[72:73], s[78:79], exec
.LBB24_125:                             ;   in Loop: Header=BB24_7 Depth=1
	s_or_b64 exec, exec, s[76:77]
.LBB24_126:                             ;   in Loop: Header=BB24_7 Depth=1
	s_and_b64 vcc, exec, s[74:75]
	s_cbranch_vccz .LBB24_137
; %bb.127:                              ;   in Loop: Header=BB24_7 Depth=1
	v_readlane_b32 s24, v46, 5
	s_add_i32 s24, s34, s24
	s_abs_i32 s26, s24
	v_readlane_b32 s27, v46, 17
	s_mul_hi_u32 s27, s26, s27
	s_mul_i32 s27, s27, s36
	s_sub_i32 s26, s26, s27
	s_ashr_i32 s25, s24, 31
	s_sub_i32 s27, s26, s36
	s_cmp_ge_u32 s26, s36
	s_cselect_b32 s26, s27, s26
	s_sub_i32 s27, s26, s36
	s_cmp_ge_u32 s26, s36
	s_cselect_b32 s26, s27, s26
	s_xor_b32 s26, s26, s25
	s_sub_i32 s25, s25, s26
	s_add_i32 s24, s24, s25
	v_cmp_gt_i32_e32 vcc, s24, v0
                                        ; implicit-def: $vgpr4_vgpr5
	s_and_saveexec_b64 s[26:27], vcc
	s_cbranch_execz .LBB24_136
; %bb.128:                              ;   in Loop: Header=BB24_7 Depth=1
	s_mov_b64 s[64:65], 0
	v_mov_b32_e32 v6, v27
	v_mov_b32_e32 v7, v0
                                        ; implicit-def: $sgpr74_sgpr75
	s_branch .LBB24_131
.LBB24_129:                             ;   in Loop: Header=BB24_131 Depth=2
	s_or_b64 exec, exec, s[76:77]
	s_waitcnt lgkmcnt(0)
	s_barrier
	ds_read_b128 v[2:5], v12 offset:3072
	s_mov_b64 s[76:77], -1
	s_mov_b64 s[78:79], -1
	s_waitcnt lgkmcnt(0)
	s_barrier
	v_cmp_eq_u64_e32 vcc, 0, v[2:3]
	s_cbranch_vccnz .LBB24_134
.LBB24_130:                             ;   in Loop: Header=BB24_131 Depth=2
	s_and_b64 s[76:77], exec, s[76:77]
	s_or_b64 s[64:65], s[76:77], s[64:65]
	s_andn2_b64 s[74:75], s[74:75], exec
	s_and_b64 s[76:77], s[78:79], exec
	s_or_b64 s[74:75], s[74:75], s[76:77]
	s_andn2_b64 exec, exec, s[64:65]
	s_cbranch_execz .LBB24_135
.LBB24_131:                             ;   Parent Loop BB24_7 Depth=1
                                        ; =>  This Inner Loop Header: Depth=2
	v_cmp_gt_i32_e32 vcc, s34, v7
	s_and_saveexec_b64 s[76:77], vcc
	s_cbranch_execz .LBB24_129
; %bb.132:                              ;   in Loop: Header=BB24_131 Depth=2
	ds_read_b64 v[3:4], v6
	s_waitcnt lgkmcnt(0)
	v_xor_b32_e32 v2, 0x80000000, v4
	v_and_b32_e32 v22, v2, v20
	v_and_b32_e32 v21, v3, v19
	v_cmp_eq_u64_e32 vcc, v[21:22], v[17:18]
	s_and_b64 exec, exec, vcc
	s_cbranch_execz .LBB24_129
; %bb.133:                              ;   in Loop: Header=BB24_131 Depth=2
	v_mov_b32_e32 v2, v12
	ds_write_b128 v12, v[1:4] offset:3072
	s_branch .LBB24_129
.LBB24_134:                             ;   in Loop: Header=BB24_131 Depth=2
	v_add_u32_e32 v7, s36, v7
	v_cmp_le_i32_e32 vcc, s24, v7
	v_add_u32_e32 v6, s45, v6
	s_mov_b64 s[78:79], 0
	s_orn2_b64 s[76:77], vcc, exec
	s_branch .LBB24_130
.LBB24_135:                             ;   in Loop: Header=BB24_7 Depth=1
	s_or_b64 exec, exec, s[64:65]
	s_andn2_b64 s[24:25], s[72:73], exec
	s_and_b64 s[34:35], s[74:75], exec
	s_or_b64 s[72:73], s[24:25], s[34:35]
.LBB24_136:                             ;   in Loop: Header=BB24_7 Depth=1
	s_or_b64 exec, exec, s[26:27]
	s_mov_b64 s[26:27], 0
	s_mov_b64 s[64:65], -1
.LBB24_137:                             ;   in Loop: Header=BB24_7 Depth=1
	s_orn2_b64 s[72:73], s[72:73], exec
.LBB24_138:                             ;   in Loop: Header=BB24_7 Depth=1
	s_or_b64 exec, exec, s[68:69]
	s_mov_b64 s[74:75], 0
	s_and_saveexec_b64 s[68:69], s[72:73]
	s_cbranch_execz .LBB24_227
; %bb.139:                              ;   in Loop: Header=BB24_7 Depth=1
	s_xor_b64 s[24:25], s[70:71], -1
	s_mov_b64 s[78:79], 0
	v_mov_b32_e32 v21, 1
	v_mov_b32_e32 v8, 1
	s_and_saveexec_b64 s[70:71], s[24:25]
	s_cbranch_execz .LBB24_145
; %bb.140:                              ;   in Loop: Header=BB24_7 Depth=1
	v_cmp_ge_i32_e32 vcc, s84, v9
	s_and_saveexec_b64 s[24:25], vcc
	s_xor_b64 s[72:73], exec, s[24:25]
	s_cbranch_execz .LBB24_142
; %bb.141:                              ;   in Loop: Header=BB24_7 Depth=1
	ds_read_b32 v3, v12 offset:4096
	s_lshl_b64 s[24:25], 1, s48
	v_and_b32_e32 v2, s67, v18
	v_and_b32_e32 v6, s66, v17
	v_or_b32_e32 v18, s25, v2
	s_waitcnt lgkmcnt(0)
	v_cmp_ne_u32_e32 vcc, 0, v3
	v_or_b32_e32 v17, s24, v6
	v_or_b32_e32 v20, s7, v20
	;; [unrolled: 1-line block ×3, first 2 shown]
	s_cbranch_vccz .LBB24_158
.LBB24_142:                             ;   in Loop: Header=BB24_7 Depth=1
	s_or_saveexec_b64 s[72:73], s[72:73]
	v_mov_b32_e32 v8, 8
	s_xor_b64 exec, exec, s[72:73]
.LBB24_143:                             ;   in Loop: Header=BB24_7 Depth=1
	s_mov_b64 s[74:75], exec
	v_subrev_u32_e32 v9, s84, v9
	v_mov_b32_e32 v8, 0
.LBB24_144:                             ;   in Loop: Header=BB24_7 Depth=1
	s_or_b64 exec, exec, s[72:73]
	s_and_b64 s[78:79], s[74:75], exec
	v_mov_b32_e32 v21, v9
.LBB24_145:                             ;   in Loop: Header=BB24_7 Depth=1
	s_or_b64 exec, exec, s[70:71]
	s_mov_b64 s[76:77], -1
                                        ; implicit-def: $sgpr72_sgpr73
                                        ; implicit-def: $sgpr74_sgpr75
	s_and_saveexec_b64 s[70:71], s[78:79]
	s_cbranch_execz .LBB24_226
; %bb.146:                              ;   in Loop: Header=BB24_7 Depth=1
	s_cmp_eq_u32 s92, 1
	s_cselect_b64 s[24:25], -1, 0
	v_cmp_eq_u32_e32 vcc, 1, v21
	s_and_b64 s[78:79], s[24:25], vcc
	s_mov_b64 s[80:81], -1
                                        ; implicit-def: $sgpr74_sgpr75
                                        ; implicit-def: $sgpr72_sgpr73
	s_and_saveexec_b64 s[76:77], s[78:79]
	s_cbranch_execz .LBB24_175
; %bb.147:                              ;   in Loop: Header=BB24_7 Depth=1
	ds_read_b32 v2, v12 offset:4096
	s_waitcnt lgkmcnt(0)
	s_barrier
	v_readfirstlane_b32 s93, v2
	s_and_saveexec_b64 s[34:35], s[4:5]
; %bb.148:                              ;   in Loop: Header=BB24_7 Depth=1
	v_mov_b32_e32 v11, v12
	ds_write_b64 v28, v[11:12]
; %bb.149:                              ;   in Loop: Header=BB24_7 Depth=1
	s_or_b64 exec, exec, s[34:35]
	s_lshl_b64 s[24:25], 2, s48
	v_and_b32_e32 v2, s67, v18
	v_and_b32_e32 v3, s66, v17
	v_or_b32_e32 v18, s25, v2
	v_or_b32_e32 v17, s24, v3
	;; [unrolled: 1-line block ×4, first 2 shown]
	s_mov_b64 s[72:73], -1
	s_mov_b64 s[74:75], 0
	s_cmp_gt_i32 s93, 0
	s_mov_b64 s[80:81], 0
	s_mov_b64 s[82:83], -1
	s_waitcnt lgkmcnt(0)
	s_barrier
                                        ; implicit-def: $vgpr4_vgpr5
	s_cbranch_scc1 .LBB24_163
; %bb.150:                              ;   in Loop: Header=BB24_7 Depth=1
	s_mov_b64 s[82:83], 0
                                        ; implicit-def: $vgpr4_vgpr5
	s_mov_b64 s[84:85], exec
	v_readlane_b32 s24, v46, 18
	v_readlane_b32 s25, v46, 19
	s_and_b64 s[24:25], s[84:85], s[24:25]
	s_mov_b64 exec, s[24:25]
	s_cbranch_execz .LBB24_162
; %bb.151:                              ;   in Loop: Header=BB24_7 Depth=1
	v_mov_b32_e32 v6, v10
	v_mov_b32_e32 v9, v0
                                        ; implicit-def: $sgpr86_sgpr87
	s_branch .LBB24_154
.LBB24_152:                             ;   in Loop: Header=BB24_154 Depth=2
	s_or_b64 exec, exec, s[88:89]
	s_waitcnt lgkmcnt(0)
	s_barrier
	ds_read_b128 v[2:5], v12 offset:3072
	s_mov_b64 s[88:89], -1
	s_mov_b64 s[90:91], -1
	s_waitcnt lgkmcnt(0)
	s_barrier
	v_cmp_ne_u64_e32 vcc, 0, v[2:3]
	s_cbranch_vccz .LBB24_157
.LBB24_153:                             ;   in Loop: Header=BB24_154 Depth=2
	s_and_b64 s[24:25], exec, s[88:89]
	s_or_b64 s[80:81], s[24:25], s[80:81]
	s_andn2_b64 s[24:25], s[86:87], exec
	s_and_b64 s[34:35], s[90:91], exec
	s_or_b64 s[86:87], s[24:25], s[34:35]
	s_andn2_b64 exec, exec, s[80:81]
	s_cbranch_execz .LBB24_161
.LBB24_154:                             ;   Parent Loop BB24_7 Depth=1
                                        ; =>  This Inner Loop Header: Depth=2
	v_cmp_gt_i32_e32 vcc, s28, v9
	s_and_saveexec_b64 s[88:89], vcc
	s_cbranch_execz .LBB24_152
; %bb.155:                              ;   in Loop: Header=BB24_154 Depth=2
	v_ashrrev_i32_e32 v7, 31, v6
	v_lshlrev_b64 v[2:3], 3, v[6:7]
	v_mov_b32_e32 v4, s37
	v_add_co_u32_e32 v2, vcc, s30, v2
	v_addc_co_u32_e32 v3, vcc, v4, v3, vcc
	global_load_dwordx2 v[3:4], v[2:3], off
	s_waitcnt vmcnt(0)
	v_xor_b32_e32 v2, 0x80000000, v4
	v_and_b32_e32 v23, v2, v20
	v_and_b32_e32 v22, v3, v19
	v_cmp_eq_u64_e32 vcc, v[22:23], v[17:18]
	s_and_b64 exec, exec, vcc
	s_cbranch_execz .LBB24_152
; %bb.156:                              ;   in Loop: Header=BB24_154 Depth=2
	v_mov_b32_e32 v2, v12
	ds_write_b128 v12, v[1:4] offset:3072
	s_branch .LBB24_152
.LBB24_157:                             ;   in Loop: Header=BB24_154 Depth=2
	v_add_u32_e32 v9, s36, v9
	v_cmp_le_i32_e32 vcc, s49, v9
	v_add_u32_e32 v6, s44, v6
	s_mov_b64 s[90:91], 0
	s_orn2_b64 s[88:89], vcc, exec
	s_branch .LBB24_153
.LBB24_158:                             ;   in Loop: Header=BB24_7 Depth=1
	s_and_saveexec_b64 s[34:35], s[0:1]
; %bb.159:                              ;   in Loop: Header=BB24_7 Depth=1
	v_mov_b32_e32 v2, s84
	ds_write_b32 v12, v2 offset:4100
; %bb.160:                              ;   in Loop: Header=BB24_7 Depth=1
	s_or_b64 exec, exec, s[34:35]
	s_waitcnt lgkmcnt(0)
	s_barrier
	s_or_saveexec_b64 s[72:73], s[72:73]
	v_mov_b32_e32 v8, 8
	s_xor_b64 exec, exec, s[72:73]
	s_cbranch_execnz .LBB24_143
	s_branch .LBB24_144
.LBB24_161:                             ;   in Loop: Header=BB24_7 Depth=1
	s_or_b64 exec, exec, s[80:81]
	s_and_b64 s[80:81], s[86:87], exec
.LBB24_162:                             ;   in Loop: Header=BB24_7 Depth=1
	s_or_b64 exec, exec, s[84:85]
.LBB24_163:                             ;   in Loop: Header=BB24_7 Depth=1
	s_and_b64 vcc, exec, s[82:83]
	s_cbranch_vccz .LBB24_174
; %bb.164:                              ;   in Loop: Header=BB24_7 Depth=1
	v_readlane_b32 s24, v46, 5
	s_add_i32 s24, s93, s24
	s_abs_i32 s34, s24
	v_readlane_b32 s35, v46, 17
	s_mul_hi_u32 s35, s34, s35
	s_mul_i32 s35, s35, s36
	s_sub_i32 s34, s34, s35
	s_ashr_i32 s25, s24, 31
	s_sub_i32 s35, s34, s36
	s_cmp_ge_u32 s34, s36
	s_cselect_b32 s34, s35, s34
	s_sub_i32 s35, s34, s36
	s_cmp_ge_u32 s34, s36
	s_cselect_b32 s34, s35, s34
	s_xor_b32 s34, s34, s25
	s_sub_i32 s25, s25, s34
	s_add_i32 s24, s24, s25
	v_cmp_gt_i32_e32 vcc, s24, v0
                                        ; implicit-def: $vgpr4_vgpr5
	s_and_saveexec_b64 s[72:73], vcc
	s_cbranch_execz .LBB24_173
; %bb.165:                              ;   in Loop: Header=BB24_7 Depth=1
	s_mov_b64 s[74:75], 0
	v_mov_b32_e32 v6, v27
	v_mov_b32_e32 v7, v0
                                        ; implicit-def: $sgpr82_sgpr83
	s_branch .LBB24_168
.LBB24_166:                             ;   in Loop: Header=BB24_168 Depth=2
	s_or_b64 exec, exec, s[84:85]
	s_waitcnt lgkmcnt(0)
	s_barrier
	ds_read_b128 v[2:5], v12 offset:3072
	s_mov_b64 s[84:85], -1
	s_mov_b64 s[86:87], -1
	s_waitcnt lgkmcnt(0)
	s_barrier
	v_cmp_eq_u64_e32 vcc, 0, v[2:3]
	s_cbranch_vccnz .LBB24_171
.LBB24_167:                             ;   in Loop: Header=BB24_168 Depth=2
	s_and_b64 s[34:35], exec, s[84:85]
	s_or_b64 s[74:75], s[34:35], s[74:75]
	s_andn2_b64 s[34:35], s[82:83], exec
	s_and_b64 s[82:83], s[86:87], exec
	s_or_b64 s[82:83], s[34:35], s[82:83]
	s_andn2_b64 exec, exec, s[74:75]
	s_cbranch_execz .LBB24_172
.LBB24_168:                             ;   Parent Loop BB24_7 Depth=1
                                        ; =>  This Inner Loop Header: Depth=2
	v_cmp_gt_i32_e32 vcc, s93, v7
	s_and_saveexec_b64 s[84:85], vcc
	s_cbranch_execz .LBB24_166
; %bb.169:                              ;   in Loop: Header=BB24_168 Depth=2
	ds_read_b64 v[3:4], v6
	s_waitcnt lgkmcnt(0)
	v_xor_b32_e32 v2, 0x80000000, v4
	v_and_b32_e32 v23, v2, v20
	v_and_b32_e32 v22, v3, v19
	v_cmp_eq_u64_e32 vcc, v[22:23], v[17:18]
	s_and_b64 exec, exec, vcc
	s_cbranch_execz .LBB24_166
; %bb.170:                              ;   in Loop: Header=BB24_168 Depth=2
	v_mov_b32_e32 v2, v12
	ds_write_b128 v12, v[1:4] offset:3072
	s_branch .LBB24_166
.LBB24_171:                             ;   in Loop: Header=BB24_168 Depth=2
	v_add_u32_e32 v7, s36, v7
	v_cmp_le_i32_e32 vcc, s24, v7
	v_add_u32_e32 v6, s45, v6
	s_mov_b64 s[86:87], 0
	s_orn2_b64 s[84:85], vcc, exec
	s_branch .LBB24_167
.LBB24_172:                             ;   in Loop: Header=BB24_7 Depth=1
	s_or_b64 exec, exec, s[74:75]
	s_andn2_b64 s[24:25], s[80:81], exec
	s_and_b64 s[34:35], s[82:83], exec
	s_or_b64 s[80:81], s[24:25], s[34:35]
.LBB24_173:                             ;   in Loop: Header=BB24_7 Depth=1
	s_or_b64 exec, exec, s[72:73]
	s_mov_b64 s[72:73], 0
	s_mov_b64 s[74:75], -1
.LBB24_174:                             ;   in Loop: Header=BB24_7 Depth=1
	s_orn2_b64 s[80:81], s[80:81], exec
.LBB24_175:                             ;   in Loop: Header=BB24_7 Depth=1
	s_or_b64 exec, exec, s[76:77]
	s_mov_b64 s[82:83], 0
	s_and_saveexec_b64 s[76:77], s[80:81]
	s_cbranch_execz .LBB24_225
; %bb.176:                              ;   in Loop: Header=BB24_7 Depth=1
	s_xor_b64 s[24:25], s[78:79], -1
	s_mov_b64 s[84:85], 0
	v_mov_b32_e32 v9, 1
	v_mov_b32_e32 v8, 1
	s_and_saveexec_b64 s[78:79], s[24:25]
	s_cbranch_execz .LBB24_185
; %bb.177:                              ;   in Loop: Header=BB24_7 Depth=1
	v_cmp_ge_i32_e32 vcc, s92, v21
	s_and_saveexec_b64 s[24:25], vcc
	s_xor_b64 s[80:81], exec, s[24:25]
	s_cbranch_execz .LBB24_182
; %bb.178:                              ;   in Loop: Header=BB24_7 Depth=1
	s_lshl_b64 s[24:25], 2, s48
	v_and_b32_e32 v2, s67, v18
	v_or_b32_e32 v18, s25, v2
	ds_read_b32 v2, v12 offset:4096
	v_and_b32_e32 v3, s66, v17
	v_or_b32_e32 v17, s24, v3
	v_or_b32_e32 v20, s7, v20
	;; [unrolled: 1-line block ×3, first 2 shown]
	s_waitcnt lgkmcnt(0)
	v_cmp_ne_u32_e32 vcc, 0, v2
	s_cbranch_vccnz .LBB24_182
; %bb.179:                              ;   in Loop: Header=BB24_7 Depth=1
	s_and_saveexec_b64 s[34:35], s[0:1]
; %bb.180:                              ;   in Loop: Header=BB24_7 Depth=1
	v_mov_b32_e32 v2, s92
	ds_write_b32 v12, v2 offset:4100
; %bb.181:                              ;   in Loop: Header=BB24_7 Depth=1
	s_or_b64 exec, exec, s[34:35]
	s_waitcnt lgkmcnt(0)
	s_barrier
.LBB24_182:                             ;   in Loop: Header=BB24_7 Depth=1
	s_or_saveexec_b64 s[66:67], s[80:81]
	s_mov_b64 s[80:81], 0
	v_mov_b32_e32 v8, 8
	s_xor_b64 exec, exec, s[66:67]
; %bb.183:                              ;   in Loop: Header=BB24_7 Depth=1
	s_mov_b64 s[80:81], exec
	v_subrev_u32_e32 v21, s92, v21
	v_mov_b32_e32 v8, 0
; %bb.184:                              ;   in Loop: Header=BB24_7 Depth=1
	s_or_b64 exec, exec, s[66:67]
	s_and_b64 s[84:85], s[80:81], exec
	v_mov_b32_e32 v9, v21
.LBB24_185:                             ;   in Loop: Header=BB24_7 Depth=1
	s_or_b64 exec, exec, s[78:79]
	s_mov_b64 s[82:83], -1
                                        ; implicit-def: $sgpr80_sgpr81
                                        ; implicit-def: $sgpr78_sgpr79
	s_and_saveexec_b64 s[66:67], s[84:85]
	s_cbranch_execz .LBB24_224
; %bb.186:                              ;   in Loop: Header=BB24_7 Depth=1
	s_cmp_eq_u32 s29, 1
	s_cselect_b64 s[24:25], -1, 0
	v_cmp_eq_u32_e32 vcc, 1, v9
	s_and_b64 s[82:83], s[24:25], vcc
	s_mov_b64 s[86:87], -1
                                        ; implicit-def: $sgpr80_sgpr81
                                        ; implicit-def: $sgpr78_sgpr79
	s_and_saveexec_b64 s[84:85], s[82:83]
	s_cbranch_execz .LBB24_212
; %bb.187:                              ;   in Loop: Header=BB24_7 Depth=1
	ds_read_b32 v2, v12 offset:4096
	s_waitcnt lgkmcnt(0)
	s_barrier
	v_readfirstlane_b32 s24, v2
	s_and_saveexec_b64 s[34:35], s[4:5]
; %bb.188:                              ;   in Loop: Header=BB24_7 Depth=1
	v_mov_b32_e32 v11, v12
	ds_write_b64 v28, v[11:12]
; %bb.189:                              ;   in Loop: Header=BB24_7 Depth=1
	s_or_b64 exec, exec, s[34:35]
	v_or_b32_e32 v18, s7, v18
	v_or_b32_e32 v17, s6, v17
	;; [unrolled: 1-line block ×4, first 2 shown]
	s_mov_b64 s[78:79], -1
	s_mov_b64 s[80:81], 0
	s_cmp_gt_i32 s24, 0
	s_mov_b64 s[86:87], 0
	s_mov_b64 s[88:89], -1
	s_waitcnt lgkmcnt(0)
	s_barrier
                                        ; implicit-def: $vgpr4_vgpr5
	s_cbranch_scc1 .LBB24_200
; %bb.190:                              ;   in Loop: Header=BB24_7 Depth=1
	s_mov_b64 s[88:89], 0
                                        ; implicit-def: $vgpr4_vgpr5
	s_mov_b64 s[90:91], exec
	v_readlane_b32 s34, v46, 18
	v_readlane_b32 s35, v46, 19
	s_and_b64 s[34:35], s[90:91], s[34:35]
	s_mov_b64 exec, s[34:35]
	s_cbranch_execz .LBB24_199
; %bb.191:                              ;   in Loop: Header=BB24_7 Depth=1
	v_writelane_b32 v46, s94, 20
	v_mov_b32_e32 v6, v10
	v_mov_b32_e32 v11, v0
	v_writelane_b32 v46, s95, 21
                                        ; implicit-def: $sgpr92_sgpr93
	s_branch .LBB24_194
.LBB24_192:                             ;   in Loop: Header=BB24_194 Depth=2
	s_or_b64 exec, exec, s[94:95]
	s_waitcnt lgkmcnt(0)
	s_barrier
	ds_read_b128 v[2:5], v12 offset:3072
	s_mov_b64 s[94:95], -1
	s_mov_b64 s[34:35], -1
	s_waitcnt lgkmcnt(0)
	s_barrier
	v_cmp_ne_u64_e32 vcc, 0, v[2:3]
	s_cbranch_vccz .LBB24_197
.LBB24_193:                             ;   in Loop: Header=BB24_194 Depth=2
	s_and_b64 s[94:95], exec, s[94:95]
	s_or_b64 s[86:87], s[94:95], s[86:87]
	s_andn2_b64 s[92:93], s[92:93], exec
	s_and_b64 s[34:35], s[34:35], exec
	s_or_b64 s[92:93], s[92:93], s[34:35]
	s_andn2_b64 exec, exec, s[86:87]
	s_cbranch_execz .LBB24_198
.LBB24_194:                             ;   Parent Loop BB24_7 Depth=1
                                        ; =>  This Inner Loop Header: Depth=2
	v_cmp_gt_i32_e32 vcc, s28, v11
	s_and_saveexec_b64 s[94:95], vcc
	s_cbranch_execz .LBB24_192
; %bb.195:                              ;   in Loop: Header=BB24_194 Depth=2
	v_ashrrev_i32_e32 v7, 31, v6
	v_lshlrev_b64 v[2:3], 3, v[6:7]
	v_mov_b32_e32 v4, s37
	v_add_co_u32_e32 v2, vcc, s30, v2
	v_addc_co_u32_e32 v3, vcc, v4, v3, vcc
	global_load_dwordx2 v[3:4], v[2:3], off
	s_waitcnt vmcnt(0)
	v_xor_b32_e32 v2, 0x80000000, v4
	v_and_b32_e32 v22, v2, v20
	v_and_b32_e32 v21, v3, v19
	v_cmp_eq_u64_e32 vcc, v[21:22], v[17:18]
	s_and_b64 exec, exec, vcc
	s_cbranch_execz .LBB24_192
; %bb.196:                              ;   in Loop: Header=BB24_194 Depth=2
	v_mov_b32_e32 v2, v12
	ds_write_b128 v12, v[1:4] offset:3072
	s_branch .LBB24_192
.LBB24_197:                             ;   in Loop: Header=BB24_194 Depth=2
	v_add_u32_e32 v11, s36, v11
	v_cmp_le_i32_e32 vcc, s49, v11
	v_add_u32_e32 v6, s44, v6
	s_mov_b64 s[34:35], 0
	s_orn2_b64 s[94:95], vcc, exec
	s_branch .LBB24_193
.LBB24_198:                             ;   in Loop: Header=BB24_7 Depth=1
	s_or_b64 exec, exec, s[86:87]
	v_readlane_b32 s94, v46, 20
	s_and_b64 s[86:87], s[92:93], exec
	v_readlane_b32 s95, v46, 21
.LBB24_199:                             ;   in Loop: Header=BB24_7 Depth=1
	s_or_b64 exec, exec, s[90:91]
.LBB24_200:                             ;   in Loop: Header=BB24_7 Depth=1
	s_and_b64 vcc, exec, s[88:89]
	s_cbranch_vccz .LBB24_211
; %bb.201:                              ;   in Loop: Header=BB24_7 Depth=1
	v_readlane_b32 s25, v46, 5
	s_add_i32 s25, s24, s25
	s_abs_i32 s35, s25
	v_readlane_b32 s78, v46, 17
	s_mul_hi_u32 s78, s35, s78
	s_mul_i32 s78, s78, s36
	s_sub_i32 s35, s35, s78
	s_ashr_i32 s34, s25, 31
	s_sub_i32 s78, s35, s36
	s_cmp_ge_u32 s35, s36
	s_cselect_b32 s35, s78, s35
	s_sub_i32 s78, s35, s36
	s_cmp_ge_u32 s35, s36
	s_cselect_b32 s35, s78, s35
	s_xor_b32 s35, s35, s34
	s_sub_i32 s34, s34, s35
	s_add_i32 s25, s25, s34
	v_cmp_gt_i32_e32 vcc, s25, v0
                                        ; implicit-def: $vgpr4_vgpr5
	s_and_saveexec_b64 s[78:79], vcc
	s_cbranch_execz .LBB24_210
; %bb.202:                              ;   in Loop: Header=BB24_7 Depth=1
	s_mov_b64 s[80:81], 0
	v_mov_b32_e32 v6, v27
	v_mov_b32_e32 v7, v0
                                        ; implicit-def: $sgpr88_sgpr89
	s_branch .LBB24_205
.LBB24_203:                             ;   in Loop: Header=BB24_205 Depth=2
	s_or_b64 exec, exec, s[90:91]
	s_waitcnt lgkmcnt(0)
	s_barrier
	ds_read_b128 v[2:5], v12 offset:3072
	s_mov_b64 s[34:35], -1
	s_mov_b64 s[90:91], -1
	s_waitcnt lgkmcnt(0)
	s_barrier
	v_cmp_eq_u64_e32 vcc, 0, v[2:3]
	s_cbranch_vccnz .LBB24_208
.LBB24_204:                             ;   in Loop: Header=BB24_205 Depth=2
	s_and_b64 s[34:35], exec, s[34:35]
	s_or_b64 s[80:81], s[34:35], s[80:81]
	s_andn2_b64 s[34:35], s[88:89], exec
	s_and_b64 s[88:89], s[90:91], exec
	s_or_b64 s[88:89], s[34:35], s[88:89]
	s_andn2_b64 exec, exec, s[80:81]
	s_cbranch_execz .LBB24_209
.LBB24_205:                             ;   Parent Loop BB24_7 Depth=1
                                        ; =>  This Inner Loop Header: Depth=2
	v_cmp_gt_i32_e32 vcc, s24, v7
	s_and_saveexec_b64 s[90:91], vcc
	s_cbranch_execz .LBB24_203
; %bb.206:                              ;   in Loop: Header=BB24_205 Depth=2
	ds_read_b64 v[3:4], v6
	s_waitcnt lgkmcnt(0)
	v_xor_b32_e32 v2, 0x80000000, v4
	v_and_b32_e32 v22, v2, v20
	v_and_b32_e32 v21, v3, v19
	v_cmp_eq_u64_e32 vcc, v[21:22], v[17:18]
	s_and_b64 exec, exec, vcc
	s_cbranch_execz .LBB24_203
; %bb.207:                              ;   in Loop: Header=BB24_205 Depth=2
	v_mov_b32_e32 v2, v12
	ds_write_b128 v12, v[1:4] offset:3072
	s_branch .LBB24_203
.LBB24_208:                             ;   in Loop: Header=BB24_205 Depth=2
	v_add_u32_e32 v7, s36, v7
	v_cmp_le_i32_e32 vcc, s25, v7
	v_add_u32_e32 v6, s45, v6
	s_mov_b64 s[90:91], 0
	s_orn2_b64 s[34:35], vcc, exec
	s_branch .LBB24_204
.LBB24_209:                             ;   in Loop: Header=BB24_7 Depth=1
	s_or_b64 exec, exec, s[80:81]
	s_andn2_b64 s[24:25], s[86:87], exec
	s_and_b64 s[34:35], s[88:89], exec
	s_or_b64 s[86:87], s[24:25], s[34:35]
.LBB24_210:                             ;   in Loop: Header=BB24_7 Depth=1
	s_or_b64 exec, exec, s[78:79]
	s_mov_b64 s[78:79], 0
	s_mov_b64 s[80:81], -1
.LBB24_211:                             ;   in Loop: Header=BB24_7 Depth=1
	s_orn2_b64 s[86:87], s[86:87], exec
.LBB24_212:                             ;   in Loop: Header=BB24_7 Depth=1
	s_or_b64 exec, exec, s[84:85]
	s_mov_b64 s[88:89], 0
	s_and_saveexec_b64 s[84:85], s[86:87]
	s_cbranch_execz .LBB24_223
; %bb.213:                              ;   in Loop: Header=BB24_7 Depth=1
	s_xor_b64 s[24:25], s[82:83], -1
	v_mov_b32_e32 v8, 1
	v_mov_b32_e32 v2, 1
	s_and_saveexec_b64 s[82:83], s[24:25]
	s_cbranch_execz .LBB24_222
; %bb.214:                              ;   in Loop: Header=BB24_7 Depth=1
	v_cmp_ge_i32_e32 vcc, s29, v9
	s_and_saveexec_b64 s[24:25], vcc
	s_xor_b64 s[86:87], exec, s[24:25]
	s_cbranch_execz .LBB24_219
; %bb.215:                              ;   in Loop: Header=BB24_7 Depth=1
	ds_read_b32 v2, v12 offset:4096
	v_or_b32_e32 v18, s7, v18
	v_or_b32_e32 v17, s6, v17
	;; [unrolled: 1-line block ×4, first 2 shown]
	s_waitcnt lgkmcnt(0)
	v_cmp_ne_u32_e32 vcc, 0, v2
	s_cbranch_vccnz .LBB24_219
; %bb.216:                              ;   in Loop: Header=BB24_7 Depth=1
	s_and_saveexec_b64 s[6:7], s[0:1]
; %bb.217:                              ;   in Loop: Header=BB24_7 Depth=1
	v_mov_b32_e32 v2, s29
	ds_write_b32 v12, v2 offset:4100
; %bb.218:                              ;   in Loop: Header=BB24_7 Depth=1
	s_or_b64 exec, exec, s[6:7]
	s_waitcnt lgkmcnt(0)
	s_barrier
.LBB24_219:                             ;   in Loop: Header=BB24_7 Depth=1
	s_andn2_saveexec_b64 s[6:7], s[86:87]
; %bb.220:                              ;   in Loop: Header=BB24_7 Depth=1
	v_subrev_u32_e32 v9, s29, v9
; %bb.221:                              ;   in Loop: Header=BB24_7 Depth=1
	s_or_b64 exec, exec, s[6:7]
	v_mov_b32_e32 v8, 8
	v_mov_b32_e32 v2, v9
.LBB24_222:                             ;   in Loop: Header=BB24_7 Depth=1
	s_or_b64 exec, exec, s[82:83]
	s_mov_b64 s[88:89], exec
	v_mov_b32_e32 v9, v2
.LBB24_223:                             ;   in Loop: Header=BB24_7 Depth=1
	s_or_b64 exec, exec, s[84:85]
	s_orn2_b64 s[82:83], s[88:89], exec
.LBB24_224:                             ;   in Loop: Header=BB24_7 Depth=1
	s_or_b64 exec, exec, s[66:67]
	s_andn2_b64 s[6:7], s[74:75], exec
	s_and_b64 s[24:25], s[80:81], exec
	s_or_b64 s[74:75], s[6:7], s[24:25]
	s_andn2_b64 s[6:7], s[72:73], exec
	s_and_b64 s[24:25], s[78:79], exec
	s_or_b64 s[72:73], s[6:7], s[24:25]
	s_and_b64 s[82:83], s[82:83], exec
	v_mov_b32_e32 v21, v9
.LBB24_225:                             ;   in Loop: Header=BB24_7 Depth=1
	s_or_b64 exec, exec, s[76:77]
	s_orn2_b64 s[76:77], s[82:83], exec
.LBB24_226:                             ;   in Loop: Header=BB24_7 Depth=1
	s_or_b64 exec, exec, s[70:71]
	s_andn2_b64 s[6:7], s[64:65], exec
	s_and_b64 s[24:25], s[74:75], exec
	s_or_b64 s[64:65], s[6:7], s[24:25]
	s_andn2_b64 s[6:7], s[26:27], exec
	s_and_b64 s[24:25], s[72:73], exec
	s_or_b64 s[26:27], s[6:7], s[24:25]
	s_and_b64 s[74:75], s[76:77], exec
	v_mov_b32_e32 v9, v21
.LBB24_227:                             ;   in Loop: Header=BB24_7 Depth=1
	s_or_b64 exec, exec, s[68:69]
	s_orn2_b64 s[68:69], s[74:75], exec
.LBB24_228:                             ;   in Loop: Header=BB24_7 Depth=1
	s_or_b64 exec, exec, s[22:23]
	s_mov_b64 s[22:23], 0
                                        ; implicit-def: $sgpr24
                                        ; implicit-def: $sgpr25
	s_and_saveexec_b64 s[6:7], s[68:69]
	s_xor_b64 s[6:7], exec, s[6:7]
	s_cbranch_execz .LBB24_5
; %bb.229:                              ;   in Loop: Header=BB24_7 Depth=1
	v_and_b32_e32 v2, 7, v8
	v_cmp_eq_u32_e32 vcc, 0, v2
	s_mov_b64 s[20:21], -1
	s_mov_b64 s[22:23], -1
                                        ; implicit-def: $sgpr24
                                        ; implicit-def: $sgpr25
	s_and_saveexec_b64 s[66:67], vcc
	s_cbranch_execz .LBB24_4
; %bb.230:                              ;   in Loop: Header=BB24_7 Depth=1
	s_xor_b32 s25, s46, 1
	s_add_i32 s24, s48, -2
	s_cmp_eq_u32 s48, 0
	s_cselect_b64 s[20:21], -1, 0
	s_xor_b64 s[22:23], exec, -1
	s_orn2_b64 s[20:21], s[20:21], exec
	s_branch .LBB24_4
.LBB24_231:
	s_or_b64 exec, exec, s[50:51]
	s_xor_b64 s[8:9], s[56:57], -1
	s_xor_b64 s[2:3], s[52:53], -1
	s_xor_b64 s[6:7], s[54:55], -1
	s_mov_b64 s[4:5], 0
	s_and_saveexec_b64 s[10:11], s[2:3]
	s_xor_b64 s[2:3], exec, s[10:11]
	s_cbranch_execnz .LBB24_236
; %bb.232:
	s_andn2_saveexec_b64 s[0:1], s[2:3]
	s_cbranch_execnz .LBB24_256
.LBB24_233:
	s_or_b64 exec, exec, s[0:1]
	s_and_saveexec_b64 s[0:1], s[4:5]
.LBB24_234:
	; divergent unreachable
.LBB24_235:
	s_endpgm
.LBB24_236:
	s_and_saveexec_b64 s[4:5], s[8:9]
	s_xor_b64 s[4:5], exec, s[4:5]
	s_cbranch_execz .LBB24_254
; %bb.237:
	s_and_saveexec_b64 s[8:9], s[6:7]
	s_xor_b64 s[6:7], exec, s[8:9]
; %bb.238:
	v_xor_b32_e32 v18, 0x80000000, v18
	v_mov_b32_e32 v4, v17
	v_mov_b32_e32 v5, v18
; %bb.239:
	s_or_b64 exec, exec, s[6:7]
	s_and_saveexec_b64 s[6:7], s[0:1]
; %bb.240:
	v_mov_b32_e32 v1, 0
	v_mov_b32_e32 v2, s28
	ds_write_b32 v1, v2 offset:4108
; %bb.241:
	s_or_b64 exec, exec, s[6:7]
	v_mov_b32_e32 v1, 0
	s_waitcnt lgkmcnt(0)
	s_barrier
	ds_read_b32 v1, v1 offset:4108
	s_waitcnt lgkmcnt(0)
	v_min_i32_e32 v1, s28, v1
	v_cmp_lt_i32_e32 vcc, v0, v1
	s_and_saveexec_b64 s[6:7], vcc
	s_cbranch_execz .LBB24_251
; %bb.242:
	s_mov_b64 s[8:9], 0
	v_mov_b32_e32 v3, s37
                                        ; implicit-def: $sgpr10_sgpr11
                                        ; implicit-def: $sgpr14_sgpr15
                                        ; implicit-def: $sgpr12_sgpr13
	s_branch .LBB24_244
.LBB24_243:                             ;   in Loop: Header=BB24_244 Depth=1
	s_or_b64 exec, exec, s[16:17]
	s_and_b64 s[16:17], exec, s[14:15]
	s_or_b64 s[8:9], s[16:17], s[8:9]
	s_andn2_b64 s[10:11], s[10:11], exec
	s_and_b64 s[16:17], s[12:13], exec
	s_or_b64 s[10:11], s[10:11], s[16:17]
	s_andn2_b64 exec, exec, s[8:9]
	s_cbranch_execz .LBB24_246
.LBB24_244:                             ; =>This Inner Loop Header: Depth=1
	v_ashrrev_i32_e32 v11, 31, v10
	v_lshlrev_b64 v[6:7], 3, v[10:11]
	v_mov_b32_e32 v2, v0
	v_add_co_u32_e32 v6, vcc, s30, v6
	v_addc_co_u32_e32 v7, vcc, v3, v7, vcc
	global_load_dwordx2 v[6:7], v[6:7], off
	s_or_b64 s[12:13], s[12:13], exec
	s_or_b64 s[14:15], s[14:15], exec
                                        ; implicit-def: $vgpr0
	s_waitcnt vmcnt(0)
	v_cmp_ne_u64_e32 vcc, v[6:7], v[4:5]
	s_and_saveexec_b64 s[16:17], vcc
	s_cbranch_execz .LBB24_243
; %bb.245:                              ;   in Loop: Header=BB24_244 Depth=1
	v_add_u32_e32 v0, s36, v2
	v_cmp_ge_i32_e32 vcc, v0, v1
	s_andn2_b64 s[14:15], s[14:15], exec
	s_and_b64 s[18:19], vcc, exec
	v_add_u32_e32 v10, s44, v10
	s_andn2_b64 s[12:13], s[12:13], exec
	s_or_b64 s[14:15], s[14:15], s[18:19]
	s_branch .LBB24_243
.LBB24_246:
	s_or_b64 exec, exec, s[8:9]
	s_and_saveexec_b64 s[8:9], s[10:11]
	s_xor_b64 s[8:9], exec, s[8:9]
	s_cbranch_execz .LBB24_251
; %bb.247:
	s_mov_b64 s[8:9], exec
	s_brev_b32 s10, -2
.LBB24_248:                             ; =>This Inner Loop Header: Depth=1
	s_ff1_i32_b64 s11, s[8:9]
	v_readlane_b32 s14, v2, s11
	s_lshl_b64 s[12:13], 1, s11
	s_min_i32 s10, s10, s14
	s_andn2_b64 s[8:9], s[8:9], s[12:13]
	s_cmp_lg_u64 s[8:9], 0
	s_cbranch_scc1 .LBB24_248
; %bb.249:
	v_mbcnt_lo_u32_b32 v0, exec_lo, 0
	v_mbcnt_hi_u32_b32 v0, exec_hi, v0
	v_cmp_eq_u32_e32 vcc, 0, v0
	s_and_saveexec_b64 s[8:9], vcc
	s_xor_b64 s[8:9], exec, s[8:9]
; %bb.250:
	v_mov_b32_e32 v0, 0
	v_mov_b32_e32 v1, s10
	ds_min_i32 v0, v1 offset:4108
.LBB24_251:
	s_or_b64 exec, exec, s[6:7]
	s_waitcnt lgkmcnt(0)
	s_barrier
	s_and_saveexec_b64 s[6:7], s[0:1]
	v_readlane_b32 s8, v46, 4
	s_cbranch_execz .LBB24_253
; %bb.252:
	v_readlane_b32 s0, v46, 3
	s_mul_i32 s0, s0, s8
	v_readlane_b32 s1, v46, 2
	s_mul_i32 s8, s1, s8
	s_ashr_i32 s1, s0, 31
	v_mov_b32_e32 v2, 0
	s_lshl_b64 s[0:1], s[0:1], 3
	v_readlane_b32 s10, v46, 0
	ds_read_b32 v0, v2 offset:4108
	v_readlane_b32 s11, v46, 1
	s_add_u32 s0, s10, s0
	s_addc_u32 s1, s11, s1
	s_ashr_i32 s9, s8, 31
	s_lshl_b64 s[8:9], s[8:9], 3
	s_add_u32 s8, s94, s8
	s_addc_u32 s9, s95, s9
	s_waitcnt lgkmcnt(0)
	v_ashrrev_i32_e32 v1, 31, v0
	global_store_dwordx2 v2, v[0:1], s[8:9]
	global_store_dwordx2 v2, v[4:5], s[0:1]
.LBB24_253:
	s_or_b64 exec, exec, s[6:7]
.LBB24_254:
	s_or_saveexec_b64 s[0:1], s[4:5]
	s_mov_b64 s[4:5], 0
	s_xor_b64 exec, exec, s[0:1]
	s_cbranch_execnz .LBB24_257
.LBB24_255:
	s_or_b64 exec, exec, s[0:1]
	s_and_b64 s[4:5], s[4:5], exec
	s_andn2_saveexec_b64 s[0:1], s[2:3]
	s_cbranch_execz .LBB24_233
.LBB24_256:
	s_or_b64 s[4:5], s[4:5], exec
	s_trap 2
	s_or_b64 exec, exec, s[0:1]
	s_and_saveexec_b64 s[0:1], s[4:5]
	s_cbranch_execnz .LBB24_234
	s_branch .LBB24_235
.LBB24_257:
	s_mov_b64 s[4:5], exec
	s_trap 2
	s_branch .LBB24_255
	.section	.rodata,"a",@progbits
	.p2align	6, 0x0
	.amdhsa_kernel _ZN2at6native12_GLOBAL__N_114gatherKthValueIliLi1EEEvNS_4cuda6detail10TensorInfoIKT_T0_EES8_S8_S8_S8_NS5_IS6_S8_EENS5_IlS8_EE
		.amdhsa_group_segment_fixed_size 4112
		.amdhsa_private_segment_fixed_size 0
		.amdhsa_kernarg_size 920
		.amdhsa_user_sgpr_count 6
		.amdhsa_user_sgpr_private_segment_buffer 1
		.amdhsa_user_sgpr_dispatch_ptr 0
		.amdhsa_user_sgpr_queue_ptr 0
		.amdhsa_user_sgpr_kernarg_segment_ptr 1
		.amdhsa_user_sgpr_dispatch_id 0
		.amdhsa_user_sgpr_flat_scratch_init 0
		.amdhsa_user_sgpr_private_segment_size 0
		.amdhsa_uses_dynamic_stack 0
		.amdhsa_system_sgpr_private_segment_wavefront_offset 0
		.amdhsa_system_sgpr_workgroup_id_x 1
		.amdhsa_system_sgpr_workgroup_id_y 1
		.amdhsa_system_sgpr_workgroup_id_z 1
		.amdhsa_system_sgpr_workgroup_info 0
		.amdhsa_system_vgpr_workitem_id 0
		.amdhsa_next_free_vgpr 47
		.amdhsa_next_free_sgpr 96
		.amdhsa_reserve_vcc 1
		.amdhsa_reserve_flat_scratch 0
		.amdhsa_float_round_mode_32 0
		.amdhsa_float_round_mode_16_64 0
		.amdhsa_float_denorm_mode_32 3
		.amdhsa_float_denorm_mode_16_64 3
		.amdhsa_dx10_clamp 1
		.amdhsa_ieee_mode 1
		.amdhsa_fp16_overflow 0
		.amdhsa_exception_fp_ieee_invalid_op 0
		.amdhsa_exception_fp_denorm_src 0
		.amdhsa_exception_fp_ieee_div_zero 0
		.amdhsa_exception_fp_ieee_overflow 0
		.amdhsa_exception_fp_ieee_underflow 0
		.amdhsa_exception_fp_ieee_inexact 0
		.amdhsa_exception_int_div_zero 0
	.end_amdhsa_kernel
	.section	.text._ZN2at6native12_GLOBAL__N_114gatherKthValueIliLi1EEEvNS_4cuda6detail10TensorInfoIKT_T0_EES8_S8_S8_S8_NS5_IS6_S8_EENS5_IlS8_EE,"axG",@progbits,_ZN2at6native12_GLOBAL__N_114gatherKthValueIliLi1EEEvNS_4cuda6detail10TensorInfoIKT_T0_EES8_S8_S8_S8_NS5_IS6_S8_EENS5_IlS8_EE,comdat
.Lfunc_end24:
	.size	_ZN2at6native12_GLOBAL__N_114gatherKthValueIliLi1EEEvNS_4cuda6detail10TensorInfoIKT_T0_EES8_S8_S8_S8_NS5_IS6_S8_EENS5_IlS8_EE, .Lfunc_end24-_ZN2at6native12_GLOBAL__N_114gatherKthValueIliLi1EEEvNS_4cuda6detail10TensorInfoIKT_T0_EES8_S8_S8_S8_NS5_IS6_S8_EENS5_IlS8_EE
                                        ; -- End function
	.set _ZN2at6native12_GLOBAL__N_114gatherKthValueIliLi1EEEvNS_4cuda6detail10TensorInfoIKT_T0_EES8_S8_S8_S8_NS5_IS6_S8_EENS5_IlS8_EE.num_vgpr, 47
	.set _ZN2at6native12_GLOBAL__N_114gatherKthValueIliLi1EEEvNS_4cuda6detail10TensorInfoIKT_T0_EES8_S8_S8_S8_NS5_IS6_S8_EENS5_IlS8_EE.num_agpr, 0
	.set _ZN2at6native12_GLOBAL__N_114gatherKthValueIliLi1EEEvNS_4cuda6detail10TensorInfoIKT_T0_EES8_S8_S8_S8_NS5_IS6_S8_EENS5_IlS8_EE.numbered_sgpr, 96
	.set _ZN2at6native12_GLOBAL__N_114gatherKthValueIliLi1EEEvNS_4cuda6detail10TensorInfoIKT_T0_EES8_S8_S8_S8_NS5_IS6_S8_EENS5_IlS8_EE.num_named_barrier, 0
	.set _ZN2at6native12_GLOBAL__N_114gatherKthValueIliLi1EEEvNS_4cuda6detail10TensorInfoIKT_T0_EES8_S8_S8_S8_NS5_IS6_S8_EENS5_IlS8_EE.private_seg_size, 0
	.set _ZN2at6native12_GLOBAL__N_114gatherKthValueIliLi1EEEvNS_4cuda6detail10TensorInfoIKT_T0_EES8_S8_S8_S8_NS5_IS6_S8_EENS5_IlS8_EE.uses_vcc, 1
	.set _ZN2at6native12_GLOBAL__N_114gatherKthValueIliLi1EEEvNS_4cuda6detail10TensorInfoIKT_T0_EES8_S8_S8_S8_NS5_IS6_S8_EENS5_IlS8_EE.uses_flat_scratch, 0
	.set _ZN2at6native12_GLOBAL__N_114gatherKthValueIliLi1EEEvNS_4cuda6detail10TensorInfoIKT_T0_EES8_S8_S8_S8_NS5_IS6_S8_EENS5_IlS8_EE.has_dyn_sized_stack, 0
	.set _ZN2at6native12_GLOBAL__N_114gatherKthValueIliLi1EEEvNS_4cuda6detail10TensorInfoIKT_T0_EES8_S8_S8_S8_NS5_IS6_S8_EENS5_IlS8_EE.has_recursion, 0
	.set _ZN2at6native12_GLOBAL__N_114gatherKthValueIliLi1EEEvNS_4cuda6detail10TensorInfoIKT_T0_EES8_S8_S8_S8_NS5_IS6_S8_EENS5_IlS8_EE.has_indirect_call, 0
	.section	.AMDGPU.csdata,"",@progbits
; Kernel info:
; codeLenInByte = 9056
; TotalNumSgprs: 100
; NumVgprs: 47
; ScratchSize: 0
; MemoryBound: 0
; FloatMode: 240
; IeeeMode: 1
; LDSByteSize: 4112 bytes/workgroup (compile time only)
; SGPRBlocks: 12
; VGPRBlocks: 11
; NumSGPRsForWavesPerEU: 100
; NumVGPRsForWavesPerEU: 47
; Occupancy: 5
; WaveLimiterHint : 1
; COMPUTE_PGM_RSRC2:SCRATCH_EN: 0
; COMPUTE_PGM_RSRC2:USER_SGPR: 6
; COMPUTE_PGM_RSRC2:TRAP_HANDLER: 0
; COMPUTE_PGM_RSRC2:TGID_X_EN: 1
; COMPUTE_PGM_RSRC2:TGID_Y_EN: 1
; COMPUTE_PGM_RSRC2:TGID_Z_EN: 1
; COMPUTE_PGM_RSRC2:TIDIG_COMP_CNT: 0
	.section	.text._ZN2at6native12_GLOBAL__N_114gatherKthValueIliLi2EEEvNS_4cuda6detail10TensorInfoIKT_T0_EES8_S8_S8_S8_NS5_IS6_S8_EENS5_IlS8_EE,"axG",@progbits,_ZN2at6native12_GLOBAL__N_114gatherKthValueIliLi2EEEvNS_4cuda6detail10TensorInfoIKT_T0_EES8_S8_S8_S8_NS5_IS6_S8_EENS5_IlS8_EE,comdat
	.globl	_ZN2at6native12_GLOBAL__N_114gatherKthValueIliLi2EEEvNS_4cuda6detail10TensorInfoIKT_T0_EES8_S8_S8_S8_NS5_IS6_S8_EENS5_IlS8_EE ; -- Begin function _ZN2at6native12_GLOBAL__N_114gatherKthValueIliLi2EEEvNS_4cuda6detail10TensorInfoIKT_T0_EES8_S8_S8_S8_NS5_IS6_S8_EENS5_IlS8_EE
	.p2align	8
	.type	_ZN2at6native12_GLOBAL__N_114gatherKthValueIliLi2EEEvNS_4cuda6detail10TensorInfoIKT_T0_EES8_S8_S8_S8_NS5_IS6_S8_EENS5_IlS8_EE,@function
_ZN2at6native12_GLOBAL__N_114gatherKthValueIliLi2EEEvNS_4cuda6detail10TensorInfoIKT_T0_EES8_S8_S8_S8_NS5_IS6_S8_EENS5_IlS8_EE: ; @_ZN2at6native12_GLOBAL__N_114gatherKthValueIliLi2EEEvNS_4cuda6detail10TensorInfoIKT_T0_EES8_S8_S8_S8_NS5_IS6_S8_EENS5_IlS8_EE
; %bb.0:
	s_load_dwordx2 s[12:13], s[4:5], 0x298
	s_load_dwordx4 s[28:31], s[4:5], 0xd8
	s_add_u32 s10, s4, 0x298
	s_addc_u32 s11, s5, 0
	s_waitcnt lgkmcnt(0)
	s_mul_i32 s0, s13, s8
	s_add_i32 s0, s0, s7
	s_mul_i32 s0, s0, s12
	s_add_i32 s18, s0, s6
	s_cmp_ge_i32 s18, s30
	s_cbranch_scc1 .LBB25_235
; %bb.1:
	s_load_dword s7, s[4:5], 0xc
	s_load_dwordx2 s[0:1], s[4:5], 0xe8
                                        ; implicit-def: $vgpr46 : SGPR spill to VGPR lane
                                        ; kill: killed $sgpr4 killed $sgpr5
	s_abs_i32 s21, s18
	s_ashr_i32 s20, s18, 31
	s_mov_b32 s49, 0
	s_waitcnt lgkmcnt(0)
	s_abs_i32 s13, s7
	v_writelane_b32 v46, s0, 0
	v_writelane_b32 v46, s1, 1
	s_load_dwordx2 s[8:9], s[4:5], 0x6c
	s_load_dwordx2 s[2:3], s[4:5], 0x0
	;; [unrolled: 1-line block ×3, first 2 shown]
	v_cvt_f32_u32_e32 v1, s13
	s_ashr_i32 s14, s7, 31
	s_load_dword s22, s[4:5], 0xf4
	s_waitcnt lgkmcnt(0)
	v_writelane_b32 v46, s0, 2
	v_writelane_b32 v46, s1, 3
	s_load_dword s19, s[4:5], 0x1cc
	s_load_dwordx2 s[0:1], s[4:5], 0x1c0
	v_rcp_iflag_f32_e32 v1, v1
	s_waitcnt lgkmcnt(0)
	v_writelane_b32 v46, s0, 4
	v_writelane_b32 v46, s1, 5
	s_load_dwordx2 s[0:1], s[4:5], 0x154
	v_mul_f32_e32 v1, 0x4f7ffffe, v1
	s_abs_i32 s5, s22
	v_cvt_u32_f32_e32 v1, v1
	v_cvt_f32_u32_e32 v2, s5
	s_waitcnt lgkmcnt(0)
	v_writelane_b32 v46, s0, 6
	v_writelane_b32 v46, s1, 7
	v_readfirstlane_b32 s1, v1
	v_rcp_iflag_f32_e32 v1, v2
	s_abs_i32 s4, s19
	v_cvt_f32_u32_e32 v2, s4
	s_sub_i32 s0, 0, s13
	v_mul_f32_e32 v1, 0x4f7ffffe, v1
	v_cvt_u32_f32_e32 v1, v1
	v_rcp_iflag_f32_e32 v2, v2
	s_mul_i32 s0, s0, s1
	s_mul_hi_u32 s0, s1, s0
	s_add_i32 s1, s1, s0
	s_mul_hi_u32 s15, s21, s1
	s_sub_i32 s0, 0, s5
	v_readfirstlane_b32 s1, v1
	v_mul_f32_e32 v1, 0x4f7ffffe, v2
	s_mul_i32 s0, s0, s1
	v_cvt_u32_f32_e32 v1, v1
	s_mul_hi_u32 s0, s1, s0
	s_add_i32 s1, s1, s0
	v_writelane_b32 v46, s5, 8
	s_mul_hi_u32 s0, s21, s1
	v_writelane_b32 v46, s0, 9
	s_sub_i32 s0, 0, s4
	v_readfirstlane_b32 s1, v1
	s_mul_i32 s0, s0, s1
	s_mul_hi_u32 s0, s1, s0
	s_add_i32 s1, s1, s0
	v_writelane_b32 v46, s4, 10
	s_mul_hi_u32 s0, s21, s1
	v_writelane_b32 v46, s0, 11
	v_cmp_eq_u32_e64 s[0:1], 0, v0
	s_and_saveexec_b64 s[4:5], s[0:1]
; %bb.2:
	v_mov_b32_e32 v1, 0
	v_mov_b32_e32 v2, s28
	;; [unrolled: 1-line block ×3, first 2 shown]
	ds_write_b96 v1, v[1:3] offset:4096
; %bb.3:
	s_or_b64 exec, exec, s[4:5]
	v_writelane_b32 v46, s22, 12
	s_ashr_i32 s4, s22, 31
	v_writelane_b32 v46, s4, 13
	s_mul_i32 s5, s15, s13
	v_writelane_b32 v46, s19, 14
	s_ashr_i32 s4, s19, 31
	s_sub_i32 s5, s21, s5
	v_writelane_b32 v46, s4, 15
	s_xor_b32 s4, s20, s14
	s_add_i32 s14, s15, 1
	s_sub_i32 s16, s5, s13
	s_cmp_ge_u32 s5, s13
	s_cselect_b32 s14, s14, s15
	s_cselect_b32 s5, s16, s5
	s_add_i32 s15, s14, 1
	s_cmp_ge_u32 s5, s13
	s_cselect_b32 s5, s15, s14
	s_xor_b32 s5, s5, s4
	s_sub_i32 s4, s5, s4
	s_mul_i32 s5, s4, s7
	s_sub_i32 s5, s18, s5
	s_mul_i32 s5, s5, s9
	s_mul_i32 s4, s4, s8
	v_mul_lo_u32 v10, s31, v0
	s_add_i32 s4, s4, s5
	s_waitcnt lgkmcnt(0)
	s_barrier
	s_load_dword s7, s[10:11], 0xc
	s_ashr_i32 s5, s4, 31
	v_mov_b32_e32 v12, 0
	s_lshl_b64 s[4:5], s[4:5], 3
	v_mbcnt_lo_u32_b32 v1, -1, 0
	v_mov_b32_e32 v11, v12
	s_add_u32 s30, s2, s4
	v_mbcnt_hi_u32_b32 v26, -1, v1
	v_lshlrev_b64 v[1:2], 3, v[10:11]
	s_addc_u32 s41, s3, s5
	v_cmp_gt_u32_e32 vcc, 64, v0
	v_cmp_gt_i32_e64 s[4:5], 4, v26
	s_and_b64 s[42:43], vcc, s[4:5]
	v_mov_b32_e32 v3, s41
	v_add_co_u32_e32 v13, vcc, s30, v1
	v_writelane_b32 v46, s20, 16
	s_waitcnt lgkmcnt(0)
	s_and_b32 s40, s7, 0xffff
	v_addc_co_u32_e32 v14, vcc, v3, v2, vcc
	v_lshlrev_b64 v[2:3], v26, -1
	v_writelane_b32 v46, s21, 17
	s_add_i32 s8, s40, -1
	v_writelane_b32 v46, s18, 18
	s_lshl_b32 s33, s40, 2
	s_bfe_u32 s7, s7, 0xa0006
	s_add_i32 s53, s8, s28
	v_not_b32_e32 v31, v2
	v_lshrrev_b32_e32 v2, 2, v0
	v_writelane_b32 v46, s8, 19
	s_cmpk_gt_i32 s28, 0x180
	v_cmp_gt_u32_e64 s[8:9], s28, v0
	v_and_b32_e32 v2, 0xf0, v2
	s_cselect_b64 s[44:45], -1, 0
	v_writelane_b32 v46, s8, 20
	s_cmp_gt_u32 s40, 63
	v_or_b32_e32 v32, 0xc00, v2
	v_cvt_f32_u32_e32 v2, s33
	v_writelane_b32 v46, s9, 21
	v_cmp_gt_i32_e64 s[8:9], s28, v0
	s_cselect_b64 s[46:47], -1, 0
	s_cmp_lt_u32 s6, s12
	v_writelane_b32 v46, s8, 22
	s_cselect_b32 s6, 12, 18
	v_writelane_b32 v46, s9, 23
	s_add_u32 s8, s10, s6
	s_addc_u32 s9, s11, 0
	v_rcp_iflag_f32_e32 v2, v2
	v_writelane_b32 v46, s8, 24
	s_add_i32 s6, s7, -1
	v_writelane_b32 v46, s9, 25
	s_bfe_u32 s8, s40, 0x30006
	s_and_b32 s6, s6, 0xffff
	s_cmp_gt_u32 s6, 6
	s_cselect_b64 s[10:11], -1, 0
	v_mul_f32_e32 v2, 0x4f7ffffe, v2
	v_writelane_b32 v46, s10, 26
	s_and_b32 s9, s7, 0x3f8
	v_cvt_u32_f32_e32 v2, v2
	v_writelane_b32 v46, s11, 27
	s_cmp_lg_u32 s8, 0
	v_writelane_b32 v46, s8, 28
	s_cselect_b64 s[6:7], -1, 0
	v_writelane_b32 v46, s6, 29
	v_writelane_b32 v46, s7, 30
	s_sub_i32 s6, 0, s33
	v_readfirstlane_b32 s7, v2
	s_mul_i32 s6, s6, s7
	s_mul_hi_u32 s6, s7, s6
	s_add_i32 s50, s7, s6
	s_mul_hi_u32 s6, s28, s50
	s_mul_i32 s6, s6, s33
	s_sub_i32 s6, s28, s6
	s_sub_i32 s7, s6, s33
	s_cmp_ge_u32 s6, s33
	s_cselect_b32 s6, s7, s6
	s_sub_i32 s7, s6, s33
	s_cmp_ge_u32 s6, s33
	s_cselect_b32 s6, s7, s6
	s_sub_i32 s51, s28, s6
	v_add_u32_e32 v33, s51, v0
	v_cvt_f32_u32_e32 v4, s40
	v_mul_lo_u32 v2, v33, s31
	v_not_b32_e32 v30, v3
	s_sub_i32 s16, 0, s40
	v_rcp_iflag_f32_e32 v4, v4
	v_ashrrev_i32_e32 v3, 31, v2
	v_lshlrev_b64 v[2:3], 3, v[2:3]
	s_abs_i32 s8, s53
	v_add_co_u32_e32 v15, vcc, s30, v2
	v_mul_f32_e32 v2, 0x4f7ffffe, v4
	v_cvt_u32_f32_e32 v2, v2
	s_ashr_i32 s7, s53, 31
	v_lshlrev_b32_e32 v25, 2, v0
	v_mov_b32_e32 v5, s41
	v_readfirstlane_b32 s17, v2
	s_mul_i32 s16, s16, s17
	s_mul_hi_u32 s16, s17, s16
	s_add_i32 s16, s17, s16
	v_writelane_b32 v46, s16, 31
	s_mul_hi_u32 s16, s8, s16
	s_mul_i32 s16, s16, s40
	s_sub_i32 s8, s8, s16
	s_sub_i32 s16, s8, s40
	s_cmp_ge_u32 s8, s40
	s_cselect_b32 s8, s16, s8
	s_sub_i32 s16, s8, s40
	v_mul_lo_u32 v2, s31, v25
	s_cmp_ge_u32 s8, s40
	s_cselect_b32 s8, s16, s8
	s_xor_b32 s8, s8, s7
	s_sub_i32 s7, s7, s8
	v_add_u32_e32 v34, s31, v2
	v_or_b32_e32 v2, 2, v25
	s_add_i32 s53, s53, s7
	v_mul_lo_u32 v35, s31, v2
	v_or_b32_e32 v2, 3, v25
	s_add_i32 s7, s40, s28
	v_mul_lo_u32 v36, s31, v2
	v_add_u32_e32 v2, s7, v0
	v_subrev_u32_e32 v2, s6, v2
	v_mul_lo_u32 v38, s31, v2
	v_cmp_gt_i32_e64 s[16:17], s53, v0
	v_lshlrev_b32_e32 v27, 3, v0
	v_lshlrev_b32_e32 v1, 2, v26
	v_addc_co_u32_e32 v16, vcc, v5, v3, vcc
	v_writelane_b32 v46, s16, 32
	s_mul_i32 s48, s31, s40
	v_mov_b32_e32 v17, 0
	v_mov_b32_e32 v19, 0
	;; [unrolled: 1-line block ×3, first 2 shown]
	v_cmp_eq_u32_e64 s[2:3], 0, v26
	v_cmp_gt_u32_e64 s[4:5], 2, v0
	v_add_u32_e32 v28, 0xc00, v27
	v_and_b32_e32 v29, 0x100, v1
	v_cmp_gt_i32_e64 s[10:11], s51, v25
	v_cmp_gt_u32_e64 s[12:13], s28, v33
	v_cmp_gt_i32_e64 s[14:15], s28, v33
	v_writelane_b32 v46, s17, 33
	s_lshl_b32 s16, s48, 2
	v_lshlrev_b32_e32 v37, 2, v10
	v_lshlrev_b32_e32 v39, 5, v0
	s_lshl_b32 s17, s40, 5
	s_lshl_b32 s8, s40, 3
	v_or_b32_e32 v40, 0xc00, v1
	s_mov_b32 s52, 62
	s_mov_b64 s[54:55], 0
	v_mov_b32_e32 v41, s29
	v_mov_b32_e32 v18, 0
	;; [unrolled: 1-line block ×5, first 2 shown]
                                        ; implicit-def: $sgpr56_sgpr57
                                        ; implicit-def: $sgpr60_sgpr61
                                        ; implicit-def: $sgpr58_sgpr59
                                        ; implicit-def: $sgpr64_sgpr65
                                        ; implicit-def: $sgpr66_sgpr67
                                        ; implicit-def: $sgpr62_sgpr63
	s_branch .LBB25_7
.LBB25_4:                               ;   in Loop: Header=BB25_7 Depth=1
	s_or_b64 exec, exec, s[34:35]
	s_and_b64 s[22:23], s[22:23], exec
	s_andn2_b64 s[68:69], s[68:69], exec
	s_andn2_b64 s[26:27], s[26:27], exec
	s_orn2_b64 s[20:21], s[20:21], exec
.LBB25_5:                               ;   in Loop: Header=BB25_7 Depth=1
	s_or_b64 exec, exec, s[6:7]
	s_andn2_b64 s[6:7], s[62:63], exec
	s_and_b64 s[22:23], s[22:23], exec
	s_or_b64 s[62:63], s[6:7], s[22:23]
	s_andn2_b64 s[6:7], s[66:67], exec
	s_and_b64 s[22:23], s[68:69], exec
	s_or_b64 s[66:67], s[6:7], s[22:23]
	;; [unrolled: 3-line block ×3, first 2 shown]
	s_orn2_b64 s[20:21], s[20:21], exec
.LBB25_6:                               ;   in Loop: Header=BB25_7 Depth=1
	s_or_b64 exec, exec, s[18:19]
	s_and_b64 s[6:7], exec, s[20:21]
	s_or_b64 s[54:55], s[6:7], s[54:55]
	s_andn2_b64 s[6:7], s[58:59], exec
	s_and_b64 s[18:19], s[62:63], exec
	s_or_b64 s[58:59], s[6:7], s[18:19]
	s_andn2_b64 s[6:7], s[60:61], exec
	s_and_b64 s[18:19], s[66:67], exec
	;; [unrolled: 3-line block ×3, first 2 shown]
	s_or_b64 s[56:57], s[6:7], s[18:19]
	s_mov_b32 s49, s25
	s_mov_b32 s52, s24
	v_mov_b32_e32 v41, v9
	s_andn2_b64 exec, exec, s[54:55]
	s_cbranch_execz .LBB25_231
.LBB25_7:                               ; =>This Loop Header: Depth=1
                                        ;     Child Loop BB25_13 Depth 2
                                        ;     Child Loop BB25_28 Depth 2
	;; [unrolled: 1-line block ×16, first 2 shown]
	ds_read_b64 v[2:3], v12 offset:4096
	s_waitcnt lgkmcnt(0)
	v_readfirstlane_b32 s29, v2
	s_cmp_gt_i32 s29, 0
	s_cbranch_scc1 .LBB25_35
; %bb.8:                                ;   in Loop: Header=BB25_7 Depth=1
	s_and_b64 vcc, exec, s[44:45]
	s_cbranch_vccz .LBB25_21
; %bb.9:                                ;   in Loop: Header=BB25_7 Depth=1
	s_movk_i32 s6, 0x181
	v_cmp_gt_i32_e32 vcc, s6, v3
	s_mov_b64 s[18:19], 0
	s_mov_b64 s[6:7], 0
	s_cbranch_vccz .LBB25_22
; %bb.10:                               ;   in Loop: Header=BB25_7 Depth=1
	s_mov_b64 s[20:21], exec
	v_readlane_b32 s6, v46, 20
	v_readlane_b32 s7, v46, 21
	s_and_b64 s[6:7], s[20:21], s[6:7]
	s_mov_b64 exec, s[6:7]
	s_cbranch_execz .LBB25_67
; %bb.11:                               ;   in Loop: Header=BB25_7 Depth=1
	v_readlane_b32 s6, v46, 24
	v_readlane_b32 s7, v46, 25
	s_nop 4
	global_load_ushort v8, v12, s[6:7]
	global_load_dwordx2 v[2:3], v[13:14], off
	s_mov_b64 s[22:23], 0
	v_mov_b32_e32 v21, v0
	s_waitcnt vmcnt(1)
	v_add_u32_e32 v6, v0, v8
	v_mul_lo_u32 v11, s31, v6
	v_mul_lo_u32 v9, s31, v8
	s_branch .LBB25_13
.LBB25_12:                              ;   in Loop: Header=BB25_13 Depth=2
	s_or_b64 exec, exec, s[6:7]
	v_cmp_le_i32_e32 vcc, s28, v21
	v_mov_b32_e32 v2, v6
	v_add_u32_e32 v11, v11, v9
	s_or_b64 s[22:23], vcc, s[22:23]
	v_mov_b32_e32 v3, v7
	s_andn2_b64 exec, exec, s[22:23]
	s_cbranch_execz .LBB25_67
.LBB25_13:                              ;   Parent Loop BB25_7 Depth=1
                                        ; =>  This Inner Loop Header: Depth=2
	v_add_u32_e32 v21, v21, v8
	v_mov_b32_e32 v6, 0
	v_mov_b32_e32 v7, 0
	v_cmp_gt_u32_e32 vcc, s28, v21
	s_and_saveexec_b64 s[6:7], vcc
	s_cbranch_execz .LBB25_15
; %bb.14:                               ;   in Loop: Header=BB25_13 Depth=2
	v_lshlrev_b64 v[6:7], 3, v[11:12]
	s_waitcnt lgkmcnt(0)
	v_mov_b32_e32 v22, s41
	v_add_co_u32_e32 v6, vcc, s30, v6
	v_addc_co_u32_e32 v7, vcc, v22, v7, vcc
	global_load_dwordx2 v[6:7], v[6:7], off
.LBB25_15:                              ;   in Loop: Header=BB25_13 Depth=2
	s_or_b64 exec, exec, s[6:7]
	s_waitcnt vmcnt(0) lgkmcnt(0)
	v_xor_b32_e32 v22, 0x80000000, v3
	v_and_b32_e32 v23, v22, v20
	v_and_b32_e32 v22, v2, v19
	v_cmp_eq_u64_e32 vcc, v[22:23], v[17:18]
	v_mov_b32_e32 v22, 0
	s_cmp_lg_u64 vcc, 0
	s_cselect_b64 s[6:7], -1, 0
	s_and_b64 s[6:7], s[2:3], s[6:7]
	s_and_saveexec_b64 s[26:27], s[6:7]
	s_cbranch_execz .LBB25_19
; %bb.16:                               ;   in Loop: Header=BB25_13 Depth=2
	s_mov_b64 s[36:37], exec
	v_mbcnt_lo_u32_b32 v22, s36, 0
	v_mbcnt_hi_u32_b32 v22, s37, v22
	s_bcnt1_i32_b64 s24, vcc
	v_cmp_eq_u32_e64 s[6:7], 0, v22
                                        ; implicit-def: $vgpr23
	s_and_saveexec_b64 s[34:35], s[6:7]
; %bb.17:                               ;   in Loop: Header=BB25_13 Depth=2
	s_bcnt1_i32_b64 s6, s[36:37]
	s_mul_i32 s6, s24, s6
	v_mov_b32_e32 v23, s6
	ds_add_rtn_u32 v23, v12, v23 offset:4104
; %bb.18:                               ;   in Loop: Header=BB25_13 Depth=2
	s_or_b64 exec, exec, s[34:35]
	s_waitcnt lgkmcnt(0)
	v_readfirstlane_b32 s6, v23
	v_mov_b32_e32 v23, s6
	v_mad_u32_u24 v22, s24, v22, v23
.LBB25_19:                              ;   in Loop: Header=BB25_13 Depth=2
	s_or_b64 exec, exec, s[26:27]
	ds_bpermute_b32 v22, v29, v22
	s_and_saveexec_b64 s[6:7], vcc
	s_cbranch_execz .LBB25_12
; %bb.20:                               ;   in Loop: Header=BB25_13 Depth=2
	v_and_b32_e32 v24, vcc_lo, v31
	v_and_b32_e32 v23, vcc_hi, v30
	v_bcnt_u32_b32 v24, v24, 0
	v_bcnt_u32_b32 v23, v23, v24
	v_lshlrev_b32_e32 v23, 3, v23
	s_waitcnt lgkmcnt(0)
	v_lshl_add_u32 v22, v22, 3, v23
	ds_write_b64 v22, v[2:3]
	s_branch .LBB25_12
.LBB25_21:                              ;   in Loop: Header=BB25_7 Depth=1
	s_mov_b64 s[18:19], -1
	s_mov_b64 s[6:7], 0
.LBB25_22:                              ;   in Loop: Header=BB25_7 Depth=1
	s_and_b64 vcc, exec, s[18:19]
	s_cbranch_vccz .LBB25_33
.LBB25_23:                              ;   in Loop: Header=BB25_7 Depth=1
	v_mov_b32_e32 v2, 0
	v_mov_b32_e32 v3, 0
	s_mov_b64 s[6:7], exec
	v_readlane_b32 s18, v46, 20
	v_readlane_b32 s19, v46, 21
	s_and_b64 s[18:19], s[6:7], s[18:19]
	s_mov_b64 exec, s[18:19]
	s_cbranch_execz .LBB25_25
; %bb.24:                               ;   in Loop: Header=BB25_7 Depth=1
	global_load_dwordx2 v[2:3], v[13:14], off
.LBB25_25:                              ;   in Loop: Header=BB25_7 Depth=1
	s_or_b64 exec, exec, s[6:7]
	s_mov_b64 s[6:7], exec
	v_readlane_b32 s18, v46, 22
	v_readlane_b32 s19, v46, 23
	s_and_b64 s[18:19], s[6:7], s[18:19]
	s_mov_b64 exec, s[18:19]
	s_cbranch_execz .LBB25_30
; %bb.26:                               ;   in Loop: Header=BB25_7 Depth=1
	v_readlane_b32 s18, v46, 24
	v_readlane_b32 s19, v46, 25
	v_mov_b32_e32 v22, v27
	v_mov_b32_e32 v23, v0
	s_nop 2
	global_load_ushort v8, v12, s[18:19]
	s_mov_b64 s[18:19], 0
	s_waitcnt vmcnt(0)
	v_add_u32_e32 v6, v0, v8
	v_mul_lo_u32 v11, s31, v6
	v_mul_lo_u32 v21, s31, v8
	v_lshlrev_b32_e32 v9, 3, v8
	s_branch .LBB25_28
.LBB25_27:                              ;   in Loop: Header=BB25_28 Depth=2
	s_or_b64 exec, exec, s[20:21]
	ds_write_b64 v22, v[2:3]
	v_cmp_le_i32_e32 vcc, s28, v23
	s_waitcnt vmcnt(0)
	v_mov_b32_e32 v2, v6
	v_add_u32_e32 v22, v22, v9
	v_add_u32_e32 v11, v11, v21
	s_or_b64 s[18:19], vcc, s[18:19]
	v_mov_b32_e32 v3, v7
	s_andn2_b64 exec, exec, s[18:19]
	s_cbranch_execz .LBB25_30
.LBB25_28:                              ;   Parent Loop BB25_7 Depth=1
                                        ; =>  This Inner Loop Header: Depth=2
	v_add_u32_e32 v23, v23, v8
	v_mov_b32_e32 v6, 0
	v_mov_b32_e32 v7, 0
	v_cmp_gt_u32_e32 vcc, s28, v23
	s_and_saveexec_b64 s[20:21], vcc
	s_cbranch_execz .LBB25_27
; %bb.29:                               ;   in Loop: Header=BB25_28 Depth=2
	v_lshlrev_b64 v[6:7], 3, v[11:12]
	v_mov_b32_e32 v24, s41
	v_add_co_u32_e32 v6, vcc, s30, v6
	v_addc_co_u32_e32 v7, vcc, v24, v7, vcc
	global_load_dwordx2 v[6:7], v[6:7], off
	s_branch .LBB25_27
.LBB25_30:                              ;   in Loop: Header=BB25_7 Depth=1
	s_or_b64 exec, exec, s[6:7]
	s_waitcnt vmcnt(0) lgkmcnt(0)
	s_barrier
	s_and_saveexec_b64 s[6:7], s[0:1]
; %bb.31:                               ;   in Loop: Header=BB25_7 Depth=1
	v_mov_b32_e32 v2, s28
	ds_write_b32 v12, v2 offset:4096
; %bb.32:                               ;   in Loop: Header=BB25_7 Depth=1
	s_or_b64 exec, exec, s[6:7]
	s_mov_b64 s[6:7], -1
	s_waitcnt lgkmcnt(0)
	s_barrier
.LBB25_33:                              ;   in Loop: Header=BB25_7 Depth=1
	s_and_b64 vcc, exec, s[6:7]
	s_cbranch_vccz .LBB25_35
; %bb.34:                               ;   in Loop: Header=BB25_7 Depth=1
	ds_read_b32 v2, v12 offset:4096
	s_waitcnt lgkmcnt(0)
	v_readfirstlane_b32 s29, v2
.LBB25_35:                              ;   in Loop: Header=BB25_7 Depth=1
	s_cmp_lt_i32 s29, 1
	s_mov_b64 s[6:7], -1
                                        ; implicit-def: $vgpr6
	s_cbranch_scc1 .LBB25_45
; %bb.36:                               ;   in Loop: Header=BB25_7 Depth=1
	s_and_b64 vcc, exec, s[6:7]
	s_cbranch_vccnz .LBB25_58
.LBB25_37:                              ;   in Loop: Header=BB25_7 Depth=1
	s_lshl_b32 s18, s49, 6
	s_and_saveexec_b64 s[6:7], s[2:3]
.LBB25_38:                              ;   in Loop: Header=BB25_7 Depth=1
	v_lshl_add_u32 v2, s18, 2, v32
	ds_write_b128 v2, v[6:9]
.LBB25_39:                              ;   in Loop: Header=BB25_7 Depth=1
	s_or_b64 exec, exec, s[6:7]
	s_waitcnt vmcnt(0) lgkmcnt(0)
	s_barrier
	s_and_saveexec_b64 s[6:7], s[42:43]
	s_cbranch_execz .LBB25_75
; %bb.40:                               ;   in Loop: Header=BB25_7 Depth=1
	s_andn2_b64 vcc, exec, s[46:47]
	v_mov_b32_e32 v2, 0
	s_cbranch_vccnz .LBB25_74
; %bb.41:                               ;   in Loop: Header=BB25_7 Depth=1
	v_readlane_b32 s20, v46, 26
	v_readlane_b32 s21, v46, 27
	s_andn2_b64 vcc, exec, s[20:21]
	s_cbranch_vccnz .LBB25_70
; %bb.42:                               ;   in Loop: Header=BB25_7 Depth=1
	v_lshl_add_u32 v3, s49, 8, v40
	s_mov_b32 s19, 0
	v_mov_b32_e32 v2, 0
.LBB25_43:                              ;   Parent Loop BB25_7 Depth=1
                                        ; =>  This Inner Loop Header: Depth=2
	ds_read2_b32 v[6:7], v3 offset1:4
	ds_read2_b32 v[8:9], v3 offset0:8 offset1:12
	ds_read2_b32 v[21:22], v3 offset0:16 offset1:20
	;; [unrolled: 1-line block ×3, first 2 shown]
	s_add_i32 s19, s19, 8
	s_waitcnt lgkmcnt(3)
	v_add3_u32 v2, v6, v2, v7
	s_waitcnt lgkmcnt(2)
	v_add3_u32 v2, v8, v2, v9
	;; [unrolled: 2-line block ×3, first 2 shown]
	v_add_u32_e32 v3, 0x80, v3
	s_cmp_eq_u32 s9, s19
	s_waitcnt lgkmcnt(0)
	v_add3_u32 v2, v23, v2, v24
	s_cbranch_scc0 .LBB25_43
; %bb.44:                               ;   in Loop: Header=BB25_7 Depth=1
	s_mov_b32 s19, s9
	s_branch .LBB25_71
.LBB25_45:                              ;   in Loop: Header=BB25_7 Depth=1
	v_mov_b32_e32 v6, 0
	v_mov_b32_e32 v7, 0
	;; [unrolled: 1-line block ×4, first 2 shown]
	s_and_saveexec_b64 s[26:27], s[10:11]
	s_cbranch_execz .LBB25_49
; %bb.46:                               ;   in Loop: Header=BB25_7 Depth=1
	s_mov_b32 s34, 0
	s_mov_b64 s[68:69], 0
	s_mov_b32 s35, 0
	s_mov_b32 s36, 0
	;; [unrolled: 1-line block ×4, first 2 shown]
	v_mov_b32_e32 v21, v25
.LBB25_47:                              ;   Parent Loop BB25_7 Depth=1
                                        ; =>  This Inner Loop Header: Depth=2
	v_add_u32_e32 v2, s34, v37
	v_ashrrev_i32_e32 v3, 31, v2
	v_lshlrev_b64 v[2:3], 3, v[2:3]
	v_add_u32_e32 v6, s34, v34
	v_ashrrev_i32_e32 v7, 31, v6
	v_add_co_u32_e32 v2, vcc, s30, v2
	v_mov_b32_e32 v11, s41
	v_lshlrev_b64 v[6:7], 3, v[6:7]
	v_addc_co_u32_e32 v3, vcc, v11, v3, vcc
	v_add_co_u32_e32 v6, vcc, s30, v6
	v_addc_co_u32_e32 v7, vcc, v11, v7, vcc
	global_load_dwordx2 v[2:3], v[2:3], off
	v_add_u32_e32 v8, s34, v36
	global_load_dwordx2 v[22:23], v[6:7], off
	v_add_u32_e32 v6, s34, v35
	v_ashrrev_i32_e32 v7, 31, v6
	v_lshlrev_b64 v[6:7], 3, v[6:7]
	v_ashrrev_i32_e32 v9, 31, v8
	v_add_co_u32_e32 v6, vcc, s30, v6
	v_lshlrev_b64 v[8:9], 3, v[8:9]
	v_addc_co_u32_e32 v7, vcc, v11, v7, vcc
	global_load_dwordx2 v[6:7], v[6:7], off
	v_add_co_u32_e32 v8, vcc, s30, v8
	v_addc_co_u32_e32 v9, vcc, v11, v9, vcc
	global_load_dwordx2 v[8:9], v[8:9], off
	v_add_u32_e32 v21, s33, v21
	s_add_i32 s34, s34, s16
	s_waitcnt vmcnt(3)
	v_xor_b32_e32 v3, 0x80000000, v3
	v_and_b32_e32 v43, v3, v20
	v_and_b32_e32 v42, v2, v19
	v_lshrrev_b64 v[2:3], s52, v[2:3]
	s_waitcnt vmcnt(2)
	v_xor_b32_e32 v23, 0x80000000, v23
	v_and_b32_e32 v11, 3, v2
	v_lshrrev_b64 v[2:3], s52, v[22:23]
	v_cmp_eq_u64_e32 vcc, v[42:43], v[17:18]
	v_and_b32_e32 v43, v23, v20
	v_and_b32_e32 v42, v22, v19
	v_cmp_eq_u64_e64 s[6:7], 0, v[11:12]
	v_cmp_eq_u64_e64 s[18:19], v[42:43], v[17:18]
	s_waitcnt vmcnt(1)
	v_xor_b32_e32 v7, 0x80000000, v7
	v_and_b32_e32 v43, v7, v20
	v_and_b32_e32 v42, v6, v19
	;; [unrolled: 1-line block ×3, first 2 shown]
	v_mov_b32_e32 v3, v12
	v_lshrrev_b64 v[6:7], s52, v[6:7]
	s_waitcnt vmcnt(0)
	v_xor_b32_e32 v9, 0x80000000, v9
	s_and_b64 s[24:25], vcc, s[6:7]
	v_cmp_eq_u64_e64 s[6:7], 0, v[2:3]
	v_cmp_eq_u64_e64 s[20:21], v[42:43], v[17:18]
	v_and_b32_e32 v43, v9, v20
	v_and_b32_e32 v42, v8, v19
	;; [unrolled: 1-line block ×3, first 2 shown]
	v_mov_b32_e32 v7, v12
	v_lshrrev_b64 v[8:9], s52, v[8:9]
	s_and_b64 s[70:71], s[18:19], s[6:7]
	v_cmp_eq_u64_e64 s[6:7], 0, v[6:7]
	v_and_b32_e32 v8, 3, v8
	v_mov_b32_e32 v9, v12
	v_cmp_eq_u64_e64 s[22:23], v[42:43], v[17:18]
	s_and_b64 s[72:73], s[20:21], s[6:7]
	v_cmp_eq_u64_e64 s[6:7], 0, v[8:9]
	v_cndmask_b32_e64 v22, 0, 1, s[24:25]
	s_and_b64 s[74:75], s[22:23], s[6:7]
	v_cmp_ne_u32_e64 s[6:7], 0, v22
	v_cndmask_b32_e64 v22, 0, 1, s[70:71]
	s_bcnt1_i32_b64 s24, s[6:7]
	v_cmp_ne_u32_e64 s[6:7], 0, v22
	v_cndmask_b32_e64 v22, 0, 1, s[72:73]
	s_bcnt1_i32_b64 s25, s[6:7]
	;; [unrolled: 3-line block ×3, first 2 shown]
	v_cmp_ne_u32_e64 s[6:7], 0, v22
	s_bcnt1_i32_b64 s6, s[6:7]
	s_add_i32 s7, s38, s24
	s_add_i32 s7, s7, s25
	;; [unrolled: 1-line block ×4, first 2 shown]
	v_cmp_eq_u64_e64 s[6:7], 1, v[11:12]
	s_and_b64 s[24:25], vcc, s[6:7]
	v_cmp_eq_u64_e64 s[6:7], 1, v[2:3]
	v_cndmask_b32_e64 v22, 0, 1, s[24:25]
	s_and_b64 s[70:71], s[18:19], s[6:7]
	v_cmp_eq_u64_e64 s[6:7], 1, v[6:7]
	s_and_b64 s[72:73], s[20:21], s[6:7]
	v_cmp_eq_u64_e64 s[6:7], 1, v[8:9]
	s_and_b64 s[74:75], s[22:23], s[6:7]
	v_cmp_ne_u32_e64 s[6:7], 0, v22
	v_cndmask_b32_e64 v22, 0, 1, s[70:71]
	s_bcnt1_i32_b64 s24, s[6:7]
	v_cmp_ne_u32_e64 s[6:7], 0, v22
	v_cndmask_b32_e64 v22, 0, 1, s[72:73]
	s_bcnt1_i32_b64 s25, s[6:7]
	;; [unrolled: 3-line block ×3, first 2 shown]
	v_cmp_ne_u32_e64 s[6:7], 0, v22
	s_bcnt1_i32_b64 s6, s[6:7]
	s_add_i32 s7, s37, s24
	s_add_i32 s7, s7, s25
	;; [unrolled: 1-line block ×4, first 2 shown]
	v_cmp_eq_u64_e64 s[6:7], 2, v[11:12]
	s_and_b64 s[24:25], vcc, s[6:7]
	v_cmp_eq_u64_e64 s[6:7], 2, v[2:3]
	v_cndmask_b32_e64 v22, 0, 1, s[24:25]
	s_and_b64 s[70:71], s[18:19], s[6:7]
	v_cmp_eq_u64_e64 s[6:7], 2, v[6:7]
	s_and_b64 s[72:73], s[20:21], s[6:7]
	v_cmp_eq_u64_e64 s[6:7], 2, v[8:9]
	s_and_b64 s[74:75], s[22:23], s[6:7]
	v_cmp_ne_u32_e64 s[6:7], 0, v22
	v_cndmask_b32_e64 v22, 0, 1, s[70:71]
	s_bcnt1_i32_b64 s24, s[6:7]
	v_cmp_ne_u32_e64 s[6:7], 0, v22
	v_cndmask_b32_e64 v22, 0, 1, s[72:73]
	s_bcnt1_i32_b64 s25, s[6:7]
	;; [unrolled: 3-line block ×3, first 2 shown]
	v_cmp_ne_u32_e64 s[6:7], 0, v22
	s_bcnt1_i32_b64 s6, s[6:7]
	s_add_i32 s7, s36, s24
	s_add_i32 s7, s7, s25
	;; [unrolled: 1-line block ×4, first 2 shown]
	v_cmp_eq_u64_e64 s[6:7], 3, v[11:12]
	s_and_b64 s[6:7], vcc, s[6:7]
	v_cmp_eq_u64_e32 vcc, 3, v[2:3]
	v_cndmask_b32_e64 v2, 0, 1, s[6:7]
	s_and_b64 s[18:19], s[18:19], vcc
	v_cmp_eq_u64_e32 vcc, 3, v[6:7]
	v_mov_b32_e32 v6, s38
	s_and_b64 s[20:21], s[20:21], vcc
	v_cmp_eq_u64_e32 vcc, 3, v[8:9]
	v_mov_b32_e32 v7, s37
	s_and_b64 s[22:23], s[22:23], vcc
	v_cmp_ne_u32_e32 vcc, 0, v2
	v_cndmask_b32_e64 v2, 0, 1, s[18:19]
	s_bcnt1_i32_b64 s6, vcc
	v_cmp_ne_u32_e32 vcc, 0, v2
	v_cndmask_b32_e64 v2, 0, 1, s[20:21]
	s_bcnt1_i32_b64 s7, vcc
	v_cmp_ne_u32_e32 vcc, 0, v2
	v_cndmask_b32_e64 v2, 0, 1, s[22:23]
	s_add_i32 s6, s35, s6
	s_bcnt1_i32_b64 s18, vcc
	v_cmp_ne_u32_e32 vcc, 0, v2
	s_add_i32 s6, s6, s7
	s_bcnt1_i32_b64 s19, vcc
	s_add_i32 s6, s6, s18
	s_add_i32 s35, s6, s19
	v_cmp_le_i32_e32 vcc, s51, v21
	s_or_b64 s[68:69], vcc, s[68:69]
	v_mov_b32_e32 v8, s36
	v_mov_b32_e32 v9, s35
	s_andn2_b64 exec, exec, s[68:69]
	s_cbranch_execnz .LBB25_47
; %bb.48:                               ;   in Loop: Header=BB25_7 Depth=1
	s_or_b64 exec, exec, s[68:69]
.LBB25_49:                              ;   in Loop: Header=BB25_7 Depth=1
	s_or_b64 exec, exec, s[26:27]
	v_mov_b32_e32 v21, 0
	v_mov_b32_e32 v22, 0
	s_and_saveexec_b64 s[6:7], s[12:13]
	s_cbranch_execz .LBB25_51
; %bb.50:                               ;   in Loop: Header=BB25_7 Depth=1
	global_load_dwordx2 v[21:22], v[15:16], off
.LBB25_51:                              ;   in Loop: Header=BB25_7 Depth=1
	s_or_b64 exec, exec, s[6:7]
	s_and_saveexec_b64 s[18:19], s[14:15]
	s_cbranch_execz .LBB25_57
; %bb.52:                               ;   in Loop: Header=BB25_7 Depth=1
	s_mov_b64 s[20:21], 0
	v_mov_b32_e32 v2, v38
	v_mov_b32_e32 v42, v33
	s_branch .LBB25_54
.LBB25_53:                              ;   in Loop: Header=BB25_54 Depth=2
	s_or_b64 exec, exec, s[6:7]
	s_waitcnt vmcnt(0)
	v_xor_b32_e32 v22, 0x80000000, v22
	v_and_b32_e32 v44, v22, v20
	v_and_b32_e32 v43, v21, v19
	v_lshrrev_b64 v[21:22], s52, v[21:22]
	v_cmp_eq_u64_e32 vcc, v[43:44], v[17:18]
	v_and_b32_e32 v11, 3, v21
	v_cmp_eq_u64_e64 s[6:7], 0, v[11:12]
	v_mov_b32_e32 v21, v23
	s_and_b64 s[6:7], vcc, s[6:7]
	v_cndmask_b32_e64 v3, 0, 1, s[6:7]
	v_cmp_ne_u32_e64 s[6:7], 0, v3
	s_bcnt1_i32_b64 s22, s[6:7]
	v_cmp_eq_u64_e64 s[6:7], 1, v[11:12]
	v_add_u32_e32 v6, s22, v6
	s_and_b64 s[6:7], vcc, s[6:7]
	v_cndmask_b32_e64 v3, 0, 1, s[6:7]
	v_cmp_ne_u32_e64 s[6:7], 0, v3
	s_bcnt1_i32_b64 s22, s[6:7]
	v_cmp_eq_u64_e64 s[6:7], 2, v[11:12]
	v_add_u32_e32 v7, s22, v7
	;; [unrolled: 6-line block ×3, first 2 shown]
	s_and_b64 s[6:7], vcc, s[6:7]
	v_cndmask_b32_e64 v3, 0, 1, s[6:7]
	v_cmp_ne_u32_e32 vcc, 0, v3
	s_bcnt1_i32_b64 s6, vcc
	v_cmp_le_i32_e32 vcc, s28, v42
	v_add_u32_e32 v9, s6, v9
	v_add_u32_e32 v2, s48, v2
	s_or_b64 s[20:21], vcc, s[20:21]
	v_mov_b32_e32 v22, v24
	s_andn2_b64 exec, exec, s[20:21]
	s_cbranch_execz .LBB25_56
.LBB25_54:                              ;   Parent Loop BB25_7 Depth=1
                                        ; =>  This Inner Loop Header: Depth=2
	v_add_u32_e32 v42, s40, v42
	v_mov_b32_e32 v23, 0
	v_mov_b32_e32 v24, 0
	v_cmp_gt_u32_e32 vcc, s28, v42
	s_and_saveexec_b64 s[6:7], vcc
	s_cbranch_execz .LBB25_53
; %bb.55:                               ;   in Loop: Header=BB25_54 Depth=2
	v_ashrrev_i32_e32 v3, 31, v2
	v_lshlrev_b64 v[23:24], 3, v[2:3]
	v_mov_b32_e32 v3, s41
	v_add_co_u32_e32 v23, vcc, s30, v23
	v_addc_co_u32_e32 v24, vcc, v3, v24, vcc
	global_load_dwordx2 v[23:24], v[23:24], off
	s_branch .LBB25_53
.LBB25_56:                              ;   in Loop: Header=BB25_7 Depth=1
	s_or_b64 exec, exec, s[20:21]
.LBB25_57:                              ;   in Loop: Header=BB25_7 Depth=1
	s_or_b64 exec, exec, s[18:19]
	s_branch .LBB25_37
.LBB25_58:                              ;   in Loop: Header=BB25_7 Depth=1
	s_mul_hi_u32 s6, s29, s50
	s_mul_i32 s6, s6, s33
	s_sub_i32 s6, s29, s6
	s_sub_i32 s7, s6, s33
	s_cmp_ge_u32 s6, s33
	s_cselect_b32 s6, s7, s6
	s_sub_i32 s7, s6, s33
	s_cmp_ge_u32 s6, s33
	s_cselect_b32 s6, s7, s6
	s_sub_i32 s34, s29, s6
	v_cmp_gt_u32_e32 vcc, s34, v25
	v_mov_b32_e32 v6, 0
	v_mov_b32_e32 v7, 0
	;; [unrolled: 1-line block ×4, first 2 shown]
	s_and_saveexec_b64 s[26:27], vcc
	s_cbranch_execz .LBB25_62
; %bb.59:                               ;   in Loop: Header=BB25_7 Depth=1
	s_mov_b32 s35, 0
	s_mov_b64 s[68:69], 0
	s_waitcnt vmcnt(0)
	v_mov_b32_e32 v21, v39
	s_mov_b32 s36, 0
	s_mov_b32 s37, 0
	;; [unrolled: 1-line block ×3, first 2 shown]
	v_mov_b32_e32 v22, v25
.LBB25_60:                              ;   Parent Loop BB25_7 Depth=1
                                        ; =>  This Inner Loop Header: Depth=2
	ds_read_b128 v[42:45], v21
	ds_read_b128 v[6:9], v21 offset:16
	v_add_u32_e32 v22, s33, v22
	v_add_u32_e32 v21, s17, v21
	s_waitcnt lgkmcnt(1)
	v_xor_b32_e32 v43, 0x80000000, v43
	v_xor_b32_e32 v45, 0x80000000, v45
	v_and_b32_e32 v3, v43, v20
	v_and_b32_e32 v2, v42, v19
	s_waitcnt lgkmcnt(0)
	v_xor_b32_e32 v7, 0x80000000, v7
	v_cmp_eq_u64_e32 vcc, v[2:3], v[17:18]
	v_and_b32_e32 v3, v45, v20
	v_and_b32_e32 v2, v44, v19
	v_xor_b32_e32 v9, 0x80000000, v9
	v_cmp_eq_u64_e64 s[18:19], v[2:3], v[17:18]
	v_and_b32_e32 v3, v7, v20
	v_and_b32_e32 v2, v6, v19
	v_cmp_eq_u64_e64 s[20:21], v[2:3], v[17:18]
	v_and_b32_e32 v3, v9, v20
	v_and_b32_e32 v2, v8, v19
	v_cmp_eq_u64_e64 s[22:23], v[2:3], v[17:18]
	v_lshrrev_b64 v[2:3], s52, v[42:43]
	v_lshrrev_b64 v[6:7], s52, v[6:7]
	v_and_b32_e32 v11, 3, v2
	v_lshrrev_b64 v[2:3], s52, v[44:45]
	v_cmp_eq_u64_e64 s[6:7], 0, v[11:12]
	v_and_b32_e32 v2, 3, v2
	v_mov_b32_e32 v3, v12
	s_and_b64 s[24:25], vcc, s[6:7]
	v_cmp_eq_u64_e64 s[6:7], 0, v[2:3]
	v_and_b32_e32 v6, 3, v6
	v_mov_b32_e32 v7, v12
	v_lshrrev_b64 v[8:9], s52, v[8:9]
	s_and_b64 s[70:71], s[18:19], s[6:7]
	v_cmp_eq_u64_e64 s[6:7], 0, v[6:7]
	v_and_b32_e32 v8, 3, v8
	v_mov_b32_e32 v9, v12
	s_and_b64 s[72:73], s[20:21], s[6:7]
	v_cmp_eq_u64_e64 s[6:7], 0, v[8:9]
	v_cndmask_b32_e64 v23, 0, 1, s[24:25]
	s_and_b64 s[74:75], s[22:23], s[6:7]
	v_cmp_ne_u32_e64 s[6:7], 0, v23
	v_cndmask_b32_e64 v23, 0, 1, s[70:71]
	s_bcnt1_i32_b64 s24, s[6:7]
	v_cmp_ne_u32_e64 s[6:7], 0, v23
	v_cndmask_b32_e64 v23, 0, 1, s[72:73]
	s_bcnt1_i32_b64 s25, s[6:7]
	;; [unrolled: 3-line block ×3, first 2 shown]
	v_cmp_ne_u32_e64 s[6:7], 0, v23
	s_bcnt1_i32_b64 s6, s[6:7]
	s_add_i32 s7, s38, s24
	s_add_i32 s7, s7, s25
	;; [unrolled: 1-line block ×4, first 2 shown]
	v_cmp_eq_u64_e64 s[6:7], 1, v[11:12]
	s_and_b64 s[24:25], vcc, s[6:7]
	v_cmp_eq_u64_e64 s[6:7], 1, v[2:3]
	v_cndmask_b32_e64 v23, 0, 1, s[24:25]
	s_and_b64 s[70:71], s[18:19], s[6:7]
	v_cmp_eq_u64_e64 s[6:7], 1, v[6:7]
	s_and_b64 s[72:73], s[20:21], s[6:7]
	v_cmp_eq_u64_e64 s[6:7], 1, v[8:9]
	s_and_b64 s[74:75], s[22:23], s[6:7]
	v_cmp_ne_u32_e64 s[6:7], 0, v23
	v_cndmask_b32_e64 v23, 0, 1, s[70:71]
	s_bcnt1_i32_b64 s24, s[6:7]
	v_cmp_ne_u32_e64 s[6:7], 0, v23
	v_cndmask_b32_e64 v23, 0, 1, s[72:73]
	s_bcnt1_i32_b64 s25, s[6:7]
	v_cmp_ne_u32_e64 s[6:7], 0, v23
	v_cndmask_b32_e64 v23, 0, 1, s[74:75]
	s_bcnt1_i32_b64 s39, s[6:7]
	v_cmp_ne_u32_e64 s[6:7], 0, v23
	s_bcnt1_i32_b64 s6, s[6:7]
	s_add_i32 s7, s37, s24
	s_add_i32 s7, s7, s25
	;; [unrolled: 1-line block ×4, first 2 shown]
	v_cmp_eq_u64_e64 s[6:7], 2, v[11:12]
	s_and_b64 s[24:25], vcc, s[6:7]
	v_cmp_eq_u64_e64 s[6:7], 2, v[2:3]
	v_cndmask_b32_e64 v23, 0, 1, s[24:25]
	s_and_b64 s[70:71], s[18:19], s[6:7]
	v_cmp_eq_u64_e64 s[6:7], 2, v[6:7]
	s_and_b64 s[72:73], s[20:21], s[6:7]
	v_cmp_eq_u64_e64 s[6:7], 2, v[8:9]
	s_and_b64 s[74:75], s[22:23], s[6:7]
	v_cmp_ne_u32_e64 s[6:7], 0, v23
	v_cndmask_b32_e64 v23, 0, 1, s[70:71]
	s_bcnt1_i32_b64 s24, s[6:7]
	v_cmp_ne_u32_e64 s[6:7], 0, v23
	v_cndmask_b32_e64 v23, 0, 1, s[72:73]
	s_bcnt1_i32_b64 s25, s[6:7]
	;; [unrolled: 3-line block ×3, first 2 shown]
	v_cmp_ne_u32_e64 s[6:7], 0, v23
	s_bcnt1_i32_b64 s6, s[6:7]
	s_add_i32 s7, s36, s24
	s_add_i32 s7, s7, s25
	;; [unrolled: 1-line block ×4, first 2 shown]
	v_cmp_eq_u64_e64 s[6:7], 3, v[11:12]
	s_and_b64 s[6:7], vcc, s[6:7]
	v_cmp_eq_u64_e32 vcc, 3, v[2:3]
	v_cndmask_b32_e64 v2, 0, 1, s[6:7]
	s_and_b64 s[18:19], s[18:19], vcc
	v_cmp_eq_u64_e32 vcc, 3, v[6:7]
	v_mov_b32_e32 v6, s38
	s_and_b64 s[20:21], s[20:21], vcc
	v_cmp_eq_u64_e32 vcc, 3, v[8:9]
	v_mov_b32_e32 v7, s37
	s_and_b64 s[22:23], s[22:23], vcc
	v_cmp_ne_u32_e32 vcc, 0, v2
	v_cndmask_b32_e64 v2, 0, 1, s[18:19]
	s_bcnt1_i32_b64 s6, vcc
	v_cmp_ne_u32_e32 vcc, 0, v2
	v_cndmask_b32_e64 v2, 0, 1, s[20:21]
	s_bcnt1_i32_b64 s7, vcc
	v_cmp_ne_u32_e32 vcc, 0, v2
	v_cndmask_b32_e64 v2, 0, 1, s[22:23]
	s_add_i32 s6, s35, s6
	s_bcnt1_i32_b64 s18, vcc
	v_cmp_ne_u32_e32 vcc, 0, v2
	s_add_i32 s6, s6, s7
	s_bcnt1_i32_b64 s19, vcc
	s_add_i32 s6, s6, s18
	s_add_i32 s35, s6, s19
	v_cmp_le_i32_e32 vcc, s34, v22
	s_or_b64 s[68:69], vcc, s[68:69]
	v_mov_b32_e32 v8, s36
	v_mov_b32_e32 v9, s35
	s_andn2_b64 exec, exec, s[68:69]
	s_cbranch_execnz .LBB25_60
; %bb.61:                               ;   in Loop: Header=BB25_7 Depth=1
	s_or_b64 exec, exec, s[68:69]
.LBB25_62:                              ;   in Loop: Header=BB25_7 Depth=1
	s_or_b64 exec, exec, s[26:27]
	v_add_u32_e32 v2, s34, v0
	v_cmp_gt_i32_e32 vcc, s29, v2
	s_and_saveexec_b64 s[68:69], vcc
	s_cbranch_execz .LBB25_66
; %bb.63:                               ;   in Loop: Header=BB25_7 Depth=1
	v_lshlrev_b32_e32 v3, 3, v2
	s_mov_b64 s[70:71], 0
.LBB25_64:                              ;   Parent Loop BB25_7 Depth=1
                                        ; =>  This Inner Loop Header: Depth=2
	s_waitcnt vmcnt(0)
	ds_read_b64 v[21:22], v3
	v_add_u32_e32 v2, s40, v2
	v_cmp_le_i32_e32 vcc, s29, v2
	v_add_u32_e32 v3, s8, v3
	s_waitcnt lgkmcnt(0)
	v_xor_b32_e32 v22, 0x80000000, v22
	v_and_b32_e32 v23, v21, v19
	v_and_b32_e32 v24, v22, v20
	v_lshrrev_b64 v[21:22], s52, v[21:22]
	v_cmp_eq_u64_e64 s[6:7], v[23:24], v[17:18]
	v_and_b32_e32 v11, 3, v21
	v_cmp_eq_u64_e64 s[18:19], 0, v[11:12]
	v_cmp_eq_u64_e64 s[20:21], 1, v[11:12]
	v_cmp_eq_u64_e64 s[22:23], 2, v[11:12]
	v_cmp_eq_u64_e64 s[26:27], 3, v[11:12]
	s_and_b64 s[18:19], s[6:7], s[18:19]
	v_cndmask_b32_e64 v11, 0, 1, s[18:19]
	s_and_b64 s[18:19], s[6:7], s[20:21]
	v_cndmask_b32_e64 v21, 0, 1, s[18:19]
	s_and_b64 s[18:19], s[6:7], s[22:23]
	s_and_b64 s[6:7], s[6:7], s[26:27]
	v_cndmask_b32_e64 v22, 0, 1, s[18:19]
	v_cndmask_b32_e64 v23, 0, 1, s[6:7]
	v_cmp_ne_u32_e64 s[6:7], 0, v11
	v_cmp_ne_u32_e64 s[18:19], 0, v21
	;; [unrolled: 1-line block ×4, first 2 shown]
	s_bcnt1_i32_b64 s6, s[6:7]
	s_bcnt1_i32_b64 s7, s[18:19]
	;; [unrolled: 1-line block ×4, first 2 shown]
	v_add_u32_e32 v6, s6, v6
	v_add_u32_e32 v7, s7, v7
	;; [unrolled: 1-line block ×3, first 2 shown]
	s_or_b64 s[70:71], vcc, s[70:71]
	v_add_u32_e32 v9, s19, v9
	s_andn2_b64 exec, exec, s[70:71]
	s_cbranch_execnz .LBB25_64
; %bb.65:                               ;   in Loop: Header=BB25_7 Depth=1
	s_or_b64 exec, exec, s[70:71]
.LBB25_66:                              ;   in Loop: Header=BB25_7 Depth=1
	s_or_b64 exec, exec, s[68:69]
	s_lshl_b32 s18, s49, 6
	s_and_saveexec_b64 s[6:7], s[2:3]
	s_cbranch_execnz .LBB25_38
	s_branch .LBB25_39
.LBB25_67:                              ;   in Loop: Header=BB25_7 Depth=1
	s_or_b64 exec, exec, s[20:21]
	s_waitcnt lgkmcnt(0)
	s_barrier
	s_and_saveexec_b64 s[6:7], s[0:1]
	s_cbranch_execz .LBB25_69
; %bb.68:                               ;   in Loop: Header=BB25_7 Depth=1
	ds_read_b32 v2, v12 offset:4104
	s_waitcnt lgkmcnt(0)
	ds_write_b32 v12, v2 offset:4096
.LBB25_69:                              ;   in Loop: Header=BB25_7 Depth=1
	s_or_b64 exec, exec, s[6:7]
	s_waitcnt lgkmcnt(0)
	s_barrier
	s_mov_b64 s[6:7], -1
	s_and_b64 vcc, exec, s[18:19]
	s_cbranch_vccnz .LBB25_23
	s_branch .LBB25_33
.LBB25_70:                              ;   in Loop: Header=BB25_7 Depth=1
	v_mov_b32_e32 v2, 0
	s_mov_b32 s19, 0
.LBB25_71:                              ;   in Loop: Header=BB25_7 Depth=1
	v_readlane_b32 s20, v46, 29
	v_readlane_b32 s21, v46, 30
	s_andn2_b64 vcc, exec, s[20:21]
	s_cbranch_vccnz .LBB25_74
; %bb.72:                               ;   in Loop: Header=BB25_7 Depth=1
	s_lshl_b32 s20, s49, 8
	s_lshl_b32 s19, s19, 4
	s_add_i32 s20, s20, s19
	v_add_u32_e32 v3, s20, v40
	v_readlane_b32 s19, v46, 28
.LBB25_73:                              ;   Parent Loop BB25_7 Depth=1
                                        ; =>  This Inner Loop Header: Depth=2
	ds_read_b32 v6, v3
	s_add_i32 s19, s19, -1
	v_add_u32_e32 v3, 16, v3
	s_cmp_lg_u32 s19, 0
	s_waitcnt lgkmcnt(0)
	v_add_u32_e32 v2, v6, v2
	s_cbranch_scc1 .LBB25_73
.LBB25_74:                              ;   in Loop: Header=BB25_7 Depth=1
	v_add_lshl_u32 v3, s18, v26, 2
	ds_write_b32 v3, v2 offset:3072
.LBB25_75:                              ;   in Loop: Header=BB25_7 Depth=1
	s_or_b64 exec, exec, s[6:7]
	s_lshl_b32 s6, s18, 2
	v_mov_b32_e32 v2, s6
	s_waitcnt lgkmcnt(0)
	s_barrier
	ds_read_b128 v[6:9], v2 offset:3072
	s_lshl_b64 s[6:7], 3, s52
	s_not_b64 s[70:71], s[6:7]
	v_cmp_eq_u32_e32 vcc, 1, v41
	s_mov_b64 s[20:21], -1
	s_waitcnt lgkmcnt(0)
	v_readfirstlane_b32 s80, v6
	s_cmp_eq_u32 s80, 1
	s_cselect_b64 s[18:19], -1, 0
	v_readfirstlane_b32 s39, v7
	v_readfirstlane_b32 s38, v8
	;; [unrolled: 1-line block ×3, first 2 shown]
	s_and_b64 s[22:23], s[18:19], vcc
	s_mov_b64 s[34:35], -1
                                        ; implicit-def: $sgpr68_sgpr69
                                        ; implicit-def: $sgpr26_sgpr27
	s_and_saveexec_b64 s[18:19], s[22:23]
	s_cbranch_execz .LBB25_101
; %bb.76:                               ;   in Loop: Header=BB25_7 Depth=1
	ds_read_b32 v2, v12 offset:4096
	s_waitcnt lgkmcnt(0)
	s_barrier
	v_readfirstlane_b32 s24, v2
	s_and_saveexec_b64 s[26:27], s[4:5]
; %bb.77:                               ;   in Loop: Header=BB25_7 Depth=1
	v_mov_b32_e32 v11, v12
	ds_write_b64 v28, v[11:12]
; %bb.78:                               ;   in Loop: Header=BB25_7 Depth=1
	s_or_b64 exec, exec, s[26:27]
	v_and_b32_e32 v18, s71, v18
	v_and_b32_e32 v17, s70, v17
	v_or_b32_e32 v20, s7, v20
	v_or_b32_e32 v19, s6, v19
	s_mov_b64 s[26:27], -1
	s_mov_b64 s[68:69], 0
	s_cmp_lt_i32 s24, 1
	s_mov_b64 s[72:73], 0
	s_mov_b64 s[74:75], -1
	s_waitcnt lgkmcnt(0)
	s_barrier
                                        ; implicit-def: $vgpr4_vgpr5
	s_cbranch_scc0 .LBB25_89
; %bb.79:                               ;   in Loop: Header=BB25_7 Depth=1
	s_mov_b64 s[74:75], 0
                                        ; implicit-def: $vgpr4_vgpr5
	s_mov_b64 s[76:77], exec
	v_readlane_b32 s34, v46, 32
	v_readlane_b32 s35, v46, 33
	s_and_b64 s[34:35], s[76:77], s[34:35]
	s_mov_b64 exec, s[34:35]
	s_cbranch_execz .LBB25_88
; %bb.80:                               ;   in Loop: Header=BB25_7 Depth=1
	v_mov_b32_e32 v6, v10
	v_mov_b32_e32 v8, v0
                                        ; implicit-def: $sgpr34_sgpr35
	s_branch .LBB25_83
.LBB25_81:                              ;   in Loop: Header=BB25_83 Depth=2
	s_or_b64 exec, exec, s[36:37]
	s_waitcnt lgkmcnt(0)
	s_barrier
	ds_read_b128 v[2:5], v12 offset:3072
	s_mov_b64 s[36:37], -1
	s_mov_b64 s[78:79], -1
	s_waitcnt lgkmcnt(0)
	s_barrier
	v_cmp_ne_u64_e32 vcc, 0, v[2:3]
	s_cbranch_vccz .LBB25_86
.LBB25_82:                              ;   in Loop: Header=BB25_83 Depth=2
	s_and_b64 s[36:37], exec, s[36:37]
	s_or_b64 s[72:73], s[36:37], s[72:73]
	s_andn2_b64 s[34:35], s[34:35], exec
	s_and_b64 s[36:37], s[78:79], exec
	s_or_b64 s[34:35], s[34:35], s[36:37]
	s_andn2_b64 exec, exec, s[72:73]
	s_cbranch_execz .LBB25_87
.LBB25_83:                              ;   Parent Loop BB25_7 Depth=1
                                        ; =>  This Inner Loop Header: Depth=2
	v_cmp_gt_i32_e32 vcc, s28, v8
	s_and_saveexec_b64 s[36:37], vcc
	s_cbranch_execz .LBB25_81
; %bb.84:                               ;   in Loop: Header=BB25_83 Depth=2
	v_ashrrev_i32_e32 v7, 31, v6
	v_lshlrev_b64 v[2:3], 3, v[6:7]
	v_mov_b32_e32 v4, s41
	v_add_co_u32_e32 v2, vcc, s30, v2
	v_addc_co_u32_e32 v3, vcc, v4, v3, vcc
	global_load_dwordx2 v[3:4], v[2:3], off
	s_waitcnt vmcnt(0)
	v_xor_b32_e32 v2, 0x80000000, v4
	v_and_b32_e32 v22, v2, v20
	v_and_b32_e32 v21, v3, v19
	v_cmp_eq_u64_e32 vcc, v[21:22], v[17:18]
	s_and_b64 exec, exec, vcc
	s_cbranch_execz .LBB25_81
; %bb.85:                               ;   in Loop: Header=BB25_83 Depth=2
	v_mov_b32_e32 v2, v12
	ds_write_b128 v12, v[1:4] offset:3072
	s_branch .LBB25_81
.LBB25_86:                              ;   in Loop: Header=BB25_83 Depth=2
	v_add_u32_e32 v8, s40, v8
	v_cmp_le_i32_e32 vcc, s53, v8
	v_add_u32_e32 v6, s48, v6
	s_mov_b64 s[78:79], 0
	s_orn2_b64 s[36:37], vcc, exec
	s_branch .LBB25_82
.LBB25_87:                              ;   in Loop: Header=BB25_7 Depth=1
	s_or_b64 exec, exec, s[72:73]
	s_and_b64 s[72:73], s[34:35], exec
.LBB25_88:                              ;   in Loop: Header=BB25_7 Depth=1
	s_or_b64 exec, exec, s[76:77]
.LBB25_89:                              ;   in Loop: Header=BB25_7 Depth=1
	s_and_b64 vcc, exec, s[74:75]
	s_cbranch_vccz .LBB25_100
; %bb.90:                               ;   in Loop: Header=BB25_7 Depth=1
	v_readlane_b32 s25, v46, 19
	s_add_i32 s25, s24, s25
	s_abs_i32 s27, s25
	v_readlane_b32 s34, v46, 31
	s_mul_hi_u32 s34, s27, s34
	s_mul_i32 s34, s34, s40
	s_sub_i32 s27, s27, s34
	s_ashr_i32 s26, s25, 31
	s_sub_i32 s34, s27, s40
	s_cmp_ge_u32 s27, s40
	s_cselect_b32 s27, s34, s27
	s_sub_i32 s34, s27, s40
	s_cmp_ge_u32 s27, s40
	s_cselect_b32 s27, s34, s27
	s_xor_b32 s27, s27, s26
	s_sub_i32 s26, s26, s27
	s_add_i32 s25, s25, s26
	v_cmp_gt_i32_e32 vcc, s25, v0
                                        ; implicit-def: $vgpr4_vgpr5
	s_and_saveexec_b64 s[26:27], vcc
	s_cbranch_execz .LBB25_99
; %bb.91:                               ;   in Loop: Header=BB25_7 Depth=1
	s_mov_b64 s[68:69], 0
	v_mov_b32_e32 v6, v27
	v_mov_b32_e32 v7, v0
                                        ; implicit-def: $sgpr34_sgpr35
	s_branch .LBB25_94
.LBB25_92:                              ;   in Loop: Header=BB25_94 Depth=2
	s_or_b64 exec, exec, s[36:37]
	s_waitcnt lgkmcnt(0)
	s_barrier
	ds_read_b128 v[2:5], v12 offset:3072
	s_mov_b64 s[36:37], -1
	s_mov_b64 s[74:75], -1
	s_waitcnt lgkmcnt(0)
	s_barrier
	v_cmp_ne_u64_e32 vcc, 0, v[2:3]
	s_cbranch_vccz .LBB25_97
.LBB25_93:                              ;   in Loop: Header=BB25_94 Depth=2
	s_and_b64 s[36:37], exec, s[36:37]
	s_or_b64 s[68:69], s[36:37], s[68:69]
	s_andn2_b64 s[34:35], s[34:35], exec
	s_and_b64 s[36:37], s[74:75], exec
	s_or_b64 s[34:35], s[34:35], s[36:37]
	s_andn2_b64 exec, exec, s[68:69]
	s_cbranch_execz .LBB25_98
.LBB25_94:                              ;   Parent Loop BB25_7 Depth=1
                                        ; =>  This Inner Loop Header: Depth=2
	v_cmp_gt_i32_e32 vcc, s24, v7
	s_and_saveexec_b64 s[36:37], vcc
	s_cbranch_execz .LBB25_92
; %bb.95:                               ;   in Loop: Header=BB25_94 Depth=2
	ds_read_b64 v[3:4], v6
	s_waitcnt lgkmcnt(0)
	v_xor_b32_e32 v2, 0x80000000, v4
	v_and_b32_e32 v9, v2, v20
	v_and_b32_e32 v8, v3, v19
	v_cmp_eq_u64_e32 vcc, v[8:9], v[17:18]
	s_and_b64 exec, exec, vcc
	s_cbranch_execz .LBB25_92
; %bb.96:                               ;   in Loop: Header=BB25_94 Depth=2
	v_mov_b32_e32 v2, v12
	ds_write_b128 v12, v[1:4] offset:3072
	s_branch .LBB25_92
.LBB25_97:                              ;   in Loop: Header=BB25_94 Depth=2
	v_add_u32_e32 v7, s40, v7
	v_cmp_le_i32_e32 vcc, s25, v7
	v_add_u32_e32 v6, s8, v6
	s_mov_b64 s[74:75], 0
	s_orn2_b64 s[36:37], vcc, exec
	s_branch .LBB25_93
.LBB25_98:                              ;   in Loop: Header=BB25_7 Depth=1
	s_or_b64 exec, exec, s[68:69]
	s_andn2_b64 s[24:25], s[72:73], exec
	s_and_b64 s[34:35], s[34:35], exec
	s_or_b64 s[72:73], s[24:25], s[34:35]
.LBB25_99:                              ;   in Loop: Header=BB25_7 Depth=1
	s_or_b64 exec, exec, s[26:27]
	s_mov_b64 s[26:27], 0
	s_mov_b64 s[68:69], -1
.LBB25_100:                             ;   in Loop: Header=BB25_7 Depth=1
	s_orn2_b64 s[34:35], s[72:73], exec
.LBB25_101:                             ;   in Loop: Header=BB25_7 Depth=1
	s_or_b64 exec, exec, s[18:19]
	s_andn2_b64 s[18:19], s[66:67], exec
	s_and_b64 s[36:37], s[68:69], exec
	s_or_b64 s[66:67], s[18:19], s[36:37]
	s_andn2_b64 s[18:19], s[64:65], exec
	s_and_b64 s[26:27], s[26:27], exec
	v_readfirstlane_b32 s24, v0
	v_readfirstlane_b32 s25, v0
	s_andn2_b64 s[62:63], s[62:63], exec
	s_or_b64 s[64:65], s[18:19], s[26:27]
                                        ; implicit-def: $vgpr9
	s_and_saveexec_b64 s[18:19], s[34:35]
	s_cbranch_execz .LBB25_6
; %bb.102:                              ;   in Loop: Header=BB25_7 Depth=1
	s_xor_b64 s[24:25], s[22:23], -1
	s_mov_b64 s[22:23], 0
	v_mov_b32_e32 v9, 1
	v_mov_b32_e32 v8, 1
	s_and_saveexec_b64 s[20:21], s[24:25]
	s_cbranch_execz .LBB25_111
; %bb.103:                              ;   in Loop: Header=BB25_7 Depth=1
	v_cmp_ge_i32_e32 vcc, s80, v41
	s_and_saveexec_b64 s[22:23], vcc
	s_xor_b64 s[22:23], exec, s[22:23]
	s_cbranch_execz .LBB25_108
; %bb.104:                              ;   in Loop: Header=BB25_7 Depth=1
	ds_read_b32 v2, v12 offset:4096
	v_and_b32_e32 v18, s71, v18
	v_and_b32_e32 v17, s70, v17
	v_or_b32_e32 v20, s7, v20
	v_or_b32_e32 v19, s6, v19
	s_waitcnt lgkmcnt(0)
	v_cmp_ne_u32_e32 vcc, 0, v2
	s_cbranch_vccnz .LBB25_108
; %bb.105:                              ;   in Loop: Header=BB25_7 Depth=1
	s_and_saveexec_b64 s[26:27], s[0:1]
; %bb.106:                              ;   in Loop: Header=BB25_7 Depth=1
	v_mov_b32_e32 v2, s80
	ds_write_b32 v12, v2 offset:4100
; %bb.107:                              ;   in Loop: Header=BB25_7 Depth=1
	s_or_b64 exec, exec, s[26:27]
	s_waitcnt lgkmcnt(0)
	s_barrier
.LBB25_108:                             ;   in Loop: Header=BB25_7 Depth=1
	s_or_saveexec_b64 s[22:23], s[22:23]
	s_mov_b64 s[26:27], 0
	v_mov_b32_e32 v8, 8
	s_xor_b64 exec, exec, s[22:23]
; %bb.109:                              ;   in Loop: Header=BB25_7 Depth=1
	s_mov_b64 s[26:27], exec
	v_subrev_u32_e32 v41, s80, v41
	v_mov_b32_e32 v8, 0
; %bb.110:                              ;   in Loop: Header=BB25_7 Depth=1
	s_or_b64 exec, exec, s[22:23]
	s_and_b64 s[22:23], s[26:27], exec
	v_mov_b32_e32 v9, v41
.LBB25_111:                             ;   in Loop: Header=BB25_7 Depth=1
	s_or_b64 exec, exec, s[20:21]
	s_mov_b64 s[20:21], -1
	s_mov_b64 s[34:35], -1
                                        ; implicit-def: $sgpr26_sgpr27
                                        ; implicit-def: $sgpr68_sgpr69
	s_and_saveexec_b64 s[24:25], s[22:23]
	s_xor_b64 s[22:23], exec, s[24:25]
	s_cbranch_execz .LBB25_228
; %bb.112:                              ;   in Loop: Header=BB25_7 Depth=1
	s_cmp_eq_u32 s39, 1
	s_cselect_b64 s[24:25], -1, 0
	v_cmp_eq_u32_e32 vcc, 1, v9
	s_and_b64 s[74:75], s[24:25], vcc
                                        ; implicit-def: $sgpr68_sgpr69
                                        ; implicit-def: $sgpr26_sgpr27
	s_and_saveexec_b64 s[72:73], s[74:75]
	s_cbranch_execz .LBB25_138
; %bb.113:                              ;   in Loop: Header=BB25_7 Depth=1
	ds_read_b32 v2, v12 offset:4096
	s_waitcnt lgkmcnt(0)
	s_barrier
	v_readfirstlane_b32 s84, v2
	s_and_saveexec_b64 s[26:27], s[4:5]
; %bb.114:                              ;   in Loop: Header=BB25_7 Depth=1
	v_mov_b32_e32 v11, v12
	ds_write_b64 v28, v[11:12]
; %bb.115:                              ;   in Loop: Header=BB25_7 Depth=1
	s_or_b64 exec, exec, s[26:27]
	s_lshl_b64 s[24:25], 1, s52
	v_and_b32_e32 v2, s71, v18
	v_and_b32_e32 v3, s70, v17
	v_or_b32_e32 v18, s25, v2
	v_or_b32_e32 v17, s24, v3
	;; [unrolled: 1-line block ×4, first 2 shown]
	s_mov_b64 s[26:27], -1
	s_mov_b64 s[68:69], 0
	s_cmp_gt_i32 s84, 0
	s_mov_b64 s[76:77], 0
	s_mov_b64 s[78:79], -1
	s_waitcnt lgkmcnt(0)
	s_barrier
                                        ; implicit-def: $vgpr4_vgpr5
	s_cbranch_scc1 .LBB25_126
; %bb.116:                              ;   in Loop: Header=BB25_7 Depth=1
	s_mov_b64 s[78:79], 0
                                        ; implicit-def: $vgpr4_vgpr5
	s_mov_b64 s[80:81], exec
	v_readlane_b32 s24, v46, 32
	v_readlane_b32 s25, v46, 33
	s_and_b64 s[24:25], s[80:81], s[24:25]
	s_mov_b64 exec, s[24:25]
	s_cbranch_execz .LBB25_125
; %bb.117:                              ;   in Loop: Header=BB25_7 Depth=1
	v_mov_b32_e32 v6, v10
	v_mov_b32_e32 v11, v0
                                        ; implicit-def: $sgpr82_sgpr83
	s_branch .LBB25_120
.LBB25_118:                             ;   in Loop: Header=BB25_120 Depth=2
	s_or_b64 exec, exec, s[34:35]
	s_waitcnt lgkmcnt(0)
	s_barrier
	ds_read_b128 v[2:5], v12 offset:3072
	s_mov_b64 s[34:35], -1
	s_mov_b64 s[36:37], -1
	s_waitcnt lgkmcnt(0)
	s_barrier
	v_cmp_ne_u64_e32 vcc, 0, v[2:3]
	s_cbranch_vccz .LBB25_123
.LBB25_119:                             ;   in Loop: Header=BB25_120 Depth=2
	s_and_b64 s[24:25], exec, s[34:35]
	s_or_b64 s[76:77], s[24:25], s[76:77]
	s_andn2_b64 s[24:25], s[82:83], exec
	s_and_b64 s[34:35], s[36:37], exec
	s_or_b64 s[82:83], s[24:25], s[34:35]
	s_andn2_b64 exec, exec, s[76:77]
	s_cbranch_execz .LBB25_124
.LBB25_120:                             ;   Parent Loop BB25_7 Depth=1
                                        ; =>  This Inner Loop Header: Depth=2
	v_cmp_gt_i32_e32 vcc, s28, v11
	s_and_saveexec_b64 s[34:35], vcc
	s_cbranch_execz .LBB25_118
; %bb.121:                              ;   in Loop: Header=BB25_120 Depth=2
	v_ashrrev_i32_e32 v7, 31, v6
	v_lshlrev_b64 v[2:3], 3, v[6:7]
	v_mov_b32_e32 v4, s41
	v_add_co_u32_e32 v2, vcc, s30, v2
	v_addc_co_u32_e32 v3, vcc, v4, v3, vcc
	global_load_dwordx2 v[3:4], v[2:3], off
	s_waitcnt vmcnt(0)
	v_xor_b32_e32 v2, 0x80000000, v4
	v_and_b32_e32 v22, v2, v20
	v_and_b32_e32 v21, v3, v19
	v_cmp_eq_u64_e32 vcc, v[21:22], v[17:18]
	s_and_b64 exec, exec, vcc
	s_cbranch_execz .LBB25_118
; %bb.122:                              ;   in Loop: Header=BB25_120 Depth=2
	v_mov_b32_e32 v2, v12
	ds_write_b128 v12, v[1:4] offset:3072
	s_branch .LBB25_118
.LBB25_123:                             ;   in Loop: Header=BB25_120 Depth=2
	v_add_u32_e32 v11, s40, v11
	v_cmp_le_i32_e32 vcc, s53, v11
	v_add_u32_e32 v6, s48, v6
	s_mov_b64 s[36:37], 0
	s_orn2_b64 s[34:35], vcc, exec
	s_branch .LBB25_119
.LBB25_124:                             ;   in Loop: Header=BB25_7 Depth=1
	s_or_b64 exec, exec, s[76:77]
	s_and_b64 s[76:77], s[82:83], exec
.LBB25_125:                             ;   in Loop: Header=BB25_7 Depth=1
	s_or_b64 exec, exec, s[80:81]
.LBB25_126:                             ;   in Loop: Header=BB25_7 Depth=1
	s_and_b64 vcc, exec, s[78:79]
	s_cbranch_vccz .LBB25_137
; %bb.127:                              ;   in Loop: Header=BB25_7 Depth=1
	v_readlane_b32 s24, v46, 19
	s_add_i32 s24, s84, s24
	s_abs_i32 s26, s24
	v_readlane_b32 s27, v46, 31
	s_mul_hi_u32 s27, s26, s27
	s_mul_i32 s27, s27, s40
	s_sub_i32 s26, s26, s27
	s_ashr_i32 s25, s24, 31
	s_sub_i32 s27, s26, s40
	s_cmp_ge_u32 s26, s40
	s_cselect_b32 s26, s27, s26
	s_sub_i32 s27, s26, s40
	s_cmp_ge_u32 s26, s40
	s_cselect_b32 s26, s27, s26
	s_xor_b32 s26, s26, s25
	s_sub_i32 s25, s25, s26
	s_add_i32 s24, s24, s25
	v_cmp_gt_i32_e32 vcc, s24, v0
                                        ; implicit-def: $vgpr4_vgpr5
	s_and_saveexec_b64 s[26:27], vcc
	s_cbranch_execz .LBB25_136
; %bb.128:                              ;   in Loop: Header=BB25_7 Depth=1
	s_mov_b64 s[34:35], 0
	v_mov_b32_e32 v6, v27
	v_mov_b32_e32 v7, v0
                                        ; implicit-def: $sgpr68_sgpr69
	s_branch .LBB25_131
.LBB25_129:                             ;   in Loop: Header=BB25_131 Depth=2
	s_or_b64 exec, exec, s[36:37]
	s_waitcnt lgkmcnt(0)
	s_barrier
	ds_read_b128 v[2:5], v12 offset:3072
	s_mov_b64 s[36:37], -1
	s_mov_b64 s[78:79], -1
	s_waitcnt lgkmcnt(0)
	s_barrier
	v_cmp_eq_u64_e32 vcc, 0, v[2:3]
	s_cbranch_vccnz .LBB25_134
.LBB25_130:                             ;   in Loop: Header=BB25_131 Depth=2
	s_and_b64 s[36:37], exec, s[36:37]
	s_or_b64 s[34:35], s[36:37], s[34:35]
	s_andn2_b64 s[36:37], s[68:69], exec
	s_and_b64 s[68:69], s[78:79], exec
	s_or_b64 s[68:69], s[36:37], s[68:69]
	s_andn2_b64 exec, exec, s[34:35]
	s_cbranch_execz .LBB25_135
.LBB25_131:                             ;   Parent Loop BB25_7 Depth=1
                                        ; =>  This Inner Loop Header: Depth=2
	v_cmp_gt_i32_e32 vcc, s84, v7
	s_and_saveexec_b64 s[36:37], vcc
	s_cbranch_execz .LBB25_129
; %bb.132:                              ;   in Loop: Header=BB25_131 Depth=2
	ds_read_b64 v[3:4], v6
	s_waitcnt lgkmcnt(0)
	v_xor_b32_e32 v2, 0x80000000, v4
	v_and_b32_e32 v22, v2, v20
	v_and_b32_e32 v21, v3, v19
	v_cmp_eq_u64_e32 vcc, v[21:22], v[17:18]
	s_and_b64 exec, exec, vcc
	s_cbranch_execz .LBB25_129
; %bb.133:                              ;   in Loop: Header=BB25_131 Depth=2
	v_mov_b32_e32 v2, v12
	ds_write_b128 v12, v[1:4] offset:3072
	s_branch .LBB25_129
.LBB25_134:                             ;   in Loop: Header=BB25_131 Depth=2
	v_add_u32_e32 v7, s40, v7
	v_cmp_le_i32_e32 vcc, s24, v7
	v_add_u32_e32 v6, s8, v6
	s_mov_b64 s[78:79], 0
	s_orn2_b64 s[36:37], vcc, exec
	s_branch .LBB25_130
.LBB25_135:                             ;   in Loop: Header=BB25_7 Depth=1
	s_or_b64 exec, exec, s[34:35]
	s_andn2_b64 s[24:25], s[76:77], exec
	s_and_b64 s[34:35], s[68:69], exec
	s_or_b64 s[76:77], s[24:25], s[34:35]
.LBB25_136:                             ;   in Loop: Header=BB25_7 Depth=1
	s_or_b64 exec, exec, s[26:27]
	s_mov_b64 s[26:27], 0
	s_mov_b64 s[68:69], -1
.LBB25_137:                             ;   in Loop: Header=BB25_7 Depth=1
	s_orn2_b64 s[34:35], s[76:77], exec
.LBB25_138:                             ;   in Loop: Header=BB25_7 Depth=1
	s_or_b64 exec, exec, s[72:73]
	s_mov_b64 s[36:37], 0
	s_and_saveexec_b64 s[72:73], s[34:35]
	s_cbranch_execz .LBB25_227
; %bb.139:                              ;   in Loop: Header=BB25_7 Depth=1
	s_xor_b64 s[24:25], s[74:75], -1
	s_mov_b64 s[80:81], 0
	v_mov_b32_e32 v21, 1
	v_mov_b32_e32 v8, 1
	s_and_saveexec_b64 s[74:75], s[24:25]
	s_cbranch_execz .LBB25_148
; %bb.140:                              ;   in Loop: Header=BB25_7 Depth=1
	v_cmp_ge_i32_e32 vcc, s39, v9
	s_and_saveexec_b64 s[24:25], vcc
	s_xor_b64 s[34:35], exec, s[24:25]
	s_cbranch_execz .LBB25_145
; %bb.141:                              ;   in Loop: Header=BB25_7 Depth=1
	s_lshl_b64 s[24:25], 1, s52
	v_and_b32_e32 v2, s71, v18
	v_or_b32_e32 v18, s25, v2
	ds_read_b32 v2, v12 offset:4096
	v_and_b32_e32 v3, s70, v17
	v_or_b32_e32 v17, s24, v3
	v_or_b32_e32 v20, s7, v20
	;; [unrolled: 1-line block ×3, first 2 shown]
	s_waitcnt lgkmcnt(0)
	v_cmp_ne_u32_e32 vcc, 0, v2
	s_cbranch_vccnz .LBB25_145
; %bb.142:                              ;   in Loop: Header=BB25_7 Depth=1
	s_and_saveexec_b64 s[36:37], s[0:1]
; %bb.143:                              ;   in Loop: Header=BB25_7 Depth=1
	v_mov_b32_e32 v2, s39
	ds_write_b32 v12, v2 offset:4100
; %bb.144:                              ;   in Loop: Header=BB25_7 Depth=1
	s_or_b64 exec, exec, s[36:37]
	s_waitcnt lgkmcnt(0)
	s_barrier
.LBB25_145:                             ;   in Loop: Header=BB25_7 Depth=1
	s_or_saveexec_b64 s[34:35], s[34:35]
	s_mov_b64 s[76:77], 0
	v_mov_b32_e32 v8, 8
	s_xor_b64 exec, exec, s[34:35]
; %bb.146:                              ;   in Loop: Header=BB25_7 Depth=1
	v_subrev_u32_e32 v9, s39, v9
	v_mov_b32_e32 v8, 0
	s_mov_b64 s[76:77], exec
; %bb.147:                              ;   in Loop: Header=BB25_7 Depth=1
	s_or_b64 exec, exec, s[34:35]
	s_and_b64 s[80:81], s[76:77], exec
	v_mov_b32_e32 v21, v9
.LBB25_148:                             ;   in Loop: Header=BB25_7 Depth=1
	s_or_b64 exec, exec, s[74:75]
	s_mov_b64 s[34:35], -1
                                        ; implicit-def: $sgpr76_sgpr77
                                        ; implicit-def: $sgpr78_sgpr79
	s_and_saveexec_b64 s[74:75], s[80:81]
	s_cbranch_execz .LBB25_226
; %bb.149:                              ;   in Loop: Header=BB25_7 Depth=1
	s_cmp_eq_u32 s38, 1
	s_cselect_b64 s[24:25], -1, 0
	v_cmp_eq_u32_e32 vcc, 1, v21
	s_and_b64 s[82:83], s[24:25], vcc
                                        ; implicit-def: $sgpr78_sgpr79
                                        ; implicit-def: $sgpr76_sgpr77
	s_and_saveexec_b64 s[80:81], s[82:83]
	s_cbranch_execz .LBB25_175
; %bb.150:                              ;   in Loop: Header=BB25_7 Depth=1
	ds_read_b32 v2, v12 offset:4096
	s_waitcnt lgkmcnt(0)
	s_barrier
	v_readfirstlane_b32 s39, v2
	s_and_saveexec_b64 s[34:35], s[4:5]
; %bb.151:                              ;   in Loop: Header=BB25_7 Depth=1
	v_mov_b32_e32 v11, v12
	ds_write_b64 v28, v[11:12]
; %bb.152:                              ;   in Loop: Header=BB25_7 Depth=1
	s_or_b64 exec, exec, s[34:35]
	s_lshl_b64 s[24:25], 2, s52
	v_and_b32_e32 v2, s71, v18
	v_and_b32_e32 v3, s70, v17
	v_or_b32_e32 v18, s25, v2
	v_or_b32_e32 v17, s24, v3
	;; [unrolled: 1-line block ×4, first 2 shown]
	s_mov_b64 s[76:77], -1
	s_mov_b64 s[78:79], 0
	s_cmp_gt_i32 s39, 0
	s_mov_b64 s[84:85], 0
	s_mov_b64 s[86:87], -1
	s_waitcnt lgkmcnt(0)
	s_barrier
                                        ; implicit-def: $vgpr4_vgpr5
	s_cbranch_scc1 .LBB25_163
; %bb.153:                              ;   in Loop: Header=BB25_7 Depth=1
	s_mov_b64 s[86:87], 0
                                        ; implicit-def: $vgpr4_vgpr5
	s_mov_b64 s[88:89], exec
	v_readlane_b32 s24, v46, 32
	v_readlane_b32 s25, v46, 33
	s_and_b64 s[24:25], s[88:89], s[24:25]
	s_mov_b64 exec, s[24:25]
	s_cbranch_execz .LBB25_162
; %bb.154:                              ;   in Loop: Header=BB25_7 Depth=1
	v_mov_b32_e32 v6, v10
	v_mov_b32_e32 v9, v0
                                        ; implicit-def: $sgpr90_sgpr91
	s_branch .LBB25_157
.LBB25_155:                             ;   in Loop: Header=BB25_157 Depth=2
	s_or_b64 exec, exec, s[34:35]
	s_waitcnt lgkmcnt(0)
	s_barrier
	ds_read_b128 v[2:5], v12 offset:3072
	s_mov_b64 s[34:35], -1
	s_mov_b64 s[36:37], -1
	s_waitcnt lgkmcnt(0)
	s_barrier
	v_cmp_ne_u64_e32 vcc, 0, v[2:3]
	s_cbranch_vccz .LBB25_160
.LBB25_156:                             ;   in Loop: Header=BB25_157 Depth=2
	s_and_b64 s[24:25], exec, s[34:35]
	s_or_b64 s[84:85], s[24:25], s[84:85]
	s_andn2_b64 s[24:25], s[90:91], exec
	s_and_b64 s[34:35], s[36:37], exec
	s_or_b64 s[90:91], s[24:25], s[34:35]
	s_andn2_b64 exec, exec, s[84:85]
	s_cbranch_execz .LBB25_161
.LBB25_157:                             ;   Parent Loop BB25_7 Depth=1
                                        ; =>  This Inner Loop Header: Depth=2
	v_cmp_gt_i32_e32 vcc, s28, v9
	s_and_saveexec_b64 s[34:35], vcc
	s_cbranch_execz .LBB25_155
; %bb.158:                              ;   in Loop: Header=BB25_157 Depth=2
	v_ashrrev_i32_e32 v7, 31, v6
	v_lshlrev_b64 v[2:3], 3, v[6:7]
	v_mov_b32_e32 v4, s41
	v_add_co_u32_e32 v2, vcc, s30, v2
	v_addc_co_u32_e32 v3, vcc, v4, v3, vcc
	global_load_dwordx2 v[3:4], v[2:3], off
	s_waitcnt vmcnt(0)
	v_xor_b32_e32 v2, 0x80000000, v4
	v_and_b32_e32 v23, v2, v20
	v_and_b32_e32 v22, v3, v19
	v_cmp_eq_u64_e32 vcc, v[22:23], v[17:18]
	s_and_b64 exec, exec, vcc
	s_cbranch_execz .LBB25_155
; %bb.159:                              ;   in Loop: Header=BB25_157 Depth=2
	v_mov_b32_e32 v2, v12
	ds_write_b128 v12, v[1:4] offset:3072
	s_branch .LBB25_155
.LBB25_160:                             ;   in Loop: Header=BB25_157 Depth=2
	v_add_u32_e32 v9, s40, v9
	v_cmp_le_i32_e32 vcc, s53, v9
	v_add_u32_e32 v6, s48, v6
	s_mov_b64 s[36:37], 0
	s_orn2_b64 s[34:35], vcc, exec
	s_branch .LBB25_156
.LBB25_161:                             ;   in Loop: Header=BB25_7 Depth=1
	s_or_b64 exec, exec, s[84:85]
	s_and_b64 s[84:85], s[90:91], exec
.LBB25_162:                             ;   in Loop: Header=BB25_7 Depth=1
	s_or_b64 exec, exec, s[88:89]
.LBB25_163:                             ;   in Loop: Header=BB25_7 Depth=1
	s_and_b64 vcc, exec, s[86:87]
	s_cbranch_vccz .LBB25_174
; %bb.164:                              ;   in Loop: Header=BB25_7 Depth=1
	v_readlane_b32 s24, v46, 19
	s_add_i32 s24, s39, s24
	s_abs_i32 s34, s24
	v_readlane_b32 s35, v46, 31
	s_mul_hi_u32 s35, s34, s35
	s_mul_i32 s35, s35, s40
	s_sub_i32 s34, s34, s35
	s_ashr_i32 s25, s24, 31
	s_sub_i32 s35, s34, s40
	s_cmp_ge_u32 s34, s40
	s_cselect_b32 s34, s35, s34
	s_sub_i32 s35, s34, s40
	s_cmp_ge_u32 s34, s40
	s_cselect_b32 s34, s35, s34
	s_xor_b32 s34, s34, s25
	s_sub_i32 s25, s25, s34
	s_add_i32 s24, s24, s25
	v_cmp_gt_i32_e32 vcc, s24, v0
                                        ; implicit-def: $vgpr4_vgpr5
	s_and_saveexec_b64 s[76:77], vcc
	s_cbranch_execz .LBB25_173
; %bb.165:                              ;   in Loop: Header=BB25_7 Depth=1
	s_mov_b64 s[34:35], 0
	v_mov_b32_e32 v6, v27
	v_mov_b32_e32 v7, v0
                                        ; implicit-def: $sgpr78_sgpr79
	s_branch .LBB25_168
.LBB25_166:                             ;   in Loop: Header=BB25_168 Depth=2
	s_or_b64 exec, exec, s[36:37]
	s_waitcnt lgkmcnt(0)
	s_barrier
	ds_read_b128 v[2:5], v12 offset:3072
	s_mov_b64 s[36:37], -1
	s_mov_b64 s[86:87], -1
	s_waitcnt lgkmcnt(0)
	s_barrier
	v_cmp_eq_u64_e32 vcc, 0, v[2:3]
	s_cbranch_vccnz .LBB25_171
.LBB25_167:                             ;   in Loop: Header=BB25_168 Depth=2
	s_and_b64 s[36:37], exec, s[36:37]
	s_or_b64 s[34:35], s[36:37], s[34:35]
	s_andn2_b64 s[36:37], s[78:79], exec
	s_and_b64 s[78:79], s[86:87], exec
	s_or_b64 s[78:79], s[36:37], s[78:79]
	s_andn2_b64 exec, exec, s[34:35]
	s_cbranch_execz .LBB25_172
.LBB25_168:                             ;   Parent Loop BB25_7 Depth=1
                                        ; =>  This Inner Loop Header: Depth=2
	v_cmp_gt_i32_e32 vcc, s39, v7
	s_and_saveexec_b64 s[36:37], vcc
	s_cbranch_execz .LBB25_166
; %bb.169:                              ;   in Loop: Header=BB25_168 Depth=2
	ds_read_b64 v[3:4], v6
	s_waitcnt lgkmcnt(0)
	v_xor_b32_e32 v2, 0x80000000, v4
	v_and_b32_e32 v23, v2, v20
	v_and_b32_e32 v22, v3, v19
	v_cmp_eq_u64_e32 vcc, v[22:23], v[17:18]
	s_and_b64 exec, exec, vcc
	s_cbranch_execz .LBB25_166
; %bb.170:                              ;   in Loop: Header=BB25_168 Depth=2
	v_mov_b32_e32 v2, v12
	ds_write_b128 v12, v[1:4] offset:3072
	s_branch .LBB25_166
.LBB25_171:                             ;   in Loop: Header=BB25_168 Depth=2
	v_add_u32_e32 v7, s40, v7
	v_cmp_le_i32_e32 vcc, s24, v7
	v_add_u32_e32 v6, s8, v6
	s_mov_b64 s[86:87], 0
	s_orn2_b64 s[36:37], vcc, exec
	s_branch .LBB25_167
.LBB25_172:                             ;   in Loop: Header=BB25_7 Depth=1
	s_or_b64 exec, exec, s[34:35]
	s_andn2_b64 s[24:25], s[84:85], exec
	s_and_b64 s[34:35], s[78:79], exec
	s_or_b64 s[84:85], s[24:25], s[34:35]
.LBB25_173:                             ;   in Loop: Header=BB25_7 Depth=1
	s_or_b64 exec, exec, s[76:77]
	s_mov_b64 s[76:77], 0
	s_mov_b64 s[78:79], -1
.LBB25_174:                             ;   in Loop: Header=BB25_7 Depth=1
	s_orn2_b64 s[34:35], s[84:85], exec
.LBB25_175:                             ;   in Loop: Header=BB25_7 Depth=1
	s_or_b64 exec, exec, s[80:81]
	s_mov_b64 s[36:37], 0
	s_and_saveexec_b64 s[80:81], s[34:35]
	s_cbranch_execz .LBB25_225
; %bb.176:                              ;   in Loop: Header=BB25_7 Depth=1
	s_xor_b64 s[24:25], s[82:83], -1
	s_mov_b64 s[86:87], 0
	v_mov_b32_e32 v9, 1
	v_mov_b32_e32 v8, 1
	s_and_saveexec_b64 s[82:83], s[24:25]
	s_cbranch_execz .LBB25_185
; %bb.177:                              ;   in Loop: Header=BB25_7 Depth=1
	v_cmp_ge_i32_e32 vcc, s38, v21
	s_and_saveexec_b64 s[24:25], vcc
	s_xor_b64 s[34:35], exec, s[24:25]
	s_cbranch_execz .LBB25_182
; %bb.178:                              ;   in Loop: Header=BB25_7 Depth=1
	s_lshl_b64 s[24:25], 2, s52
	v_and_b32_e32 v2, s71, v18
	v_or_b32_e32 v18, s25, v2
	ds_read_b32 v2, v12 offset:4096
	v_and_b32_e32 v3, s70, v17
	v_or_b32_e32 v17, s24, v3
	v_or_b32_e32 v20, s7, v20
	;; [unrolled: 1-line block ×3, first 2 shown]
	s_waitcnt lgkmcnt(0)
	v_cmp_ne_u32_e32 vcc, 0, v2
	s_cbranch_vccnz .LBB25_182
; %bb.179:                              ;   in Loop: Header=BB25_7 Depth=1
	s_and_saveexec_b64 s[36:37], s[0:1]
; %bb.180:                              ;   in Loop: Header=BB25_7 Depth=1
	v_mov_b32_e32 v2, s38
	ds_write_b32 v12, v2 offset:4100
; %bb.181:                              ;   in Loop: Header=BB25_7 Depth=1
	s_or_b64 exec, exec, s[36:37]
	s_waitcnt lgkmcnt(0)
	s_barrier
.LBB25_182:                             ;   in Loop: Header=BB25_7 Depth=1
	s_or_saveexec_b64 s[34:35], s[34:35]
	s_mov_b64 s[70:71], 0
	v_mov_b32_e32 v8, 8
	s_xor_b64 exec, exec, s[34:35]
; %bb.183:                              ;   in Loop: Header=BB25_7 Depth=1
	v_subrev_u32_e32 v21, s38, v21
	v_mov_b32_e32 v8, 0
	s_mov_b64 s[70:71], exec
; %bb.184:                              ;   in Loop: Header=BB25_7 Depth=1
	s_or_b64 exec, exec, s[34:35]
	s_and_b64 s[86:87], s[70:71], exec
	v_mov_b32_e32 v9, v21
.LBB25_185:                             ;   in Loop: Header=BB25_7 Depth=1
	s_or_b64 exec, exec, s[82:83]
	s_mov_b64 s[34:35], -1
                                        ; implicit-def: $sgpr84_sgpr85
                                        ; implicit-def: $sgpr82_sgpr83
	s_and_saveexec_b64 s[70:71], s[86:87]
	s_cbranch_execz .LBB25_224
; %bb.186:                              ;   in Loop: Header=BB25_7 Depth=1
	s_cmp_eq_u32 s29, 1
	s_cselect_b64 s[24:25], -1, 0
	v_cmp_eq_u32_e32 vcc, 1, v9
	s_and_b64 s[86:87], s[24:25], vcc
                                        ; implicit-def: $sgpr84_sgpr85
                                        ; implicit-def: $sgpr82_sgpr83
	s_and_saveexec_b64 s[88:89], s[86:87]
	s_cbranch_execz .LBB25_212
; %bb.187:                              ;   in Loop: Header=BB25_7 Depth=1
	ds_read_b32 v2, v12 offset:4096
	s_waitcnt lgkmcnt(0)
	s_barrier
	v_readfirstlane_b32 s24, v2
	s_and_saveexec_b64 s[34:35], s[4:5]
; %bb.188:                              ;   in Loop: Header=BB25_7 Depth=1
	v_mov_b32_e32 v11, v12
	ds_write_b64 v28, v[11:12]
; %bb.189:                              ;   in Loop: Header=BB25_7 Depth=1
	s_or_b64 exec, exec, s[34:35]
	v_or_b32_e32 v18, s7, v18
	v_or_b32_e32 v17, s6, v17
	;; [unrolled: 1-line block ×4, first 2 shown]
	s_mov_b64 s[82:83], -1
	s_mov_b64 s[84:85], 0
	s_cmp_gt_i32 s24, 0
	s_mov_b64 s[90:91], 0
	s_mov_b64 s[92:93], -1
	s_waitcnt lgkmcnt(0)
	s_barrier
                                        ; implicit-def: $vgpr4_vgpr5
	s_cbranch_scc1 .LBB25_200
; %bb.190:                              ;   in Loop: Header=BB25_7 Depth=1
	s_mov_b64 s[92:93], 0
                                        ; implicit-def: $vgpr4_vgpr5
	s_mov_b64 s[94:95], exec
	v_readlane_b32 s34, v46, 32
	v_readlane_b32 s35, v46, 33
	s_and_b64 s[34:35], s[94:95], s[34:35]
	s_mov_b64 exec, s[34:35]
	s_cbranch_execz .LBB25_199
; %bb.191:                              ;   in Loop: Header=BB25_7 Depth=1
	v_mov_b32_e32 v6, v10
	v_mov_b32_e32 v11, v0
                                        ; implicit-def: $sgpr34_sgpr35
	s_branch .LBB25_194
.LBB25_192:                             ;   in Loop: Header=BB25_194 Depth=2
	s_or_b64 exec, exec, s[36:37]
	s_waitcnt lgkmcnt(0)
	s_barrier
	ds_read_b128 v[2:5], v12 offset:3072
	s_mov_b64 s[36:37], -1
	s_mov_b64 s[38:39], -1
	s_waitcnt lgkmcnt(0)
	s_barrier
	v_cmp_ne_u64_e32 vcc, 0, v[2:3]
	s_cbranch_vccz .LBB25_197
.LBB25_193:                             ;   in Loop: Header=BB25_194 Depth=2
	s_and_b64 s[36:37], exec, s[36:37]
	s_or_b64 s[90:91], s[36:37], s[90:91]
	s_andn2_b64 s[34:35], s[34:35], exec
	s_and_b64 s[36:37], s[38:39], exec
	s_or_b64 s[34:35], s[34:35], s[36:37]
	s_andn2_b64 exec, exec, s[90:91]
	s_cbranch_execz .LBB25_198
.LBB25_194:                             ;   Parent Loop BB25_7 Depth=1
                                        ; =>  This Inner Loop Header: Depth=2
	v_cmp_gt_i32_e32 vcc, s28, v11
	s_and_saveexec_b64 s[36:37], vcc
	s_cbranch_execz .LBB25_192
; %bb.195:                              ;   in Loop: Header=BB25_194 Depth=2
	v_ashrrev_i32_e32 v7, 31, v6
	v_lshlrev_b64 v[2:3], 3, v[6:7]
	v_mov_b32_e32 v4, s41
	v_add_co_u32_e32 v2, vcc, s30, v2
	v_addc_co_u32_e32 v3, vcc, v4, v3, vcc
	global_load_dwordx2 v[3:4], v[2:3], off
	s_waitcnt vmcnt(0)
	v_xor_b32_e32 v2, 0x80000000, v4
	v_and_b32_e32 v22, v2, v20
	v_and_b32_e32 v21, v3, v19
	v_cmp_eq_u64_e32 vcc, v[21:22], v[17:18]
	s_and_b64 exec, exec, vcc
	s_cbranch_execz .LBB25_192
; %bb.196:                              ;   in Loop: Header=BB25_194 Depth=2
	v_mov_b32_e32 v2, v12
	ds_write_b128 v12, v[1:4] offset:3072
	s_branch .LBB25_192
.LBB25_197:                             ;   in Loop: Header=BB25_194 Depth=2
	v_add_u32_e32 v11, s40, v11
	v_cmp_le_i32_e32 vcc, s53, v11
	v_add_u32_e32 v6, s48, v6
	s_mov_b64 s[38:39], 0
	s_orn2_b64 s[36:37], vcc, exec
	s_branch .LBB25_193
.LBB25_198:                             ;   in Loop: Header=BB25_7 Depth=1
	s_or_b64 exec, exec, s[90:91]
	s_and_b64 s[90:91], s[34:35], exec
.LBB25_199:                             ;   in Loop: Header=BB25_7 Depth=1
	s_or_b64 exec, exec, s[94:95]
.LBB25_200:                             ;   in Loop: Header=BB25_7 Depth=1
	s_and_b64 vcc, exec, s[92:93]
	s_cbranch_vccz .LBB25_211
; %bb.201:                              ;   in Loop: Header=BB25_7 Depth=1
	v_readlane_b32 s25, v46, 19
	s_add_i32 s25, s24, s25
	s_abs_i32 s35, s25
	v_readlane_b32 s36, v46, 31
	s_mul_hi_u32 s36, s35, s36
	s_mul_i32 s36, s36, s40
	s_sub_i32 s35, s35, s36
	s_ashr_i32 s34, s25, 31
	s_sub_i32 s36, s35, s40
	s_cmp_ge_u32 s35, s40
	s_cselect_b32 s35, s36, s35
	s_sub_i32 s36, s35, s40
	s_cmp_ge_u32 s35, s40
	s_cselect_b32 s35, s36, s35
	s_xor_b32 s35, s35, s34
	s_sub_i32 s34, s34, s35
	s_add_i32 s25, s25, s34
	v_cmp_gt_i32_e32 vcc, s25, v0
                                        ; implicit-def: $vgpr4_vgpr5
	s_and_saveexec_b64 s[82:83], vcc
	s_cbranch_execz .LBB25_210
; %bb.202:                              ;   in Loop: Header=BB25_7 Depth=1
	s_mov_b64 s[34:35], 0
	v_mov_b32_e32 v6, v27
	v_mov_b32_e32 v7, v0
                                        ; implicit-def: $sgpr84_sgpr85
	s_branch .LBB25_205
.LBB25_203:                             ;   in Loop: Header=BB25_205 Depth=2
	s_or_b64 exec, exec, s[36:37]
	s_waitcnt lgkmcnt(0)
	s_barrier
	ds_read_b128 v[2:5], v12 offset:3072
	s_mov_b64 s[36:37], -1
	s_mov_b64 s[38:39], -1
	s_waitcnt lgkmcnt(0)
	s_barrier
	v_cmp_eq_u64_e32 vcc, 0, v[2:3]
	s_cbranch_vccnz .LBB25_208
.LBB25_204:                             ;   in Loop: Header=BB25_205 Depth=2
	s_and_b64 s[36:37], exec, s[36:37]
	s_or_b64 s[34:35], s[36:37], s[34:35]
	s_andn2_b64 s[36:37], s[84:85], exec
	s_and_b64 s[38:39], s[38:39], exec
	s_or_b64 s[84:85], s[36:37], s[38:39]
	s_andn2_b64 exec, exec, s[34:35]
	s_cbranch_execz .LBB25_209
.LBB25_205:                             ;   Parent Loop BB25_7 Depth=1
                                        ; =>  This Inner Loop Header: Depth=2
	v_cmp_gt_i32_e32 vcc, s24, v7
	s_and_saveexec_b64 s[36:37], vcc
	s_cbranch_execz .LBB25_203
; %bb.206:                              ;   in Loop: Header=BB25_205 Depth=2
	ds_read_b64 v[3:4], v6
	s_waitcnt lgkmcnt(0)
	v_xor_b32_e32 v2, 0x80000000, v4
	v_and_b32_e32 v22, v2, v20
	v_and_b32_e32 v21, v3, v19
	v_cmp_eq_u64_e32 vcc, v[21:22], v[17:18]
	s_and_b64 exec, exec, vcc
	s_cbranch_execz .LBB25_203
; %bb.207:                              ;   in Loop: Header=BB25_205 Depth=2
	v_mov_b32_e32 v2, v12
	ds_write_b128 v12, v[1:4] offset:3072
	s_branch .LBB25_203
.LBB25_208:                             ;   in Loop: Header=BB25_205 Depth=2
	v_add_u32_e32 v7, s40, v7
	v_cmp_le_i32_e32 vcc, s25, v7
	v_add_u32_e32 v6, s8, v6
	s_mov_b64 s[38:39], 0
	s_orn2_b64 s[36:37], vcc, exec
	s_branch .LBB25_204
.LBB25_209:                             ;   in Loop: Header=BB25_7 Depth=1
	s_or_b64 exec, exec, s[34:35]
	s_andn2_b64 s[24:25], s[90:91], exec
	s_and_b64 s[34:35], s[84:85], exec
	s_or_b64 s[90:91], s[24:25], s[34:35]
.LBB25_210:                             ;   in Loop: Header=BB25_7 Depth=1
	s_or_b64 exec, exec, s[82:83]
	s_mov_b64 s[82:83], 0
	s_mov_b64 s[84:85], -1
.LBB25_211:                             ;   in Loop: Header=BB25_7 Depth=1
	s_orn2_b64 s[34:35], s[90:91], exec
.LBB25_212:                             ;   in Loop: Header=BB25_7 Depth=1
	s_or_b64 exec, exec, s[88:89]
	s_mov_b64 s[36:37], 0
	s_and_saveexec_b64 s[88:89], s[34:35]
	s_cbranch_execz .LBB25_223
; %bb.213:                              ;   in Loop: Header=BB25_7 Depth=1
	s_xor_b64 s[24:25], s[86:87], -1
	v_mov_b32_e32 v8, 1
	v_mov_b32_e32 v2, 1
	s_and_saveexec_b64 s[86:87], s[24:25]
	s_cbranch_execz .LBB25_222
; %bb.214:                              ;   in Loop: Header=BB25_7 Depth=1
	v_cmp_ge_i32_e32 vcc, s29, v9
	s_and_saveexec_b64 s[24:25], vcc
	s_xor_b64 s[34:35], exec, s[24:25]
	s_cbranch_execz .LBB25_219
; %bb.215:                              ;   in Loop: Header=BB25_7 Depth=1
	ds_read_b32 v2, v12 offset:4096
	v_or_b32_e32 v18, s7, v18
	v_or_b32_e32 v17, s6, v17
	;; [unrolled: 1-line block ×4, first 2 shown]
	s_waitcnt lgkmcnt(0)
	v_cmp_ne_u32_e32 vcc, 0, v2
	s_cbranch_vccnz .LBB25_219
; %bb.216:                              ;   in Loop: Header=BB25_7 Depth=1
	s_and_saveexec_b64 s[6:7], s[0:1]
; %bb.217:                              ;   in Loop: Header=BB25_7 Depth=1
	v_mov_b32_e32 v2, s29
	ds_write_b32 v12, v2 offset:4100
; %bb.218:                              ;   in Loop: Header=BB25_7 Depth=1
	s_or_b64 exec, exec, s[6:7]
	s_waitcnt lgkmcnt(0)
	s_barrier
.LBB25_219:                             ;   in Loop: Header=BB25_7 Depth=1
	s_andn2_saveexec_b64 s[6:7], s[34:35]
; %bb.220:                              ;   in Loop: Header=BB25_7 Depth=1
	v_subrev_u32_e32 v9, s29, v9
; %bb.221:                              ;   in Loop: Header=BB25_7 Depth=1
	s_or_b64 exec, exec, s[6:7]
	v_mov_b32_e32 v8, 8
	v_mov_b32_e32 v2, v9
.LBB25_222:                             ;   in Loop: Header=BB25_7 Depth=1
	s_or_b64 exec, exec, s[86:87]
	s_mov_b64 s[36:37], exec
	v_mov_b32_e32 v9, v2
.LBB25_223:                             ;   in Loop: Header=BB25_7 Depth=1
	s_or_b64 exec, exec, s[88:89]
	s_orn2_b64 s[34:35], s[36:37], exec
.LBB25_224:                             ;   in Loop: Header=BB25_7 Depth=1
	s_or_b64 exec, exec, s[70:71]
	s_andn2_b64 s[6:7], s[78:79], exec
	s_and_b64 s[24:25], s[84:85], exec
	s_or_b64 s[78:79], s[6:7], s[24:25]
	s_andn2_b64 s[6:7], s[76:77], exec
	s_and_b64 s[24:25], s[82:83], exec
	s_or_b64 s[76:77], s[6:7], s[24:25]
	s_and_b64 s[36:37], s[34:35], exec
	v_mov_b32_e32 v21, v9
.LBB25_225:                             ;   in Loop: Header=BB25_7 Depth=1
	s_or_b64 exec, exec, s[80:81]
	s_orn2_b64 s[34:35], s[36:37], exec
.LBB25_226:                             ;   in Loop: Header=BB25_7 Depth=1
	s_or_b64 exec, exec, s[74:75]
	s_andn2_b64 s[6:7], s[68:69], exec
	s_and_b64 s[24:25], s[78:79], exec
	s_or_b64 s[68:69], s[6:7], s[24:25]
	s_andn2_b64 s[6:7], s[26:27], exec
	s_and_b64 s[24:25], s[76:77], exec
	s_or_b64 s[26:27], s[6:7], s[24:25]
	s_and_b64 s[36:37], s[34:35], exec
	v_mov_b32_e32 v9, v21
.LBB25_227:                             ;   in Loop: Header=BB25_7 Depth=1
	s_or_b64 exec, exec, s[72:73]
	s_orn2_b64 s[34:35], s[36:37], exec
.LBB25_228:                             ;   in Loop: Header=BB25_7 Depth=1
	s_or_b64 exec, exec, s[22:23]
	s_mov_b64 s[22:23], 0
                                        ; implicit-def: $sgpr24
                                        ; implicit-def: $sgpr25
	s_and_saveexec_b64 s[6:7], s[34:35]
	s_xor_b64 s[6:7], exec, s[6:7]
	s_cbranch_execz .LBB25_5
; %bb.229:                              ;   in Loop: Header=BB25_7 Depth=1
	v_and_b32_e32 v2, 7, v8
	v_cmp_eq_u32_e32 vcc, 0, v2
	s_mov_b64 s[20:21], -1
	s_mov_b64 s[22:23], -1
                                        ; implicit-def: $sgpr24
                                        ; implicit-def: $sgpr25
	s_and_saveexec_b64 s[34:35], vcc
	s_cbranch_execz .LBB25_4
; %bb.230:                              ;   in Loop: Header=BB25_7 Depth=1
	s_xor_b32 s25, s49, 1
	s_add_i32 s24, s52, -2
	s_cmp_eq_u32 s52, 0
	s_cselect_b64 s[20:21], -1, 0
	s_xor_b64 s[22:23], exec, -1
	s_orn2_b64 s[20:21], s[20:21], exec
	s_branch .LBB25_4
.LBB25_231:
	s_or_b64 exec, exec, s[54:55]
	s_xor_b64 s[8:9], s[60:61], -1
	s_xor_b64 s[2:3], s[56:57], -1
	;; [unrolled: 1-line block ×3, first 2 shown]
	s_mov_b64 s[4:5], 0
	s_and_saveexec_b64 s[10:11], s[2:3]
	s_xor_b64 s[2:3], exec, s[10:11]
	s_cbranch_execnz .LBB25_236
; %bb.232:
	s_andn2_saveexec_b64 s[0:1], s[2:3]
	s_cbranch_execnz .LBB25_256
.LBB25_233:
	s_or_b64 exec, exec, s[0:1]
	s_and_saveexec_b64 s[0:1], s[4:5]
.LBB25_234:
	; divergent unreachable
.LBB25_235:
	s_endpgm
.LBB25_236:
	s_and_saveexec_b64 s[4:5], s[8:9]
	s_xor_b64 s[4:5], exec, s[4:5]
	s_cbranch_execz .LBB25_254
; %bb.237:
	s_and_saveexec_b64 s[8:9], s[6:7]
	s_xor_b64 s[6:7], exec, s[8:9]
; %bb.238:
	v_xor_b32_e32 v18, 0x80000000, v18
	v_mov_b32_e32 v4, v17
	v_mov_b32_e32 v5, v18
; %bb.239:
	s_or_b64 exec, exec, s[6:7]
	s_and_saveexec_b64 s[6:7], s[0:1]
	v_readlane_b32 s20, v46, 18
	v_readlane_b32 s21, v46, 14
	;; [unrolled: 1-line block ×5, first 2 shown]
; %bb.240:
	v_mov_b32_e32 v1, 0
	v_mov_b32_e32 v2, s28
	ds_write_b32 v1, v2 offset:4108
; %bb.241:
	s_or_b64 exec, exec, s[6:7]
	v_mov_b32_e32 v1, 0
	s_waitcnt lgkmcnt(0)
	s_barrier
	ds_read_b32 v1, v1 offset:4108
	s_waitcnt lgkmcnt(0)
	v_min_i32_e32 v1, s28, v1
	v_cmp_lt_i32_e32 vcc, v0, v1
	s_and_saveexec_b64 s[6:7], vcc
	s_cbranch_execz .LBB25_251
; %bb.242:
	s_mov_b64 s[8:9], 0
	v_mov_b32_e32 v3, s41
                                        ; implicit-def: $sgpr10_sgpr11
                                        ; implicit-def: $sgpr14_sgpr15
                                        ; implicit-def: $sgpr12_sgpr13
	s_branch .LBB25_244
.LBB25_243:                             ;   in Loop: Header=BB25_244 Depth=1
	s_or_b64 exec, exec, s[16:17]
	s_and_b64 s[16:17], exec, s[14:15]
	s_or_b64 s[8:9], s[16:17], s[8:9]
	s_andn2_b64 s[10:11], s[10:11], exec
	s_and_b64 s[16:17], s[12:13], exec
	s_or_b64 s[10:11], s[10:11], s[16:17]
	s_andn2_b64 exec, exec, s[8:9]
	s_cbranch_execz .LBB25_246
.LBB25_244:                             ; =>This Inner Loop Header: Depth=1
	v_ashrrev_i32_e32 v11, 31, v10
	v_lshlrev_b64 v[6:7], 3, v[10:11]
	v_mov_b32_e32 v2, v0
	v_add_co_u32_e32 v6, vcc, s30, v6
	v_addc_co_u32_e32 v7, vcc, v3, v7, vcc
	global_load_dwordx2 v[6:7], v[6:7], off
	s_or_b64 s[12:13], s[12:13], exec
	s_or_b64 s[14:15], s[14:15], exec
                                        ; implicit-def: $vgpr0
	s_waitcnt vmcnt(0)
	v_cmp_ne_u64_e32 vcc, v[6:7], v[4:5]
	s_and_saveexec_b64 s[16:17], vcc
	s_cbranch_execz .LBB25_243
; %bb.245:                              ;   in Loop: Header=BB25_244 Depth=1
	v_add_u32_e32 v0, s40, v2
	v_cmp_ge_i32_e32 vcc, v0, v1
	s_andn2_b64 s[14:15], s[14:15], exec
	s_and_b64 s[18:19], vcc, exec
	v_add_u32_e32 v10, s48, v10
	s_andn2_b64 s[12:13], s[12:13], exec
	s_or_b64 s[14:15], s[14:15], s[18:19]
	s_branch .LBB25_243
.LBB25_246:
	s_or_b64 exec, exec, s[8:9]
	s_and_saveexec_b64 s[8:9], s[10:11]
	s_xor_b64 s[8:9], exec, s[8:9]
	s_cbranch_execz .LBB25_251
; %bb.247:
	s_mov_b64 s[8:9], exec
	s_brev_b32 s10, -2
.LBB25_248:                             ; =>This Inner Loop Header: Depth=1
	s_ff1_i32_b64 s11, s[8:9]
	v_readlane_b32 s14, v2, s11
	s_lshl_b64 s[12:13], 1, s11
	s_min_i32 s10, s10, s14
	s_andn2_b64 s[8:9], s[8:9], s[12:13]
	s_cmp_lg_u64 s[8:9], 0
	s_cbranch_scc1 .LBB25_248
; %bb.249:
	v_mbcnt_lo_u32_b32 v0, exec_lo, 0
	v_mbcnt_hi_u32_b32 v0, exec_hi, v0
	v_cmp_eq_u32_e32 vcc, 0, v0
	s_and_saveexec_b64 s[8:9], vcc
	s_xor_b64 s[8:9], exec, s[8:9]
; %bb.250:
	v_mov_b32_e32 v0, 0
	v_mov_b32_e32 v1, s10
	ds_min_i32 v0, v1 offset:4108
.LBB25_251:
	s_or_b64 exec, exec, s[6:7]
	s_waitcnt lgkmcnt(0)
	s_barrier
	s_and_saveexec_b64 s[6:7], s[0:1]
	s_cbranch_execz .LBB25_253
; %bb.252:
	v_readlane_b32 s10, v46, 8
	v_readlane_b32 s11, v46, 9
	s_mul_i32 s1, s11, s10
	v_readlane_b32 s0, v46, 13
	s_sub_i32 s1, s23, s1
	s_xor_b32 s0, s22, s0
	s_add_i32 s8, s11, 1
	s_sub_i32 s9, s1, s10
	s_cmp_ge_u32 s1, s10
	s_cselect_b32 s8, s8, s11
	s_cselect_b32 s1, s9, s1
	s_add_i32 s9, s8, 1
	s_cmp_ge_u32 s1, s10
	s_cselect_b32 s1, s9, s8
	s_xor_b32 s1, s1, s0
	s_sub_i32 s0, s1, s0
	s_mul_i32 s1, s0, s24
	v_readlane_b32 s8, v46, 6
	s_sub_i32 s1, s20, s1
	v_readlane_b32 s9, v46, 7
	v_readlane_b32 s11, v46, 10
	;; [unrolled: 1-line block ×3, first 2 shown]
	s_mul_i32 s1, s1, s9
	s_mul_i32 s0, s0, s8
	;; [unrolled: 1-line block ×3, first 2 shown]
	s_add_i32 s0, s0, s1
	v_readlane_b32 s1, v46, 15
	s_sub_i32 s8, s23, s8
	s_xor_b32 s1, s22, s1
	s_add_i32 s9, s12, 1
	s_sub_i32 s10, s8, s11
	s_cmp_ge_u32 s8, s11
	s_cselect_b32 s9, s9, s12
	s_cselect_b32 s8, s10, s8
	s_add_i32 s10, s9, 1
	s_cmp_ge_u32 s8, s11
	s_cselect_b32 s8, s10, s9
	s_xor_b32 s8, s8, s1
	s_sub_i32 s1, s8, s1
	s_mul_i32 s8, s1, s21
	v_readlane_b32 s10, v46, 2
	s_sub_i32 s8, s20, s8
	v_readlane_b32 s11, v46, 3
	s_mul_i32 s8, s8, s11
	s_mul_i32 s1, s1, s10
	s_add_i32 s8, s1, s8
	s_ashr_i32 s1, s0, 31
	v_mov_b32_e32 v2, 0
	s_lshl_b64 s[0:1], s[0:1], 3
	v_readlane_b32 s10, v46, 0
	ds_read_b32 v0, v2 offset:4108
	v_readlane_b32 s11, v46, 1
	s_add_u32 s0, s10, s0
	s_addc_u32 s1, s11, s1
	s_ashr_i32 s9, s8, 31
	s_lshl_b64 s[8:9], s[8:9], 3
	v_readlane_b32 s10, v46, 4
	v_readlane_b32 s11, v46, 5
	s_add_u32 s8, s10, s8
	s_addc_u32 s9, s11, s9
	s_waitcnt lgkmcnt(0)
	v_ashrrev_i32_e32 v1, 31, v0
	global_store_dwordx2 v2, v[0:1], s[8:9]
	global_store_dwordx2 v2, v[4:5], s[0:1]
.LBB25_253:
	s_or_b64 exec, exec, s[6:7]
.LBB25_254:
	s_or_saveexec_b64 s[0:1], s[4:5]
	s_mov_b64 s[4:5], 0
	s_xor_b64 exec, exec, s[0:1]
	s_cbranch_execnz .LBB25_257
.LBB25_255:
	s_or_b64 exec, exec, s[0:1]
	s_and_b64 s[4:5], s[4:5], exec
	s_andn2_saveexec_b64 s[0:1], s[2:3]
	s_cbranch_execz .LBB25_233
.LBB25_256:
	s_or_b64 s[4:5], s[4:5], exec
	s_trap 2
	s_or_b64 exec, exec, s[0:1]
	s_and_saveexec_b64 s[0:1], s[4:5]
	s_cbranch_execnz .LBB25_234
	s_branch .LBB25_235
.LBB25_257:
	s_mov_b64 s[4:5], exec
	s_trap 2
	s_branch .LBB25_255
	.section	.rodata,"a",@progbits
	.p2align	6, 0x0
	.amdhsa_kernel _ZN2at6native12_GLOBAL__N_114gatherKthValueIliLi2EEEvNS_4cuda6detail10TensorInfoIKT_T0_EES8_S8_S8_S8_NS5_IS6_S8_EENS5_IlS8_EE
		.amdhsa_group_segment_fixed_size 4112
		.amdhsa_private_segment_fixed_size 0
		.amdhsa_kernarg_size 920
		.amdhsa_user_sgpr_count 6
		.amdhsa_user_sgpr_private_segment_buffer 1
		.amdhsa_user_sgpr_dispatch_ptr 0
		.amdhsa_user_sgpr_queue_ptr 0
		.amdhsa_user_sgpr_kernarg_segment_ptr 1
		.amdhsa_user_sgpr_dispatch_id 0
		.amdhsa_user_sgpr_flat_scratch_init 0
		.amdhsa_user_sgpr_private_segment_size 0
		.amdhsa_uses_dynamic_stack 0
		.amdhsa_system_sgpr_private_segment_wavefront_offset 0
		.amdhsa_system_sgpr_workgroup_id_x 1
		.amdhsa_system_sgpr_workgroup_id_y 1
		.amdhsa_system_sgpr_workgroup_id_z 1
		.amdhsa_system_sgpr_workgroup_info 0
		.amdhsa_system_vgpr_workitem_id 0
		.amdhsa_next_free_vgpr 47
		.amdhsa_next_free_sgpr 96
		.amdhsa_reserve_vcc 1
		.amdhsa_reserve_flat_scratch 0
		.amdhsa_float_round_mode_32 0
		.amdhsa_float_round_mode_16_64 0
		.amdhsa_float_denorm_mode_32 3
		.amdhsa_float_denorm_mode_16_64 3
		.amdhsa_dx10_clamp 1
		.amdhsa_ieee_mode 1
		.amdhsa_fp16_overflow 0
		.amdhsa_exception_fp_ieee_invalid_op 0
		.amdhsa_exception_fp_denorm_src 0
		.amdhsa_exception_fp_ieee_div_zero 0
		.amdhsa_exception_fp_ieee_overflow 0
		.amdhsa_exception_fp_ieee_underflow 0
		.amdhsa_exception_fp_ieee_inexact 0
		.amdhsa_exception_int_div_zero 0
	.end_amdhsa_kernel
	.section	.text._ZN2at6native12_GLOBAL__N_114gatherKthValueIliLi2EEEvNS_4cuda6detail10TensorInfoIKT_T0_EES8_S8_S8_S8_NS5_IS6_S8_EENS5_IlS8_EE,"axG",@progbits,_ZN2at6native12_GLOBAL__N_114gatherKthValueIliLi2EEEvNS_4cuda6detail10TensorInfoIKT_T0_EES8_S8_S8_S8_NS5_IS6_S8_EENS5_IlS8_EE,comdat
.Lfunc_end25:
	.size	_ZN2at6native12_GLOBAL__N_114gatherKthValueIliLi2EEEvNS_4cuda6detail10TensorInfoIKT_T0_EES8_S8_S8_S8_NS5_IS6_S8_EENS5_IlS8_EE, .Lfunc_end25-_ZN2at6native12_GLOBAL__N_114gatherKthValueIliLi2EEEvNS_4cuda6detail10TensorInfoIKT_T0_EES8_S8_S8_S8_NS5_IS6_S8_EENS5_IlS8_EE
                                        ; -- End function
	.set _ZN2at6native12_GLOBAL__N_114gatherKthValueIliLi2EEEvNS_4cuda6detail10TensorInfoIKT_T0_EES8_S8_S8_S8_NS5_IS6_S8_EENS5_IlS8_EE.num_vgpr, 47
	.set _ZN2at6native12_GLOBAL__N_114gatherKthValueIliLi2EEEvNS_4cuda6detail10TensorInfoIKT_T0_EES8_S8_S8_S8_NS5_IS6_S8_EENS5_IlS8_EE.num_agpr, 0
	.set _ZN2at6native12_GLOBAL__N_114gatherKthValueIliLi2EEEvNS_4cuda6detail10TensorInfoIKT_T0_EES8_S8_S8_S8_NS5_IS6_S8_EENS5_IlS8_EE.numbered_sgpr, 96
	.set _ZN2at6native12_GLOBAL__N_114gatherKthValueIliLi2EEEvNS_4cuda6detail10TensorInfoIKT_T0_EES8_S8_S8_S8_NS5_IS6_S8_EENS5_IlS8_EE.num_named_barrier, 0
	.set _ZN2at6native12_GLOBAL__N_114gatherKthValueIliLi2EEEvNS_4cuda6detail10TensorInfoIKT_T0_EES8_S8_S8_S8_NS5_IS6_S8_EENS5_IlS8_EE.private_seg_size, 0
	.set _ZN2at6native12_GLOBAL__N_114gatherKthValueIliLi2EEEvNS_4cuda6detail10TensorInfoIKT_T0_EES8_S8_S8_S8_NS5_IS6_S8_EENS5_IlS8_EE.uses_vcc, 1
	.set _ZN2at6native12_GLOBAL__N_114gatherKthValueIliLi2EEEvNS_4cuda6detail10TensorInfoIKT_T0_EES8_S8_S8_S8_NS5_IS6_S8_EENS5_IlS8_EE.uses_flat_scratch, 0
	.set _ZN2at6native12_GLOBAL__N_114gatherKthValueIliLi2EEEvNS_4cuda6detail10TensorInfoIKT_T0_EES8_S8_S8_S8_NS5_IS6_S8_EENS5_IlS8_EE.has_dyn_sized_stack, 0
	.set _ZN2at6native12_GLOBAL__N_114gatherKthValueIliLi2EEEvNS_4cuda6detail10TensorInfoIKT_T0_EES8_S8_S8_S8_NS5_IS6_S8_EENS5_IlS8_EE.has_recursion, 0
	.set _ZN2at6native12_GLOBAL__N_114gatherKthValueIliLi2EEEvNS_4cuda6detail10TensorInfoIKT_T0_EES8_S8_S8_S8_NS5_IS6_S8_EENS5_IlS8_EE.has_indirect_call, 0
	.section	.AMDGPU.csdata,"",@progbits
; Kernel info:
; codeLenInByte = 9624
; TotalNumSgprs: 100
; NumVgprs: 47
; ScratchSize: 0
; MemoryBound: 0
; FloatMode: 240
; IeeeMode: 1
; LDSByteSize: 4112 bytes/workgroup (compile time only)
; SGPRBlocks: 12
; VGPRBlocks: 11
; NumSGPRsForWavesPerEU: 100
; NumVGPRsForWavesPerEU: 47
; Occupancy: 5
; WaveLimiterHint : 1
; COMPUTE_PGM_RSRC2:SCRATCH_EN: 0
; COMPUTE_PGM_RSRC2:USER_SGPR: 6
; COMPUTE_PGM_RSRC2:TRAP_HANDLER: 0
; COMPUTE_PGM_RSRC2:TGID_X_EN: 1
; COMPUTE_PGM_RSRC2:TGID_Y_EN: 1
; COMPUTE_PGM_RSRC2:TGID_Z_EN: 1
; COMPUTE_PGM_RSRC2:TIDIG_COMP_CNT: 0
	.section	.text._ZN2at6native12_GLOBAL__N_114gatherKthValueIliLi3EEEvNS_4cuda6detail10TensorInfoIKT_T0_EES8_S8_S8_S8_NS5_IS6_S8_EENS5_IlS8_EE,"axG",@progbits,_ZN2at6native12_GLOBAL__N_114gatherKthValueIliLi3EEEvNS_4cuda6detail10TensorInfoIKT_T0_EES8_S8_S8_S8_NS5_IS6_S8_EENS5_IlS8_EE,comdat
	.globl	_ZN2at6native12_GLOBAL__N_114gatherKthValueIliLi3EEEvNS_4cuda6detail10TensorInfoIKT_T0_EES8_S8_S8_S8_NS5_IS6_S8_EENS5_IlS8_EE ; -- Begin function _ZN2at6native12_GLOBAL__N_114gatherKthValueIliLi3EEEvNS_4cuda6detail10TensorInfoIKT_T0_EES8_S8_S8_S8_NS5_IS6_S8_EENS5_IlS8_EE
	.p2align	8
	.type	_ZN2at6native12_GLOBAL__N_114gatherKthValueIliLi3EEEvNS_4cuda6detail10TensorInfoIKT_T0_EES8_S8_S8_S8_NS5_IS6_S8_EENS5_IlS8_EE,@function
_ZN2at6native12_GLOBAL__N_114gatherKthValueIliLi3EEEvNS_4cuda6detail10TensorInfoIKT_T0_EES8_S8_S8_S8_NS5_IS6_S8_EENS5_IlS8_EE: ; @_ZN2at6native12_GLOBAL__N_114gatherKthValueIliLi3EEEvNS_4cuda6detail10TensorInfoIKT_T0_EES8_S8_S8_S8_NS5_IS6_S8_EENS5_IlS8_EE
; %bb.0:
	s_load_dwordx2 s[14:15], s[4:5], 0x298
	s_load_dwordx4 s[40:43], s[4:5], 0xd8
	s_add_u32 s12, s4, 0x298
	s_addc_u32 s13, s5, 0
	s_waitcnt lgkmcnt(0)
	s_mul_i32 s0, s15, s8
	s_add_i32 s0, s0, s7
	s_mul_i32 s0, s0, s14
	s_add_i32 s24, s0, s6
	s_cmp_ge_i32 s24, s42
	s_cbranch_scc1 .LBB26_235
; %bb.1:
	s_load_dwordx2 s[2:3], s[4:5], 0xc
	s_load_dwordx2 s[26:27], s[4:5], 0xf4
	s_ashr_i32 s1, s24, 31
	s_abs_i32 s8, s24
	s_load_dwordx4 s[28:31], s[4:5], 0x154
	s_waitcnt lgkmcnt(0)
	s_abs_i32 s0, s3
	v_cvt_f32_u32_e32 v1, s0
	s_ashr_i32 s7, s3, 31
	s_xor_b32 s9, s1, s7
	s_sub_i32 s7, 0, s0
	v_rcp_iflag_f32_e32 v1, v1
                                        ; implicit-def: $vgpr46 : SGPR spill to VGPR lane
                                        ; kill: killed $sgpr4 killed $sgpr5
	s_mov_b32 s56, 0
	v_writelane_b32 v46, s28, 0
	v_writelane_b32 v46, s29, 1
	v_mul_f32_e32 v1, 0x4f7ffffe, v1
	v_cvt_u32_f32_e32 v1, v1
	v_writelane_b32 v46, s30, 2
	v_writelane_b32 v46, s31, 3
	v_readfirstlane_b32 s10, v1
	s_mul_i32 s7, s7, s10
	s_mul_hi_u32 s7, s10, s7
	s_add_i32 s10, s10, s7
	s_mul_hi_u32 s7, s8, s10
	s_mul_i32 s10, s7, s0
	s_sub_i32 s10, s8, s10
	s_add_i32 s11, s7, 1
	s_sub_i32 s15, s10, s0
	s_cmp_ge_u32 s10, s0
	s_cselect_b32 s7, s11, s7
	s_cselect_b32 s10, s15, s10
	s_add_i32 s11, s7, 1
	s_cmp_ge_u32 s10, s0
	s_cselect_b32 s0, s11, s7
	s_abs_i32 s7, s2
	v_cvt_f32_u32_e32 v1, s7
	s_abs_i32 s11, s27
	v_cvt_f32_u32_e32 v2, s11
	s_xor_b32 s0, s0, s9
	v_rcp_iflag_f32_e32 v1, v1
	s_sub_i32 s16, 0, s7
	v_rcp_iflag_f32_e32 v2, v2
	s_sub_i32 s18, s0, s9
	v_mul_f32_e32 v1, 0x4f7ffffe, v1
	v_cvt_u32_f32_e32 v1, v1
	v_mul_f32_e32 v2, 0x4f7ffffe, v2
	v_cvt_u32_f32_e32 v2, v2
	s_ashr_i32 s10, s27, 31
	v_readfirstlane_b32 s0, v1
	s_mul_i32 s16, s16, s0
	s_mul_hi_u32 s9, s0, s16
	s_add_i32 s0, s0, s9
	s_sub_i32 s9, 0, s11
	v_readfirstlane_b32 s16, v2
	s_mul_i32 s9, s9, s16
	s_mul_hi_u32 s9, s16, s9
	s_add_i32 s16, s16, s9
	s_mul_hi_u32 s9, s8, s16
	s_mul_i32 s16, s9, s11
	s_sub_i32 s16, s8, s16
	s_ashr_i32 s15, s2, 31
	s_xor_b32 s10, s1, s10
	s_ashr_i32 s19, s18, 31
	s_abs_i32 s20, s18
	s_add_i32 s17, s9, 1
	s_sub_i32 s21, s16, s11
	s_cmp_ge_u32 s16, s11
	s_cselect_b32 s9, s17, s9
	s_cselect_b32 s16, s21, s16
	s_add_i32 s17, s9, 1
	s_cmp_ge_u32 s16, s11
	s_cselect_b32 s9, s17, s9
	s_load_dwordx2 s[16:17], s[4:5], 0x0
	s_load_dwordx4 s[28:31], s[4:5], 0x22c
	s_abs_i32 s11, s26
	v_cvt_f32_u32_e32 v1, s11
	s_xor_b32 s9, s9, s10
	s_sub_i32 s25, s9, s10
	s_waitcnt lgkmcnt(0)
	v_writelane_b32 v46, s28, 4
	v_writelane_b32 v46, s29, 5
	;; [unrolled: 1-line block ×4, first 2 shown]
	v_rcp_iflag_f32_e32 v1, v1
	s_load_dwordx2 s[28:29], s[4:5], 0x1cc
	s_load_dwordx2 s[22:23], s[4:5], 0x1c0
	s_sub_i32 s10, 0, s11
	v_mul_f32_e32 v1, 0x4f7ffffe, v1
	s_waitcnt lgkmcnt(0)
	s_abs_i32 s9, s29
	v_cvt_u32_f32_e32 v1, v1
	v_cvt_f32_u32_e32 v2, s9
	v_writelane_b32 v46, s22, 8
	v_writelane_b32 v46, s23, 9
	;; [unrolled: 1-line block ×3, first 2 shown]
	v_readfirstlane_b32 s11, v1
	v_rcp_iflag_f32_e32 v1, v2
	s_mul_i32 s10, s10, s11
	s_mul_hi_u32 s10, s11, s10
	s_add_i32 s21, s11, s10
	v_mul_f32_e32 v1, 0x4f7ffffe, v1
	v_cvt_u32_f32_e32 v1, v1
	s_ashr_i32 s10, s29, 31
	s_xor_b32 s1, s1, s10
	s_sub_i32 s10, 0, s9
	v_readfirstlane_b32 s11, v1
	s_mul_i32 s10, s10, s11
	s_mul_hi_u32 s10, s11, s10
	s_add_i32 s11, s11, s10
	s_mul_hi_u32 s10, s8, s11
	s_mul_i32 s11, s10, s9
	s_sub_i32 s8, s8, s11
	s_abs_i32 s23, s25
	s_add_i32 s11, s10, 1
	s_sub_i32 s22, s8, s9
	s_cmp_ge_u32 s8, s9
	s_cselect_b32 s10, s11, s10
	s_cselect_b32 s8, s22, s8
	s_add_i32 s11, s10, 1
	s_cmp_ge_u32 s8, s9
	s_cselect_b32 s22, s11, s10
	s_abs_i32 s30, s28
	v_cvt_f32_u32_e32 v1, s30
	s_load_dwordx2 s[8:9], s[4:5], 0xe8
	v_rcp_iflag_f32_e32 v1, v1
	s_waitcnt lgkmcnt(0)
	v_writelane_b32 v46, s8, 11
	v_writelane_b32 v46, s9, 12
	v_mul_f32_e32 v1, 0x4f7ffffe, v1
	v_cvt_u32_f32_e32 v1, v1
	s_load_dwordx4 s[8:11], s[4:5], 0x6c
	s_waitcnt lgkmcnt(0)
	s_mul_hi_u32 s11, s20, s0
	v_writelane_b32 v46, s23, 13
	s_mul_hi_u32 s0, s23, s21
	v_writelane_b32 v46, s0, 14
	s_xor_b32 s0, s22, s1
	s_sub_i32 s21, s0, s1
	s_sub_i32 s0, 0, s30
	v_readfirstlane_b32 s1, v1
	s_mul_i32 s0, s0, s1
	s_mul_hi_u32 s0, s1, s0
	s_abs_i32 s4, s21
	v_writelane_b32 v46, s30, 15
	s_add_i32 s1, s1, s0
	v_writelane_b32 v46, s4, 16
	s_mul_hi_u32 s0, s4, s1
	v_writelane_b32 v46, s0, 17
	v_cmp_eq_u32_e64 s[0:1], 0, v0
	s_and_saveexec_b64 s[4:5], s[0:1]
; %bb.2:
	v_mov_b32_e32 v1, 0
	v_mov_b32_e32 v2, s40
	;; [unrolled: 1-line block ×3, first 2 shown]
	ds_write_b96 v1, v[1:3] offset:4096
; %bb.3:
	s_or_b64 exec, exec, s[4:5]
	v_writelane_b32 v46, s25, 18
	s_ashr_i32 s4, s25, 31
	v_writelane_b32 v46, s4, 19
	v_writelane_b32 v46, s26, 20
	;; [unrolled: 1-line block ×3, first 2 shown]
	s_ashr_i32 s4, s26, 31
	v_writelane_b32 v46, s4, 22
	v_writelane_b32 v46, s21, 23
	s_ashr_i32 s4, s21, 31
	v_writelane_b32 v46, s4, 24
	v_writelane_b32 v46, s28, 25
	s_mul_i32 s3, s18, s3
	s_mul_i32 s5, s11, s7
	v_writelane_b32 v46, s29, 26
	s_ashr_i32 s4, s28, 31
	s_sub_i32 s3, s24, s3
	s_sub_i32 s5, s20, s5
	v_writelane_b32 v46, s4, 27
	s_mul_i32 s3, s3, s10
	s_xor_b32 s4, s19, s15
	s_add_i32 s10, s11, 1
	s_sub_i32 s15, s5, s7
	s_cmp_ge_u32 s5, s7
	s_cselect_b32 s10, s10, s11
	s_cselect_b32 s5, s15, s5
	s_add_i32 s11, s10, 1
	s_cmp_ge_u32 s5, s7
	s_cselect_b32 s5, s11, s10
	s_xor_b32 s5, s5, s4
	s_sub_i32 s4, s5, s4
	s_mul_i32 s2, s4, s2
	s_sub_i32 s2, s18, s2
	s_mul_i32 s2, s2, s9
	s_add_i32 s2, s2, s3
	s_mul_i32 s4, s4, s8
	s_add_i32 s2, s2, s4
	s_waitcnt lgkmcnt(0)
	s_barrier
	s_load_dword s4, s[12:13], 0xc
	v_mul_lo_u32 v10, s43, v0
	s_ashr_i32 s3, s2, 31
	v_mov_b32_e32 v12, 0
	s_lshl_b64 s[2:3], s[2:3], 3
	v_mbcnt_lo_u32_b32 v1, -1, 0
	v_mov_b32_e32 v11, v12
	s_add_u32 s42, s16, s2
	v_mbcnt_hi_u32_b32 v26, -1, v1
	v_lshlrev_b64 v[1:2], 3, v[10:11]
	s_addc_u32 s45, s17, s3
	s_waitcnt lgkmcnt(0)
	s_and_b32 s44, s4, 0xffff
	s_bfe_u32 s7, s4, 0xa0006
	v_cmp_gt_u32_e32 vcc, 64, v0
	v_cmp_gt_i32_e64 s[4:5], 4, v26
	s_and_b64 s[48:49], vcc, s[4:5]
	v_mov_b32_e32 v3, s45
	v_add_co_u32_e32 v13, vcc, s42, v1
	v_addc_co_u32_e32 v14, vcc, v3, v2, vcc
	v_lshlrev_b64 v[2:3], v26, -1
	s_add_i32 s8, s44, -1
	v_writelane_b32 v46, s24, 28
	s_lshl_b32 s33, s44, 2
	s_add_i32 s59, s8, s40
	v_not_b32_e32 v31, v2
	v_lshrrev_b32_e32 v2, 2, v0
	v_writelane_b32 v46, s8, 29
	s_cmpk_gt_i32 s40, 0x180
	v_cmp_gt_u32_e64 s[8:9], s40, v0
	v_and_b32_e32 v2, 0xf0, v2
	s_cselect_b64 s[50:51], -1, 0
	v_writelane_b32 v46, s8, 30
	s_cmp_gt_u32 s44, 63
	v_or_b32_e32 v32, 0xc00, v2
	v_cvt_f32_u32_e32 v2, s33
	v_writelane_b32 v46, s9, 31
	v_cmp_gt_i32_e64 s[8:9], s40, v0
	s_cselect_b64 s[52:53], -1, 0
	s_cmp_lt_u32 s6, s14
	v_writelane_b32 v46, s8, 32
	s_cselect_b32 s6, 12, 18
	v_writelane_b32 v46, s9, 33
	s_add_u32 s8, s12, s6
	s_addc_u32 s9, s13, 0
	v_rcp_iflag_f32_e32 v2, v2
	v_writelane_b32 v46, s8, 34
	s_add_i32 s6, s7, -1
	v_writelane_b32 v46, s9, 35
	s_bfe_u32 s8, s44, 0x30006
	s_and_b32 s6, s6, 0xffff
	s_cmp_gt_u32 s6, 6
	s_cselect_b64 s[10:11], -1, 0
	v_mul_f32_e32 v2, 0x4f7ffffe, v2
	v_writelane_b32 v46, s10, 36
	s_and_b32 s57, s7, 0x3f8
	v_cvt_u32_f32_e32 v2, v2
	v_writelane_b32 v46, s11, 37
	s_cmp_lg_u32 s8, 0
	v_writelane_b32 v46, s8, 38
	s_cselect_b64 s[6:7], -1, 0
	v_writelane_b32 v46, s6, 39
	v_writelane_b32 v46, s7, 40
	s_sub_i32 s6, 0, s33
	v_readfirstlane_b32 s7, v2
	s_mul_i32 s6, s6, s7
	s_mul_hi_u32 s6, s7, s6
	s_add_i32 s8, s7, s6
	s_mul_hi_u32 s6, s40, s8
	s_mul_i32 s6, s6, s33
	s_sub_i32 s6, s40, s6
	s_sub_i32 s7, s6, s33
	s_cmp_ge_u32 s6, s33
	s_cselect_b32 s6, s7, s6
	s_sub_i32 s7, s6, s33
	s_cmp_ge_u32 s6, s33
	s_cselect_b32 s6, s7, s6
	s_sub_i32 s9, s40, s6
	v_add_u32_e32 v33, s9, v0
	v_cvt_f32_u32_e32 v4, s44
	v_mul_lo_u32 v2, v33, s43
	v_not_b32_e32 v30, v3
	s_sub_i32 s17, 0, s44
	v_rcp_iflag_f32_e32 v4, v4
	v_ashrrev_i32_e32 v3, 31, v2
	v_lshlrev_b64 v[2:3], 3, v[2:3]
	s_abs_i32 s16, s59
	v_add_co_u32_e32 v15, vcc, s42, v2
	v_mul_f32_e32 v2, 0x4f7ffffe, v4
	v_cvt_u32_f32_e32 v2, v2
	s_ashr_i32 s7, s59, 31
	v_lshlrev_b32_e32 v25, 2, v0
	v_mov_b32_e32 v5, s45
	v_readfirstlane_b32 s18, v2
	s_mul_i32 s17, s17, s18
	s_mul_hi_u32 s17, s18, s17
	s_add_i32 s17, s18, s17
	v_writelane_b32 v46, s17, 41
	s_mul_hi_u32 s17, s16, s17
	s_mul_i32 s17, s17, s44
	s_sub_i32 s16, s16, s17
	s_sub_i32 s17, s16, s44
	s_cmp_ge_u32 s16, s44
	s_cselect_b32 s16, s17, s16
	s_sub_i32 s17, s16, s44
	v_mul_lo_u32 v2, s43, v25
	s_cmp_ge_u32 s16, s44
	s_cselect_b32 s16, s17, s16
	s_xor_b32 s16, s16, s7
	s_sub_i32 s7, s7, s16
	v_add_u32_e32 v34, s43, v2
	v_or_b32_e32 v2, 2, v25
	s_add_i32 s59, s59, s7
	v_mul_lo_u32 v35, s43, v2
	v_or_b32_e32 v2, 3, v25
	s_add_i32 s7, s44, s40
	v_mul_lo_u32 v36, s43, v2
	v_add_u32_e32 v2, s7, v0
	v_subrev_u32_e32 v2, s6, v2
	v_mul_lo_u32 v38, s43, v2
	v_cmp_gt_i32_e64 s[16:17], s59, v0
	v_lshlrev_b32_e32 v27, 3, v0
	v_lshlrev_b32_e32 v1, 2, v26
	v_addc_co_u32_e32 v16, vcc, v5, v3, vcc
	v_writelane_b32 v46, s16, 42
	s_mul_i32 s54, s43, s44
	v_mov_b32_e32 v17, 0
	v_mov_b32_e32 v19, 0
	;; [unrolled: 1-line block ×3, first 2 shown]
	v_cmp_eq_u32_e64 s[2:3], 0, v26
	v_cmp_gt_u32_e64 s[4:5], 2, v0
	v_add_u32_e32 v28, 0xc00, v27
	v_and_b32_e32 v29, 0x100, v1
	v_cmp_gt_i32_e64 s[10:11], s9, v25
	v_cmp_gt_u32_e64 s[12:13], s40, v33
	v_cmp_gt_i32_e64 s[14:15], s40, v33
	v_writelane_b32 v46, s17, 43
	s_lshl_b32 s16, s54, 2
	v_lshlrev_b32_e32 v37, 2, v10
	v_lshlrev_b32_e32 v39, 5, v0
	s_lshl_b32 s17, s44, 5
	s_lshl_b32 s55, s44, 3
	v_or_b32_e32 v40, 0xc00, v1
	s_mov_b32 s58, 62
	s_mov_b64 s[60:61], 0
	v_mov_b32_e32 v41, s41
	v_mov_b32_e32 v18, 0
	;; [unrolled: 1-line block ×5, first 2 shown]
                                        ; implicit-def: $sgpr62_sgpr63
                                        ; implicit-def: $sgpr66_sgpr67
                                        ; implicit-def: $sgpr64_sgpr65
                                        ; implicit-def: $sgpr70_sgpr71
                                        ; implicit-def: $sgpr72_sgpr73
                                        ; implicit-def: $sgpr68_sgpr69
	s_branch .LBB26_7
.LBB26_4:                               ;   in Loop: Header=BB26_7 Depth=1
	s_or_b64 exec, exec, s[28:29]
	s_and_b64 s[22:23], s[22:23], exec
	s_andn2_b64 s[76:77], s[76:77], exec
	s_andn2_b64 s[74:75], s[74:75], exec
	s_orn2_b64 s[20:21], s[20:21], exec
.LBB26_5:                               ;   in Loop: Header=BB26_7 Depth=1
	s_or_b64 exec, exec, s[6:7]
	s_andn2_b64 s[6:7], s[68:69], exec
	s_and_b64 s[22:23], s[22:23], exec
	s_or_b64 s[68:69], s[6:7], s[22:23]
	s_andn2_b64 s[6:7], s[72:73], exec
	s_and_b64 s[22:23], s[76:77], exec
	s_or_b64 s[72:73], s[6:7], s[22:23]
	;; [unrolled: 3-line block ×3, first 2 shown]
	s_orn2_b64 s[20:21], s[20:21], exec
.LBB26_6:                               ;   in Loop: Header=BB26_7 Depth=1
	s_or_b64 exec, exec, s[18:19]
	s_and_b64 s[6:7], exec, s[20:21]
	s_or_b64 s[60:61], s[6:7], s[60:61]
	s_andn2_b64 s[6:7], s[64:65], exec
	s_and_b64 s[18:19], s[68:69], exec
	s_or_b64 s[64:65], s[6:7], s[18:19]
	s_andn2_b64 s[6:7], s[66:67], exec
	s_and_b64 s[18:19], s[72:73], exec
	;; [unrolled: 3-line block ×3, first 2 shown]
	s_or_b64 s[62:63], s[6:7], s[18:19]
	s_mov_b32 s56, s25
	s_mov_b32 s58, s24
	v_mov_b32_e32 v41, v9
	s_andn2_b64 exec, exec, s[60:61]
	s_cbranch_execz .LBB26_231
.LBB26_7:                               ; =>This Loop Header: Depth=1
                                        ;     Child Loop BB26_13 Depth 2
                                        ;     Child Loop BB26_28 Depth 2
	;; [unrolled: 1-line block ×16, first 2 shown]
	ds_read_b64 v[2:3], v12 offset:4096
	s_waitcnt lgkmcnt(0)
	v_readfirstlane_b32 s34, v2
	s_cmp_gt_i32 s34, 0
	s_cbranch_scc1 .LBB26_35
; %bb.8:                                ;   in Loop: Header=BB26_7 Depth=1
	s_and_b64 vcc, exec, s[50:51]
	s_cbranch_vccz .LBB26_21
; %bb.9:                                ;   in Loop: Header=BB26_7 Depth=1
	s_movk_i32 s6, 0x181
	v_cmp_gt_i32_e32 vcc, s6, v3
	s_mov_b64 s[18:19], 0
	s_mov_b64 s[6:7], 0
	s_cbranch_vccz .LBB26_22
; %bb.10:                               ;   in Loop: Header=BB26_7 Depth=1
	s_mov_b64 s[20:21], exec
	v_readlane_b32 s6, v46, 30
	v_readlane_b32 s7, v46, 31
	s_and_b64 s[6:7], s[20:21], s[6:7]
	s_mov_b64 exec, s[6:7]
	s_cbranch_execz .LBB26_67
; %bb.11:                               ;   in Loop: Header=BB26_7 Depth=1
	v_readlane_b32 s6, v46, 34
	v_readlane_b32 s7, v46, 35
	s_nop 4
	global_load_ushort v8, v12, s[6:7]
	global_load_dwordx2 v[2:3], v[13:14], off
	s_mov_b64 s[22:23], 0
	v_mov_b32_e32 v21, v0
	s_waitcnt vmcnt(1)
	v_add_u32_e32 v6, v0, v8
	v_mul_lo_u32 v11, s43, v6
	v_mul_lo_u32 v9, s43, v8
	s_branch .LBB26_13
.LBB26_12:                              ;   in Loop: Header=BB26_13 Depth=2
	s_or_b64 exec, exec, s[6:7]
	v_cmp_le_i32_e32 vcc, s40, v21
	v_mov_b32_e32 v2, v6
	v_add_u32_e32 v11, v11, v9
	s_or_b64 s[22:23], vcc, s[22:23]
	v_mov_b32_e32 v3, v7
	s_andn2_b64 exec, exec, s[22:23]
	s_cbranch_execz .LBB26_67
.LBB26_13:                              ;   Parent Loop BB26_7 Depth=1
                                        ; =>  This Inner Loop Header: Depth=2
	v_add_u32_e32 v21, v21, v8
	v_mov_b32_e32 v6, 0
	v_mov_b32_e32 v7, 0
	v_cmp_gt_u32_e32 vcc, s40, v21
	s_and_saveexec_b64 s[6:7], vcc
	s_cbranch_execz .LBB26_15
; %bb.14:                               ;   in Loop: Header=BB26_13 Depth=2
	v_lshlrev_b64 v[6:7], 3, v[11:12]
	s_waitcnt lgkmcnt(0)
	v_mov_b32_e32 v22, s45
	v_add_co_u32_e32 v6, vcc, s42, v6
	v_addc_co_u32_e32 v7, vcc, v22, v7, vcc
	global_load_dwordx2 v[6:7], v[6:7], off
.LBB26_15:                              ;   in Loop: Header=BB26_13 Depth=2
	s_or_b64 exec, exec, s[6:7]
	s_waitcnt vmcnt(0) lgkmcnt(0)
	v_xor_b32_e32 v22, 0x80000000, v3
	v_and_b32_e32 v23, v22, v20
	v_and_b32_e32 v22, v2, v19
	v_cmp_eq_u64_e32 vcc, v[22:23], v[17:18]
	v_mov_b32_e32 v22, 0
	s_cmp_lg_u64 vcc, 0
	s_cselect_b64 s[6:7], -1, 0
	s_and_b64 s[6:7], s[2:3], s[6:7]
	s_and_saveexec_b64 s[28:29], s[6:7]
	s_cbranch_execz .LBB26_19
; %bb.16:                               ;   in Loop: Header=BB26_13 Depth=2
	s_mov_b64 s[30:31], exec
	v_mbcnt_lo_u32_b32 v22, s30, 0
	v_mbcnt_hi_u32_b32 v22, s31, v22
	s_bcnt1_i32_b64 s24, vcc
	v_cmp_eq_u32_e64 s[6:7], 0, v22
                                        ; implicit-def: $vgpr23
	s_and_saveexec_b64 s[26:27], s[6:7]
; %bb.17:                               ;   in Loop: Header=BB26_13 Depth=2
	s_bcnt1_i32_b64 s6, s[30:31]
	s_mul_i32 s6, s24, s6
	v_mov_b32_e32 v23, s6
	ds_add_rtn_u32 v23, v12, v23 offset:4104
; %bb.18:                               ;   in Loop: Header=BB26_13 Depth=2
	s_or_b64 exec, exec, s[26:27]
	s_waitcnt lgkmcnt(0)
	v_readfirstlane_b32 s6, v23
	v_mov_b32_e32 v23, s6
	v_mad_u32_u24 v22, s24, v22, v23
.LBB26_19:                              ;   in Loop: Header=BB26_13 Depth=2
	s_or_b64 exec, exec, s[28:29]
	ds_bpermute_b32 v22, v29, v22
	s_and_saveexec_b64 s[6:7], vcc
	s_cbranch_execz .LBB26_12
; %bb.20:                               ;   in Loop: Header=BB26_13 Depth=2
	v_and_b32_e32 v24, vcc_lo, v31
	v_and_b32_e32 v23, vcc_hi, v30
	v_bcnt_u32_b32 v24, v24, 0
	v_bcnt_u32_b32 v23, v23, v24
	v_lshlrev_b32_e32 v23, 3, v23
	s_waitcnt lgkmcnt(0)
	v_lshl_add_u32 v22, v22, 3, v23
	ds_write_b64 v22, v[2:3]
	s_branch .LBB26_12
.LBB26_21:                              ;   in Loop: Header=BB26_7 Depth=1
	s_mov_b64 s[18:19], -1
	s_mov_b64 s[6:7], 0
.LBB26_22:                              ;   in Loop: Header=BB26_7 Depth=1
	s_and_b64 vcc, exec, s[18:19]
	s_cbranch_vccz .LBB26_33
.LBB26_23:                              ;   in Loop: Header=BB26_7 Depth=1
	v_mov_b32_e32 v2, 0
	v_mov_b32_e32 v3, 0
	s_mov_b64 s[6:7], exec
	v_readlane_b32 s18, v46, 30
	v_readlane_b32 s19, v46, 31
	s_and_b64 s[18:19], s[6:7], s[18:19]
	s_mov_b64 exec, s[18:19]
	s_cbranch_execz .LBB26_25
; %bb.24:                               ;   in Loop: Header=BB26_7 Depth=1
	global_load_dwordx2 v[2:3], v[13:14], off
.LBB26_25:                              ;   in Loop: Header=BB26_7 Depth=1
	s_or_b64 exec, exec, s[6:7]
	s_mov_b64 s[6:7], exec
	v_readlane_b32 s18, v46, 32
	v_readlane_b32 s19, v46, 33
	s_and_b64 s[18:19], s[6:7], s[18:19]
	s_mov_b64 exec, s[18:19]
	s_cbranch_execz .LBB26_30
; %bb.26:                               ;   in Loop: Header=BB26_7 Depth=1
	v_readlane_b32 s18, v46, 34
	v_readlane_b32 s19, v46, 35
	v_mov_b32_e32 v22, v27
	v_mov_b32_e32 v23, v0
	s_nop 2
	global_load_ushort v8, v12, s[18:19]
	s_mov_b64 s[18:19], 0
	s_waitcnt vmcnt(0)
	v_add_u32_e32 v6, v0, v8
	v_mul_lo_u32 v11, s43, v6
	v_mul_lo_u32 v21, s43, v8
	v_lshlrev_b32_e32 v9, 3, v8
	s_branch .LBB26_28
.LBB26_27:                              ;   in Loop: Header=BB26_28 Depth=2
	s_or_b64 exec, exec, s[20:21]
	ds_write_b64 v22, v[2:3]
	v_cmp_le_i32_e32 vcc, s40, v23
	s_waitcnt vmcnt(0)
	v_mov_b32_e32 v2, v6
	v_add_u32_e32 v22, v22, v9
	v_add_u32_e32 v11, v11, v21
	s_or_b64 s[18:19], vcc, s[18:19]
	v_mov_b32_e32 v3, v7
	s_andn2_b64 exec, exec, s[18:19]
	s_cbranch_execz .LBB26_30
.LBB26_28:                              ;   Parent Loop BB26_7 Depth=1
                                        ; =>  This Inner Loop Header: Depth=2
	v_add_u32_e32 v23, v23, v8
	v_mov_b32_e32 v6, 0
	v_mov_b32_e32 v7, 0
	v_cmp_gt_u32_e32 vcc, s40, v23
	s_and_saveexec_b64 s[20:21], vcc
	s_cbranch_execz .LBB26_27
; %bb.29:                               ;   in Loop: Header=BB26_28 Depth=2
	v_lshlrev_b64 v[6:7], 3, v[11:12]
	v_mov_b32_e32 v24, s45
	v_add_co_u32_e32 v6, vcc, s42, v6
	v_addc_co_u32_e32 v7, vcc, v24, v7, vcc
	global_load_dwordx2 v[6:7], v[6:7], off
	s_branch .LBB26_27
.LBB26_30:                              ;   in Loop: Header=BB26_7 Depth=1
	s_or_b64 exec, exec, s[6:7]
	s_waitcnt vmcnt(0) lgkmcnt(0)
	s_barrier
	s_and_saveexec_b64 s[6:7], s[0:1]
; %bb.31:                               ;   in Loop: Header=BB26_7 Depth=1
	v_mov_b32_e32 v2, s40
	ds_write_b32 v12, v2 offset:4096
; %bb.32:                               ;   in Loop: Header=BB26_7 Depth=1
	s_or_b64 exec, exec, s[6:7]
	s_mov_b64 s[6:7], -1
	s_waitcnt lgkmcnt(0)
	s_barrier
.LBB26_33:                              ;   in Loop: Header=BB26_7 Depth=1
	s_and_b64 vcc, exec, s[6:7]
	s_cbranch_vccz .LBB26_35
; %bb.34:                               ;   in Loop: Header=BB26_7 Depth=1
	ds_read_b32 v2, v12 offset:4096
	s_waitcnt lgkmcnt(0)
	v_readfirstlane_b32 s34, v2
.LBB26_35:                              ;   in Loop: Header=BB26_7 Depth=1
	s_cmp_lt_i32 s34, 1
	s_mov_b64 s[6:7], -1
                                        ; implicit-def: $vgpr6
	s_cbranch_scc1 .LBB26_45
; %bb.36:                               ;   in Loop: Header=BB26_7 Depth=1
	s_and_b64 vcc, exec, s[6:7]
	s_cbranch_vccnz .LBB26_58
.LBB26_37:                              ;   in Loop: Header=BB26_7 Depth=1
	s_lshl_b32 s18, s56, 6
	s_and_saveexec_b64 s[6:7], s[2:3]
.LBB26_38:                              ;   in Loop: Header=BB26_7 Depth=1
	v_lshl_add_u32 v2, s18, 2, v32
	ds_write_b128 v2, v[6:9]
.LBB26_39:                              ;   in Loop: Header=BB26_7 Depth=1
	s_or_b64 exec, exec, s[6:7]
	s_waitcnt vmcnt(0) lgkmcnt(0)
	s_barrier
	s_and_saveexec_b64 s[6:7], s[48:49]
	s_cbranch_execz .LBB26_75
; %bb.40:                               ;   in Loop: Header=BB26_7 Depth=1
	s_andn2_b64 vcc, exec, s[52:53]
	v_mov_b32_e32 v2, 0
	s_cbranch_vccnz .LBB26_74
; %bb.41:                               ;   in Loop: Header=BB26_7 Depth=1
	v_readlane_b32 s20, v46, 36
	v_readlane_b32 s21, v46, 37
	s_andn2_b64 vcc, exec, s[20:21]
	s_cbranch_vccnz .LBB26_70
; %bb.42:                               ;   in Loop: Header=BB26_7 Depth=1
	v_lshl_add_u32 v3, s56, 8, v40
	s_mov_b32 s19, 0
	v_mov_b32_e32 v2, 0
.LBB26_43:                              ;   Parent Loop BB26_7 Depth=1
                                        ; =>  This Inner Loop Header: Depth=2
	ds_read2_b32 v[6:7], v3 offset1:4
	ds_read2_b32 v[8:9], v3 offset0:8 offset1:12
	ds_read2_b32 v[21:22], v3 offset0:16 offset1:20
	;; [unrolled: 1-line block ×3, first 2 shown]
	s_add_i32 s19, s19, 8
	s_waitcnt lgkmcnt(3)
	v_add3_u32 v2, v6, v2, v7
	s_waitcnt lgkmcnt(2)
	v_add3_u32 v2, v8, v2, v9
	;; [unrolled: 2-line block ×3, first 2 shown]
	v_add_u32_e32 v3, 0x80, v3
	s_cmp_eq_u32 s57, s19
	s_waitcnt lgkmcnt(0)
	v_add3_u32 v2, v23, v2, v24
	s_cbranch_scc0 .LBB26_43
; %bb.44:                               ;   in Loop: Header=BB26_7 Depth=1
	s_mov_b32 s19, s57
	s_branch .LBB26_71
.LBB26_45:                              ;   in Loop: Header=BB26_7 Depth=1
	v_mov_b32_e32 v6, 0
	v_mov_b32_e32 v7, 0
	;; [unrolled: 1-line block ×4, first 2 shown]
	s_and_saveexec_b64 s[74:75], s[10:11]
	s_cbranch_execz .LBB26_49
; %bb.46:                               ;   in Loop: Header=BB26_7 Depth=1
	s_mov_b32 s26, 0
	s_mov_b64 s[76:77], 0
	s_mov_b32 s27, 0
	s_mov_b32 s28, 0
	;; [unrolled: 1-line block ×4, first 2 shown]
	v_mov_b32_e32 v21, v25
.LBB26_47:                              ;   Parent Loop BB26_7 Depth=1
                                        ; =>  This Inner Loop Header: Depth=2
	v_add_u32_e32 v2, s26, v37
	v_ashrrev_i32_e32 v3, 31, v2
	v_lshlrev_b64 v[2:3], 3, v[2:3]
	v_add_u32_e32 v6, s26, v34
	v_ashrrev_i32_e32 v7, 31, v6
	v_add_co_u32_e32 v2, vcc, s42, v2
	v_mov_b32_e32 v11, s45
	v_lshlrev_b64 v[6:7], 3, v[6:7]
	v_addc_co_u32_e32 v3, vcc, v11, v3, vcc
	v_add_co_u32_e32 v6, vcc, s42, v6
	v_addc_co_u32_e32 v7, vcc, v11, v7, vcc
	global_load_dwordx2 v[2:3], v[2:3], off
	v_add_u32_e32 v8, s26, v36
	global_load_dwordx2 v[22:23], v[6:7], off
	v_add_u32_e32 v6, s26, v35
	v_ashrrev_i32_e32 v7, 31, v6
	v_lshlrev_b64 v[6:7], 3, v[6:7]
	v_ashrrev_i32_e32 v9, 31, v8
	v_add_co_u32_e32 v6, vcc, s42, v6
	v_lshlrev_b64 v[8:9], 3, v[8:9]
	v_addc_co_u32_e32 v7, vcc, v11, v7, vcc
	global_load_dwordx2 v[6:7], v[6:7], off
	v_add_co_u32_e32 v8, vcc, s42, v8
	v_addc_co_u32_e32 v9, vcc, v11, v9, vcc
	global_load_dwordx2 v[8:9], v[8:9], off
	v_add_u32_e32 v21, s33, v21
	s_add_i32 s26, s26, s16
	s_waitcnt vmcnt(3)
	v_xor_b32_e32 v3, 0x80000000, v3
	v_and_b32_e32 v43, v3, v20
	v_and_b32_e32 v42, v2, v19
	v_lshrrev_b64 v[2:3], s58, v[2:3]
	s_waitcnt vmcnt(2)
	v_xor_b32_e32 v23, 0x80000000, v23
	v_and_b32_e32 v11, 3, v2
	v_lshrrev_b64 v[2:3], s58, v[22:23]
	v_cmp_eq_u64_e32 vcc, v[42:43], v[17:18]
	v_and_b32_e32 v43, v23, v20
	v_and_b32_e32 v42, v22, v19
	v_cmp_eq_u64_e64 s[6:7], 0, v[11:12]
	v_cmp_eq_u64_e64 s[18:19], v[42:43], v[17:18]
	s_waitcnt vmcnt(1)
	v_xor_b32_e32 v7, 0x80000000, v7
	v_and_b32_e32 v43, v7, v20
	v_and_b32_e32 v42, v6, v19
	;; [unrolled: 1-line block ×3, first 2 shown]
	v_mov_b32_e32 v3, v12
	v_lshrrev_b64 v[6:7], s58, v[6:7]
	s_waitcnt vmcnt(0)
	v_xor_b32_e32 v9, 0x80000000, v9
	s_and_b64 s[24:25], vcc, s[6:7]
	v_cmp_eq_u64_e64 s[6:7], 0, v[2:3]
	v_cmp_eq_u64_e64 s[20:21], v[42:43], v[17:18]
	v_and_b32_e32 v43, v9, v20
	v_and_b32_e32 v42, v8, v19
	;; [unrolled: 1-line block ×3, first 2 shown]
	v_mov_b32_e32 v7, v12
	v_lshrrev_b64 v[8:9], s58, v[8:9]
	s_and_b64 s[36:37], s[18:19], s[6:7]
	v_cmp_eq_u64_e64 s[6:7], 0, v[6:7]
	v_and_b32_e32 v8, 3, v8
	v_mov_b32_e32 v9, v12
	v_cmp_eq_u64_e64 s[22:23], v[42:43], v[17:18]
	s_and_b64 s[38:39], s[20:21], s[6:7]
	v_cmp_eq_u64_e64 s[6:7], 0, v[8:9]
	v_cndmask_b32_e64 v22, 0, 1, s[24:25]
	s_and_b64 s[46:47], s[22:23], s[6:7]
	v_cmp_ne_u32_e64 s[6:7], 0, v22
	v_cndmask_b32_e64 v22, 0, 1, s[36:37]
	s_bcnt1_i32_b64 s24, s[6:7]
	v_cmp_ne_u32_e64 s[6:7], 0, v22
	v_cndmask_b32_e64 v22, 0, 1, s[38:39]
	s_bcnt1_i32_b64 s25, s[6:7]
	;; [unrolled: 3-line block ×3, first 2 shown]
	v_cmp_ne_u32_e64 s[6:7], 0, v22
	s_bcnt1_i32_b64 s6, s[6:7]
	s_add_i32 s7, s30, s24
	s_add_i32 s7, s7, s25
	;; [unrolled: 1-line block ×4, first 2 shown]
	v_cmp_eq_u64_e64 s[6:7], 1, v[11:12]
	s_and_b64 s[24:25], vcc, s[6:7]
	v_cmp_eq_u64_e64 s[6:7], 1, v[2:3]
	v_cndmask_b32_e64 v22, 0, 1, s[24:25]
	s_and_b64 s[36:37], s[18:19], s[6:7]
	v_cmp_eq_u64_e64 s[6:7], 1, v[6:7]
	s_and_b64 s[38:39], s[20:21], s[6:7]
	v_cmp_eq_u64_e64 s[6:7], 1, v[8:9]
	s_and_b64 s[46:47], s[22:23], s[6:7]
	v_cmp_ne_u32_e64 s[6:7], 0, v22
	v_cndmask_b32_e64 v22, 0, 1, s[36:37]
	s_bcnt1_i32_b64 s24, s[6:7]
	v_cmp_ne_u32_e64 s[6:7], 0, v22
	v_cndmask_b32_e64 v22, 0, 1, s[38:39]
	s_bcnt1_i32_b64 s25, s[6:7]
	;; [unrolled: 3-line block ×3, first 2 shown]
	v_cmp_ne_u32_e64 s[6:7], 0, v22
	s_bcnt1_i32_b64 s6, s[6:7]
	s_add_i32 s7, s29, s24
	s_add_i32 s7, s7, s25
	;; [unrolled: 1-line block ×4, first 2 shown]
	v_cmp_eq_u64_e64 s[6:7], 2, v[11:12]
	s_and_b64 s[24:25], vcc, s[6:7]
	v_cmp_eq_u64_e64 s[6:7], 2, v[2:3]
	v_cndmask_b32_e64 v22, 0, 1, s[24:25]
	s_and_b64 s[36:37], s[18:19], s[6:7]
	v_cmp_eq_u64_e64 s[6:7], 2, v[6:7]
	s_and_b64 s[38:39], s[20:21], s[6:7]
	v_cmp_eq_u64_e64 s[6:7], 2, v[8:9]
	s_and_b64 s[46:47], s[22:23], s[6:7]
	v_cmp_ne_u32_e64 s[6:7], 0, v22
	v_cndmask_b32_e64 v22, 0, 1, s[36:37]
	s_bcnt1_i32_b64 s24, s[6:7]
	v_cmp_ne_u32_e64 s[6:7], 0, v22
	v_cndmask_b32_e64 v22, 0, 1, s[38:39]
	s_bcnt1_i32_b64 s25, s[6:7]
	v_cmp_ne_u32_e64 s[6:7], 0, v22
	v_cndmask_b32_e64 v22, 0, 1, s[46:47]
	s_bcnt1_i32_b64 s31, s[6:7]
	v_cmp_ne_u32_e64 s[6:7], 0, v22
	s_bcnt1_i32_b64 s6, s[6:7]
	s_add_i32 s7, s28, s24
	s_add_i32 s7, s7, s25
	;; [unrolled: 1-line block ×4, first 2 shown]
	v_cmp_eq_u64_e64 s[6:7], 3, v[11:12]
	s_and_b64 s[6:7], vcc, s[6:7]
	v_cmp_eq_u64_e32 vcc, 3, v[2:3]
	v_cndmask_b32_e64 v2, 0, 1, s[6:7]
	s_and_b64 s[18:19], s[18:19], vcc
	v_cmp_eq_u64_e32 vcc, 3, v[6:7]
	v_mov_b32_e32 v6, s30
	s_and_b64 s[20:21], s[20:21], vcc
	v_cmp_eq_u64_e32 vcc, 3, v[8:9]
	v_mov_b32_e32 v7, s29
	s_and_b64 s[22:23], s[22:23], vcc
	v_cmp_ne_u32_e32 vcc, 0, v2
	v_cndmask_b32_e64 v2, 0, 1, s[18:19]
	s_bcnt1_i32_b64 s6, vcc
	v_cmp_ne_u32_e32 vcc, 0, v2
	v_cndmask_b32_e64 v2, 0, 1, s[20:21]
	s_bcnt1_i32_b64 s7, vcc
	v_cmp_ne_u32_e32 vcc, 0, v2
	v_cndmask_b32_e64 v2, 0, 1, s[22:23]
	s_add_i32 s6, s27, s6
	s_bcnt1_i32_b64 s18, vcc
	v_cmp_ne_u32_e32 vcc, 0, v2
	s_add_i32 s6, s6, s7
	s_bcnt1_i32_b64 s19, vcc
	s_add_i32 s6, s6, s18
	s_add_i32 s27, s6, s19
	v_cmp_le_i32_e32 vcc, s9, v21
	s_or_b64 s[76:77], vcc, s[76:77]
	v_mov_b32_e32 v8, s28
	v_mov_b32_e32 v9, s27
	s_andn2_b64 exec, exec, s[76:77]
	s_cbranch_execnz .LBB26_47
; %bb.48:                               ;   in Loop: Header=BB26_7 Depth=1
	s_or_b64 exec, exec, s[76:77]
.LBB26_49:                              ;   in Loop: Header=BB26_7 Depth=1
	s_or_b64 exec, exec, s[74:75]
	v_mov_b32_e32 v21, 0
	v_mov_b32_e32 v22, 0
	s_and_saveexec_b64 s[6:7], s[12:13]
	s_cbranch_execz .LBB26_51
; %bb.50:                               ;   in Loop: Header=BB26_7 Depth=1
	global_load_dwordx2 v[21:22], v[15:16], off
.LBB26_51:                              ;   in Loop: Header=BB26_7 Depth=1
	s_or_b64 exec, exec, s[6:7]
	s_and_saveexec_b64 s[18:19], s[14:15]
	s_cbranch_execz .LBB26_57
; %bb.52:                               ;   in Loop: Header=BB26_7 Depth=1
	s_mov_b64 s[20:21], 0
	v_mov_b32_e32 v2, v38
	v_mov_b32_e32 v42, v33
	s_branch .LBB26_54
.LBB26_53:                              ;   in Loop: Header=BB26_54 Depth=2
	s_or_b64 exec, exec, s[6:7]
	s_waitcnt vmcnt(0)
	v_xor_b32_e32 v22, 0x80000000, v22
	v_and_b32_e32 v44, v22, v20
	v_and_b32_e32 v43, v21, v19
	v_lshrrev_b64 v[21:22], s58, v[21:22]
	v_cmp_eq_u64_e32 vcc, v[43:44], v[17:18]
	v_and_b32_e32 v11, 3, v21
	v_cmp_eq_u64_e64 s[6:7], 0, v[11:12]
	v_mov_b32_e32 v21, v23
	s_and_b64 s[6:7], vcc, s[6:7]
	v_cndmask_b32_e64 v3, 0, 1, s[6:7]
	v_cmp_ne_u32_e64 s[6:7], 0, v3
	s_bcnt1_i32_b64 s22, s[6:7]
	v_cmp_eq_u64_e64 s[6:7], 1, v[11:12]
	v_add_u32_e32 v6, s22, v6
	s_and_b64 s[6:7], vcc, s[6:7]
	v_cndmask_b32_e64 v3, 0, 1, s[6:7]
	v_cmp_ne_u32_e64 s[6:7], 0, v3
	s_bcnt1_i32_b64 s22, s[6:7]
	v_cmp_eq_u64_e64 s[6:7], 2, v[11:12]
	v_add_u32_e32 v7, s22, v7
	;; [unrolled: 6-line block ×3, first 2 shown]
	s_and_b64 s[6:7], vcc, s[6:7]
	v_cndmask_b32_e64 v3, 0, 1, s[6:7]
	v_cmp_ne_u32_e32 vcc, 0, v3
	s_bcnt1_i32_b64 s6, vcc
	v_cmp_le_i32_e32 vcc, s40, v42
	v_add_u32_e32 v9, s6, v9
	v_add_u32_e32 v2, s54, v2
	s_or_b64 s[20:21], vcc, s[20:21]
	v_mov_b32_e32 v22, v24
	s_andn2_b64 exec, exec, s[20:21]
	s_cbranch_execz .LBB26_56
.LBB26_54:                              ;   Parent Loop BB26_7 Depth=1
                                        ; =>  This Inner Loop Header: Depth=2
	v_add_u32_e32 v42, s44, v42
	v_mov_b32_e32 v23, 0
	v_mov_b32_e32 v24, 0
	v_cmp_gt_u32_e32 vcc, s40, v42
	s_and_saveexec_b64 s[6:7], vcc
	s_cbranch_execz .LBB26_53
; %bb.55:                               ;   in Loop: Header=BB26_54 Depth=2
	v_ashrrev_i32_e32 v3, 31, v2
	v_lshlrev_b64 v[23:24], 3, v[2:3]
	v_mov_b32_e32 v3, s45
	v_add_co_u32_e32 v23, vcc, s42, v23
	v_addc_co_u32_e32 v24, vcc, v3, v24, vcc
	global_load_dwordx2 v[23:24], v[23:24], off
	s_branch .LBB26_53
.LBB26_56:                              ;   in Loop: Header=BB26_7 Depth=1
	s_or_b64 exec, exec, s[20:21]
.LBB26_57:                              ;   in Loop: Header=BB26_7 Depth=1
	s_or_b64 exec, exec, s[18:19]
	s_branch .LBB26_37
.LBB26_58:                              ;   in Loop: Header=BB26_7 Depth=1
	s_mul_hi_u32 s6, s34, s8
	s_mul_i32 s6, s6, s33
	s_sub_i32 s6, s34, s6
	s_sub_i32 s7, s6, s33
	s_cmp_ge_u32 s6, s33
	s_cselect_b32 s6, s7, s6
	s_sub_i32 s7, s6, s33
	s_cmp_ge_u32 s6, s33
	s_cselect_b32 s6, s7, s6
	s_sub_i32 s26, s34, s6
	v_cmp_gt_u32_e32 vcc, s26, v25
	v_mov_b32_e32 v6, 0
	v_mov_b32_e32 v7, 0
	;; [unrolled: 1-line block ×4, first 2 shown]
	s_and_saveexec_b64 s[74:75], vcc
	s_cbranch_execz .LBB26_62
; %bb.59:                               ;   in Loop: Header=BB26_7 Depth=1
	s_mov_b32 s27, 0
	s_mov_b64 s[76:77], 0
	s_waitcnt vmcnt(0)
	v_mov_b32_e32 v21, v39
	s_mov_b32 s28, 0
	s_mov_b32 s29, 0
	s_mov_b32 s30, 0
	v_mov_b32_e32 v22, v25
.LBB26_60:                              ;   Parent Loop BB26_7 Depth=1
                                        ; =>  This Inner Loop Header: Depth=2
	ds_read_b128 v[42:45], v21
	ds_read_b128 v[6:9], v21 offset:16
	v_add_u32_e32 v22, s33, v22
	v_add_u32_e32 v21, s17, v21
	s_waitcnt lgkmcnt(1)
	v_xor_b32_e32 v43, 0x80000000, v43
	v_xor_b32_e32 v45, 0x80000000, v45
	v_and_b32_e32 v3, v43, v20
	v_and_b32_e32 v2, v42, v19
	s_waitcnt lgkmcnt(0)
	v_xor_b32_e32 v7, 0x80000000, v7
	v_cmp_eq_u64_e32 vcc, v[2:3], v[17:18]
	v_and_b32_e32 v3, v45, v20
	v_and_b32_e32 v2, v44, v19
	v_xor_b32_e32 v9, 0x80000000, v9
	v_cmp_eq_u64_e64 s[18:19], v[2:3], v[17:18]
	v_and_b32_e32 v3, v7, v20
	v_and_b32_e32 v2, v6, v19
	v_cmp_eq_u64_e64 s[20:21], v[2:3], v[17:18]
	v_and_b32_e32 v3, v9, v20
	v_and_b32_e32 v2, v8, v19
	v_cmp_eq_u64_e64 s[22:23], v[2:3], v[17:18]
	v_lshrrev_b64 v[2:3], s58, v[42:43]
	v_lshrrev_b64 v[6:7], s58, v[6:7]
	v_and_b32_e32 v11, 3, v2
	v_lshrrev_b64 v[2:3], s58, v[44:45]
	v_cmp_eq_u64_e64 s[6:7], 0, v[11:12]
	v_and_b32_e32 v2, 3, v2
	v_mov_b32_e32 v3, v12
	s_and_b64 s[24:25], vcc, s[6:7]
	v_cmp_eq_u64_e64 s[6:7], 0, v[2:3]
	v_and_b32_e32 v6, 3, v6
	v_mov_b32_e32 v7, v12
	v_lshrrev_b64 v[8:9], s58, v[8:9]
	s_and_b64 s[36:37], s[18:19], s[6:7]
	v_cmp_eq_u64_e64 s[6:7], 0, v[6:7]
	v_and_b32_e32 v8, 3, v8
	v_mov_b32_e32 v9, v12
	s_and_b64 s[38:39], s[20:21], s[6:7]
	v_cmp_eq_u64_e64 s[6:7], 0, v[8:9]
	v_cndmask_b32_e64 v23, 0, 1, s[24:25]
	s_and_b64 s[46:47], s[22:23], s[6:7]
	v_cmp_ne_u32_e64 s[6:7], 0, v23
	v_cndmask_b32_e64 v23, 0, 1, s[36:37]
	s_bcnt1_i32_b64 s24, s[6:7]
	v_cmp_ne_u32_e64 s[6:7], 0, v23
	v_cndmask_b32_e64 v23, 0, 1, s[38:39]
	s_bcnt1_i32_b64 s25, s[6:7]
	;; [unrolled: 3-line block ×3, first 2 shown]
	v_cmp_ne_u32_e64 s[6:7], 0, v23
	s_bcnt1_i32_b64 s6, s[6:7]
	s_add_i32 s7, s30, s24
	s_add_i32 s7, s7, s25
	;; [unrolled: 1-line block ×4, first 2 shown]
	v_cmp_eq_u64_e64 s[6:7], 1, v[11:12]
	s_and_b64 s[24:25], vcc, s[6:7]
	v_cmp_eq_u64_e64 s[6:7], 1, v[2:3]
	v_cndmask_b32_e64 v23, 0, 1, s[24:25]
	s_and_b64 s[36:37], s[18:19], s[6:7]
	v_cmp_eq_u64_e64 s[6:7], 1, v[6:7]
	s_and_b64 s[38:39], s[20:21], s[6:7]
	v_cmp_eq_u64_e64 s[6:7], 1, v[8:9]
	s_and_b64 s[46:47], s[22:23], s[6:7]
	v_cmp_ne_u32_e64 s[6:7], 0, v23
	v_cndmask_b32_e64 v23, 0, 1, s[36:37]
	s_bcnt1_i32_b64 s24, s[6:7]
	v_cmp_ne_u32_e64 s[6:7], 0, v23
	v_cndmask_b32_e64 v23, 0, 1, s[38:39]
	s_bcnt1_i32_b64 s25, s[6:7]
	v_cmp_ne_u32_e64 s[6:7], 0, v23
	v_cndmask_b32_e64 v23, 0, 1, s[46:47]
	s_bcnt1_i32_b64 s31, s[6:7]
	v_cmp_ne_u32_e64 s[6:7], 0, v23
	s_bcnt1_i32_b64 s6, s[6:7]
	s_add_i32 s7, s29, s24
	s_add_i32 s7, s7, s25
	;; [unrolled: 1-line block ×4, first 2 shown]
	v_cmp_eq_u64_e64 s[6:7], 2, v[11:12]
	s_and_b64 s[24:25], vcc, s[6:7]
	v_cmp_eq_u64_e64 s[6:7], 2, v[2:3]
	v_cndmask_b32_e64 v23, 0, 1, s[24:25]
	s_and_b64 s[36:37], s[18:19], s[6:7]
	v_cmp_eq_u64_e64 s[6:7], 2, v[6:7]
	s_and_b64 s[38:39], s[20:21], s[6:7]
	v_cmp_eq_u64_e64 s[6:7], 2, v[8:9]
	s_and_b64 s[46:47], s[22:23], s[6:7]
	v_cmp_ne_u32_e64 s[6:7], 0, v23
	v_cndmask_b32_e64 v23, 0, 1, s[36:37]
	s_bcnt1_i32_b64 s24, s[6:7]
	v_cmp_ne_u32_e64 s[6:7], 0, v23
	v_cndmask_b32_e64 v23, 0, 1, s[38:39]
	s_bcnt1_i32_b64 s25, s[6:7]
	;; [unrolled: 3-line block ×3, first 2 shown]
	v_cmp_ne_u32_e64 s[6:7], 0, v23
	s_bcnt1_i32_b64 s6, s[6:7]
	s_add_i32 s7, s28, s24
	s_add_i32 s7, s7, s25
	;; [unrolled: 1-line block ×4, first 2 shown]
	v_cmp_eq_u64_e64 s[6:7], 3, v[11:12]
	s_and_b64 s[6:7], vcc, s[6:7]
	v_cmp_eq_u64_e32 vcc, 3, v[2:3]
	v_cndmask_b32_e64 v2, 0, 1, s[6:7]
	s_and_b64 s[18:19], s[18:19], vcc
	v_cmp_eq_u64_e32 vcc, 3, v[6:7]
	v_mov_b32_e32 v6, s30
	s_and_b64 s[20:21], s[20:21], vcc
	v_cmp_eq_u64_e32 vcc, 3, v[8:9]
	v_mov_b32_e32 v7, s29
	s_and_b64 s[22:23], s[22:23], vcc
	v_cmp_ne_u32_e32 vcc, 0, v2
	v_cndmask_b32_e64 v2, 0, 1, s[18:19]
	s_bcnt1_i32_b64 s6, vcc
	v_cmp_ne_u32_e32 vcc, 0, v2
	v_cndmask_b32_e64 v2, 0, 1, s[20:21]
	s_bcnt1_i32_b64 s7, vcc
	v_cmp_ne_u32_e32 vcc, 0, v2
	v_cndmask_b32_e64 v2, 0, 1, s[22:23]
	s_add_i32 s6, s27, s6
	s_bcnt1_i32_b64 s18, vcc
	v_cmp_ne_u32_e32 vcc, 0, v2
	s_add_i32 s6, s6, s7
	s_bcnt1_i32_b64 s19, vcc
	s_add_i32 s6, s6, s18
	s_add_i32 s27, s6, s19
	v_cmp_le_i32_e32 vcc, s26, v22
	s_or_b64 s[76:77], vcc, s[76:77]
	v_mov_b32_e32 v8, s28
	v_mov_b32_e32 v9, s27
	s_andn2_b64 exec, exec, s[76:77]
	s_cbranch_execnz .LBB26_60
; %bb.61:                               ;   in Loop: Header=BB26_7 Depth=1
	s_or_b64 exec, exec, s[76:77]
.LBB26_62:                              ;   in Loop: Header=BB26_7 Depth=1
	s_or_b64 exec, exec, s[74:75]
	v_add_u32_e32 v2, s26, v0
	v_cmp_gt_i32_e32 vcc, s34, v2
	s_and_saveexec_b64 s[18:19], vcc
	s_cbranch_execz .LBB26_66
; %bb.63:                               ;   in Loop: Header=BB26_7 Depth=1
	v_lshlrev_b32_e32 v3, 3, v2
	s_mov_b64 s[20:21], 0
.LBB26_64:                              ;   Parent Loop BB26_7 Depth=1
                                        ; =>  This Inner Loop Header: Depth=2
	s_waitcnt vmcnt(0)
	ds_read_b64 v[21:22], v3
	v_add_u32_e32 v2, s44, v2
	v_add_u32_e32 v3, s55, v3
	s_waitcnt lgkmcnt(0)
	v_xor_b32_e32 v22, 0x80000000, v22
	v_and_b32_e32 v24, v22, v20
	v_and_b32_e32 v23, v21, v19
	v_lshrrev_b64 v[21:22], s58, v[21:22]
	v_cmp_eq_u64_e32 vcc, v[23:24], v[17:18]
	v_and_b32_e32 v11, 3, v21
	v_cmp_eq_u64_e64 s[6:7], 0, v[11:12]
	s_and_b64 s[6:7], vcc, s[6:7]
	v_cndmask_b32_e64 v21, 0, 1, s[6:7]
	v_cmp_ne_u32_e64 s[6:7], 0, v21
	s_bcnt1_i32_b64 s6, s[6:7]
	v_add_u32_e32 v6, s6, v6
	v_cmp_eq_u64_e64 s[6:7], 1, v[11:12]
	s_and_b64 s[6:7], vcc, s[6:7]
	v_cndmask_b32_e64 v21, 0, 1, s[6:7]
	v_cmp_ne_u32_e64 s[6:7], 0, v21
	s_bcnt1_i32_b64 s6, s[6:7]
	v_add_u32_e32 v7, s6, v7
	;; [unrolled: 6-line block ×3, first 2 shown]
	v_cmp_eq_u64_e64 s[6:7], 3, v[11:12]
	s_and_b64 s[6:7], vcc, s[6:7]
	v_cndmask_b32_e64 v11, 0, 1, s[6:7]
	v_cmp_ne_u32_e32 vcc, 0, v11
	s_bcnt1_i32_b64 s6, vcc
	v_cmp_le_i32_e32 vcc, s34, v2
	v_add_u32_e32 v9, s6, v9
	s_or_b64 s[20:21], vcc, s[20:21]
	s_andn2_b64 exec, exec, s[20:21]
	s_cbranch_execnz .LBB26_64
; %bb.65:                               ;   in Loop: Header=BB26_7 Depth=1
	s_or_b64 exec, exec, s[20:21]
.LBB26_66:                              ;   in Loop: Header=BB26_7 Depth=1
	s_or_b64 exec, exec, s[18:19]
	s_lshl_b32 s18, s56, 6
	s_and_saveexec_b64 s[6:7], s[2:3]
	s_cbranch_execnz .LBB26_38
	s_branch .LBB26_39
.LBB26_67:                              ;   in Loop: Header=BB26_7 Depth=1
	s_or_b64 exec, exec, s[20:21]
	s_waitcnt lgkmcnt(0)
	s_barrier
	s_and_saveexec_b64 s[6:7], s[0:1]
	s_cbranch_execz .LBB26_69
; %bb.68:                               ;   in Loop: Header=BB26_7 Depth=1
	ds_read_b32 v2, v12 offset:4104
	s_waitcnt lgkmcnt(0)
	ds_write_b32 v12, v2 offset:4096
.LBB26_69:                              ;   in Loop: Header=BB26_7 Depth=1
	s_or_b64 exec, exec, s[6:7]
	s_waitcnt lgkmcnt(0)
	s_barrier
	s_mov_b64 s[6:7], -1
	s_and_b64 vcc, exec, s[18:19]
	s_cbranch_vccnz .LBB26_23
	s_branch .LBB26_33
.LBB26_70:                              ;   in Loop: Header=BB26_7 Depth=1
	v_mov_b32_e32 v2, 0
	s_mov_b32 s19, 0
.LBB26_71:                              ;   in Loop: Header=BB26_7 Depth=1
	v_readlane_b32 s20, v46, 39
	v_readlane_b32 s21, v46, 40
	s_andn2_b64 vcc, exec, s[20:21]
	s_cbranch_vccnz .LBB26_74
; %bb.72:                               ;   in Loop: Header=BB26_7 Depth=1
	s_lshl_b32 s20, s56, 8
	s_lshl_b32 s19, s19, 4
	s_add_i32 s20, s20, s19
	v_add_u32_e32 v3, s20, v40
	v_readlane_b32 s19, v46, 38
.LBB26_73:                              ;   Parent Loop BB26_7 Depth=1
                                        ; =>  This Inner Loop Header: Depth=2
	ds_read_b32 v6, v3
	s_add_i32 s19, s19, -1
	v_add_u32_e32 v3, 16, v3
	s_cmp_lg_u32 s19, 0
	s_waitcnt lgkmcnt(0)
	v_add_u32_e32 v2, v6, v2
	s_cbranch_scc1 .LBB26_73
.LBB26_74:                              ;   in Loop: Header=BB26_7 Depth=1
	v_add_lshl_u32 v3, s18, v26, 2
	ds_write_b32 v3, v2 offset:3072
.LBB26_75:                              ;   in Loop: Header=BB26_7 Depth=1
	s_or_b64 exec, exec, s[6:7]
	s_lshl_b32 s6, s18, 2
	v_mov_b32_e32 v2, s6
	s_waitcnt lgkmcnt(0)
	s_barrier
	ds_read_b128 v[6:9], v2 offset:3072
	s_lshl_b64 s[6:7], 3, s58
	s_not_b64 s[78:79], s[6:7]
	v_cmp_eq_u32_e32 vcc, 1, v41
	s_mov_b64 s[20:21], -1
	s_waitcnt lgkmcnt(0)
	v_readfirstlane_b32 s80, v6
	s_cmp_eq_u32 s80, 1
	s_cselect_b64 s[18:19], -1, 0
	v_readfirstlane_b32 s84, v7
	v_readfirstlane_b32 s92, v8
	v_readfirstlane_b32 s41, v9
	s_and_b64 s[22:23], s[18:19], vcc
	s_mov_b64 s[28:29], -1
                                        ; implicit-def: $sgpr74_sgpr75
                                        ; implicit-def: $sgpr34_sgpr35
	s_and_saveexec_b64 s[18:19], s[22:23]
	s_cbranch_execz .LBB26_101
; %bb.76:                               ;   in Loop: Header=BB26_7 Depth=1
	ds_read_b32 v2, v12 offset:4096
	s_waitcnt lgkmcnt(0)
	s_barrier
	v_readfirstlane_b32 s24, v2
	s_and_saveexec_b64 s[26:27], s[4:5]
; %bb.77:                               ;   in Loop: Header=BB26_7 Depth=1
	v_mov_b32_e32 v11, v12
	ds_write_b64 v28, v[11:12]
; %bb.78:                               ;   in Loop: Header=BB26_7 Depth=1
	s_or_b64 exec, exec, s[26:27]
	v_and_b32_e32 v18, s79, v18
	v_and_b32_e32 v17, s78, v17
	v_or_b32_e32 v20, s7, v20
	v_or_b32_e32 v19, s6, v19
	s_mov_b64 s[34:35], -1
	s_mov_b64 s[74:75], 0
	s_cmp_lt_i32 s24, 1
	s_mov_b64 s[46:47], 0
	s_mov_b64 s[76:77], -1
	s_waitcnt lgkmcnt(0)
	s_barrier
                                        ; implicit-def: $vgpr4_vgpr5
	s_cbranch_scc0 .LBB26_89
; %bb.79:                               ;   in Loop: Header=BB26_7 Depth=1
	s_mov_b64 s[76:77], 0
                                        ; implicit-def: $vgpr4_vgpr5
	s_mov_b64 s[28:29], exec
	v_readlane_b32 s26, v46, 42
	v_readlane_b32 s27, v46, 43
	s_and_b64 s[26:27], s[28:29], s[26:27]
	s_mov_b64 exec, s[26:27]
	s_cbranch_execz .LBB26_88
; %bb.80:                               ;   in Loop: Header=BB26_7 Depth=1
	s_mov_b64 s[30:31], 0
	v_mov_b32_e32 v6, v10
	v_mov_b32_e32 v8, v0
                                        ; implicit-def: $sgpr36_sgpr37
	s_branch .LBB26_83
.LBB26_81:                              ;   in Loop: Header=BB26_83 Depth=2
	s_or_b64 exec, exec, s[38:39]
	s_waitcnt lgkmcnt(0)
	s_barrier
	ds_read_b128 v[2:5], v12 offset:3072
	s_mov_b64 s[38:39], -1
	s_mov_b64 s[46:47], -1
	s_waitcnt lgkmcnt(0)
	s_barrier
	v_cmp_ne_u64_e32 vcc, 0, v[2:3]
	s_cbranch_vccz .LBB26_86
.LBB26_82:                              ;   in Loop: Header=BB26_83 Depth=2
	s_and_b64 s[26:27], exec, s[38:39]
	s_or_b64 s[30:31], s[26:27], s[30:31]
	s_andn2_b64 s[26:27], s[36:37], exec
	s_and_b64 s[36:37], s[46:47], exec
	s_or_b64 s[36:37], s[26:27], s[36:37]
	s_andn2_b64 exec, exec, s[30:31]
	s_cbranch_execz .LBB26_87
.LBB26_83:                              ;   Parent Loop BB26_7 Depth=1
                                        ; =>  This Inner Loop Header: Depth=2
	v_cmp_gt_i32_e32 vcc, s40, v8
	s_and_saveexec_b64 s[38:39], vcc
	s_cbranch_execz .LBB26_81
; %bb.84:                               ;   in Loop: Header=BB26_83 Depth=2
	v_ashrrev_i32_e32 v7, 31, v6
	v_lshlrev_b64 v[2:3], 3, v[6:7]
	v_mov_b32_e32 v4, s45
	v_add_co_u32_e32 v2, vcc, s42, v2
	v_addc_co_u32_e32 v3, vcc, v4, v3, vcc
	global_load_dwordx2 v[3:4], v[2:3], off
	s_waitcnt vmcnt(0)
	v_xor_b32_e32 v2, 0x80000000, v4
	v_and_b32_e32 v22, v2, v20
	v_and_b32_e32 v21, v3, v19
	v_cmp_eq_u64_e32 vcc, v[21:22], v[17:18]
	s_and_b64 exec, exec, vcc
	s_cbranch_execz .LBB26_81
; %bb.85:                               ;   in Loop: Header=BB26_83 Depth=2
	v_mov_b32_e32 v2, v12
	ds_write_b128 v12, v[1:4] offset:3072
	s_branch .LBB26_81
.LBB26_86:                              ;   in Loop: Header=BB26_83 Depth=2
	v_add_u32_e32 v8, s44, v8
	v_cmp_le_i32_e32 vcc, s59, v8
	v_add_u32_e32 v6, s54, v6
	s_mov_b64 s[46:47], 0
	s_orn2_b64 s[38:39], vcc, exec
	s_branch .LBB26_82
.LBB26_87:                              ;   in Loop: Header=BB26_7 Depth=1
	s_or_b64 exec, exec, s[30:31]
	s_and_b64 s[46:47], s[36:37], exec
.LBB26_88:                              ;   in Loop: Header=BB26_7 Depth=1
	s_or_b64 exec, exec, s[28:29]
.LBB26_89:                              ;   in Loop: Header=BB26_7 Depth=1
	s_and_b64 vcc, exec, s[76:77]
	s_cbranch_vccz .LBB26_100
; %bb.90:                               ;   in Loop: Header=BB26_7 Depth=1
	v_readlane_b32 s25, v46, 29
	s_add_i32 s25, s24, s25
	s_abs_i32 s27, s25
	v_readlane_b32 s28, v46, 41
	s_mul_hi_u32 s28, s27, s28
	s_mul_i32 s28, s28, s44
	s_sub_i32 s27, s27, s28
	s_ashr_i32 s26, s25, 31
	s_sub_i32 s28, s27, s44
	s_cmp_ge_u32 s27, s44
	s_cselect_b32 s27, s28, s27
	s_sub_i32 s28, s27, s44
	s_cmp_ge_u32 s27, s44
	s_cselect_b32 s27, s28, s27
	s_xor_b32 s27, s27, s26
	s_sub_i32 s26, s26, s27
	s_add_i32 s25, s25, s26
	v_cmp_gt_i32_e32 vcc, s25, v0
                                        ; implicit-def: $vgpr4_vgpr5
	s_and_saveexec_b64 s[28:29], vcc
	s_cbranch_execz .LBB26_99
; %bb.91:                               ;   in Loop: Header=BB26_7 Depth=1
	s_mov_b64 s[34:35], 0
	v_mov_b32_e32 v6, v27
	v_mov_b32_e32 v7, v0
                                        ; implicit-def: $sgpr30_sgpr31
	s_branch .LBB26_94
.LBB26_92:                              ;   in Loop: Header=BB26_94 Depth=2
	s_or_b64 exec, exec, s[36:37]
	s_waitcnt lgkmcnt(0)
	s_barrier
	ds_read_b128 v[2:5], v12 offset:3072
	s_mov_b64 s[36:37], -1
	s_mov_b64 s[38:39], -1
	s_waitcnt lgkmcnt(0)
	s_barrier
	v_cmp_ne_u64_e32 vcc, 0, v[2:3]
	s_cbranch_vccz .LBB26_97
.LBB26_93:                              ;   in Loop: Header=BB26_94 Depth=2
	s_and_b64 s[26:27], exec, s[36:37]
	s_or_b64 s[34:35], s[26:27], s[34:35]
	s_andn2_b64 s[26:27], s[30:31], exec
	s_and_b64 s[30:31], s[38:39], exec
	s_or_b64 s[30:31], s[26:27], s[30:31]
	s_andn2_b64 exec, exec, s[34:35]
	s_cbranch_execz .LBB26_98
.LBB26_94:                              ;   Parent Loop BB26_7 Depth=1
                                        ; =>  This Inner Loop Header: Depth=2
	v_cmp_gt_i32_e32 vcc, s24, v7
	s_and_saveexec_b64 s[36:37], vcc
	s_cbranch_execz .LBB26_92
; %bb.95:                               ;   in Loop: Header=BB26_94 Depth=2
	ds_read_b64 v[3:4], v6
	s_waitcnt lgkmcnt(0)
	v_xor_b32_e32 v2, 0x80000000, v4
	v_and_b32_e32 v9, v2, v20
	v_and_b32_e32 v8, v3, v19
	v_cmp_eq_u64_e32 vcc, v[8:9], v[17:18]
	s_and_b64 exec, exec, vcc
	s_cbranch_execz .LBB26_92
; %bb.96:                               ;   in Loop: Header=BB26_94 Depth=2
	v_mov_b32_e32 v2, v12
	ds_write_b128 v12, v[1:4] offset:3072
	s_branch .LBB26_92
.LBB26_97:                              ;   in Loop: Header=BB26_94 Depth=2
	v_add_u32_e32 v7, s44, v7
	v_cmp_le_i32_e32 vcc, s25, v7
	v_add_u32_e32 v6, s55, v6
	s_mov_b64 s[38:39], 0
	s_orn2_b64 s[36:37], vcc, exec
	s_branch .LBB26_93
.LBB26_98:                              ;   in Loop: Header=BB26_7 Depth=1
	s_or_b64 exec, exec, s[34:35]
	s_andn2_b64 s[24:25], s[46:47], exec
	s_and_b64 s[26:27], s[30:31], exec
	s_or_b64 s[46:47], s[24:25], s[26:27]
.LBB26_99:                              ;   in Loop: Header=BB26_7 Depth=1
	s_or_b64 exec, exec, s[28:29]
	s_mov_b64 s[34:35], 0
	s_mov_b64 s[74:75], -1
.LBB26_100:                             ;   in Loop: Header=BB26_7 Depth=1
	s_orn2_b64 s[28:29], s[46:47], exec
.LBB26_101:                             ;   in Loop: Header=BB26_7 Depth=1
	s_or_b64 exec, exec, s[18:19]
	s_andn2_b64 s[18:19], s[72:73], exec
	s_and_b64 s[26:27], s[74:75], exec
	s_or_b64 s[72:73], s[18:19], s[26:27]
	s_andn2_b64 s[18:19], s[70:71], exec
	s_and_b64 s[26:27], s[34:35], exec
	v_readfirstlane_b32 s24, v0
	v_readfirstlane_b32 s25, v0
	s_andn2_b64 s[68:69], s[68:69], exec
	s_or_b64 s[70:71], s[18:19], s[26:27]
                                        ; implicit-def: $vgpr9
	s_and_saveexec_b64 s[18:19], s[28:29]
	s_cbranch_execz .LBB26_6
; %bb.102:                              ;   in Loop: Header=BB26_7 Depth=1
	s_xor_b64 s[24:25], s[22:23], -1
	s_mov_b64 s[22:23], 0
	v_mov_b32_e32 v9, 1
	v_mov_b32_e32 v8, 1
	s_and_saveexec_b64 s[20:21], s[24:25]
	s_cbranch_execz .LBB26_111
; %bb.103:                              ;   in Loop: Header=BB26_7 Depth=1
	v_cmp_ge_i32_e32 vcc, s80, v41
	s_and_saveexec_b64 s[22:23], vcc
	s_xor_b64 s[22:23], exec, s[22:23]
	s_cbranch_execz .LBB26_108
; %bb.104:                              ;   in Loop: Header=BB26_7 Depth=1
	ds_read_b32 v2, v12 offset:4096
	v_and_b32_e32 v18, s79, v18
	v_and_b32_e32 v17, s78, v17
	v_or_b32_e32 v20, s7, v20
	v_or_b32_e32 v19, s6, v19
	s_waitcnt lgkmcnt(0)
	v_cmp_ne_u32_e32 vcc, 0, v2
	s_cbranch_vccnz .LBB26_108
; %bb.105:                              ;   in Loop: Header=BB26_7 Depth=1
	s_and_saveexec_b64 s[26:27], s[0:1]
; %bb.106:                              ;   in Loop: Header=BB26_7 Depth=1
	v_mov_b32_e32 v2, s80
	ds_write_b32 v12, v2 offset:4100
; %bb.107:                              ;   in Loop: Header=BB26_7 Depth=1
	s_or_b64 exec, exec, s[26:27]
	s_waitcnt lgkmcnt(0)
	s_barrier
.LBB26_108:                             ;   in Loop: Header=BB26_7 Depth=1
	s_or_saveexec_b64 s[22:23], s[22:23]
	s_mov_b64 s[28:29], 0
	v_mov_b32_e32 v8, 8
	s_xor_b64 exec, exec, s[22:23]
; %bb.109:                              ;   in Loop: Header=BB26_7 Depth=1
	v_subrev_u32_e32 v41, s80, v41
	v_mov_b32_e32 v8, 0
	s_mov_b64 s[28:29], exec
; %bb.110:                              ;   in Loop: Header=BB26_7 Depth=1
	s_or_b64 exec, exec, s[22:23]
	s_and_b64 s[22:23], s[28:29], exec
	v_mov_b32_e32 v9, v41
.LBB26_111:                             ;   in Loop: Header=BB26_7 Depth=1
	s_or_b64 exec, exec, s[20:21]
	s_mov_b64 s[20:21], -1
	s_mov_b64 s[28:29], -1
                                        ; implicit-def: $sgpr74_sgpr75
                                        ; implicit-def: $sgpr76_sgpr77
	s_and_saveexec_b64 s[24:25], s[22:23]
	s_xor_b64 s[22:23], exec, s[24:25]
	s_cbranch_execz .LBB26_228
; %bb.112:                              ;   in Loop: Header=BB26_7 Depth=1
	s_cmp_eq_u32 s84, 1
	s_cselect_b64 s[24:25], -1, 0
	v_cmp_eq_u32_e32 vcc, 1, v9
	s_and_b64 s[82:83], s[24:25], vcc
                                        ; implicit-def: $sgpr76_sgpr77
                                        ; implicit-def: $sgpr74_sgpr75
	s_and_saveexec_b64 s[80:81], s[82:83]
	s_cbranch_execz .LBB26_138
; %bb.113:                              ;   in Loop: Header=BB26_7 Depth=1
	ds_read_b32 v2, v12 offset:4096
	s_waitcnt lgkmcnt(0)
	s_barrier
	v_readfirstlane_b32 s85, v2
	s_and_saveexec_b64 s[26:27], s[4:5]
; %bb.114:                              ;   in Loop: Header=BB26_7 Depth=1
	v_mov_b32_e32 v11, v12
	ds_write_b64 v28, v[11:12]
; %bb.115:                              ;   in Loop: Header=BB26_7 Depth=1
	s_or_b64 exec, exec, s[26:27]
	s_lshl_b64 s[24:25], 1, s58
	v_and_b32_e32 v2, s79, v18
	v_and_b32_e32 v3, s78, v17
	v_or_b32_e32 v18, s25, v2
	v_or_b32_e32 v17, s24, v3
	;; [unrolled: 1-line block ×4, first 2 shown]
	s_mov_b64 s[74:75], -1
	s_mov_b64 s[76:77], 0
	s_cmp_gt_i32 s85, 0
	s_mov_b64 s[34:35], 0
	s_mov_b64 s[46:47], -1
	s_waitcnt lgkmcnt(0)
	s_barrier
                                        ; implicit-def: $vgpr4_vgpr5
	s_cbranch_scc1 .LBB26_126
; %bb.116:                              ;   in Loop: Header=BB26_7 Depth=1
	s_mov_b64 s[46:47], 0
                                        ; implicit-def: $vgpr4_vgpr5
	s_mov_b64 s[28:29], exec
	v_readlane_b32 s24, v46, 42
	v_readlane_b32 s25, v46, 43
	s_and_b64 s[24:25], s[28:29], s[24:25]
	s_mov_b64 exec, s[24:25]
	s_cbranch_execz .LBB26_125
; %bb.117:                              ;   in Loop: Header=BB26_7 Depth=1
	s_mov_b64 s[30:31], 0
	v_mov_b32_e32 v6, v10
	v_mov_b32_e32 v11, v0
                                        ; implicit-def: $sgpr34_sgpr35
	s_branch .LBB26_120
.LBB26_118:                             ;   in Loop: Header=BB26_120 Depth=2
	s_or_b64 exec, exec, s[36:37]
	s_waitcnt lgkmcnt(0)
	s_barrier
	ds_read_b128 v[2:5], v12 offset:3072
	s_mov_b64 s[36:37], -1
	s_mov_b64 s[38:39], -1
	s_waitcnt lgkmcnt(0)
	s_barrier
	v_cmp_ne_u64_e32 vcc, 0, v[2:3]
	s_cbranch_vccz .LBB26_123
.LBB26_119:                             ;   in Loop: Header=BB26_120 Depth=2
	s_and_b64 s[24:25], exec, s[36:37]
	s_or_b64 s[30:31], s[24:25], s[30:31]
	s_andn2_b64 s[24:25], s[34:35], exec
	s_and_b64 s[26:27], s[38:39], exec
	s_or_b64 s[34:35], s[24:25], s[26:27]
	s_andn2_b64 exec, exec, s[30:31]
	s_cbranch_execz .LBB26_124
.LBB26_120:                             ;   Parent Loop BB26_7 Depth=1
                                        ; =>  This Inner Loop Header: Depth=2
	v_cmp_gt_i32_e32 vcc, s40, v11
	s_and_saveexec_b64 s[36:37], vcc
	s_cbranch_execz .LBB26_118
; %bb.121:                              ;   in Loop: Header=BB26_120 Depth=2
	v_ashrrev_i32_e32 v7, 31, v6
	v_lshlrev_b64 v[2:3], 3, v[6:7]
	v_mov_b32_e32 v4, s45
	v_add_co_u32_e32 v2, vcc, s42, v2
	v_addc_co_u32_e32 v3, vcc, v4, v3, vcc
	global_load_dwordx2 v[3:4], v[2:3], off
	s_waitcnt vmcnt(0)
	v_xor_b32_e32 v2, 0x80000000, v4
	v_and_b32_e32 v22, v2, v20
	v_and_b32_e32 v21, v3, v19
	v_cmp_eq_u64_e32 vcc, v[21:22], v[17:18]
	s_and_b64 exec, exec, vcc
	s_cbranch_execz .LBB26_118
; %bb.122:                              ;   in Loop: Header=BB26_120 Depth=2
	v_mov_b32_e32 v2, v12
	ds_write_b128 v12, v[1:4] offset:3072
	s_branch .LBB26_118
.LBB26_123:                             ;   in Loop: Header=BB26_120 Depth=2
	v_add_u32_e32 v11, s44, v11
	v_cmp_le_i32_e32 vcc, s59, v11
	v_add_u32_e32 v6, s54, v6
	s_mov_b64 s[38:39], 0
	s_orn2_b64 s[36:37], vcc, exec
	s_branch .LBB26_119
.LBB26_124:                             ;   in Loop: Header=BB26_7 Depth=1
	s_or_b64 exec, exec, s[30:31]
	s_and_b64 s[34:35], s[34:35], exec
.LBB26_125:                             ;   in Loop: Header=BB26_7 Depth=1
	s_or_b64 exec, exec, s[28:29]
.LBB26_126:                             ;   in Loop: Header=BB26_7 Depth=1
	s_and_b64 vcc, exec, s[46:47]
	s_cbranch_vccz .LBB26_137
; %bb.127:                              ;   in Loop: Header=BB26_7 Depth=1
	v_readlane_b32 s24, v46, 29
	s_add_i32 s24, s85, s24
	s_abs_i32 s26, s24
	v_readlane_b32 s27, v46, 41
	s_mul_hi_u32 s27, s26, s27
	s_mul_i32 s27, s27, s44
	s_sub_i32 s26, s26, s27
	s_ashr_i32 s25, s24, 31
	s_sub_i32 s27, s26, s44
	s_cmp_ge_u32 s26, s44
	s_cselect_b32 s26, s27, s26
	s_sub_i32 s27, s26, s44
	s_cmp_ge_u32 s26, s44
	s_cselect_b32 s26, s27, s26
	s_xor_b32 s26, s26, s25
	s_sub_i32 s25, s25, s26
	s_add_i32 s24, s24, s25
	v_cmp_gt_i32_e32 vcc, s24, v0
                                        ; implicit-def: $vgpr4_vgpr5
	s_and_saveexec_b64 s[28:29], vcc
	s_cbranch_execz .LBB26_136
; %bb.128:                              ;   in Loop: Header=BB26_7 Depth=1
	s_mov_b64 s[30:31], 0
	v_mov_b32_e32 v6, v27
	v_mov_b32_e32 v7, v0
                                        ; implicit-def: $sgpr36_sgpr37
	s_branch .LBB26_131
.LBB26_129:                             ;   in Loop: Header=BB26_131 Depth=2
	s_or_b64 exec, exec, s[38:39]
	s_waitcnt lgkmcnt(0)
	s_barrier
	ds_read_b128 v[2:5], v12 offset:3072
	s_mov_b64 s[38:39], -1
	s_mov_b64 s[46:47], -1
	s_waitcnt lgkmcnt(0)
	s_barrier
	v_cmp_eq_u64_e32 vcc, 0, v[2:3]
	s_cbranch_vccnz .LBB26_134
.LBB26_130:                             ;   in Loop: Header=BB26_131 Depth=2
	s_and_b64 s[26:27], exec, s[38:39]
	s_or_b64 s[30:31], s[26:27], s[30:31]
	s_andn2_b64 s[26:27], s[36:37], exec
	s_and_b64 s[36:37], s[46:47], exec
	s_or_b64 s[36:37], s[26:27], s[36:37]
	s_andn2_b64 exec, exec, s[30:31]
	s_cbranch_execz .LBB26_135
.LBB26_131:                             ;   Parent Loop BB26_7 Depth=1
                                        ; =>  This Inner Loop Header: Depth=2
	v_cmp_gt_i32_e32 vcc, s85, v7
	s_and_saveexec_b64 s[38:39], vcc
	s_cbranch_execz .LBB26_129
; %bb.132:                              ;   in Loop: Header=BB26_131 Depth=2
	ds_read_b64 v[3:4], v6
	s_waitcnt lgkmcnt(0)
	v_xor_b32_e32 v2, 0x80000000, v4
	v_and_b32_e32 v22, v2, v20
	v_and_b32_e32 v21, v3, v19
	v_cmp_eq_u64_e32 vcc, v[21:22], v[17:18]
	s_and_b64 exec, exec, vcc
	s_cbranch_execz .LBB26_129
; %bb.133:                              ;   in Loop: Header=BB26_131 Depth=2
	v_mov_b32_e32 v2, v12
	ds_write_b128 v12, v[1:4] offset:3072
	s_branch .LBB26_129
.LBB26_134:                             ;   in Loop: Header=BB26_131 Depth=2
	v_add_u32_e32 v7, s44, v7
	v_cmp_le_i32_e32 vcc, s24, v7
	v_add_u32_e32 v6, s55, v6
	s_mov_b64 s[46:47], 0
	s_orn2_b64 s[38:39], vcc, exec
	s_branch .LBB26_130
.LBB26_135:                             ;   in Loop: Header=BB26_7 Depth=1
	s_or_b64 exec, exec, s[30:31]
	s_andn2_b64 s[24:25], s[34:35], exec
	s_and_b64 s[26:27], s[36:37], exec
	s_or_b64 s[34:35], s[24:25], s[26:27]
.LBB26_136:                             ;   in Loop: Header=BB26_7 Depth=1
	s_or_b64 exec, exec, s[28:29]
	s_mov_b64 s[74:75], 0
	s_mov_b64 s[76:77], -1
.LBB26_137:                             ;   in Loop: Header=BB26_7 Depth=1
	s_orn2_b64 s[28:29], s[34:35], exec
.LBB26_138:                             ;   in Loop: Header=BB26_7 Depth=1
	s_or_b64 exec, exec, s[80:81]
	s_mov_b64 s[30:31], 0
	s_and_saveexec_b64 s[80:81], s[28:29]
	s_cbranch_execz .LBB26_227
; %bb.139:                              ;   in Loop: Header=BB26_7 Depth=1
	s_xor_b64 s[24:25], s[82:83], -1
	v_mov_b32_e32 v21, 1
	v_mov_b32_e32 v8, 1
	s_and_saveexec_b64 s[34:35], s[24:25]
	s_cbranch_execz .LBB26_145
; %bb.140:                              ;   in Loop: Header=BB26_7 Depth=1
	v_cmp_ge_i32_e32 vcc, s84, v9
	s_and_saveexec_b64 s[24:25], vcc
	s_xor_b64 s[28:29], exec, s[24:25]
	s_cbranch_execz .LBB26_142
; %bb.141:                              ;   in Loop: Header=BB26_7 Depth=1
	s_lshl_b64 s[24:25], 1, s58
	v_and_b32_e32 v2, s79, v18
	v_or_b32_e32 v18, s25, v2
	ds_read_b32 v2, v12 offset:4096
	v_and_b32_e32 v3, s78, v17
	v_or_b32_e32 v17, s24, v3
	v_or_b32_e32 v20, s7, v20
	v_or_b32_e32 v19, s6, v19
	s_waitcnt lgkmcnt(0)
	v_cmp_ne_u32_e32 vcc, 0, v2
	s_cbranch_vccz .LBB26_158
.LBB26_142:                             ;   in Loop: Header=BB26_7 Depth=1
	s_or_saveexec_b64 s[28:29], s[28:29]
	v_mov_b32_e32 v8, 8
	s_xor_b64 exec, exec, s[28:29]
.LBB26_143:                             ;   in Loop: Header=BB26_7 Depth=1
	v_subrev_u32_e32 v9, s84, v9
	v_mov_b32_e32 v8, 0
	s_mov_b64 s[30:31], exec
.LBB26_144:                             ;   in Loop: Header=BB26_7 Depth=1
	s_or_b64 exec, exec, s[28:29]
	s_and_b64 s[30:31], s[30:31], exec
	v_mov_b32_e32 v21, v9
.LBB26_145:                             ;   in Loop: Header=BB26_7 Depth=1
	s_or_b64 exec, exec, s[34:35]
	s_mov_b64 s[28:29], -1
                                        ; implicit-def: $sgpr84_sgpr85
                                        ; implicit-def: $sgpr86_sgpr87
	s_and_saveexec_b64 s[82:83], s[30:31]
	s_cbranch_execz .LBB26_226
; %bb.146:                              ;   in Loop: Header=BB26_7 Depth=1
	s_cmp_eq_u32 s92, 1
	s_cselect_b64 s[24:25], -1, 0
	v_cmp_eq_u32_e32 vcc, 1, v21
	s_and_b64 s[90:91], s[24:25], vcc
                                        ; implicit-def: $sgpr86_sgpr87
                                        ; implicit-def: $sgpr84_sgpr85
	s_and_saveexec_b64 s[88:89], s[90:91]
	s_cbranch_execz .LBB26_175
; %bb.147:                              ;   in Loop: Header=BB26_7 Depth=1
	ds_read_b32 v2, v12 offset:4096
	s_waitcnt lgkmcnt(0)
	s_barrier
	v_readfirstlane_b32 s93, v2
	s_and_saveexec_b64 s[26:27], s[4:5]
; %bb.148:                              ;   in Loop: Header=BB26_7 Depth=1
	v_mov_b32_e32 v11, v12
	ds_write_b64 v28, v[11:12]
; %bb.149:                              ;   in Loop: Header=BB26_7 Depth=1
	s_or_b64 exec, exec, s[26:27]
	s_lshl_b64 s[24:25], 2, s58
	v_and_b32_e32 v2, s79, v18
	v_and_b32_e32 v3, s78, v17
	v_or_b32_e32 v18, s25, v2
	v_or_b32_e32 v17, s24, v3
	;; [unrolled: 1-line block ×4, first 2 shown]
	s_mov_b64 s[84:85], -1
	s_mov_b64 s[86:87], 0
	s_cmp_gt_i32 s93, 0
	s_mov_b64 s[34:35], 0
	s_mov_b64 s[46:47], -1
	s_waitcnt lgkmcnt(0)
	s_barrier
                                        ; implicit-def: $vgpr4_vgpr5
	s_cbranch_scc1 .LBB26_163
; %bb.150:                              ;   in Loop: Header=BB26_7 Depth=1
	s_mov_b64 s[46:47], 0
                                        ; implicit-def: $vgpr4_vgpr5
	s_mov_b64 s[28:29], exec
	v_readlane_b32 s24, v46, 42
	v_readlane_b32 s25, v46, 43
	s_and_b64 s[24:25], s[28:29], s[24:25]
	s_mov_b64 exec, s[24:25]
	s_cbranch_execz .LBB26_162
; %bb.151:                              ;   in Loop: Header=BB26_7 Depth=1
	s_mov_b64 s[30:31], 0
	v_mov_b32_e32 v6, v10
	v_mov_b32_e32 v9, v0
                                        ; implicit-def: $sgpr34_sgpr35
	s_branch .LBB26_154
.LBB26_152:                             ;   in Loop: Header=BB26_154 Depth=2
	s_or_b64 exec, exec, s[36:37]
	s_waitcnt lgkmcnt(0)
	s_barrier
	ds_read_b128 v[2:5], v12 offset:3072
	s_mov_b64 s[36:37], -1
	s_mov_b64 s[38:39], -1
	s_waitcnt lgkmcnt(0)
	s_barrier
	v_cmp_ne_u64_e32 vcc, 0, v[2:3]
	s_cbranch_vccz .LBB26_157
.LBB26_153:                             ;   in Loop: Header=BB26_154 Depth=2
	s_and_b64 s[24:25], exec, s[36:37]
	s_or_b64 s[30:31], s[24:25], s[30:31]
	s_andn2_b64 s[24:25], s[34:35], exec
	s_and_b64 s[26:27], s[38:39], exec
	s_or_b64 s[34:35], s[24:25], s[26:27]
	s_andn2_b64 exec, exec, s[30:31]
	s_cbranch_execz .LBB26_161
.LBB26_154:                             ;   Parent Loop BB26_7 Depth=1
                                        ; =>  This Inner Loop Header: Depth=2
	v_cmp_gt_i32_e32 vcc, s40, v9
	s_and_saveexec_b64 s[36:37], vcc
	s_cbranch_execz .LBB26_152
; %bb.155:                              ;   in Loop: Header=BB26_154 Depth=2
	v_ashrrev_i32_e32 v7, 31, v6
	v_lshlrev_b64 v[2:3], 3, v[6:7]
	v_mov_b32_e32 v4, s45
	v_add_co_u32_e32 v2, vcc, s42, v2
	v_addc_co_u32_e32 v3, vcc, v4, v3, vcc
	global_load_dwordx2 v[3:4], v[2:3], off
	s_waitcnt vmcnt(0)
	v_xor_b32_e32 v2, 0x80000000, v4
	v_and_b32_e32 v23, v2, v20
	v_and_b32_e32 v22, v3, v19
	v_cmp_eq_u64_e32 vcc, v[22:23], v[17:18]
	s_and_b64 exec, exec, vcc
	s_cbranch_execz .LBB26_152
; %bb.156:                              ;   in Loop: Header=BB26_154 Depth=2
	v_mov_b32_e32 v2, v12
	ds_write_b128 v12, v[1:4] offset:3072
	s_branch .LBB26_152
.LBB26_157:                             ;   in Loop: Header=BB26_154 Depth=2
	v_add_u32_e32 v9, s44, v9
	v_cmp_le_i32_e32 vcc, s59, v9
	v_add_u32_e32 v6, s54, v6
	s_mov_b64 s[38:39], 0
	s_orn2_b64 s[36:37], vcc, exec
	s_branch .LBB26_153
.LBB26_158:                             ;   in Loop: Header=BB26_7 Depth=1
	s_and_saveexec_b64 s[26:27], s[0:1]
; %bb.159:                              ;   in Loop: Header=BB26_7 Depth=1
	v_mov_b32_e32 v2, s84
	ds_write_b32 v12, v2 offset:4100
; %bb.160:                              ;   in Loop: Header=BB26_7 Depth=1
	s_or_b64 exec, exec, s[26:27]
	s_waitcnt lgkmcnt(0)
	s_barrier
	s_or_saveexec_b64 s[28:29], s[28:29]
	v_mov_b32_e32 v8, 8
	s_xor_b64 exec, exec, s[28:29]
	s_cbranch_execnz .LBB26_143
	s_branch .LBB26_144
.LBB26_161:                             ;   in Loop: Header=BB26_7 Depth=1
	s_or_b64 exec, exec, s[30:31]
	s_and_b64 s[34:35], s[34:35], exec
.LBB26_162:                             ;   in Loop: Header=BB26_7 Depth=1
	s_or_b64 exec, exec, s[28:29]
.LBB26_163:                             ;   in Loop: Header=BB26_7 Depth=1
	s_and_b64 vcc, exec, s[46:47]
	s_cbranch_vccz .LBB26_174
; %bb.164:                              ;   in Loop: Header=BB26_7 Depth=1
	v_readlane_b32 s24, v46, 29
	s_add_i32 s24, s93, s24
	s_abs_i32 s26, s24
	v_readlane_b32 s27, v46, 41
	s_mul_hi_u32 s27, s26, s27
	s_mul_i32 s27, s27, s44
	s_sub_i32 s26, s26, s27
	s_ashr_i32 s25, s24, 31
	s_sub_i32 s27, s26, s44
	s_cmp_ge_u32 s26, s44
	s_cselect_b32 s26, s27, s26
	s_sub_i32 s27, s26, s44
	s_cmp_ge_u32 s26, s44
	s_cselect_b32 s26, s27, s26
	s_xor_b32 s26, s26, s25
	s_sub_i32 s25, s25, s26
	s_add_i32 s24, s24, s25
	v_cmp_gt_i32_e32 vcc, s24, v0
                                        ; implicit-def: $vgpr4_vgpr5
	s_and_saveexec_b64 s[28:29], vcc
	s_cbranch_execz .LBB26_173
; %bb.165:                              ;   in Loop: Header=BB26_7 Depth=1
	s_mov_b64 s[30:31], 0
	v_mov_b32_e32 v6, v27
	v_mov_b32_e32 v7, v0
                                        ; implicit-def: $sgpr36_sgpr37
	s_branch .LBB26_168
.LBB26_166:                             ;   in Loop: Header=BB26_168 Depth=2
	s_or_b64 exec, exec, s[38:39]
	s_waitcnt lgkmcnt(0)
	s_barrier
	ds_read_b128 v[2:5], v12 offset:3072
	s_mov_b64 s[38:39], -1
	s_mov_b64 s[46:47], -1
	s_waitcnt lgkmcnt(0)
	s_barrier
	v_cmp_eq_u64_e32 vcc, 0, v[2:3]
	s_cbranch_vccnz .LBB26_171
.LBB26_167:                             ;   in Loop: Header=BB26_168 Depth=2
	s_and_b64 s[26:27], exec, s[38:39]
	s_or_b64 s[30:31], s[26:27], s[30:31]
	s_andn2_b64 s[26:27], s[36:37], exec
	s_and_b64 s[36:37], s[46:47], exec
	s_or_b64 s[36:37], s[26:27], s[36:37]
	s_andn2_b64 exec, exec, s[30:31]
	s_cbranch_execz .LBB26_172
.LBB26_168:                             ;   Parent Loop BB26_7 Depth=1
                                        ; =>  This Inner Loop Header: Depth=2
	v_cmp_gt_i32_e32 vcc, s93, v7
	s_and_saveexec_b64 s[38:39], vcc
	s_cbranch_execz .LBB26_166
; %bb.169:                              ;   in Loop: Header=BB26_168 Depth=2
	ds_read_b64 v[3:4], v6
	s_waitcnt lgkmcnt(0)
	v_xor_b32_e32 v2, 0x80000000, v4
	v_and_b32_e32 v23, v2, v20
	v_and_b32_e32 v22, v3, v19
	v_cmp_eq_u64_e32 vcc, v[22:23], v[17:18]
	s_and_b64 exec, exec, vcc
	s_cbranch_execz .LBB26_166
; %bb.170:                              ;   in Loop: Header=BB26_168 Depth=2
	v_mov_b32_e32 v2, v12
	ds_write_b128 v12, v[1:4] offset:3072
	s_branch .LBB26_166
.LBB26_171:                             ;   in Loop: Header=BB26_168 Depth=2
	v_add_u32_e32 v7, s44, v7
	v_cmp_le_i32_e32 vcc, s24, v7
	v_add_u32_e32 v6, s55, v6
	s_mov_b64 s[46:47], 0
	s_orn2_b64 s[38:39], vcc, exec
	s_branch .LBB26_167
.LBB26_172:                             ;   in Loop: Header=BB26_7 Depth=1
	s_or_b64 exec, exec, s[30:31]
	s_andn2_b64 s[24:25], s[34:35], exec
	s_and_b64 s[26:27], s[36:37], exec
	s_or_b64 s[34:35], s[24:25], s[26:27]
.LBB26_173:                             ;   in Loop: Header=BB26_7 Depth=1
	s_or_b64 exec, exec, s[28:29]
	s_mov_b64 s[84:85], 0
	s_mov_b64 s[86:87], -1
.LBB26_174:                             ;   in Loop: Header=BB26_7 Depth=1
	s_orn2_b64 s[28:29], s[34:35], exec
.LBB26_175:                             ;   in Loop: Header=BB26_7 Depth=1
	s_or_b64 exec, exec, s[88:89]
	s_mov_b64 s[30:31], 0
	s_and_saveexec_b64 s[88:89], s[28:29]
	s_cbranch_execz .LBB26_225
; %bb.176:                              ;   in Loop: Header=BB26_7 Depth=1
	s_xor_b64 s[24:25], s[90:91], -1
	v_mov_b32_e32 v9, 1
	v_mov_b32_e32 v8, 1
	s_and_saveexec_b64 s[34:35], s[24:25]
	s_cbranch_execz .LBB26_185
; %bb.177:                              ;   in Loop: Header=BB26_7 Depth=1
	v_cmp_ge_i32_e32 vcc, s92, v21
	s_and_saveexec_b64 s[24:25], vcc
	s_xor_b64 s[28:29], exec, s[24:25]
	s_cbranch_execz .LBB26_182
; %bb.178:                              ;   in Loop: Header=BB26_7 Depth=1
	s_lshl_b64 s[24:25], 2, s58
	v_and_b32_e32 v2, s79, v18
	v_or_b32_e32 v18, s25, v2
	ds_read_b32 v2, v12 offset:4096
	v_and_b32_e32 v3, s78, v17
	v_or_b32_e32 v17, s24, v3
	v_or_b32_e32 v20, s7, v20
	;; [unrolled: 1-line block ×3, first 2 shown]
	s_waitcnt lgkmcnt(0)
	v_cmp_ne_u32_e32 vcc, 0, v2
	s_cbranch_vccnz .LBB26_182
; %bb.179:                              ;   in Loop: Header=BB26_7 Depth=1
	s_and_saveexec_b64 s[26:27], s[0:1]
; %bb.180:                              ;   in Loop: Header=BB26_7 Depth=1
	v_mov_b32_e32 v2, s92
	ds_write_b32 v12, v2 offset:4100
; %bb.181:                              ;   in Loop: Header=BB26_7 Depth=1
	s_or_b64 exec, exec, s[26:27]
	s_waitcnt lgkmcnt(0)
	s_barrier
.LBB26_182:                             ;   in Loop: Header=BB26_7 Depth=1
	s_or_saveexec_b64 s[28:29], s[28:29]
	v_mov_b32_e32 v8, 8
	s_xor_b64 exec, exec, s[28:29]
; %bb.183:                              ;   in Loop: Header=BB26_7 Depth=1
	v_subrev_u32_e32 v21, s92, v21
	v_mov_b32_e32 v8, 0
	s_mov_b64 s[30:31], exec
; %bb.184:                              ;   in Loop: Header=BB26_7 Depth=1
	s_or_b64 exec, exec, s[28:29]
	s_and_b64 s[30:31], s[30:31], exec
	v_mov_b32_e32 v9, v21
.LBB26_185:                             ;   in Loop: Header=BB26_7 Depth=1
	s_or_b64 exec, exec, s[34:35]
	s_mov_b64 s[28:29], -1
                                        ; implicit-def: $sgpr92_sgpr93
                                        ; implicit-def: $sgpr90_sgpr91
	s_and_saveexec_b64 s[78:79], s[30:31]
	s_cbranch_execz .LBB26_224
; %bb.186:                              ;   in Loop: Header=BB26_7 Depth=1
	s_cmp_eq_u32 s41, 1
	s_cselect_b64 s[24:25], -1, 0
	v_cmp_eq_u32_e32 vcc, 1, v9
	s_and_b64 s[94:95], s[24:25], vcc
                                        ; implicit-def: $sgpr92_sgpr93
                                        ; implicit-def: $sgpr90_sgpr91
	s_and_saveexec_b64 s[34:35], s[94:95]
	s_cbranch_execz .LBB26_212
; %bb.187:                              ;   in Loop: Header=BB26_7 Depth=1
	ds_read_b32 v2, v12 offset:4096
	s_waitcnt lgkmcnt(0)
	s_barrier
	v_readfirstlane_b32 s24, v2
	s_and_saveexec_b64 s[26:27], s[4:5]
; %bb.188:                              ;   in Loop: Header=BB26_7 Depth=1
	v_mov_b32_e32 v11, v12
	ds_write_b64 v28, v[11:12]
; %bb.189:                              ;   in Loop: Header=BB26_7 Depth=1
	s_or_b64 exec, exec, s[26:27]
	v_or_b32_e32 v18, s7, v18
	v_or_b32_e32 v17, s6, v17
	;; [unrolled: 1-line block ×4, first 2 shown]
	s_mov_b64 s[90:91], -1
	s_mov_b64 s[92:93], 0
	s_cmp_gt_i32 s24, 0
	s_mov_b64 s[46:47], 0
	s_waitcnt lgkmcnt(0)
	s_barrier
                                        ; implicit-def: $vgpr4_vgpr5
	s_cbranch_scc1 .LBB26_200
; %bb.190:                              ;   in Loop: Header=BB26_7 Depth=1
	s_mov_b64 s[28:29], 0
                                        ; implicit-def: $vgpr4_vgpr5
	s_mov_b64 s[30:31], exec
	v_readlane_b32 s26, v46, 42
	v_readlane_b32 s27, v46, 43
	s_and_b64 s[26:27], s[30:31], s[26:27]
	s_mov_b64 exec, s[26:27]
	s_cbranch_execz .LBB26_199
; %bb.191:                              ;   in Loop: Header=BB26_7 Depth=1
	v_mov_b32_e32 v6, v10
	v_mov_b32_e32 v11, v0
                                        ; implicit-def: $sgpr36_sgpr37
	s_branch .LBB26_194
.LBB26_192:                             ;   in Loop: Header=BB26_194 Depth=2
	s_or_b64 exec, exec, s[38:39]
	s_waitcnt lgkmcnt(0)
	s_barrier
	ds_read_b128 v[2:5], v12 offset:3072
	s_mov_b64 s[38:39], -1
	s_mov_b64 s[26:27], -1
	s_waitcnt lgkmcnt(0)
	s_barrier
	v_cmp_ne_u64_e32 vcc, 0, v[2:3]
	s_cbranch_vccz .LBB26_197
.LBB26_193:                             ;   in Loop: Header=BB26_194 Depth=2
	s_and_b64 s[38:39], exec, s[38:39]
	s_or_b64 s[46:47], s[38:39], s[46:47]
	s_andn2_b64 s[36:37], s[36:37], exec
	s_and_b64 s[26:27], s[26:27], exec
	s_or_b64 s[36:37], s[36:37], s[26:27]
	s_andn2_b64 exec, exec, s[46:47]
	s_cbranch_execz .LBB26_198
.LBB26_194:                             ;   Parent Loop BB26_7 Depth=1
                                        ; =>  This Inner Loop Header: Depth=2
	v_cmp_gt_i32_e32 vcc, s40, v11
	s_and_saveexec_b64 s[38:39], vcc
	s_cbranch_execz .LBB26_192
; %bb.195:                              ;   in Loop: Header=BB26_194 Depth=2
	v_ashrrev_i32_e32 v7, 31, v6
	v_lshlrev_b64 v[2:3], 3, v[6:7]
	v_mov_b32_e32 v4, s45
	v_add_co_u32_e32 v2, vcc, s42, v2
	v_addc_co_u32_e32 v3, vcc, v4, v3, vcc
	global_load_dwordx2 v[3:4], v[2:3], off
	s_waitcnt vmcnt(0)
	v_xor_b32_e32 v2, 0x80000000, v4
	v_and_b32_e32 v22, v2, v20
	v_and_b32_e32 v21, v3, v19
	v_cmp_eq_u64_e32 vcc, v[21:22], v[17:18]
	s_and_b64 exec, exec, vcc
	s_cbranch_execz .LBB26_192
; %bb.196:                              ;   in Loop: Header=BB26_194 Depth=2
	v_mov_b32_e32 v2, v12
	ds_write_b128 v12, v[1:4] offset:3072
	s_branch .LBB26_192
.LBB26_197:                             ;   in Loop: Header=BB26_194 Depth=2
	v_add_u32_e32 v11, s44, v11
	v_cmp_le_i32_e32 vcc, s59, v11
	v_add_u32_e32 v6, s54, v6
	s_mov_b64 s[26:27], 0
	s_orn2_b64 s[38:39], vcc, exec
	s_branch .LBB26_193
.LBB26_198:                             ;   in Loop: Header=BB26_7 Depth=1
	s_or_b64 exec, exec, s[46:47]
	s_and_b64 s[46:47], s[36:37], exec
.LBB26_199:                             ;   in Loop: Header=BB26_7 Depth=1
	s_or_b64 exec, exec, s[30:31]
.LBB26_200:                             ;   in Loop: Header=BB26_7 Depth=1
	s_and_b64 vcc, exec, s[28:29]
	s_cbranch_vccz .LBB26_211
; %bb.201:                              ;   in Loop: Header=BB26_7 Depth=1
	v_readlane_b32 s25, v46, 29
	s_add_i32 s25, s24, s25
	s_abs_i32 s27, s25
	v_readlane_b32 s28, v46, 41
	s_mul_hi_u32 s28, s27, s28
	s_mul_i32 s28, s28, s44
	s_sub_i32 s27, s27, s28
	s_ashr_i32 s26, s25, 31
	s_sub_i32 s28, s27, s44
	s_cmp_ge_u32 s27, s44
	s_cselect_b32 s27, s28, s27
	s_sub_i32 s28, s27, s44
	s_cmp_ge_u32 s27, s44
	s_cselect_b32 s27, s28, s27
	s_xor_b32 s27, s27, s26
	s_sub_i32 s26, s26, s27
	s_add_i32 s25, s25, s26
	v_cmp_gt_i32_e32 vcc, s25, v0
                                        ; implicit-def: $vgpr4_vgpr5
	s_and_saveexec_b64 s[28:29], vcc
	s_cbranch_execz .LBB26_210
; %bb.202:                              ;   in Loop: Header=BB26_7 Depth=1
	s_mov_b64 s[30:31], 0
	v_mov_b32_e32 v6, v27
	v_mov_b32_e32 v7, v0
                                        ; implicit-def: $sgpr36_sgpr37
	s_branch .LBB26_205
.LBB26_203:                             ;   in Loop: Header=BB26_205 Depth=2
	s_or_b64 exec, exec, s[38:39]
	s_waitcnt lgkmcnt(0)
	s_barrier
	ds_read_b128 v[2:5], v12 offset:3072
	s_mov_b64 s[26:27], -1
	s_mov_b64 s[38:39], -1
	s_waitcnt lgkmcnt(0)
	s_barrier
	v_cmp_eq_u64_e32 vcc, 0, v[2:3]
	s_cbranch_vccnz .LBB26_208
.LBB26_204:                             ;   in Loop: Header=BB26_205 Depth=2
	s_and_b64 s[26:27], exec, s[26:27]
	s_or_b64 s[30:31], s[26:27], s[30:31]
	s_andn2_b64 s[26:27], s[36:37], exec
	s_and_b64 s[36:37], s[38:39], exec
	s_or_b64 s[36:37], s[26:27], s[36:37]
	s_andn2_b64 exec, exec, s[30:31]
	s_cbranch_execz .LBB26_209
.LBB26_205:                             ;   Parent Loop BB26_7 Depth=1
                                        ; =>  This Inner Loop Header: Depth=2
	v_cmp_gt_i32_e32 vcc, s24, v7
	s_and_saveexec_b64 s[38:39], vcc
	s_cbranch_execz .LBB26_203
; %bb.206:                              ;   in Loop: Header=BB26_205 Depth=2
	ds_read_b64 v[3:4], v6
	s_waitcnt lgkmcnt(0)
	v_xor_b32_e32 v2, 0x80000000, v4
	v_and_b32_e32 v22, v2, v20
	v_and_b32_e32 v21, v3, v19
	v_cmp_eq_u64_e32 vcc, v[21:22], v[17:18]
	s_and_b64 exec, exec, vcc
	s_cbranch_execz .LBB26_203
; %bb.207:                              ;   in Loop: Header=BB26_205 Depth=2
	v_mov_b32_e32 v2, v12
	ds_write_b128 v12, v[1:4] offset:3072
	s_branch .LBB26_203
.LBB26_208:                             ;   in Loop: Header=BB26_205 Depth=2
	v_add_u32_e32 v7, s44, v7
	v_cmp_le_i32_e32 vcc, s25, v7
	v_add_u32_e32 v6, s55, v6
	s_mov_b64 s[38:39], 0
	s_orn2_b64 s[26:27], vcc, exec
	s_branch .LBB26_204
.LBB26_209:                             ;   in Loop: Header=BB26_7 Depth=1
	s_or_b64 exec, exec, s[30:31]
	s_andn2_b64 s[24:25], s[46:47], exec
	s_and_b64 s[26:27], s[36:37], exec
	s_or_b64 s[46:47], s[24:25], s[26:27]
.LBB26_210:                             ;   in Loop: Header=BB26_7 Depth=1
	s_or_b64 exec, exec, s[28:29]
	s_mov_b64 s[90:91], 0
	s_mov_b64 s[92:93], -1
.LBB26_211:                             ;   in Loop: Header=BB26_7 Depth=1
	s_orn2_b64 s[28:29], s[46:47], exec
.LBB26_212:                             ;   in Loop: Header=BB26_7 Depth=1
	s_or_b64 exec, exec, s[34:35]
	s_mov_b64 s[30:31], 0
	s_and_saveexec_b64 s[34:35], s[28:29]
	s_cbranch_execz .LBB26_223
; %bb.213:                              ;   in Loop: Header=BB26_7 Depth=1
	s_xor_b64 s[24:25], s[94:95], -1
	v_mov_b32_e32 v8, 1
	v_mov_b32_e32 v2, 1
	s_and_saveexec_b64 s[28:29], s[24:25]
	s_cbranch_execz .LBB26_222
; %bb.214:                              ;   in Loop: Header=BB26_7 Depth=1
	v_cmp_ge_i32_e32 vcc, s41, v9
	s_and_saveexec_b64 s[24:25], vcc
	s_xor_b64 s[30:31], exec, s[24:25]
	s_cbranch_execz .LBB26_219
; %bb.215:                              ;   in Loop: Header=BB26_7 Depth=1
	ds_read_b32 v2, v12 offset:4096
	v_or_b32_e32 v18, s7, v18
	v_or_b32_e32 v17, s6, v17
	;; [unrolled: 1-line block ×4, first 2 shown]
	s_waitcnt lgkmcnt(0)
	v_cmp_ne_u32_e32 vcc, 0, v2
	s_cbranch_vccnz .LBB26_219
; %bb.216:                              ;   in Loop: Header=BB26_7 Depth=1
	s_and_saveexec_b64 s[6:7], s[0:1]
; %bb.217:                              ;   in Loop: Header=BB26_7 Depth=1
	v_mov_b32_e32 v2, s41
	ds_write_b32 v12, v2 offset:4100
; %bb.218:                              ;   in Loop: Header=BB26_7 Depth=1
	s_or_b64 exec, exec, s[6:7]
	s_waitcnt lgkmcnt(0)
	s_barrier
.LBB26_219:                             ;   in Loop: Header=BB26_7 Depth=1
	s_andn2_saveexec_b64 s[6:7], s[30:31]
; %bb.220:                              ;   in Loop: Header=BB26_7 Depth=1
	v_subrev_u32_e32 v9, s41, v9
; %bb.221:                              ;   in Loop: Header=BB26_7 Depth=1
	s_or_b64 exec, exec, s[6:7]
	v_mov_b32_e32 v8, 8
	v_mov_b32_e32 v2, v9
.LBB26_222:                             ;   in Loop: Header=BB26_7 Depth=1
	s_or_b64 exec, exec, s[28:29]
	s_mov_b64 s[30:31], exec
	v_mov_b32_e32 v9, v2
.LBB26_223:                             ;   in Loop: Header=BB26_7 Depth=1
	s_or_b64 exec, exec, s[34:35]
	s_orn2_b64 s[28:29], s[30:31], exec
.LBB26_224:                             ;   in Loop: Header=BB26_7 Depth=1
	s_or_b64 exec, exec, s[78:79]
	s_andn2_b64 s[6:7], s[86:87], exec
	s_and_b64 s[24:25], s[92:93], exec
	s_or_b64 s[86:87], s[6:7], s[24:25]
	s_andn2_b64 s[6:7], s[84:85], exec
	s_and_b64 s[24:25], s[90:91], exec
	s_or_b64 s[84:85], s[6:7], s[24:25]
	s_and_b64 s[30:31], s[28:29], exec
	v_mov_b32_e32 v21, v9
.LBB26_225:                             ;   in Loop: Header=BB26_7 Depth=1
	s_or_b64 exec, exec, s[88:89]
	s_orn2_b64 s[28:29], s[30:31], exec
.LBB26_226:                             ;   in Loop: Header=BB26_7 Depth=1
	s_or_b64 exec, exec, s[82:83]
	s_andn2_b64 s[6:7], s[76:77], exec
	s_and_b64 s[24:25], s[86:87], exec
	s_or_b64 s[76:77], s[6:7], s[24:25]
	s_andn2_b64 s[6:7], s[74:75], exec
	s_and_b64 s[24:25], s[84:85], exec
	s_or_b64 s[74:75], s[6:7], s[24:25]
	s_and_b64 s[30:31], s[28:29], exec
	v_mov_b32_e32 v9, v21
.LBB26_227:                             ;   in Loop: Header=BB26_7 Depth=1
	s_or_b64 exec, exec, s[80:81]
	s_orn2_b64 s[28:29], s[30:31], exec
.LBB26_228:                             ;   in Loop: Header=BB26_7 Depth=1
	s_or_b64 exec, exec, s[22:23]
	s_mov_b64 s[22:23], 0
                                        ; implicit-def: $sgpr24
                                        ; implicit-def: $sgpr25
	s_and_saveexec_b64 s[6:7], s[28:29]
	s_xor_b64 s[6:7], exec, s[6:7]
	s_cbranch_execz .LBB26_5
; %bb.229:                              ;   in Loop: Header=BB26_7 Depth=1
	v_and_b32_e32 v2, 7, v8
	v_cmp_eq_u32_e32 vcc, 0, v2
	s_mov_b64 s[20:21], -1
	s_mov_b64 s[22:23], -1
                                        ; implicit-def: $sgpr24
                                        ; implicit-def: $sgpr25
	s_and_saveexec_b64 s[28:29], vcc
	s_cbranch_execz .LBB26_4
; %bb.230:                              ;   in Loop: Header=BB26_7 Depth=1
	s_xor_b32 s25, s56, 1
	s_add_i32 s24, s58, -2
	s_cmp_eq_u32 s58, 0
	s_cselect_b64 s[20:21], -1, 0
	s_xor_b64 s[22:23], exec, -1
	s_orn2_b64 s[20:21], s[20:21], exec
	s_branch .LBB26_4
.LBB26_231:
	s_or_b64 exec, exec, s[60:61]
	s_xor_b64 s[8:9], s[66:67], -1
	s_xor_b64 s[2:3], s[62:63], -1
	;; [unrolled: 1-line block ×3, first 2 shown]
	s_mov_b64 s[4:5], 0
	s_and_saveexec_b64 s[10:11], s[2:3]
	s_xor_b64 s[2:3], exec, s[10:11]
	s_cbranch_execnz .LBB26_236
; %bb.232:
	s_andn2_saveexec_b64 s[0:1], s[2:3]
	s_cbranch_execnz .LBB26_256
.LBB26_233:
	s_or_b64 exec, exec, s[0:1]
	s_and_saveexec_b64 s[0:1], s[4:5]
.LBB26_234:
	; divergent unreachable
.LBB26_235:
	s_endpgm
.LBB26_236:
	s_and_saveexec_b64 s[4:5], s[8:9]
	s_xor_b64 s[4:5], exec, s[4:5]
	s_cbranch_execz .LBB26_254
; %bb.237:
	s_and_saveexec_b64 s[8:9], s[6:7]
	s_xor_b64 s[6:7], exec, s[8:9]
; %bb.238:
	v_xor_b32_e32 v18, 0x80000000, v18
	v_mov_b32_e32 v4, v17
	v_mov_b32_e32 v5, v18
; %bb.239:
	s_or_b64 exec, exec, s[6:7]
	s_and_saveexec_b64 s[6:7], s[0:1]
	v_readlane_b32 s22, v46, 20
	v_readlane_b32 s24, v46, 25
	;; [unrolled: 1-line block ×7, first 2 shown]
; %bb.240:
	v_mov_b32_e32 v1, 0
	v_mov_b32_e32 v2, s40
	ds_write_b32 v1, v2 offset:4108
; %bb.241:
	s_or_b64 exec, exec, s[6:7]
	v_mov_b32_e32 v1, 0
	s_waitcnt lgkmcnt(0)
	s_barrier
	ds_read_b32 v1, v1 offset:4108
	s_waitcnt lgkmcnt(0)
	v_min_i32_e32 v1, s40, v1
	v_cmp_lt_i32_e32 vcc, v0, v1
	s_and_saveexec_b64 s[6:7], vcc
	s_cbranch_execz .LBB26_251
; %bb.242:
	s_mov_b64 s[8:9], 0
	v_mov_b32_e32 v3, s45
                                        ; implicit-def: $sgpr10_sgpr11
                                        ; implicit-def: $sgpr14_sgpr15
                                        ; implicit-def: $sgpr12_sgpr13
	s_branch .LBB26_244
.LBB26_243:                             ;   in Loop: Header=BB26_244 Depth=1
	s_or_b64 exec, exec, s[16:17]
	s_and_b64 s[16:17], exec, s[14:15]
	s_or_b64 s[8:9], s[16:17], s[8:9]
	s_andn2_b64 s[10:11], s[10:11], exec
	s_and_b64 s[16:17], s[12:13], exec
	s_or_b64 s[10:11], s[10:11], s[16:17]
	s_andn2_b64 exec, exec, s[8:9]
	s_cbranch_execz .LBB26_246
.LBB26_244:                             ; =>This Inner Loop Header: Depth=1
	v_ashrrev_i32_e32 v11, 31, v10
	v_lshlrev_b64 v[6:7], 3, v[10:11]
	v_mov_b32_e32 v2, v0
	v_add_co_u32_e32 v6, vcc, s42, v6
	v_addc_co_u32_e32 v7, vcc, v3, v7, vcc
	global_load_dwordx2 v[6:7], v[6:7], off
	s_or_b64 s[12:13], s[12:13], exec
	s_or_b64 s[14:15], s[14:15], exec
                                        ; implicit-def: $vgpr0
	s_waitcnt vmcnt(0)
	v_cmp_ne_u64_e32 vcc, v[6:7], v[4:5]
	s_and_saveexec_b64 s[16:17], vcc
	s_cbranch_execz .LBB26_243
; %bb.245:                              ;   in Loop: Header=BB26_244 Depth=1
	v_add_u32_e32 v0, s44, v2
	v_cmp_ge_i32_e32 vcc, v0, v1
	s_andn2_b64 s[14:15], s[14:15], exec
	s_and_b64 s[18:19], vcc, exec
	v_add_u32_e32 v10, s54, v10
	s_andn2_b64 s[12:13], s[12:13], exec
	s_or_b64 s[14:15], s[14:15], s[18:19]
	s_branch .LBB26_243
.LBB26_246:
	s_or_b64 exec, exec, s[8:9]
	s_and_saveexec_b64 s[8:9], s[10:11]
	s_xor_b64 s[8:9], exec, s[8:9]
	s_cbranch_execz .LBB26_251
; %bb.247:
	s_mov_b64 s[8:9], exec
	s_brev_b32 s10, -2
.LBB26_248:                             ; =>This Inner Loop Header: Depth=1
	s_ff1_i32_b64 s11, s[8:9]
	v_readlane_b32 s14, v2, s11
	s_lshl_b64 s[12:13], 1, s11
	s_min_i32 s10, s10, s14
	s_andn2_b64 s[8:9], s[8:9], s[12:13]
	s_cmp_lg_u64 s[8:9], 0
	s_cbranch_scc1 .LBB26_248
; %bb.249:
	v_mbcnt_lo_u32_b32 v0, exec_lo, 0
	v_mbcnt_hi_u32_b32 v0, exec_hi, v0
	v_cmp_eq_u32_e32 vcc, 0, v0
	s_and_saveexec_b64 s[8:9], vcc
	s_xor_b64 s[8:9], exec, s[8:9]
; %bb.250:
	v_mov_b32_e32 v0, 0
	v_mov_b32_e32 v1, s10
	ds_min_i32 v0, v1 offset:4108
.LBB26_251:
	s_or_b64 exec, exec, s[6:7]
	s_waitcnt lgkmcnt(0)
	s_barrier
	s_and_saveexec_b64 s[6:7], s[0:1]
	s_cbranch_execz .LBB26_253
; %bb.252:
	v_readlane_b32 s8, v46, 0
	s_mul_i32 s0, s21, s23
	v_readlane_b32 s10, v46, 2
	s_sub_i32 s0, s20, s0
	v_readlane_b32 s9, v46, 1
	v_readlane_b32 s11, v46, 3
	s_mov_b32 s14, s10
	s_mov_b64 s[12:13], s[8:9]
	s_mul_i32 s0, s0, s14
	v_readlane_b32 s1, v46, 19
	v_readlane_b32 s8, v46, 22
	v_readlane_b32 s11, v46, 10
	v_readlane_b32 s14, v46, 14
	s_xor_b32 s1, s1, s8
	s_mul_i32 s8, s14, s11
	v_readlane_b32 s9, v46, 13
	s_sub_i32 s8, s9, s8
	s_add_i32 s9, s14, 1
	s_sub_i32 s10, s8, s11
	s_cmp_ge_u32 s8, s11
	s_cselect_b32 s9, s9, s14
	s_cselect_b32 s8, s10, s8
	s_add_i32 s10, s9, 1
	s_cmp_ge_u32 s8, s11
	s_cselect_b32 s8, s10, s9
	s_xor_b32 s8, s8, s1
	s_sub_i32 s1, s8, s1
	s_mul_i32 s8, s1, s22
	s_sub_i32 s8, s21, s8
	s_mul_i32 s8, s8, s13
	s_add_i32 s0, s8, s0
	s_mul_i32 s1, s1, s12
	v_readlane_b32 s8, v46, 4
	s_add_i32 s0, s0, s1
	s_mul_i32 s1, s26, s25
	v_readlane_b32 s10, v46, 6
	s_sub_i32 s1, s20, s1
	v_readlane_b32 s9, v46, 5
	s_mov_b32 s14, s10
	s_mov_b64 s[12:13], s[8:9]
	s_mul_i32 s1, s1, s14
	v_readlane_b32 s8, v46, 24
	v_readlane_b32 s9, v46, 27
	v_readlane_b32 s14, v46, 15
	v_readlane_b32 s15, v46, 17
	s_xor_b32 s8, s8, s9
	s_mul_i32 s9, s15, s14
	v_readlane_b32 s10, v46, 16
	v_readlane_b32 s11, v46, 7
	s_sub_i32 s9, s10, s9
	s_add_i32 s10, s15, 1
	s_sub_i32 s11, s9, s14
	s_cmp_ge_u32 s9, s14
	s_cselect_b32 s10, s10, s15
	s_cselect_b32 s9, s11, s9
	s_add_i32 s11, s10, 1
	s_cmp_ge_u32 s9, s14
	s_cselect_b32 s9, s11, s10
	s_xor_b32 s9, s9, s8
	s_sub_i32 s8, s9, s8
	s_mul_i32 s9, s8, s24
	s_sub_i32 s9, s26, s9
	s_mul_i32 s9, s9, s13
	s_add_i32 s1, s9, s1
	s_mul_i32 s8, s8, s12
	s_add_i32 s8, s1, s8
	s_ashr_i32 s1, s0, 31
	v_mov_b32_e32 v2, 0
	s_lshl_b64 s[0:1], s[0:1], 3
	v_readlane_b32 s10, v46, 11
	ds_read_b32 v0, v2 offset:4108
	v_readlane_b32 s11, v46, 12
	s_add_u32 s0, s10, s0
	s_addc_u32 s1, s11, s1
	s_ashr_i32 s9, s8, 31
	s_lshl_b64 s[8:9], s[8:9], 3
	v_readlane_b32 s10, v46, 8
	v_readlane_b32 s11, v46, 9
	s_add_u32 s8, s10, s8
	s_addc_u32 s9, s11, s9
	s_waitcnt lgkmcnt(0)
	v_ashrrev_i32_e32 v1, 31, v0
	global_store_dwordx2 v2, v[0:1], s[8:9]
	global_store_dwordx2 v2, v[4:5], s[0:1]
.LBB26_253:
	s_or_b64 exec, exec, s[6:7]
.LBB26_254:
	s_or_saveexec_b64 s[0:1], s[4:5]
	s_mov_b64 s[4:5], 0
	s_xor_b64 exec, exec, s[0:1]
	s_cbranch_execnz .LBB26_257
.LBB26_255:
	s_or_b64 exec, exec, s[0:1]
	s_and_b64 s[4:5], s[4:5], exec
	s_andn2_saveexec_b64 s[0:1], s[2:3]
	s_cbranch_execz .LBB26_233
.LBB26_256:
	s_or_b64 s[4:5], s[4:5], exec
	s_trap 2
	s_or_b64 exec, exec, s[0:1]
	s_and_saveexec_b64 s[0:1], s[4:5]
	s_cbranch_execnz .LBB26_234
	s_branch .LBB26_235
.LBB26_257:
	s_mov_b64 s[4:5], exec
	s_trap 2
	s_branch .LBB26_255
	.section	.rodata,"a",@progbits
	.p2align	6, 0x0
	.amdhsa_kernel _ZN2at6native12_GLOBAL__N_114gatherKthValueIliLi3EEEvNS_4cuda6detail10TensorInfoIKT_T0_EES8_S8_S8_S8_NS5_IS6_S8_EENS5_IlS8_EE
		.amdhsa_group_segment_fixed_size 4112
		.amdhsa_private_segment_fixed_size 0
		.amdhsa_kernarg_size 920
		.amdhsa_user_sgpr_count 6
		.amdhsa_user_sgpr_private_segment_buffer 1
		.amdhsa_user_sgpr_dispatch_ptr 0
		.amdhsa_user_sgpr_queue_ptr 0
		.amdhsa_user_sgpr_kernarg_segment_ptr 1
		.amdhsa_user_sgpr_dispatch_id 0
		.amdhsa_user_sgpr_flat_scratch_init 0
		.amdhsa_user_sgpr_private_segment_size 0
		.amdhsa_uses_dynamic_stack 0
		.amdhsa_system_sgpr_private_segment_wavefront_offset 0
		.amdhsa_system_sgpr_workgroup_id_x 1
		.amdhsa_system_sgpr_workgroup_id_y 1
		.amdhsa_system_sgpr_workgroup_id_z 1
		.amdhsa_system_sgpr_workgroup_info 0
		.amdhsa_system_vgpr_workitem_id 0
		.amdhsa_next_free_vgpr 47
		.amdhsa_next_free_sgpr 96
		.amdhsa_reserve_vcc 1
		.amdhsa_reserve_flat_scratch 0
		.amdhsa_float_round_mode_32 0
		.amdhsa_float_round_mode_16_64 0
		.amdhsa_float_denorm_mode_32 3
		.amdhsa_float_denorm_mode_16_64 3
		.amdhsa_dx10_clamp 1
		.amdhsa_ieee_mode 1
		.amdhsa_fp16_overflow 0
		.amdhsa_exception_fp_ieee_invalid_op 0
		.amdhsa_exception_fp_denorm_src 0
		.amdhsa_exception_fp_ieee_div_zero 0
		.amdhsa_exception_fp_ieee_overflow 0
		.amdhsa_exception_fp_ieee_underflow 0
		.amdhsa_exception_fp_ieee_inexact 0
		.amdhsa_exception_int_div_zero 0
	.end_amdhsa_kernel
	.section	.text._ZN2at6native12_GLOBAL__N_114gatherKthValueIliLi3EEEvNS_4cuda6detail10TensorInfoIKT_T0_EES8_S8_S8_S8_NS5_IS6_S8_EENS5_IlS8_EE,"axG",@progbits,_ZN2at6native12_GLOBAL__N_114gatherKthValueIliLi3EEEvNS_4cuda6detail10TensorInfoIKT_T0_EES8_S8_S8_S8_NS5_IS6_S8_EENS5_IlS8_EE,comdat
.Lfunc_end26:
	.size	_ZN2at6native12_GLOBAL__N_114gatherKthValueIliLi3EEEvNS_4cuda6detail10TensorInfoIKT_T0_EES8_S8_S8_S8_NS5_IS6_S8_EENS5_IlS8_EE, .Lfunc_end26-_ZN2at6native12_GLOBAL__N_114gatherKthValueIliLi3EEEvNS_4cuda6detail10TensorInfoIKT_T0_EES8_S8_S8_S8_NS5_IS6_S8_EENS5_IlS8_EE
                                        ; -- End function
	.set _ZN2at6native12_GLOBAL__N_114gatherKthValueIliLi3EEEvNS_4cuda6detail10TensorInfoIKT_T0_EES8_S8_S8_S8_NS5_IS6_S8_EENS5_IlS8_EE.num_vgpr, 47
	.set _ZN2at6native12_GLOBAL__N_114gatherKthValueIliLi3EEEvNS_4cuda6detail10TensorInfoIKT_T0_EES8_S8_S8_S8_NS5_IS6_S8_EENS5_IlS8_EE.num_agpr, 0
	.set _ZN2at6native12_GLOBAL__N_114gatherKthValueIliLi3EEEvNS_4cuda6detail10TensorInfoIKT_T0_EES8_S8_S8_S8_NS5_IS6_S8_EENS5_IlS8_EE.numbered_sgpr, 96
	.set _ZN2at6native12_GLOBAL__N_114gatherKthValueIliLi3EEEvNS_4cuda6detail10TensorInfoIKT_T0_EES8_S8_S8_S8_NS5_IS6_S8_EENS5_IlS8_EE.num_named_barrier, 0
	.set _ZN2at6native12_GLOBAL__N_114gatherKthValueIliLi3EEEvNS_4cuda6detail10TensorInfoIKT_T0_EES8_S8_S8_S8_NS5_IS6_S8_EENS5_IlS8_EE.private_seg_size, 0
	.set _ZN2at6native12_GLOBAL__N_114gatherKthValueIliLi3EEEvNS_4cuda6detail10TensorInfoIKT_T0_EES8_S8_S8_S8_NS5_IS6_S8_EENS5_IlS8_EE.uses_vcc, 1
	.set _ZN2at6native12_GLOBAL__N_114gatherKthValueIliLi3EEEvNS_4cuda6detail10TensorInfoIKT_T0_EES8_S8_S8_S8_NS5_IS6_S8_EENS5_IlS8_EE.uses_flat_scratch, 0
	.set _ZN2at6native12_GLOBAL__N_114gatherKthValueIliLi3EEEvNS_4cuda6detail10TensorInfoIKT_T0_EES8_S8_S8_S8_NS5_IS6_S8_EENS5_IlS8_EE.has_dyn_sized_stack, 0
	.set _ZN2at6native12_GLOBAL__N_114gatherKthValueIliLi3EEEvNS_4cuda6detail10TensorInfoIKT_T0_EES8_S8_S8_S8_NS5_IS6_S8_EENS5_IlS8_EE.has_recursion, 0
	.set _ZN2at6native12_GLOBAL__N_114gatherKthValueIliLi3EEEvNS_4cuda6detail10TensorInfoIKT_T0_EES8_S8_S8_S8_NS5_IS6_S8_EENS5_IlS8_EE.has_indirect_call, 0
	.section	.AMDGPU.csdata,"",@progbits
; Kernel info:
; codeLenInByte = 10192
; TotalNumSgprs: 100
; NumVgprs: 47
; ScratchSize: 0
; MemoryBound: 0
; FloatMode: 240
; IeeeMode: 1
; LDSByteSize: 4112 bytes/workgroup (compile time only)
; SGPRBlocks: 12
; VGPRBlocks: 11
; NumSGPRsForWavesPerEU: 100
; NumVGPRsForWavesPerEU: 47
; Occupancy: 5
; WaveLimiterHint : 1
; COMPUTE_PGM_RSRC2:SCRATCH_EN: 0
; COMPUTE_PGM_RSRC2:USER_SGPR: 6
; COMPUTE_PGM_RSRC2:TRAP_HANDLER: 0
; COMPUTE_PGM_RSRC2:TGID_X_EN: 1
; COMPUTE_PGM_RSRC2:TGID_Y_EN: 1
; COMPUTE_PGM_RSRC2:TGID_Z_EN: 1
; COMPUTE_PGM_RSRC2:TIDIG_COMP_CNT: 0
	.section	.text._ZN2at6native12_GLOBAL__N_114gatherKthValueIliLin1EEEvNS_4cuda6detail10TensorInfoIKT_T0_EES8_S8_S8_S8_NS5_IS6_S8_EENS5_IlS8_EE,"axG",@progbits,_ZN2at6native12_GLOBAL__N_114gatherKthValueIliLin1EEEvNS_4cuda6detail10TensorInfoIKT_T0_EES8_S8_S8_S8_NS5_IS6_S8_EENS5_IlS8_EE,comdat
	.globl	_ZN2at6native12_GLOBAL__N_114gatherKthValueIliLin1EEEvNS_4cuda6detail10TensorInfoIKT_T0_EES8_S8_S8_S8_NS5_IS6_S8_EENS5_IlS8_EE ; -- Begin function _ZN2at6native12_GLOBAL__N_114gatherKthValueIliLin1EEEvNS_4cuda6detail10TensorInfoIKT_T0_EES8_S8_S8_S8_NS5_IS6_S8_EENS5_IlS8_EE
	.p2align	8
	.type	_ZN2at6native12_GLOBAL__N_114gatherKthValueIliLin1EEEvNS_4cuda6detail10TensorInfoIKT_T0_EES8_S8_S8_S8_NS5_IS6_S8_EENS5_IlS8_EE,@function
_ZN2at6native12_GLOBAL__N_114gatherKthValueIliLin1EEEvNS_4cuda6detail10TensorInfoIKT_T0_EES8_S8_S8_S8_NS5_IS6_S8_EENS5_IlS8_EE: ; @_ZN2at6native12_GLOBAL__N_114gatherKthValueIliLin1EEEvNS_4cuda6detail10TensorInfoIKT_T0_EES8_S8_S8_S8_NS5_IS6_S8_EENS5_IlS8_EE
; %bb.0:
	s_load_dwordx2 s[12:13], s[4:5], 0x298
	s_load_dwordx4 s[28:31], s[4:5], 0xd8
	s_add_u32 s10, s4, 0x298
	s_addc_u32 s11, s5, 0
	s_waitcnt lgkmcnt(0)
	s_mul_i32 s0, s13, s8
	s_add_i32 s0, s0, s7
	s_mul_i32 s0, s0, s12
	s_add_i32 s33, s0, s6
	s_cmp_ge_i32 s33, s30
	s_cbranch_scc1 .LBB27_244
; %bb.1:
	s_load_dword s0, s[4:5], 0xd0
	s_mov_b32 s3, 0
	s_mov_b32 s2, s33
	s_waitcnt lgkmcnt(0)
	s_cmp_lt_i32 s0, 2
	s_cbranch_scc1 .LBB27_4
; %bb.2:
	s_add_i32 s2, s0, -1
	s_add_i32 s7, s0, 1
	s_lshl_b64 s[0:1], s[2:3], 2
	s_add_u32 s0, s4, s0
	s_addc_u32 s1, s5, s1
	s_add_u32 s0, s0, 8
	s_addc_u32 s1, s1, 0
	s_mov_b32 s2, s33
.LBB27_3:                               ; =>This Inner Loop Header: Depth=1
	s_load_dword s8, s[0:1], 0x0
	s_load_dword s13, s[0:1], 0x64
	s_mov_b32 s9, s2
	s_abs_i32 s2, s2
	s_waitcnt lgkmcnt(0)
	s_abs_i32 s15, s8
	v_cvt_f32_u32_e32 v1, s15
	s_sub_i32 s16, 0, s15
	s_xor_b32 s14, s9, s8
	s_ashr_i32 s14, s14, 31
	v_rcp_iflag_f32_e32 v1, v1
	v_mul_f32_e32 v1, 0x4f7ffffe, v1
	v_cvt_u32_f32_e32 v1, v1
	v_readfirstlane_b32 s17, v1
	s_mul_i32 s16, s16, s17
	s_mul_hi_u32 s16, s17, s16
	s_add_i32 s17, s17, s16
	s_mul_hi_u32 s16, s2, s17
	s_mul_i32 s17, s16, s15
	s_sub_i32 s2, s2, s17
	s_add_i32 s18, s16, 1
	s_sub_i32 s17, s2, s15
	s_cmp_ge_u32 s2, s15
	s_cselect_b32 s16, s18, s16
	s_cselect_b32 s2, s17, s2
	s_add_i32 s17, s16, 1
	s_cmp_ge_u32 s2, s15
	s_cselect_b32 s2, s17, s16
	s_xor_b32 s2, s2, s14
	s_sub_i32 s2, s2, s14
	s_mul_i32 s8, s2, s8
	s_sub_i32 s8, s9, s8
	s_mul_i32 s8, s13, s8
	s_add_i32 s7, s7, -1
	s_add_i32 s3, s8, s3
	s_add_u32 s0, s0, -4
	s_addc_u32 s1, s1, -1
	s_cmp_gt_u32 s7, 2
	s_cbranch_scc1 .LBB27_3
.LBB27_4:
	s_load_dword s8, s[4:5], 0x1b8
	s_add_u32 s0, s4, 0xe8
	s_addc_u32 s1, s5, 0
	s_mov_b32 s35, 0
	s_mov_b32 s30, s33
	s_waitcnt lgkmcnt(0)
	s_cmp_lt_i32 s8, 2
	s_cbranch_scc1 .LBB27_7
; %bb.5:
	s_add_i32 s34, s8, -1
	s_add_i32 s7, s8, 1
	s_lshl_b64 s[8:9], s[34:35], 2
	s_add_u32 s8, s0, s8
	s_addc_u32 s9, s1, s9
	s_add_u32 s8, s8, 8
	s_addc_u32 s9, s9, 0
	s_mov_b32 s30, s33
.LBB27_6:                               ; =>This Inner Loop Header: Depth=1
	s_load_dword s13, s[8:9], 0x0
	s_load_dword s15, s[8:9], 0x64
	s_abs_i32 s16, s30
	s_mov_b32 s14, s30
	s_waitcnt lgkmcnt(0)
	s_abs_i32 s18, s13
	v_cvt_f32_u32_e32 v1, s18
	s_sub_i32 s19, 0, s18
	s_xor_b32 s17, s30, s13
	s_ashr_i32 s17, s17, 31
	v_rcp_iflag_f32_e32 v1, v1
	v_mul_f32_e32 v1, 0x4f7ffffe, v1
	v_cvt_u32_f32_e32 v1, v1
	v_readfirstlane_b32 s20, v1
	s_mul_i32 s19, s19, s20
	s_mul_hi_u32 s19, s20, s19
	s_add_i32 s20, s20, s19
	s_mul_hi_u32 s19, s16, s20
	s_mul_i32 s20, s19, s18
	s_sub_i32 s16, s16, s20
	s_add_i32 s21, s19, 1
	s_sub_i32 s20, s16, s18
	s_cmp_ge_u32 s16, s18
	s_cselect_b32 s19, s21, s19
	s_cselect_b32 s16, s20, s16
	s_add_i32 s20, s19, 1
	s_cmp_ge_u32 s16, s18
	s_cselect_b32 s16, s20, s19
	s_xor_b32 s16, s16, s17
	s_sub_i32 s30, s16, s17
	s_mul_i32 s13, s30, s13
	s_sub_i32 s13, s14, s13
	s_mul_i32 s13, s15, s13
	s_add_i32 s7, s7, -1
	s_add_i32 s35, s13, s35
	s_add_u32 s8, s8, -4
	s_addc_u32 s9, s9, -1
	s_cmp_gt_u32 s7, 2
	s_cbranch_scc1 .LBB27_6
.LBB27_7:
	s_load_dword s7, s[4:5], 0x6c
	s_load_dword s14, s[4:5], 0x290
	s_add_u32 s8, s4, 0x1c0
	s_addc_u32 s9, s5, 0
	s_mov_b32 s37, 0
	s_waitcnt lgkmcnt(0)
	s_cmp_lt_i32 s14, 2
	s_cbranch_scc1 .LBB27_10
; %bb.8:
	s_add_i32 s36, s14, -1
	s_add_i32 s13, s14, 1
	s_lshl_b64 s[14:15], s[36:37], 2
	s_add_u32 s8, s8, s14
	s_addc_u32 s9, s9, s15
	s_add_u32 s8, s8, 8
	s_addc_u32 s9, s9, 0
.LBB27_9:                               ; =>This Inner Loop Header: Depth=1
	s_load_dword s14, s[8:9], 0x0
	s_load_dword s16, s[8:9], 0x64
	s_abs_i32 s17, s33
	s_mov_b32 s15, s33
	s_waitcnt lgkmcnt(0)
	s_abs_i32 s19, s14
	v_cvt_f32_u32_e32 v1, s19
	s_sub_i32 s20, 0, s19
	s_xor_b32 s18, s33, s14
	s_ashr_i32 s18, s18, 31
	v_rcp_iflag_f32_e32 v1, v1
	v_mul_f32_e32 v1, 0x4f7ffffe, v1
	v_cvt_u32_f32_e32 v1, v1
	v_readfirstlane_b32 s21, v1
	s_mul_i32 s20, s20, s21
	s_mul_hi_u32 s20, s21, s20
	s_add_i32 s21, s21, s20
	s_mul_hi_u32 s20, s17, s21
	s_mul_i32 s21, s20, s19
	s_sub_i32 s17, s17, s21
	s_add_i32 s22, s20, 1
	s_sub_i32 s21, s17, s19
	s_cmp_ge_u32 s17, s19
	s_cselect_b32 s20, s22, s20
	s_cselect_b32 s17, s21, s17
	s_add_i32 s21, s20, 1
	s_cmp_ge_u32 s17, s19
	s_cselect_b32 s17, s21, s20
	s_xor_b32 s17, s17, s18
	s_sub_i32 s33, s17, s18
	s_mul_i32 s14, s33, s14
	s_sub_i32 s14, s15, s14
	s_mul_i32 s14, s16, s14
	s_add_i32 s13, s13, -1
	s_add_i32 s37, s14, s37
	s_add_u32 s8, s8, -4
	s_addc_u32 s9, s9, -1
	s_cmp_gt_u32 s13, 2
	s_cbranch_scc1 .LBB27_9
.LBB27_10:
	s_load_dword s0, s[0:1], 0x6c
                                        ; implicit-def: $vgpr46 : SGPR spill to VGPR lane
	s_mov_b32 s52, 0
	s_waitcnt lgkmcnt(0)
	v_writelane_b32 v46, s0, 0
	s_load_dwordx2 s[8:9], s[4:5], 0x0
	s_load_dwordx2 s[0:1], s[4:5], 0xe8
	s_waitcnt lgkmcnt(0)
	v_writelane_b32 v46, s0, 1
	v_writelane_b32 v46, s1, 2
	s_load_dwordx2 s[0:1], s[4:5], 0x1c0
	s_waitcnt lgkmcnt(0)
	v_writelane_b32 v46, s0, 3
	v_writelane_b32 v46, s1, 4
	v_cmp_eq_u32_e64 s[0:1], 0, v0
	s_mov_b64 s[14:15], exec
	v_writelane_b32 v46, s0, 5
	v_writelane_b32 v46, s1, 6
	s_and_b64 s[0:1], s[14:15], s[0:1]
	s_mov_b64 exec, s[0:1]
; %bb.11:
	v_mov_b32_e32 v1, 0
	v_mov_b32_e32 v2, s28
	;; [unrolled: 1-line block ×3, first 2 shown]
	ds_write_b96 v1, v[1:3] offset:4096
; %bb.12:
	s_or_b64 exec, exec, s[14:15]
	s_load_dword s0, s[4:5], 0x22c
	v_mul_lo_u32 v10, s31, v0
	s_waitcnt lgkmcnt(0)
	s_barrier
	v_writelane_b32 v46, s0, 7
	s_mul_i32 s0, s7, s2
	s_add_i32 s0, s0, s3
	s_load_dword s2, s[10:11], 0xc
	s_ashr_i32 s1, s0, 31
	v_mov_b32_e32 v12, 0
	s_lshl_b64 s[0:1], s[0:1], 3
	v_mbcnt_lo_u32_b32 v1, -1, 0
	v_mov_b32_e32 v11, v12
	s_add_u32 s34, s8, s0
	v_mbcnt_hi_u32_b32 v26, -1, v1
	v_lshlrev_b64 v[1:2], 3, v[10:11]
	s_addc_u32 s48, s9, s1
	v_cmp_gt_u32_e32 vcc, 64, v0
	v_cmp_gt_i32_e64 s[4:5], 4, v26
	s_and_b64 s[42:43], vcc, s[4:5]
	v_mov_b32_e32 v3, s48
	v_add_co_u32_e32 v13, vcc, s34, v1
	s_waitcnt lgkmcnt(0)
	s_and_b32 s36, s2, 0xffff
	v_addc_co_u32_e32 v14, vcc, v3, v2, vcc
	v_lshlrev_b64 v[2:3], v26, -1
	s_add_i32 s1, s36, -1
	s_lshl_b32 s49, s36, 2
	s_bfe_u32 s0, s2, 0xa0006
	s_add_i32 s51, s1, s28
	v_not_b32_e32 v31, v2
	v_lshrrev_b32_e32 v2, 2, v0
	s_cmpk_gt_i32 s28, 0x180
	v_and_b32_e32 v2, 0xf0, v2
	s_cselect_b64 s[44:45], -1, 0
	v_cmp_gt_u32_e64 s[8:9], s28, v0
	s_cmp_gt_u32 s36, 63
	v_or_b32_e32 v32, 0xc00, v2
	v_cvt_f32_u32_e32 v2, s49
	v_writelane_b32 v46, s8, 8
	s_cselect_b64 s[46:47], -1, 0
	s_cmp_lt_u32 s6, s12
	s_mov_b32 s95, s1
	v_writelane_b32 v46, s9, 9
	v_cmp_gt_i32_e64 s[8:9], s28, v0
	s_cselect_b32 s1, 12, 18
	v_writelane_b32 v46, s8, 10
	s_add_u32 s6, s10, s1
	v_writelane_b32 v46, s9, 11
	s_addc_u32 s7, s11, 0
	v_rcp_iflag_f32_e32 v2, v2
	v_writelane_b32 v46, s6, 12
	s_add_i32 s1, s0, -1
	v_writelane_b32 v46, s7, 13
	s_bfe_u32 s6, s36, 0x30006
	s_and_b32 s1, s1, 0xffff
	s_cmp_gt_u32 s1, 6
	s_cselect_b64 s[8:9], -1, 0
	v_mul_f32_e32 v2, 0x4f7ffffe, v2
	v_writelane_b32 v46, s8, 14
	s_and_b32 s53, s0, 0x3f8
	v_cvt_u32_f32_e32 v2, v2
	v_writelane_b32 v46, s9, 15
	s_cmp_lg_u32 s6, 0
	v_writelane_b32 v46, s6, 16
	s_cselect_b64 s[0:1], -1, 0
	v_writelane_b32 v46, s0, 17
	v_writelane_b32 v46, s1, 18
	s_sub_i32 s0, 0, s49
	v_readfirstlane_b32 s1, v2
	s_mul_i32 s0, s0, s1
	s_mul_hi_u32 s0, s1, s0
	s_add_i32 s16, s1, s0
	s_mul_hi_u32 s0, s28, s16
	s_mul_i32 s0, s0, s49
	s_sub_i32 s0, s28, s0
	s_sub_i32 s1, s0, s49
	s_cmp_ge_u32 s0, s49
	s_cselect_b32 s0, s1, s0
	s_sub_i32 s1, s0, s49
	s_cmp_ge_u32 s0, s49
	s_cselect_b32 s0, s1, s0
	s_sub_i32 s17, s28, s0
	v_add_u32_e32 v33, s17, v0
	v_cvt_f32_u32_e32 v4, s36
	v_mul_lo_u32 v2, v33, s31
	v_not_b32_e32 v30, v3
	s_sub_i32 s7, 0, s36
	v_rcp_iflag_f32_e32 v4, v4
	v_ashrrev_i32_e32 v3, 31, v2
	v_lshlrev_b64 v[2:3], 3, v[2:3]
	s_abs_i32 s6, s51
	v_add_co_u32_e32 v15, vcc, s34, v2
	v_mul_f32_e32 v2, 0x4f7ffffe, v4
	v_cvt_u32_f32_e32 v2, v2
	s_ashr_i32 s1, s51, 31
	v_lshlrev_b32_e32 v25, 2, v0
	v_mov_b32_e32 v5, s48
	v_readfirstlane_b32 s8, v2
	s_mul_i32 s7, s7, s8
	s_mul_hi_u32 s7, s8, s7
	s_add_i32 s94, s8, s7
	s_mul_hi_u32 s7, s6, s94
	s_mul_i32 s7, s7, s36
	s_sub_i32 s6, s6, s7
	s_sub_i32 s7, s6, s36
	s_cmp_ge_u32 s6, s36
	s_cselect_b32 s6, s7, s6
	s_sub_i32 s7, s6, s36
	v_mul_lo_u32 v2, s31, v25
	s_cmp_ge_u32 s6, s36
	s_cselect_b32 s6, s7, s6
	s_xor_b32 s6, s6, s1
	s_sub_i32 s1, s1, s6
	v_add_u32_e32 v34, s31, v2
	v_or_b32_e32 v2, 2, v25
	s_add_i32 s51, s51, s1
	v_mul_lo_u32 v35, s31, v2
	v_or_b32_e32 v2, 3, v25
	s_add_i32 s1, s36, s28
	v_mul_lo_u32 v36, s31, v2
	v_add_u32_e32 v2, s1, v0
	v_subrev_u32_e32 v2, s0, v2
	v_mul_lo_u32 v38, s31, v2
	v_lshlrev_b32_e32 v27, 3, v0
	v_lshlrev_b32_e32 v1, 2, v26
	v_addc_co_u32_e32 v16, vcc, v5, v3, vcc
	v_cmp_gt_i32_e64 s[6:7], s51, v0
	s_mul_i32 s50, s31, s36
	v_mov_b32_e32 v17, 0
	v_mov_b32_e32 v19, 0
	v_mov_b32_e32 v4, 0
	v_cmp_eq_u32_e64 s[2:3], 0, v26
	v_cmp_gt_u32_e64 s[4:5], 2, v0
	v_add_u32_e32 v28, 0xc00, v27
	v_and_b32_e32 v29, 0x100, v1
	v_cmp_gt_i32_e64 s[10:11], s17, v25
	v_cmp_gt_u32_e64 s[12:13], s28, v33
	v_cmp_gt_i32_e64 s[14:15], s28, v33
	v_writelane_b32 v46, s6, 19
	s_lshl_b32 s24, s50, 2
	v_lshlrev_b32_e32 v37, 2, v10
	v_lshlrev_b32_e32 v39, 5, v0
	s_lshl_b32 s25, s36, 5
	s_lshl_b32 s0, s36, 3
	v_or_b32_e32 v40, 0xc00, v1
	s_mov_b32 s1, 62
	s_mov_b64 s[54:55], 0
	v_mov_b32_e32 v41, s29
	v_mov_b32_e32 v18, 0
	;; [unrolled: 1-line block ×5, first 2 shown]
	v_writelane_b32 v46, s7, 20
                                        ; implicit-def: $sgpr56_sgpr57
                                        ; implicit-def: $sgpr60_sgpr61
                                        ; implicit-def: $sgpr58_sgpr59
                                        ; implicit-def: $sgpr64_sgpr65
                                        ; implicit-def: $sgpr66_sgpr67
                                        ; implicit-def: $sgpr62_sgpr63
	s_branch .LBB27_16
.LBB27_13:                              ;   in Loop: Header=BB27_16 Depth=1
	s_or_b64 exec, exec, s[38:39]
	s_and_b64 s[22:23], s[22:23], exec
	s_andn2_b64 s[68:69], s[68:69], exec
	s_andn2_b64 s[26:27], s[26:27], exec
	s_orn2_b64 s[20:21], s[20:21], exec
.LBB27_14:                              ;   in Loop: Header=BB27_16 Depth=1
	s_or_b64 exec, exec, s[6:7]
	s_andn2_b64 s[6:7], s[62:63], exec
	s_and_b64 s[22:23], s[22:23], exec
	s_or_b64 s[62:63], s[6:7], s[22:23]
	s_andn2_b64 s[6:7], s[66:67], exec
	s_and_b64 s[22:23], s[68:69], exec
	s_or_b64 s[66:67], s[6:7], s[22:23]
	;; [unrolled: 3-line block ×3, first 2 shown]
	s_orn2_b64 s[20:21], s[20:21], exec
.LBB27_15:                              ;   in Loop: Header=BB27_16 Depth=1
	s_or_b64 exec, exec, s[18:19]
	s_and_b64 s[6:7], exec, s[20:21]
	s_or_b64 s[54:55], s[6:7], s[54:55]
	s_andn2_b64 s[6:7], s[58:59], exec
	s_and_b64 s[18:19], s[62:63], exec
	s_or_b64 s[58:59], s[6:7], s[18:19]
	s_andn2_b64 s[6:7], s[60:61], exec
	s_and_b64 s[18:19], s[66:67], exec
	;; [unrolled: 3-line block ×3, first 2 shown]
	s_or_b64 s[56:57], s[6:7], s[18:19]
	s_mov_b32 s52, s9
	s_mov_b32 s1, s8
	v_mov_b32_e32 v41, v9
	s_andn2_b64 exec, exec, s[54:55]
	s_cbranch_execz .LBB27_240
.LBB27_16:                              ; =>This Loop Header: Depth=1
                                        ;     Child Loop BB27_22 Depth 2
                                        ;     Child Loop BB27_37 Depth 2
	;; [unrolled: 1-line block ×16, first 2 shown]
	ds_read_b64 v[2:3], v12 offset:4096
	s_waitcnt lgkmcnt(0)
	v_readfirstlane_b32 s29, v2
	s_cmp_gt_i32 s29, 0
	s_cbranch_scc1 .LBB27_44
; %bb.17:                               ;   in Loop: Header=BB27_16 Depth=1
	s_and_b64 vcc, exec, s[44:45]
	s_cbranch_vccz .LBB27_30
; %bb.18:                               ;   in Loop: Header=BB27_16 Depth=1
	s_movk_i32 s6, 0x181
	v_cmp_gt_i32_e32 vcc, s6, v3
	s_mov_b64 s[18:19], 0
	s_mov_b64 s[6:7], 0
	s_cbranch_vccz .LBB27_31
; %bb.19:                               ;   in Loop: Header=BB27_16 Depth=1
	s_mov_b64 s[20:21], exec
	v_readlane_b32 s6, v46, 8
	v_readlane_b32 s7, v46, 9
	s_and_b64 s[6:7], s[20:21], s[6:7]
	s_mov_b64 exec, s[6:7]
	s_cbranch_execz .LBB27_76
; %bb.20:                               ;   in Loop: Header=BB27_16 Depth=1
	v_readlane_b32 s6, v46, 12
	v_readlane_b32 s7, v46, 13
	s_nop 4
	global_load_ushort v8, v12, s[6:7]
	global_load_dwordx2 v[2:3], v[13:14], off
	s_mov_b64 s[22:23], 0
	v_mov_b32_e32 v21, v0
	s_waitcnt vmcnt(1)
	v_add_u32_e32 v6, v0, v8
	v_mul_lo_u32 v11, s31, v6
	v_mul_lo_u32 v9, s31, v8
	s_branch .LBB27_22
.LBB27_21:                              ;   in Loop: Header=BB27_22 Depth=2
	s_or_b64 exec, exec, s[6:7]
	v_cmp_le_i32_e32 vcc, s28, v21
	v_mov_b32_e32 v2, v6
	v_add_u32_e32 v11, v11, v9
	s_or_b64 s[22:23], vcc, s[22:23]
	v_mov_b32_e32 v3, v7
	s_andn2_b64 exec, exec, s[22:23]
	s_cbranch_execz .LBB27_76
.LBB27_22:                              ;   Parent Loop BB27_16 Depth=1
                                        ; =>  This Inner Loop Header: Depth=2
	v_add_u32_e32 v21, v21, v8
	v_mov_b32_e32 v6, 0
	v_mov_b32_e32 v7, 0
	v_cmp_gt_u32_e32 vcc, s28, v21
	s_and_saveexec_b64 s[6:7], vcc
	s_cbranch_execz .LBB27_24
; %bb.23:                               ;   in Loop: Header=BB27_22 Depth=2
	v_lshlrev_b64 v[6:7], 3, v[11:12]
	s_waitcnt lgkmcnt(0)
	v_mov_b32_e32 v22, s48
	v_add_co_u32_e32 v6, vcc, s34, v6
	v_addc_co_u32_e32 v7, vcc, v22, v7, vcc
	global_load_dwordx2 v[6:7], v[6:7], off
.LBB27_24:                              ;   in Loop: Header=BB27_22 Depth=2
	s_or_b64 exec, exec, s[6:7]
	s_waitcnt vmcnt(0) lgkmcnt(0)
	v_xor_b32_e32 v22, 0x80000000, v3
	v_and_b32_e32 v23, v22, v20
	v_and_b32_e32 v22, v2, v19
	v_cmp_eq_u64_e32 vcc, v[22:23], v[17:18]
	v_mov_b32_e32 v22, 0
	s_cmp_lg_u64 vcc, 0
	s_cselect_b64 s[6:7], -1, 0
	s_and_b64 s[6:7], s[2:3], s[6:7]
	s_and_saveexec_b64 s[26:27], s[6:7]
	s_cbranch_execz .LBB27_28
; %bb.25:                               ;   in Loop: Header=BB27_22 Depth=2
	s_mov_b64 s[38:39], exec
	v_mbcnt_lo_u32_b32 v22, s38, 0
	v_mbcnt_hi_u32_b32 v22, s39, v22
	s_bcnt1_i32_b64 s40, vcc
	v_cmp_eq_u32_e64 s[6:7], 0, v22
                                        ; implicit-def: $vgpr23
	s_and_saveexec_b64 s[8:9], s[6:7]
; %bb.26:                               ;   in Loop: Header=BB27_22 Depth=2
	s_bcnt1_i32_b64 s6, s[38:39]
	s_mul_i32 s6, s40, s6
	v_mov_b32_e32 v23, s6
	ds_add_rtn_u32 v23, v12, v23 offset:4104
; %bb.27:                               ;   in Loop: Header=BB27_22 Depth=2
	s_or_b64 exec, exec, s[8:9]
	s_waitcnt lgkmcnt(0)
	v_readfirstlane_b32 s6, v23
	v_mov_b32_e32 v23, s6
	v_mad_u32_u24 v22, s40, v22, v23
.LBB27_28:                              ;   in Loop: Header=BB27_22 Depth=2
	s_or_b64 exec, exec, s[26:27]
	ds_bpermute_b32 v22, v29, v22
	s_and_saveexec_b64 s[6:7], vcc
	s_cbranch_execz .LBB27_21
; %bb.29:                               ;   in Loop: Header=BB27_22 Depth=2
	v_and_b32_e32 v24, vcc_lo, v31
	v_and_b32_e32 v23, vcc_hi, v30
	v_bcnt_u32_b32 v24, v24, 0
	v_bcnt_u32_b32 v23, v23, v24
	v_lshlrev_b32_e32 v23, 3, v23
	s_waitcnt lgkmcnt(0)
	v_lshl_add_u32 v22, v22, 3, v23
	ds_write_b64 v22, v[2:3]
	s_branch .LBB27_21
.LBB27_30:                              ;   in Loop: Header=BB27_16 Depth=1
	s_mov_b64 s[18:19], -1
	s_mov_b64 s[6:7], 0
.LBB27_31:                              ;   in Loop: Header=BB27_16 Depth=1
	s_and_b64 vcc, exec, s[18:19]
	s_cbranch_vccz .LBB27_42
.LBB27_32:                              ;   in Loop: Header=BB27_16 Depth=1
	v_mov_b32_e32 v2, 0
	v_mov_b32_e32 v3, 0
	s_mov_b64 s[6:7], exec
	v_readlane_b32 s8, v46, 8
	v_readlane_b32 s9, v46, 9
	s_and_b64 s[8:9], s[6:7], s[8:9]
	s_mov_b64 exec, s[8:9]
	s_cbranch_execz .LBB27_34
; %bb.33:                               ;   in Loop: Header=BB27_16 Depth=1
	global_load_dwordx2 v[2:3], v[13:14], off
.LBB27_34:                              ;   in Loop: Header=BB27_16 Depth=1
	s_or_b64 exec, exec, s[6:7]
	s_mov_b64 s[6:7], exec
	v_readlane_b32 s8, v46, 10
	v_readlane_b32 s9, v46, 11
	s_and_b64 s[8:9], s[6:7], s[8:9]
	s_mov_b64 exec, s[8:9]
	s_cbranch_execz .LBB27_39
; %bb.35:                               ;   in Loop: Header=BB27_16 Depth=1
	v_readlane_b32 s8, v46, 12
	v_readlane_b32 s9, v46, 13
	s_mov_b64 s[18:19], 0
	v_mov_b32_e32 v22, v27
	v_mov_b32_e32 v23, v0
	s_nop 1
	global_load_ushort v8, v12, s[8:9]
	s_waitcnt vmcnt(0)
	v_add_u32_e32 v6, v0, v8
	v_mul_lo_u32 v11, s31, v6
	v_mul_lo_u32 v21, s31, v8
	v_lshlrev_b32_e32 v9, 3, v8
	s_branch .LBB27_37
.LBB27_36:                              ;   in Loop: Header=BB27_37 Depth=2
	s_or_b64 exec, exec, s[20:21]
	ds_write_b64 v22, v[2:3]
	v_cmp_le_i32_e32 vcc, s28, v23
	s_waitcnt vmcnt(0)
	v_mov_b32_e32 v2, v6
	v_add_u32_e32 v22, v22, v9
	v_add_u32_e32 v11, v11, v21
	s_or_b64 s[18:19], vcc, s[18:19]
	v_mov_b32_e32 v3, v7
	s_andn2_b64 exec, exec, s[18:19]
	s_cbranch_execz .LBB27_39
.LBB27_37:                              ;   Parent Loop BB27_16 Depth=1
                                        ; =>  This Inner Loop Header: Depth=2
	v_add_u32_e32 v23, v23, v8
	v_mov_b32_e32 v6, 0
	v_mov_b32_e32 v7, 0
	v_cmp_gt_u32_e32 vcc, s28, v23
	s_and_saveexec_b64 s[20:21], vcc
	s_cbranch_execz .LBB27_36
; %bb.38:                               ;   in Loop: Header=BB27_37 Depth=2
	v_lshlrev_b64 v[6:7], 3, v[11:12]
	v_mov_b32_e32 v24, s48
	v_add_co_u32_e32 v6, vcc, s34, v6
	v_addc_co_u32_e32 v7, vcc, v24, v7, vcc
	global_load_dwordx2 v[6:7], v[6:7], off
	s_branch .LBB27_36
.LBB27_39:                              ;   in Loop: Header=BB27_16 Depth=1
	s_or_b64 exec, exec, s[6:7]
	s_waitcnt vmcnt(0) lgkmcnt(0)
	s_barrier
	s_mov_b64 s[6:7], exec
	v_readlane_b32 s8, v46, 5
	v_readlane_b32 s9, v46, 6
	s_and_b64 s[8:9], s[6:7], s[8:9]
	s_mov_b64 exec, s[8:9]
; %bb.40:                               ;   in Loop: Header=BB27_16 Depth=1
	v_mov_b32_e32 v2, s28
	ds_write_b32 v12, v2 offset:4096
; %bb.41:                               ;   in Loop: Header=BB27_16 Depth=1
	s_or_b64 exec, exec, s[6:7]
	s_mov_b64 s[6:7], -1
	s_waitcnt lgkmcnt(0)
	s_barrier
.LBB27_42:                              ;   in Loop: Header=BB27_16 Depth=1
	s_and_b64 vcc, exec, s[6:7]
	s_cbranch_vccz .LBB27_44
; %bb.43:                               ;   in Loop: Header=BB27_16 Depth=1
	ds_read_b32 v2, v12 offset:4096
	s_waitcnt lgkmcnt(0)
	v_readfirstlane_b32 s29, v2
.LBB27_44:                              ;   in Loop: Header=BB27_16 Depth=1
	s_cmp_lt_i32 s29, 1
	s_mov_b64 s[6:7], -1
                                        ; implicit-def: $vgpr6
	s_cbranch_scc1 .LBB27_54
; %bb.45:                               ;   in Loop: Header=BB27_16 Depth=1
	s_and_b64 vcc, exec, s[6:7]
	s_cbranch_vccnz .LBB27_67
.LBB27_46:                              ;   in Loop: Header=BB27_16 Depth=1
	s_lshl_b32 s8, s52, 6
	s_and_saveexec_b64 s[6:7], s[2:3]
.LBB27_47:                              ;   in Loop: Header=BB27_16 Depth=1
	v_lshl_add_u32 v2, s8, 2, v32
	ds_write_b128 v2, v[6:9]
.LBB27_48:                              ;   in Loop: Header=BB27_16 Depth=1
	s_or_b64 exec, exec, s[6:7]
	s_waitcnt vmcnt(0) lgkmcnt(0)
	s_barrier
	s_and_saveexec_b64 s[6:7], s[42:43]
	s_cbranch_execz .LBB27_84
; %bb.49:                               ;   in Loop: Header=BB27_16 Depth=1
	s_andn2_b64 vcc, exec, s[46:47]
	v_mov_b32_e32 v2, 0
	s_cbranch_vccnz .LBB27_83
; %bb.50:                               ;   in Loop: Header=BB27_16 Depth=1
	v_readlane_b32 s18, v46, 14
	v_readlane_b32 s19, v46, 15
	s_andn2_b64 vcc, exec, s[18:19]
	s_cbranch_vccnz .LBB27_79
; %bb.51:                               ;   in Loop: Header=BB27_16 Depth=1
	v_lshl_add_u32 v3, s52, 8, v40
	s_mov_b32 s9, 0
	v_mov_b32_e32 v2, 0
.LBB27_52:                              ;   Parent Loop BB27_16 Depth=1
                                        ; =>  This Inner Loop Header: Depth=2
	ds_read2_b32 v[6:7], v3 offset1:4
	ds_read2_b32 v[8:9], v3 offset0:8 offset1:12
	ds_read2_b32 v[21:22], v3 offset0:16 offset1:20
	;; [unrolled: 1-line block ×3, first 2 shown]
	s_add_i32 s9, s9, 8
	s_waitcnt lgkmcnt(3)
	v_add3_u32 v2, v6, v2, v7
	s_waitcnt lgkmcnt(2)
	v_add3_u32 v2, v8, v2, v9
	;; [unrolled: 2-line block ×3, first 2 shown]
	v_add_u32_e32 v3, 0x80, v3
	s_cmp_eq_u32 s53, s9
	s_waitcnt lgkmcnt(0)
	v_add3_u32 v2, v23, v2, v24
	s_cbranch_scc0 .LBB27_52
; %bb.53:                               ;   in Loop: Header=BB27_16 Depth=1
	s_mov_b32 s9, s53
	s_branch .LBB27_80
.LBB27_54:                              ;   in Loop: Header=BB27_16 Depth=1
	v_mov_b32_e32 v6, 0
	v_mov_b32_e32 v7, 0
	;; [unrolled: 1-line block ×4, first 2 shown]
	s_and_saveexec_b64 s[26:27], s[10:11]
	s_cbranch_execz .LBB27_58
; %bb.55:                               ;   in Loop: Header=BB27_16 Depth=1
	s_mov_b32 s8, 0
	s_mov_b64 s[68:69], 0
	s_mov_b32 s9, 0
	s_mov_b32 s38, 0
	;; [unrolled: 1-line block ×4, first 2 shown]
	v_mov_b32_e32 v21, v25
.LBB27_56:                              ;   Parent Loop BB27_16 Depth=1
                                        ; =>  This Inner Loop Header: Depth=2
	v_add_u32_e32 v2, s8, v37
	v_ashrrev_i32_e32 v3, 31, v2
	v_lshlrev_b64 v[2:3], 3, v[2:3]
	v_add_u32_e32 v6, s8, v34
	v_ashrrev_i32_e32 v7, 31, v6
	v_add_co_u32_e32 v2, vcc, s34, v2
	v_mov_b32_e32 v11, s48
	v_lshlrev_b64 v[6:7], 3, v[6:7]
	v_addc_co_u32_e32 v3, vcc, v11, v3, vcc
	v_add_co_u32_e32 v6, vcc, s34, v6
	v_addc_co_u32_e32 v7, vcc, v11, v7, vcc
	global_load_dwordx2 v[2:3], v[2:3], off
	v_add_u32_e32 v8, s8, v36
	global_load_dwordx2 v[22:23], v[6:7], off
	v_add_u32_e32 v6, s8, v35
	v_ashrrev_i32_e32 v7, 31, v6
	v_lshlrev_b64 v[6:7], 3, v[6:7]
	v_ashrrev_i32_e32 v9, 31, v8
	v_add_co_u32_e32 v6, vcc, s34, v6
	v_lshlrev_b64 v[8:9], 3, v[8:9]
	v_addc_co_u32_e32 v7, vcc, v11, v7, vcc
	global_load_dwordx2 v[6:7], v[6:7], off
	v_add_co_u32_e32 v8, vcc, s34, v8
	v_addc_co_u32_e32 v9, vcc, v11, v9, vcc
	global_load_dwordx2 v[8:9], v[8:9], off
	v_add_u32_e32 v21, s49, v21
	s_add_i32 s8, s8, s24
	s_waitcnt vmcnt(3)
	v_xor_b32_e32 v3, 0x80000000, v3
	v_and_b32_e32 v43, v3, v20
	v_and_b32_e32 v42, v2, v19
	v_lshrrev_b64 v[2:3], s1, v[2:3]
	s_waitcnt vmcnt(2)
	v_xor_b32_e32 v23, 0x80000000, v23
	v_and_b32_e32 v11, 3, v2
	v_lshrrev_b64 v[2:3], s1, v[22:23]
	v_cmp_eq_u64_e32 vcc, v[42:43], v[17:18]
	v_and_b32_e32 v43, v23, v20
	v_and_b32_e32 v42, v22, v19
	v_cmp_eq_u64_e64 s[6:7], 0, v[11:12]
	v_cmp_eq_u64_e64 s[18:19], v[42:43], v[17:18]
	s_waitcnt vmcnt(1)
	v_xor_b32_e32 v7, 0x80000000, v7
	v_and_b32_e32 v43, v7, v20
	v_and_b32_e32 v42, v6, v19
	v_and_b32_e32 v2, 3, v2
	v_mov_b32_e32 v3, v12
	v_lshrrev_b64 v[6:7], s1, v[6:7]
	s_waitcnt vmcnt(0)
	v_xor_b32_e32 v9, 0x80000000, v9
	s_and_b64 s[70:71], vcc, s[6:7]
	v_cmp_eq_u64_e64 s[6:7], 0, v[2:3]
	v_cmp_eq_u64_e64 s[20:21], v[42:43], v[17:18]
	v_and_b32_e32 v43, v9, v20
	v_and_b32_e32 v42, v8, v19
	;; [unrolled: 1-line block ×3, first 2 shown]
	v_mov_b32_e32 v7, v12
	v_lshrrev_b64 v[8:9], s1, v[8:9]
	s_and_b64 s[72:73], s[18:19], s[6:7]
	v_cmp_eq_u64_e64 s[6:7], 0, v[6:7]
	v_and_b32_e32 v8, 3, v8
	v_mov_b32_e32 v9, v12
	v_cmp_eq_u64_e64 s[22:23], v[42:43], v[17:18]
	s_and_b64 s[74:75], s[20:21], s[6:7]
	v_cmp_eq_u64_e64 s[6:7], 0, v[8:9]
	v_cndmask_b32_e64 v22, 0, 1, s[70:71]
	s_and_b64 s[76:77], s[22:23], s[6:7]
	v_cmp_ne_u32_e64 s[6:7], 0, v22
	v_cndmask_b32_e64 v22, 0, 1, s[72:73]
	s_bcnt1_i32_b64 s41, s[6:7]
	v_cmp_ne_u32_e64 s[6:7], 0, v22
	v_cndmask_b32_e64 v22, 0, 1, s[74:75]
	s_bcnt1_i32_b64 s70, s[6:7]
	;; [unrolled: 3-line block ×3, first 2 shown]
	v_cmp_ne_u32_e64 s[6:7], 0, v22
	s_bcnt1_i32_b64 s6, s[6:7]
	s_add_i32 s7, s40, s41
	s_add_i32 s7, s7, s70
	;; [unrolled: 1-line block ×4, first 2 shown]
	v_cmp_eq_u64_e64 s[6:7], 1, v[11:12]
	s_and_b64 s[70:71], vcc, s[6:7]
	v_cmp_eq_u64_e64 s[6:7], 1, v[2:3]
	v_cndmask_b32_e64 v22, 0, 1, s[70:71]
	s_and_b64 s[72:73], s[18:19], s[6:7]
	v_cmp_eq_u64_e64 s[6:7], 1, v[6:7]
	s_and_b64 s[74:75], s[20:21], s[6:7]
	v_cmp_eq_u64_e64 s[6:7], 1, v[8:9]
	s_and_b64 s[76:77], s[22:23], s[6:7]
	v_cmp_ne_u32_e64 s[6:7], 0, v22
	v_cndmask_b32_e64 v22, 0, 1, s[72:73]
	s_bcnt1_i32_b64 s41, s[6:7]
	v_cmp_ne_u32_e64 s[6:7], 0, v22
	v_cndmask_b32_e64 v22, 0, 1, s[74:75]
	s_bcnt1_i32_b64 s70, s[6:7]
	;; [unrolled: 3-line block ×3, first 2 shown]
	v_cmp_ne_u32_e64 s[6:7], 0, v22
	s_bcnt1_i32_b64 s6, s[6:7]
	s_add_i32 s7, s39, s41
	s_add_i32 s7, s7, s70
	;; [unrolled: 1-line block ×4, first 2 shown]
	v_cmp_eq_u64_e64 s[6:7], 2, v[11:12]
	s_and_b64 s[70:71], vcc, s[6:7]
	v_cmp_eq_u64_e64 s[6:7], 2, v[2:3]
	v_cndmask_b32_e64 v22, 0, 1, s[70:71]
	s_and_b64 s[72:73], s[18:19], s[6:7]
	v_cmp_eq_u64_e64 s[6:7], 2, v[6:7]
	s_and_b64 s[74:75], s[20:21], s[6:7]
	v_cmp_eq_u64_e64 s[6:7], 2, v[8:9]
	s_and_b64 s[76:77], s[22:23], s[6:7]
	v_cmp_ne_u32_e64 s[6:7], 0, v22
	v_cndmask_b32_e64 v22, 0, 1, s[72:73]
	s_bcnt1_i32_b64 s41, s[6:7]
	v_cmp_ne_u32_e64 s[6:7], 0, v22
	v_cndmask_b32_e64 v22, 0, 1, s[74:75]
	s_bcnt1_i32_b64 s70, s[6:7]
	;; [unrolled: 3-line block ×3, first 2 shown]
	v_cmp_ne_u32_e64 s[6:7], 0, v22
	s_bcnt1_i32_b64 s6, s[6:7]
	s_add_i32 s7, s38, s41
	s_add_i32 s7, s7, s70
	;; [unrolled: 1-line block ×4, first 2 shown]
	v_cmp_eq_u64_e64 s[6:7], 3, v[11:12]
	s_and_b64 s[6:7], vcc, s[6:7]
	v_cmp_eq_u64_e32 vcc, 3, v[2:3]
	v_cndmask_b32_e64 v2, 0, 1, s[6:7]
	s_and_b64 s[18:19], s[18:19], vcc
	v_cmp_eq_u64_e32 vcc, 3, v[6:7]
	v_mov_b32_e32 v6, s40
	s_and_b64 s[20:21], s[20:21], vcc
	v_cmp_eq_u64_e32 vcc, 3, v[8:9]
	v_mov_b32_e32 v7, s39
	s_and_b64 s[22:23], s[22:23], vcc
	v_cmp_ne_u32_e32 vcc, 0, v2
	v_cndmask_b32_e64 v2, 0, 1, s[18:19]
	s_bcnt1_i32_b64 s6, vcc
	v_cmp_ne_u32_e32 vcc, 0, v2
	v_cndmask_b32_e64 v2, 0, 1, s[20:21]
	s_bcnt1_i32_b64 s7, vcc
	v_cmp_ne_u32_e32 vcc, 0, v2
	v_cndmask_b32_e64 v2, 0, 1, s[22:23]
	s_add_i32 s6, s9, s6
	s_bcnt1_i32_b64 s18, vcc
	v_cmp_ne_u32_e32 vcc, 0, v2
	s_add_i32 s6, s6, s7
	s_bcnt1_i32_b64 s19, vcc
	s_add_i32 s6, s6, s18
	s_add_i32 s9, s6, s19
	v_cmp_le_i32_e32 vcc, s17, v21
	s_or_b64 s[68:69], vcc, s[68:69]
	v_mov_b32_e32 v8, s38
	v_mov_b32_e32 v9, s9
	s_andn2_b64 exec, exec, s[68:69]
	s_cbranch_execnz .LBB27_56
; %bb.57:                               ;   in Loop: Header=BB27_16 Depth=1
	s_or_b64 exec, exec, s[68:69]
.LBB27_58:                              ;   in Loop: Header=BB27_16 Depth=1
	s_or_b64 exec, exec, s[26:27]
	v_mov_b32_e32 v21, 0
	v_mov_b32_e32 v22, 0
	s_and_saveexec_b64 s[6:7], s[12:13]
	s_cbranch_execz .LBB27_60
; %bb.59:                               ;   in Loop: Header=BB27_16 Depth=1
	global_load_dwordx2 v[21:22], v[15:16], off
.LBB27_60:                              ;   in Loop: Header=BB27_16 Depth=1
	s_or_b64 exec, exec, s[6:7]
	s_and_saveexec_b64 s[18:19], s[14:15]
	s_cbranch_execz .LBB27_66
; %bb.61:                               ;   in Loop: Header=BB27_16 Depth=1
	s_mov_b64 s[20:21], 0
	v_mov_b32_e32 v2, v38
	v_mov_b32_e32 v42, v33
	s_branch .LBB27_63
.LBB27_62:                              ;   in Loop: Header=BB27_63 Depth=2
	s_or_b64 exec, exec, s[6:7]
	s_waitcnt vmcnt(0)
	v_xor_b32_e32 v22, 0x80000000, v22
	v_and_b32_e32 v44, v22, v20
	v_and_b32_e32 v43, v21, v19
	v_lshrrev_b64 v[21:22], s1, v[21:22]
	v_cmp_eq_u64_e32 vcc, v[43:44], v[17:18]
	v_and_b32_e32 v11, 3, v21
	v_cmp_eq_u64_e64 s[6:7], 0, v[11:12]
	v_mov_b32_e32 v21, v23
	s_and_b64 s[6:7], vcc, s[6:7]
	v_cndmask_b32_e64 v3, 0, 1, s[6:7]
	v_cmp_ne_u32_e64 s[6:7], 0, v3
	s_bcnt1_i32_b64 s8, s[6:7]
	v_cmp_eq_u64_e64 s[6:7], 1, v[11:12]
	v_add_u32_e32 v6, s8, v6
	s_and_b64 s[6:7], vcc, s[6:7]
	v_cndmask_b32_e64 v3, 0, 1, s[6:7]
	v_cmp_ne_u32_e64 s[6:7], 0, v3
	s_bcnt1_i32_b64 s8, s[6:7]
	v_cmp_eq_u64_e64 s[6:7], 2, v[11:12]
	v_add_u32_e32 v7, s8, v7
	;; [unrolled: 6-line block ×3, first 2 shown]
	s_and_b64 s[6:7], vcc, s[6:7]
	v_cndmask_b32_e64 v3, 0, 1, s[6:7]
	v_cmp_ne_u32_e32 vcc, 0, v3
	s_bcnt1_i32_b64 s6, vcc
	v_cmp_le_i32_e32 vcc, s28, v42
	v_add_u32_e32 v9, s6, v9
	v_add_u32_e32 v2, s50, v2
	s_or_b64 s[20:21], vcc, s[20:21]
	v_mov_b32_e32 v22, v24
	s_andn2_b64 exec, exec, s[20:21]
	s_cbranch_execz .LBB27_65
.LBB27_63:                              ;   Parent Loop BB27_16 Depth=1
                                        ; =>  This Inner Loop Header: Depth=2
	v_add_u32_e32 v42, s36, v42
	v_mov_b32_e32 v23, 0
	v_mov_b32_e32 v24, 0
	v_cmp_gt_u32_e32 vcc, s28, v42
	s_and_saveexec_b64 s[6:7], vcc
	s_cbranch_execz .LBB27_62
; %bb.64:                               ;   in Loop: Header=BB27_63 Depth=2
	v_ashrrev_i32_e32 v3, 31, v2
	v_lshlrev_b64 v[23:24], 3, v[2:3]
	v_mov_b32_e32 v3, s48
	v_add_co_u32_e32 v23, vcc, s34, v23
	v_addc_co_u32_e32 v24, vcc, v3, v24, vcc
	global_load_dwordx2 v[23:24], v[23:24], off
	s_branch .LBB27_62
.LBB27_65:                              ;   in Loop: Header=BB27_16 Depth=1
	s_or_b64 exec, exec, s[20:21]
.LBB27_66:                              ;   in Loop: Header=BB27_16 Depth=1
	s_or_b64 exec, exec, s[18:19]
	s_branch .LBB27_46
.LBB27_67:                              ;   in Loop: Header=BB27_16 Depth=1
	s_mul_hi_u32 s6, s29, s16
	s_mul_i32 s6, s6, s49
	s_sub_i32 s6, s29, s6
	s_sub_i32 s7, s6, s49
	s_cmp_ge_u32 s6, s49
	s_cselect_b32 s6, s7, s6
	s_sub_i32 s7, s6, s49
	s_cmp_ge_u32 s6, s49
	s_cselect_b32 s6, s7, s6
	s_sub_i32 s8, s29, s6
	v_cmp_gt_u32_e32 vcc, s8, v25
	v_mov_b32_e32 v6, 0
	v_mov_b32_e32 v7, 0
	;; [unrolled: 1-line block ×4, first 2 shown]
	s_and_saveexec_b64 s[26:27], vcc
	s_cbranch_execz .LBB27_71
; %bb.68:                               ;   in Loop: Header=BB27_16 Depth=1
	s_mov_b32 s9, 0
	s_mov_b64 s[68:69], 0
	s_waitcnt vmcnt(0)
	v_mov_b32_e32 v21, v39
	s_mov_b32 s38, 0
	s_mov_b32 s39, 0
	;; [unrolled: 1-line block ×3, first 2 shown]
	v_mov_b32_e32 v22, v25
.LBB27_69:                              ;   Parent Loop BB27_16 Depth=1
                                        ; =>  This Inner Loop Header: Depth=2
	ds_read_b128 v[42:45], v21
	ds_read_b128 v[6:9], v21 offset:16
	v_add_u32_e32 v22, s49, v22
	v_add_u32_e32 v21, s25, v21
	s_waitcnt lgkmcnt(1)
	v_xor_b32_e32 v43, 0x80000000, v43
	v_xor_b32_e32 v45, 0x80000000, v45
	v_and_b32_e32 v3, v43, v20
	v_and_b32_e32 v2, v42, v19
	s_waitcnt lgkmcnt(0)
	v_xor_b32_e32 v7, 0x80000000, v7
	v_cmp_eq_u64_e32 vcc, v[2:3], v[17:18]
	v_and_b32_e32 v3, v45, v20
	v_and_b32_e32 v2, v44, v19
	v_xor_b32_e32 v9, 0x80000000, v9
	v_cmp_eq_u64_e64 s[18:19], v[2:3], v[17:18]
	v_and_b32_e32 v3, v7, v20
	v_and_b32_e32 v2, v6, v19
	v_cmp_eq_u64_e64 s[20:21], v[2:3], v[17:18]
	v_and_b32_e32 v3, v9, v20
	v_and_b32_e32 v2, v8, v19
	v_cmp_eq_u64_e64 s[22:23], v[2:3], v[17:18]
	v_lshrrev_b64 v[2:3], s1, v[42:43]
	v_lshrrev_b64 v[6:7], s1, v[6:7]
	v_and_b32_e32 v11, 3, v2
	v_lshrrev_b64 v[2:3], s1, v[44:45]
	v_cmp_eq_u64_e64 s[6:7], 0, v[11:12]
	v_and_b32_e32 v2, 3, v2
	v_mov_b32_e32 v3, v12
	s_and_b64 s[70:71], vcc, s[6:7]
	v_cmp_eq_u64_e64 s[6:7], 0, v[2:3]
	v_and_b32_e32 v6, 3, v6
	v_mov_b32_e32 v7, v12
	v_lshrrev_b64 v[8:9], s1, v[8:9]
	s_and_b64 s[72:73], s[18:19], s[6:7]
	v_cmp_eq_u64_e64 s[6:7], 0, v[6:7]
	v_and_b32_e32 v8, 3, v8
	v_mov_b32_e32 v9, v12
	s_and_b64 s[74:75], s[20:21], s[6:7]
	v_cmp_eq_u64_e64 s[6:7], 0, v[8:9]
	v_cndmask_b32_e64 v23, 0, 1, s[70:71]
	s_and_b64 s[76:77], s[22:23], s[6:7]
	v_cmp_ne_u32_e64 s[6:7], 0, v23
	v_cndmask_b32_e64 v23, 0, 1, s[72:73]
	s_bcnt1_i32_b64 s41, s[6:7]
	v_cmp_ne_u32_e64 s[6:7], 0, v23
	v_cndmask_b32_e64 v23, 0, 1, s[74:75]
	s_bcnt1_i32_b64 s70, s[6:7]
	;; [unrolled: 3-line block ×3, first 2 shown]
	v_cmp_ne_u32_e64 s[6:7], 0, v23
	s_bcnt1_i32_b64 s6, s[6:7]
	s_add_i32 s7, s40, s41
	s_add_i32 s7, s7, s70
	;; [unrolled: 1-line block ×4, first 2 shown]
	v_cmp_eq_u64_e64 s[6:7], 1, v[11:12]
	s_and_b64 s[70:71], vcc, s[6:7]
	v_cmp_eq_u64_e64 s[6:7], 1, v[2:3]
	v_cndmask_b32_e64 v23, 0, 1, s[70:71]
	s_and_b64 s[72:73], s[18:19], s[6:7]
	v_cmp_eq_u64_e64 s[6:7], 1, v[6:7]
	s_and_b64 s[74:75], s[20:21], s[6:7]
	v_cmp_eq_u64_e64 s[6:7], 1, v[8:9]
	s_and_b64 s[76:77], s[22:23], s[6:7]
	v_cmp_ne_u32_e64 s[6:7], 0, v23
	v_cndmask_b32_e64 v23, 0, 1, s[72:73]
	s_bcnt1_i32_b64 s41, s[6:7]
	v_cmp_ne_u32_e64 s[6:7], 0, v23
	v_cndmask_b32_e64 v23, 0, 1, s[74:75]
	s_bcnt1_i32_b64 s70, s[6:7]
	;; [unrolled: 3-line block ×3, first 2 shown]
	v_cmp_ne_u32_e64 s[6:7], 0, v23
	s_bcnt1_i32_b64 s6, s[6:7]
	s_add_i32 s7, s39, s41
	s_add_i32 s7, s7, s70
	s_add_i32 s7, s7, s71
	s_add_i32 s39, s7, s6
	v_cmp_eq_u64_e64 s[6:7], 2, v[11:12]
	s_and_b64 s[70:71], vcc, s[6:7]
	v_cmp_eq_u64_e64 s[6:7], 2, v[2:3]
	v_cndmask_b32_e64 v23, 0, 1, s[70:71]
	s_and_b64 s[72:73], s[18:19], s[6:7]
	v_cmp_eq_u64_e64 s[6:7], 2, v[6:7]
	s_and_b64 s[74:75], s[20:21], s[6:7]
	v_cmp_eq_u64_e64 s[6:7], 2, v[8:9]
	s_and_b64 s[76:77], s[22:23], s[6:7]
	v_cmp_ne_u32_e64 s[6:7], 0, v23
	v_cndmask_b32_e64 v23, 0, 1, s[72:73]
	s_bcnt1_i32_b64 s41, s[6:7]
	v_cmp_ne_u32_e64 s[6:7], 0, v23
	v_cndmask_b32_e64 v23, 0, 1, s[74:75]
	s_bcnt1_i32_b64 s70, s[6:7]
	;; [unrolled: 3-line block ×3, first 2 shown]
	v_cmp_ne_u32_e64 s[6:7], 0, v23
	s_bcnt1_i32_b64 s6, s[6:7]
	s_add_i32 s7, s38, s41
	s_add_i32 s7, s7, s70
	;; [unrolled: 1-line block ×4, first 2 shown]
	v_cmp_eq_u64_e64 s[6:7], 3, v[11:12]
	s_and_b64 s[6:7], vcc, s[6:7]
	v_cmp_eq_u64_e32 vcc, 3, v[2:3]
	v_cndmask_b32_e64 v2, 0, 1, s[6:7]
	s_and_b64 s[18:19], s[18:19], vcc
	v_cmp_eq_u64_e32 vcc, 3, v[6:7]
	v_mov_b32_e32 v6, s40
	s_and_b64 s[20:21], s[20:21], vcc
	v_cmp_eq_u64_e32 vcc, 3, v[8:9]
	v_mov_b32_e32 v7, s39
	s_and_b64 s[22:23], s[22:23], vcc
	v_cmp_ne_u32_e32 vcc, 0, v2
	v_cndmask_b32_e64 v2, 0, 1, s[18:19]
	s_bcnt1_i32_b64 s6, vcc
	v_cmp_ne_u32_e32 vcc, 0, v2
	v_cndmask_b32_e64 v2, 0, 1, s[20:21]
	s_bcnt1_i32_b64 s7, vcc
	v_cmp_ne_u32_e32 vcc, 0, v2
	v_cndmask_b32_e64 v2, 0, 1, s[22:23]
	s_add_i32 s6, s9, s6
	s_bcnt1_i32_b64 s18, vcc
	v_cmp_ne_u32_e32 vcc, 0, v2
	s_add_i32 s6, s6, s7
	s_bcnt1_i32_b64 s19, vcc
	s_add_i32 s6, s6, s18
	s_add_i32 s9, s6, s19
	v_cmp_le_i32_e32 vcc, s8, v22
	s_or_b64 s[68:69], vcc, s[68:69]
	v_mov_b32_e32 v8, s38
	v_mov_b32_e32 v9, s9
	s_andn2_b64 exec, exec, s[68:69]
	s_cbranch_execnz .LBB27_69
; %bb.70:                               ;   in Loop: Header=BB27_16 Depth=1
	s_or_b64 exec, exec, s[68:69]
.LBB27_71:                              ;   in Loop: Header=BB27_16 Depth=1
	s_or_b64 exec, exec, s[26:27]
	v_add_u32_e32 v2, s8, v0
	v_cmp_gt_i32_e32 vcc, s29, v2
	s_and_saveexec_b64 s[68:69], vcc
	s_cbranch_execz .LBB27_75
; %bb.72:                               ;   in Loop: Header=BB27_16 Depth=1
	v_lshlrev_b32_e32 v3, 3, v2
	s_mov_b64 s[70:71], 0
.LBB27_73:                              ;   Parent Loop BB27_16 Depth=1
                                        ; =>  This Inner Loop Header: Depth=2
	s_waitcnt vmcnt(0)
	ds_read_b64 v[21:22], v3
	v_add_u32_e32 v2, s36, v2
	v_cmp_le_i32_e32 vcc, s29, v2
	v_add_u32_e32 v3, s0, v3
	s_waitcnt lgkmcnt(0)
	v_xor_b32_e32 v22, 0x80000000, v22
	v_and_b32_e32 v23, v21, v19
	v_and_b32_e32 v24, v22, v20
	v_lshrrev_b64 v[21:22], s1, v[21:22]
	v_cmp_eq_u64_e64 s[6:7], v[23:24], v[17:18]
	v_and_b32_e32 v11, 3, v21
	v_cmp_eq_u64_e64 s[18:19], 0, v[11:12]
	v_cmp_eq_u64_e64 s[20:21], 1, v[11:12]
	;; [unrolled: 1-line block ×4, first 2 shown]
	s_and_b64 s[8:9], s[6:7], s[18:19]
	v_cndmask_b32_e64 v11, 0, 1, s[8:9]
	s_and_b64 s[8:9], s[6:7], s[20:21]
	v_cndmask_b32_e64 v21, 0, 1, s[8:9]
	s_and_b64 s[8:9], s[6:7], s[22:23]
	s_and_b64 s[6:7], s[6:7], s[26:27]
	v_cndmask_b32_e64 v22, 0, 1, s[8:9]
	v_cndmask_b32_e64 v23, 0, 1, s[6:7]
	v_cmp_ne_u32_e64 s[6:7], 0, v11
	v_cmp_ne_u32_e64 s[18:19], 0, v21
	;; [unrolled: 1-line block ×4, first 2 shown]
	s_bcnt1_i32_b64 s6, s[6:7]
	s_bcnt1_i32_b64 s7, s[18:19]
	;; [unrolled: 1-line block ×4, first 2 shown]
	v_add_u32_e32 v6, s6, v6
	v_add_u32_e32 v7, s7, v7
	v_add_u32_e32 v8, s8, v8
	s_or_b64 s[70:71], vcc, s[70:71]
	v_add_u32_e32 v9, s9, v9
	s_andn2_b64 exec, exec, s[70:71]
	s_cbranch_execnz .LBB27_73
; %bb.74:                               ;   in Loop: Header=BB27_16 Depth=1
	s_or_b64 exec, exec, s[70:71]
.LBB27_75:                              ;   in Loop: Header=BB27_16 Depth=1
	s_or_b64 exec, exec, s[68:69]
	s_lshl_b32 s8, s52, 6
	s_and_saveexec_b64 s[6:7], s[2:3]
	s_cbranch_execnz .LBB27_47
	s_branch .LBB27_48
.LBB27_76:                              ;   in Loop: Header=BB27_16 Depth=1
	s_or_b64 exec, exec, s[20:21]
	s_waitcnt lgkmcnt(0)
	s_barrier
	s_mov_b64 s[6:7], exec
	v_readlane_b32 s8, v46, 5
	v_readlane_b32 s9, v46, 6
	s_and_b64 s[8:9], s[6:7], s[8:9]
	s_mov_b64 exec, s[8:9]
	s_cbranch_execz .LBB27_78
; %bb.77:                               ;   in Loop: Header=BB27_16 Depth=1
	ds_read_b32 v2, v12 offset:4104
	s_waitcnt lgkmcnt(0)
	ds_write_b32 v12, v2 offset:4096
.LBB27_78:                              ;   in Loop: Header=BB27_16 Depth=1
	s_or_b64 exec, exec, s[6:7]
	s_waitcnt lgkmcnt(0)
	s_barrier
	s_mov_b64 s[6:7], -1
	s_and_b64 vcc, exec, s[18:19]
	s_cbranch_vccnz .LBB27_32
	s_branch .LBB27_42
.LBB27_79:                              ;   in Loop: Header=BB27_16 Depth=1
	v_mov_b32_e32 v2, 0
	s_mov_b32 s9, 0
.LBB27_80:                              ;   in Loop: Header=BB27_16 Depth=1
	v_readlane_b32 s18, v46, 17
	v_readlane_b32 s19, v46, 18
	s_andn2_b64 vcc, exec, s[18:19]
	s_cbranch_vccnz .LBB27_83
; %bb.81:                               ;   in Loop: Header=BB27_16 Depth=1
	s_lshl_b32 s18, s52, 8
	s_lshl_b32 s9, s9, 4
	s_add_i32 s18, s18, s9
	v_add_u32_e32 v3, s18, v40
	v_readlane_b32 s9, v46, 16
.LBB27_82:                              ;   Parent Loop BB27_16 Depth=1
                                        ; =>  This Inner Loop Header: Depth=2
	ds_read_b32 v6, v3
	s_add_i32 s9, s9, -1
	v_add_u32_e32 v3, 16, v3
	s_cmp_lg_u32 s9, 0
	s_waitcnt lgkmcnt(0)
	v_add_u32_e32 v2, v6, v2
	s_cbranch_scc1 .LBB27_82
.LBB27_83:                              ;   in Loop: Header=BB27_16 Depth=1
	v_add_lshl_u32 v3, s8, v26, 2
	ds_write_b32 v3, v2 offset:3072
.LBB27_84:                              ;   in Loop: Header=BB27_16 Depth=1
	s_or_b64 exec, exec, s[6:7]
	s_lshl_b32 s6, s8, 2
	v_mov_b32_e32 v2, s6
	s_waitcnt lgkmcnt(0)
	s_barrier
	ds_read_b128 v[6:9], v2 offset:3072
	s_lshl_b64 s[6:7], 3, s1
	s_not_b64 s[70:71], s[6:7]
	v_cmp_eq_u32_e32 vcc, 1, v41
	s_mov_b64 s[20:21], -1
	s_waitcnt lgkmcnt(0)
	v_readfirstlane_b32 s80, v6
	s_cmp_eq_u32 s80, 1
	s_cselect_b64 s[8:9], -1, 0
	v_readfirstlane_b32 s84, v7
	v_readfirstlane_b32 s92, v8
	;; [unrolled: 1-line block ×3, first 2 shown]
	s_and_b64 s[22:23], s[8:9], vcc
	s_mov_b64 s[38:39], -1
                                        ; implicit-def: $sgpr68_sgpr69
                                        ; implicit-def: $sgpr26_sgpr27
	s_and_saveexec_b64 s[18:19], s[22:23]
	s_cbranch_execz .LBB27_110
; %bb.85:                               ;   in Loop: Header=BB27_16 Depth=1
	ds_read_b32 v2, v12 offset:4096
	s_waitcnt lgkmcnt(0)
	s_barrier
	v_readfirstlane_b32 s81, v2
	s_and_saveexec_b64 s[8:9], s[4:5]
; %bb.86:                               ;   in Loop: Header=BB27_16 Depth=1
	v_mov_b32_e32 v11, v12
	ds_write_b64 v28, v[11:12]
; %bb.87:                               ;   in Loop: Header=BB27_16 Depth=1
	s_or_b64 exec, exec, s[8:9]
	v_and_b32_e32 v18, s71, v18
	v_and_b32_e32 v17, s70, v17
	v_or_b32_e32 v20, s7, v20
	v_or_b32_e32 v19, s6, v19
	s_mov_b64 s[26:27], -1
	s_mov_b64 s[68:69], 0
	s_cmp_lt_i32 s81, 1
	s_mov_b64 s[72:73], 0
	s_mov_b64 s[74:75], -1
	s_waitcnt lgkmcnt(0)
	s_barrier
                                        ; implicit-def: $vgpr4_vgpr5
	s_cbranch_scc0 .LBB27_98
; %bb.88:                               ;   in Loop: Header=BB27_16 Depth=1
	s_mov_b64 s[74:75], 0
                                        ; implicit-def: $vgpr4_vgpr5
	s_mov_b64 s[76:77], exec
	v_readlane_b32 s8, v46, 19
	v_readlane_b32 s9, v46, 20
	s_and_b64 s[8:9], s[76:77], s[8:9]
	s_mov_b64 exec, s[8:9]
	s_cbranch_execz .LBB27_97
; %bb.89:                               ;   in Loop: Header=BB27_16 Depth=1
	v_mov_b32_e32 v6, v10
	v_mov_b32_e32 v8, v0
                                        ; implicit-def: $sgpr38_sgpr39
	s_branch .LBB27_92
.LBB27_90:                              ;   in Loop: Header=BB27_92 Depth=2
	s_or_b64 exec, exec, s[40:41]
	s_waitcnt lgkmcnt(0)
	s_barrier
	ds_read_b128 v[2:5], v12 offset:3072
	s_mov_b64 s[40:41], -1
	s_mov_b64 s[78:79], -1
	s_waitcnt lgkmcnt(0)
	s_barrier
	v_cmp_ne_u64_e32 vcc, 0, v[2:3]
	s_cbranch_vccz .LBB27_95
.LBB27_91:                              ;   in Loop: Header=BB27_92 Depth=2
	s_and_b64 s[8:9], exec, s[40:41]
	s_or_b64 s[72:73], s[8:9], s[72:73]
	s_andn2_b64 s[8:9], s[38:39], exec
	s_and_b64 s[38:39], s[78:79], exec
	s_or_b64 s[38:39], s[8:9], s[38:39]
	s_andn2_b64 exec, exec, s[72:73]
	s_cbranch_execz .LBB27_96
.LBB27_92:                              ;   Parent Loop BB27_16 Depth=1
                                        ; =>  This Inner Loop Header: Depth=2
	v_cmp_gt_i32_e32 vcc, s28, v8
	s_and_saveexec_b64 s[40:41], vcc
	s_cbranch_execz .LBB27_90
; %bb.93:                               ;   in Loop: Header=BB27_92 Depth=2
	v_ashrrev_i32_e32 v7, 31, v6
	v_lshlrev_b64 v[2:3], 3, v[6:7]
	v_mov_b32_e32 v4, s48
	v_add_co_u32_e32 v2, vcc, s34, v2
	v_addc_co_u32_e32 v3, vcc, v4, v3, vcc
	global_load_dwordx2 v[3:4], v[2:3], off
	s_waitcnt vmcnt(0)
	v_xor_b32_e32 v2, 0x80000000, v4
	v_and_b32_e32 v22, v2, v20
	v_and_b32_e32 v21, v3, v19
	v_cmp_eq_u64_e32 vcc, v[21:22], v[17:18]
	s_and_b64 exec, exec, vcc
	s_cbranch_execz .LBB27_90
; %bb.94:                               ;   in Loop: Header=BB27_92 Depth=2
	v_mov_b32_e32 v2, v12
	ds_write_b128 v12, v[1:4] offset:3072
	s_branch .LBB27_90
.LBB27_95:                              ;   in Loop: Header=BB27_92 Depth=2
	v_add_u32_e32 v8, s36, v8
	v_cmp_le_i32_e32 vcc, s51, v8
	v_add_u32_e32 v6, s50, v6
	s_mov_b64 s[78:79], 0
	s_orn2_b64 s[40:41], vcc, exec
	s_branch .LBB27_91
.LBB27_96:                              ;   in Loop: Header=BB27_16 Depth=1
	s_or_b64 exec, exec, s[72:73]
	s_and_b64 s[72:73], s[38:39], exec
.LBB27_97:                              ;   in Loop: Header=BB27_16 Depth=1
	s_or_b64 exec, exec, s[76:77]
.LBB27_98:                              ;   in Loop: Header=BB27_16 Depth=1
	s_and_b64 vcc, exec, s[74:75]
	s_cbranch_vccz .LBB27_109
; %bb.99:                               ;   in Loop: Header=BB27_16 Depth=1
	s_add_i32 s8, s81, s95
	s_abs_i32 s26, s8
	s_mul_hi_u32 s27, s26, s94
	s_mul_i32 s27, s27, s36
	s_sub_i32 s26, s26, s27
	s_ashr_i32 s9, s8, 31
	s_sub_i32 s27, s26, s36
	s_cmp_ge_u32 s26, s36
	s_cselect_b32 s26, s27, s26
	s_sub_i32 s27, s26, s36
	s_cmp_ge_u32 s26, s36
	s_cselect_b32 s26, s27, s26
	s_xor_b32 s26, s26, s9
	s_sub_i32 s9, s9, s26
	s_add_i32 s8, s8, s9
	v_cmp_gt_i32_e32 vcc, s8, v0
                                        ; implicit-def: $vgpr4_vgpr5
	s_and_saveexec_b64 s[26:27], vcc
	s_cbranch_execz .LBB27_108
; %bb.100:                              ;   in Loop: Header=BB27_16 Depth=1
	s_mov_b64 s[68:69], 0
	v_mov_b32_e32 v6, v27
	v_mov_b32_e32 v7, v0
                                        ; implicit-def: $sgpr38_sgpr39
	s_branch .LBB27_103
.LBB27_101:                             ;   in Loop: Header=BB27_103 Depth=2
	s_or_b64 exec, exec, s[40:41]
	s_waitcnt lgkmcnt(0)
	s_barrier
	ds_read_b128 v[2:5], v12 offset:3072
	s_mov_b64 s[40:41], -1
	s_mov_b64 s[74:75], -1
	s_waitcnt lgkmcnt(0)
	s_barrier
	v_cmp_ne_u64_e32 vcc, 0, v[2:3]
	s_cbranch_vccz .LBB27_106
.LBB27_102:                             ;   in Loop: Header=BB27_103 Depth=2
	s_and_b64 s[40:41], exec, s[40:41]
	s_or_b64 s[68:69], s[40:41], s[68:69]
	s_andn2_b64 s[38:39], s[38:39], exec
	s_and_b64 s[40:41], s[74:75], exec
	s_or_b64 s[38:39], s[38:39], s[40:41]
	s_andn2_b64 exec, exec, s[68:69]
	s_cbranch_execz .LBB27_107
.LBB27_103:                             ;   Parent Loop BB27_16 Depth=1
                                        ; =>  This Inner Loop Header: Depth=2
	v_cmp_gt_i32_e32 vcc, s81, v7
	s_and_saveexec_b64 s[40:41], vcc
	s_cbranch_execz .LBB27_101
; %bb.104:                              ;   in Loop: Header=BB27_103 Depth=2
	ds_read_b64 v[3:4], v6
	s_waitcnt lgkmcnt(0)
	v_xor_b32_e32 v2, 0x80000000, v4
	v_and_b32_e32 v9, v2, v20
	v_and_b32_e32 v8, v3, v19
	v_cmp_eq_u64_e32 vcc, v[8:9], v[17:18]
	s_and_b64 exec, exec, vcc
	s_cbranch_execz .LBB27_101
; %bb.105:                              ;   in Loop: Header=BB27_103 Depth=2
	v_mov_b32_e32 v2, v12
	ds_write_b128 v12, v[1:4] offset:3072
	s_branch .LBB27_101
.LBB27_106:                             ;   in Loop: Header=BB27_103 Depth=2
	v_add_u32_e32 v7, s36, v7
	v_cmp_le_i32_e32 vcc, s8, v7
	v_add_u32_e32 v6, s0, v6
	s_mov_b64 s[74:75], 0
	s_orn2_b64 s[40:41], vcc, exec
	s_branch .LBB27_102
.LBB27_107:                             ;   in Loop: Header=BB27_16 Depth=1
	s_or_b64 exec, exec, s[68:69]
	s_andn2_b64 s[8:9], s[72:73], exec
	s_and_b64 s[38:39], s[38:39], exec
	s_or_b64 s[72:73], s[8:9], s[38:39]
.LBB27_108:                             ;   in Loop: Header=BB27_16 Depth=1
	s_or_b64 exec, exec, s[26:27]
	s_mov_b64 s[26:27], 0
	s_mov_b64 s[68:69], -1
.LBB27_109:                             ;   in Loop: Header=BB27_16 Depth=1
	s_orn2_b64 s[38:39], s[72:73], exec
.LBB27_110:                             ;   in Loop: Header=BB27_16 Depth=1
	s_or_b64 exec, exec, s[18:19]
	s_andn2_b64 s[18:19], s[66:67], exec
	s_and_b64 s[40:41], s[68:69], exec
	s_or_b64 s[66:67], s[18:19], s[40:41]
	s_andn2_b64 s[18:19], s[64:65], exec
	s_and_b64 s[26:27], s[26:27], exec
	v_readfirstlane_b32 s8, v0
	v_readfirstlane_b32 s9, v0
	s_andn2_b64 s[62:63], s[62:63], exec
	s_or_b64 s[64:65], s[18:19], s[26:27]
                                        ; implicit-def: $vgpr9
	s_and_saveexec_b64 s[18:19], s[38:39]
	s_cbranch_execz .LBB27_15
; %bb.111:                              ;   in Loop: Header=BB27_16 Depth=1
	s_xor_b64 s[8:9], s[22:23], -1
	s_mov_b64 s[22:23], 0
	v_mov_b32_e32 v9, 1
	v_mov_b32_e32 v8, 1
	s_and_saveexec_b64 s[20:21], s[8:9]
	s_cbranch_execz .LBB27_120
; %bb.112:                              ;   in Loop: Header=BB27_16 Depth=1
	v_cmp_ge_i32_e32 vcc, s80, v41
	s_and_saveexec_b64 s[8:9], vcc
	s_xor_b64 s[22:23], exec, s[8:9]
	s_cbranch_execz .LBB27_117
; %bb.113:                              ;   in Loop: Header=BB27_16 Depth=1
	ds_read_b32 v2, v12 offset:4096
	v_and_b32_e32 v18, s71, v18
	v_and_b32_e32 v17, s70, v17
	v_or_b32_e32 v20, s7, v20
	v_or_b32_e32 v19, s6, v19
	s_waitcnt lgkmcnt(0)
	v_cmp_ne_u32_e32 vcc, 0, v2
	s_cbranch_vccnz .LBB27_117
; %bb.114:                              ;   in Loop: Header=BB27_16 Depth=1
	s_mov_b64 s[8:9], exec
	v_readlane_b32 s26, v46, 5
	v_readlane_b32 s27, v46, 6
	s_and_b64 s[26:27], s[8:9], s[26:27]
	s_mov_b64 exec, s[26:27]
; %bb.115:                              ;   in Loop: Header=BB27_16 Depth=1
	v_mov_b32_e32 v2, s80
	ds_write_b32 v12, v2 offset:4100
; %bb.116:                              ;   in Loop: Header=BB27_16 Depth=1
	s_or_b64 exec, exec, s[8:9]
	s_waitcnt lgkmcnt(0)
	s_barrier
.LBB27_117:                             ;   in Loop: Header=BB27_16 Depth=1
	s_or_saveexec_b64 s[22:23], s[22:23]
	s_mov_b64 s[26:27], 0
	v_mov_b32_e32 v8, 8
	s_xor_b64 exec, exec, s[22:23]
; %bb.118:                              ;   in Loop: Header=BB27_16 Depth=1
	s_mov_b64 s[26:27], exec
	v_subrev_u32_e32 v41, s80, v41
	v_mov_b32_e32 v8, 0
; %bb.119:                              ;   in Loop: Header=BB27_16 Depth=1
	s_or_b64 exec, exec, s[22:23]
	s_and_b64 s[22:23], s[26:27], exec
	v_mov_b32_e32 v9, v41
.LBB27_120:                             ;   in Loop: Header=BB27_16 Depth=1
	s_or_b64 exec, exec, s[20:21]
	s_mov_b64 s[20:21], -1
	s_mov_b64 s[38:39], -1
                                        ; implicit-def: $sgpr26_sgpr27
                                        ; implicit-def: $sgpr68_sgpr69
	s_and_saveexec_b64 s[8:9], s[22:23]
	s_xor_b64 s[22:23], exec, s[8:9]
	s_cbranch_execz .LBB27_237
; %bb.121:                              ;   in Loop: Header=BB27_16 Depth=1
	s_cmp_eq_u32 s84, 1
	s_cselect_b64 s[8:9], -1, 0
	v_cmp_eq_u32_e32 vcc, 1, v9
	s_and_b64 s[74:75], s[8:9], vcc
                                        ; implicit-def: $sgpr68_sgpr69
                                        ; implicit-def: $sgpr26_sgpr27
	s_and_saveexec_b64 s[72:73], s[74:75]
	s_cbranch_execz .LBB27_147
; %bb.122:                              ;   in Loop: Header=BB27_16 Depth=1
	ds_read_b32 v2, v12 offset:4096
	s_waitcnt lgkmcnt(0)
	s_barrier
	v_readfirstlane_b32 s85, v2
	s_and_saveexec_b64 s[8:9], s[4:5]
; %bb.123:                              ;   in Loop: Header=BB27_16 Depth=1
	v_mov_b32_e32 v11, v12
	ds_write_b64 v28, v[11:12]
; %bb.124:                              ;   in Loop: Header=BB27_16 Depth=1
	s_or_b64 exec, exec, s[8:9]
	s_lshl_b64 s[8:9], 1, s1
	v_and_b32_e32 v2, s71, v18
	v_and_b32_e32 v3, s70, v17
	v_or_b32_e32 v18, s9, v2
	v_or_b32_e32 v17, s8, v3
	;; [unrolled: 1-line block ×4, first 2 shown]
	s_mov_b64 s[26:27], -1
	s_mov_b64 s[68:69], 0
	s_cmp_gt_i32 s85, 0
	s_mov_b64 s[76:77], 0
	s_mov_b64 s[78:79], -1
	s_waitcnt lgkmcnt(0)
	s_barrier
                                        ; implicit-def: $vgpr4_vgpr5
	s_cbranch_scc1 .LBB27_135
; %bb.125:                              ;   in Loop: Header=BB27_16 Depth=1
	s_mov_b64 s[78:79], 0
                                        ; implicit-def: $vgpr4_vgpr5
	s_mov_b64 s[80:81], exec
	v_readlane_b32 s8, v46, 19
	v_readlane_b32 s9, v46, 20
	s_and_b64 s[8:9], s[80:81], s[8:9]
	s_mov_b64 exec, s[8:9]
	s_cbranch_execz .LBB27_134
; %bb.126:                              ;   in Loop: Header=BB27_16 Depth=1
	v_mov_b32_e32 v6, v10
	v_mov_b32_e32 v11, v0
                                        ; implicit-def: $sgpr82_sgpr83
	s_branch .LBB27_129
.LBB27_127:                             ;   in Loop: Header=BB27_129 Depth=2
	s_or_b64 exec, exec, s[38:39]
	s_waitcnt lgkmcnt(0)
	s_barrier
	ds_read_b128 v[2:5], v12 offset:3072
	s_mov_b64 s[38:39], -1
	s_mov_b64 s[40:41], -1
	s_waitcnt lgkmcnt(0)
	s_barrier
	v_cmp_ne_u64_e32 vcc, 0, v[2:3]
	s_cbranch_vccz .LBB27_132
.LBB27_128:                             ;   in Loop: Header=BB27_129 Depth=2
	s_and_b64 s[8:9], exec, s[38:39]
	s_or_b64 s[76:77], s[8:9], s[76:77]
	s_andn2_b64 s[8:9], s[82:83], exec
	s_and_b64 s[38:39], s[40:41], exec
	s_or_b64 s[82:83], s[8:9], s[38:39]
	s_andn2_b64 exec, exec, s[76:77]
	s_cbranch_execz .LBB27_133
.LBB27_129:                             ;   Parent Loop BB27_16 Depth=1
                                        ; =>  This Inner Loop Header: Depth=2
	v_cmp_gt_i32_e32 vcc, s28, v11
	s_and_saveexec_b64 s[38:39], vcc
	s_cbranch_execz .LBB27_127
; %bb.130:                              ;   in Loop: Header=BB27_129 Depth=2
	v_ashrrev_i32_e32 v7, 31, v6
	v_lshlrev_b64 v[2:3], 3, v[6:7]
	v_mov_b32_e32 v4, s48
	v_add_co_u32_e32 v2, vcc, s34, v2
	v_addc_co_u32_e32 v3, vcc, v4, v3, vcc
	global_load_dwordx2 v[3:4], v[2:3], off
	s_waitcnt vmcnt(0)
	v_xor_b32_e32 v2, 0x80000000, v4
	v_and_b32_e32 v22, v2, v20
	v_and_b32_e32 v21, v3, v19
	v_cmp_eq_u64_e32 vcc, v[21:22], v[17:18]
	s_and_b64 exec, exec, vcc
	s_cbranch_execz .LBB27_127
; %bb.131:                              ;   in Loop: Header=BB27_129 Depth=2
	v_mov_b32_e32 v2, v12
	ds_write_b128 v12, v[1:4] offset:3072
	s_branch .LBB27_127
.LBB27_132:                             ;   in Loop: Header=BB27_129 Depth=2
	v_add_u32_e32 v11, s36, v11
	v_cmp_le_i32_e32 vcc, s51, v11
	v_add_u32_e32 v6, s50, v6
	s_mov_b64 s[40:41], 0
	s_orn2_b64 s[38:39], vcc, exec
	s_branch .LBB27_128
.LBB27_133:                             ;   in Loop: Header=BB27_16 Depth=1
	s_or_b64 exec, exec, s[76:77]
	s_and_b64 s[76:77], s[82:83], exec
.LBB27_134:                             ;   in Loop: Header=BB27_16 Depth=1
	s_or_b64 exec, exec, s[80:81]
.LBB27_135:                             ;   in Loop: Header=BB27_16 Depth=1
	s_and_b64 vcc, exec, s[78:79]
	s_cbranch_vccz .LBB27_146
; %bb.136:                              ;   in Loop: Header=BB27_16 Depth=1
	s_add_i32 s8, s85, s95
	s_abs_i32 s26, s8
	s_mul_hi_u32 s27, s26, s94
	s_mul_i32 s27, s27, s36
	s_sub_i32 s26, s26, s27
	s_ashr_i32 s9, s8, 31
	s_sub_i32 s27, s26, s36
	s_cmp_ge_u32 s26, s36
	s_cselect_b32 s26, s27, s26
	s_sub_i32 s27, s26, s36
	s_cmp_ge_u32 s26, s36
	s_cselect_b32 s26, s27, s26
	s_xor_b32 s26, s26, s9
	s_sub_i32 s9, s9, s26
	s_add_i32 s8, s8, s9
	v_cmp_gt_i32_e32 vcc, s8, v0
                                        ; implicit-def: $vgpr4_vgpr5
	s_and_saveexec_b64 s[26:27], vcc
	s_cbranch_execz .LBB27_145
; %bb.137:                              ;   in Loop: Header=BB27_16 Depth=1
	s_mov_b64 s[38:39], 0
	v_mov_b32_e32 v6, v27
	v_mov_b32_e32 v7, v0
                                        ; implicit-def: $sgpr68_sgpr69
	s_branch .LBB27_140
.LBB27_138:                             ;   in Loop: Header=BB27_140 Depth=2
	s_or_b64 exec, exec, s[40:41]
	s_waitcnt lgkmcnt(0)
	s_barrier
	ds_read_b128 v[2:5], v12 offset:3072
	s_mov_b64 s[40:41], -1
	s_mov_b64 s[78:79], -1
	s_waitcnt lgkmcnt(0)
	s_barrier
	v_cmp_eq_u64_e32 vcc, 0, v[2:3]
	s_cbranch_vccnz .LBB27_143
.LBB27_139:                             ;   in Loop: Header=BB27_140 Depth=2
	s_and_b64 s[40:41], exec, s[40:41]
	s_or_b64 s[38:39], s[40:41], s[38:39]
	s_andn2_b64 s[40:41], s[68:69], exec
	s_and_b64 s[68:69], s[78:79], exec
	s_or_b64 s[68:69], s[40:41], s[68:69]
	s_andn2_b64 exec, exec, s[38:39]
	s_cbranch_execz .LBB27_144
.LBB27_140:                             ;   Parent Loop BB27_16 Depth=1
                                        ; =>  This Inner Loop Header: Depth=2
	v_cmp_gt_i32_e32 vcc, s85, v7
	s_and_saveexec_b64 s[40:41], vcc
	s_cbranch_execz .LBB27_138
; %bb.141:                              ;   in Loop: Header=BB27_140 Depth=2
	ds_read_b64 v[3:4], v6
	s_waitcnt lgkmcnt(0)
	v_xor_b32_e32 v2, 0x80000000, v4
	v_and_b32_e32 v22, v2, v20
	v_and_b32_e32 v21, v3, v19
	v_cmp_eq_u64_e32 vcc, v[21:22], v[17:18]
	s_and_b64 exec, exec, vcc
	s_cbranch_execz .LBB27_138
; %bb.142:                              ;   in Loop: Header=BB27_140 Depth=2
	v_mov_b32_e32 v2, v12
	ds_write_b128 v12, v[1:4] offset:3072
	s_branch .LBB27_138
.LBB27_143:                             ;   in Loop: Header=BB27_140 Depth=2
	v_add_u32_e32 v7, s36, v7
	v_cmp_le_i32_e32 vcc, s8, v7
	v_add_u32_e32 v6, s0, v6
	s_mov_b64 s[78:79], 0
	s_orn2_b64 s[40:41], vcc, exec
	s_branch .LBB27_139
.LBB27_144:                             ;   in Loop: Header=BB27_16 Depth=1
	s_or_b64 exec, exec, s[38:39]
	s_andn2_b64 s[8:9], s[76:77], exec
	s_and_b64 s[38:39], s[68:69], exec
	s_or_b64 s[76:77], s[8:9], s[38:39]
.LBB27_145:                             ;   in Loop: Header=BB27_16 Depth=1
	s_or_b64 exec, exec, s[26:27]
	s_mov_b64 s[26:27], 0
	s_mov_b64 s[68:69], -1
.LBB27_146:                             ;   in Loop: Header=BB27_16 Depth=1
	s_orn2_b64 s[38:39], s[76:77], exec
.LBB27_147:                             ;   in Loop: Header=BB27_16 Depth=1
	s_or_b64 exec, exec, s[72:73]
	s_mov_b64 s[40:41], 0
	s_and_saveexec_b64 s[72:73], s[38:39]
	s_cbranch_execz .LBB27_236
; %bb.148:                              ;   in Loop: Header=BB27_16 Depth=1
	s_xor_b64 s[8:9], s[74:75], -1
	s_mov_b64 s[80:81], 0
	v_mov_b32_e32 v21, 1
	v_mov_b32_e32 v8, 1
	s_and_saveexec_b64 s[74:75], s[8:9]
	s_cbranch_execz .LBB27_157
; %bb.149:                              ;   in Loop: Header=BB27_16 Depth=1
	v_cmp_ge_i32_e32 vcc, s84, v9
	s_and_saveexec_b64 s[8:9], vcc
	s_xor_b64 s[38:39], exec, s[8:9]
	s_cbranch_execz .LBB27_154
; %bb.150:                              ;   in Loop: Header=BB27_16 Depth=1
	ds_read_b32 v3, v12 offset:4096
	s_lshl_b64 s[8:9], 1, s1
	v_and_b32_e32 v2, s71, v18
	v_and_b32_e32 v6, s70, v17
	v_or_b32_e32 v18, s9, v2
	s_waitcnt lgkmcnt(0)
	v_cmp_ne_u32_e32 vcc, 0, v3
	v_or_b32_e32 v17, s8, v6
	v_or_b32_e32 v20, s7, v20
	;; [unrolled: 1-line block ×3, first 2 shown]
	s_cbranch_vccnz .LBB27_154
; %bb.151:                              ;   in Loop: Header=BB27_16 Depth=1
	s_mov_b64 s[8:9], exec
	v_readlane_b32 s40, v46, 5
	v_readlane_b32 s41, v46, 6
	s_and_b64 s[40:41], s[8:9], s[40:41]
	s_mov_b64 exec, s[40:41]
; %bb.152:                              ;   in Loop: Header=BB27_16 Depth=1
	v_mov_b32_e32 v2, s84
	ds_write_b32 v12, v2 offset:4100
; %bb.153:                              ;   in Loop: Header=BB27_16 Depth=1
	s_or_b64 exec, exec, s[8:9]
	s_waitcnt lgkmcnt(0)
	s_barrier
.LBB27_154:                             ;   in Loop: Header=BB27_16 Depth=1
	s_or_saveexec_b64 s[38:39], s[38:39]
	s_mov_b64 s[40:41], 0
	v_mov_b32_e32 v8, 8
	s_xor_b64 exec, exec, s[38:39]
; %bb.155:                              ;   in Loop: Header=BB27_16 Depth=1
	s_mov_b64 s[40:41], exec
	v_subrev_u32_e32 v9, s84, v9
	v_mov_b32_e32 v8, 0
; %bb.156:                              ;   in Loop: Header=BB27_16 Depth=1
	s_or_b64 exec, exec, s[38:39]
	s_and_b64 s[80:81], s[40:41], exec
	v_mov_b32_e32 v21, v9
.LBB27_157:                             ;   in Loop: Header=BB27_16 Depth=1
	s_or_b64 exec, exec, s[74:75]
	s_mov_b64 s[38:39], -1
                                        ; implicit-def: $sgpr76_sgpr77
                                        ; implicit-def: $sgpr78_sgpr79
	s_and_saveexec_b64 s[74:75], s[80:81]
	s_cbranch_execz .LBB27_235
; %bb.158:                              ;   in Loop: Header=BB27_16 Depth=1
	s_cmp_eq_u32 s92, 1
	s_cselect_b64 s[8:9], -1, 0
	v_cmp_eq_u32_e32 vcc, 1, v21
	s_and_b64 s[82:83], s[8:9], vcc
                                        ; implicit-def: $sgpr78_sgpr79
                                        ; implicit-def: $sgpr76_sgpr77
	s_and_saveexec_b64 s[80:81], s[82:83]
	s_cbranch_execz .LBB27_184
; %bb.159:                              ;   in Loop: Header=BB27_16 Depth=1
	ds_read_b32 v2, v12 offset:4096
	s_waitcnt lgkmcnt(0)
	s_barrier
	v_readfirstlane_b32 s93, v2
	s_and_saveexec_b64 s[8:9], s[4:5]
; %bb.160:                              ;   in Loop: Header=BB27_16 Depth=1
	v_mov_b32_e32 v11, v12
	ds_write_b64 v28, v[11:12]
; %bb.161:                              ;   in Loop: Header=BB27_16 Depth=1
	s_or_b64 exec, exec, s[8:9]
	s_lshl_b64 s[8:9], 2, s1
	v_and_b32_e32 v2, s71, v18
	v_and_b32_e32 v3, s70, v17
	v_or_b32_e32 v18, s9, v2
	v_or_b32_e32 v17, s8, v3
	;; [unrolled: 1-line block ×4, first 2 shown]
	s_mov_b64 s[76:77], -1
	s_mov_b64 s[78:79], 0
	s_cmp_gt_i32 s93, 0
	s_mov_b64 s[84:85], 0
	s_mov_b64 s[86:87], -1
	s_waitcnt lgkmcnt(0)
	s_barrier
                                        ; implicit-def: $vgpr4_vgpr5
	s_cbranch_scc1 .LBB27_172
; %bb.162:                              ;   in Loop: Header=BB27_16 Depth=1
	s_mov_b64 s[86:87], 0
                                        ; implicit-def: $vgpr4_vgpr5
	s_mov_b64 s[88:89], exec
	v_readlane_b32 s8, v46, 19
	v_readlane_b32 s9, v46, 20
	s_and_b64 s[8:9], s[88:89], s[8:9]
	s_mov_b64 exec, s[8:9]
	s_cbranch_execz .LBB27_171
; %bb.163:                              ;   in Loop: Header=BB27_16 Depth=1
	v_mov_b32_e32 v6, v10
	v_mov_b32_e32 v9, v0
                                        ; implicit-def: $sgpr90_sgpr91
	s_branch .LBB27_166
.LBB27_164:                             ;   in Loop: Header=BB27_166 Depth=2
	s_or_b64 exec, exec, s[38:39]
	s_waitcnt lgkmcnt(0)
	s_barrier
	ds_read_b128 v[2:5], v12 offset:3072
	s_mov_b64 s[38:39], -1
	s_mov_b64 s[40:41], -1
	s_waitcnt lgkmcnt(0)
	s_barrier
	v_cmp_ne_u64_e32 vcc, 0, v[2:3]
	s_cbranch_vccz .LBB27_169
.LBB27_165:                             ;   in Loop: Header=BB27_166 Depth=2
	s_and_b64 s[8:9], exec, s[38:39]
	s_or_b64 s[84:85], s[8:9], s[84:85]
	s_andn2_b64 s[8:9], s[90:91], exec
	s_and_b64 s[38:39], s[40:41], exec
	s_or_b64 s[90:91], s[8:9], s[38:39]
	s_andn2_b64 exec, exec, s[84:85]
	s_cbranch_execz .LBB27_170
.LBB27_166:                             ;   Parent Loop BB27_16 Depth=1
                                        ; =>  This Inner Loop Header: Depth=2
	v_cmp_gt_i32_e32 vcc, s28, v9
	s_and_saveexec_b64 s[38:39], vcc
	s_cbranch_execz .LBB27_164
; %bb.167:                              ;   in Loop: Header=BB27_166 Depth=2
	v_ashrrev_i32_e32 v7, 31, v6
	v_lshlrev_b64 v[2:3], 3, v[6:7]
	v_mov_b32_e32 v4, s48
	v_add_co_u32_e32 v2, vcc, s34, v2
	v_addc_co_u32_e32 v3, vcc, v4, v3, vcc
	global_load_dwordx2 v[3:4], v[2:3], off
	s_waitcnt vmcnt(0)
	v_xor_b32_e32 v2, 0x80000000, v4
	v_and_b32_e32 v23, v2, v20
	v_and_b32_e32 v22, v3, v19
	v_cmp_eq_u64_e32 vcc, v[22:23], v[17:18]
	s_and_b64 exec, exec, vcc
	s_cbranch_execz .LBB27_164
; %bb.168:                              ;   in Loop: Header=BB27_166 Depth=2
	v_mov_b32_e32 v2, v12
	ds_write_b128 v12, v[1:4] offset:3072
	s_branch .LBB27_164
.LBB27_169:                             ;   in Loop: Header=BB27_166 Depth=2
	v_add_u32_e32 v9, s36, v9
	v_cmp_le_i32_e32 vcc, s51, v9
	v_add_u32_e32 v6, s50, v6
	s_mov_b64 s[40:41], 0
	s_orn2_b64 s[38:39], vcc, exec
	s_branch .LBB27_165
.LBB27_170:                             ;   in Loop: Header=BB27_16 Depth=1
	s_or_b64 exec, exec, s[84:85]
	s_and_b64 s[84:85], s[90:91], exec
.LBB27_171:                             ;   in Loop: Header=BB27_16 Depth=1
	s_or_b64 exec, exec, s[88:89]
.LBB27_172:                             ;   in Loop: Header=BB27_16 Depth=1
	s_and_b64 vcc, exec, s[86:87]
	s_cbranch_vccz .LBB27_183
; %bb.173:                              ;   in Loop: Header=BB27_16 Depth=1
	s_add_i32 s8, s93, s95
	s_abs_i32 s38, s8
	s_mul_hi_u32 s39, s38, s94
	s_mul_i32 s39, s39, s36
	s_sub_i32 s38, s38, s39
	s_ashr_i32 s9, s8, 31
	s_sub_i32 s39, s38, s36
	s_cmp_ge_u32 s38, s36
	s_cselect_b32 s38, s39, s38
	s_sub_i32 s39, s38, s36
	s_cmp_ge_u32 s38, s36
	s_cselect_b32 s38, s39, s38
	s_xor_b32 s38, s38, s9
	s_sub_i32 s9, s9, s38
	s_add_i32 s8, s8, s9
	v_cmp_gt_i32_e32 vcc, s8, v0
                                        ; implicit-def: $vgpr4_vgpr5
	s_and_saveexec_b64 s[76:77], vcc
	s_cbranch_execz .LBB27_182
; %bb.174:                              ;   in Loop: Header=BB27_16 Depth=1
	s_mov_b64 s[38:39], 0
	v_mov_b32_e32 v6, v27
	v_mov_b32_e32 v7, v0
                                        ; implicit-def: $sgpr78_sgpr79
	s_branch .LBB27_177
.LBB27_175:                             ;   in Loop: Header=BB27_177 Depth=2
	s_or_b64 exec, exec, s[40:41]
	s_waitcnt lgkmcnt(0)
	s_barrier
	ds_read_b128 v[2:5], v12 offset:3072
	s_mov_b64 s[40:41], -1
	s_mov_b64 s[86:87], -1
	s_waitcnt lgkmcnt(0)
	s_barrier
	v_cmp_eq_u64_e32 vcc, 0, v[2:3]
	s_cbranch_vccnz .LBB27_180
.LBB27_176:                             ;   in Loop: Header=BB27_177 Depth=2
	s_and_b64 s[40:41], exec, s[40:41]
	s_or_b64 s[38:39], s[40:41], s[38:39]
	s_andn2_b64 s[40:41], s[78:79], exec
	s_and_b64 s[78:79], s[86:87], exec
	s_or_b64 s[78:79], s[40:41], s[78:79]
	s_andn2_b64 exec, exec, s[38:39]
	s_cbranch_execz .LBB27_181
.LBB27_177:                             ;   Parent Loop BB27_16 Depth=1
                                        ; =>  This Inner Loop Header: Depth=2
	v_cmp_gt_i32_e32 vcc, s93, v7
	s_and_saveexec_b64 s[40:41], vcc
	s_cbranch_execz .LBB27_175
; %bb.178:                              ;   in Loop: Header=BB27_177 Depth=2
	ds_read_b64 v[3:4], v6
	s_waitcnt lgkmcnt(0)
	v_xor_b32_e32 v2, 0x80000000, v4
	v_and_b32_e32 v23, v2, v20
	v_and_b32_e32 v22, v3, v19
	v_cmp_eq_u64_e32 vcc, v[22:23], v[17:18]
	s_and_b64 exec, exec, vcc
	s_cbranch_execz .LBB27_175
; %bb.179:                              ;   in Loop: Header=BB27_177 Depth=2
	v_mov_b32_e32 v2, v12
	ds_write_b128 v12, v[1:4] offset:3072
	s_branch .LBB27_175
.LBB27_180:                             ;   in Loop: Header=BB27_177 Depth=2
	v_add_u32_e32 v7, s36, v7
	v_cmp_le_i32_e32 vcc, s8, v7
	v_add_u32_e32 v6, s0, v6
	s_mov_b64 s[86:87], 0
	s_orn2_b64 s[40:41], vcc, exec
	s_branch .LBB27_176
.LBB27_181:                             ;   in Loop: Header=BB27_16 Depth=1
	s_or_b64 exec, exec, s[38:39]
	s_andn2_b64 s[8:9], s[84:85], exec
	s_and_b64 s[38:39], s[78:79], exec
	s_or_b64 s[84:85], s[8:9], s[38:39]
.LBB27_182:                             ;   in Loop: Header=BB27_16 Depth=1
	s_or_b64 exec, exec, s[76:77]
	s_mov_b64 s[76:77], 0
	s_mov_b64 s[78:79], -1
.LBB27_183:                             ;   in Loop: Header=BB27_16 Depth=1
	s_orn2_b64 s[38:39], s[84:85], exec
.LBB27_184:                             ;   in Loop: Header=BB27_16 Depth=1
	s_or_b64 exec, exec, s[80:81]
	s_mov_b64 s[40:41], 0
	s_and_saveexec_b64 s[80:81], s[38:39]
	s_cbranch_execz .LBB27_234
; %bb.185:                              ;   in Loop: Header=BB27_16 Depth=1
	s_xor_b64 s[8:9], s[82:83], -1
	s_mov_b64 s[86:87], 0
	v_mov_b32_e32 v9, 1
	v_mov_b32_e32 v8, 1
	s_and_saveexec_b64 s[82:83], s[8:9]
	s_cbranch_execz .LBB27_194
; %bb.186:                              ;   in Loop: Header=BB27_16 Depth=1
	v_cmp_ge_i32_e32 vcc, s92, v21
	s_and_saveexec_b64 s[8:9], vcc
	s_xor_b64 s[38:39], exec, s[8:9]
	s_cbranch_execz .LBB27_191
; %bb.187:                              ;   in Loop: Header=BB27_16 Depth=1
	s_lshl_b64 s[8:9], 2, s1
	v_and_b32_e32 v2, s71, v18
	v_or_b32_e32 v18, s9, v2
	ds_read_b32 v2, v12 offset:4096
	v_and_b32_e32 v3, s70, v17
	v_or_b32_e32 v17, s8, v3
	v_or_b32_e32 v20, s7, v20
	;; [unrolled: 1-line block ×3, first 2 shown]
	s_waitcnt lgkmcnt(0)
	v_cmp_ne_u32_e32 vcc, 0, v2
	s_cbranch_vccnz .LBB27_191
; %bb.188:                              ;   in Loop: Header=BB27_16 Depth=1
	s_mov_b64 s[8:9], exec
	v_readlane_b32 s40, v46, 5
	v_readlane_b32 s41, v46, 6
	s_and_b64 s[40:41], s[8:9], s[40:41]
	s_mov_b64 exec, s[40:41]
; %bb.189:                              ;   in Loop: Header=BB27_16 Depth=1
	v_mov_b32_e32 v2, s92
	ds_write_b32 v12, v2 offset:4100
; %bb.190:                              ;   in Loop: Header=BB27_16 Depth=1
	s_or_b64 exec, exec, s[8:9]
	s_waitcnt lgkmcnt(0)
	s_barrier
.LBB27_191:                             ;   in Loop: Header=BB27_16 Depth=1
	s_or_saveexec_b64 s[38:39], s[38:39]
	s_mov_b64 s[70:71], 0
	v_mov_b32_e32 v8, 8
	s_xor_b64 exec, exec, s[38:39]
; %bb.192:                              ;   in Loop: Header=BB27_16 Depth=1
	v_subrev_u32_e32 v21, s92, v21
	v_mov_b32_e32 v8, 0
	s_mov_b64 s[70:71], exec
; %bb.193:                              ;   in Loop: Header=BB27_16 Depth=1
	s_or_b64 exec, exec, s[38:39]
	s_and_b64 s[86:87], s[70:71], exec
	v_mov_b32_e32 v9, v21
.LBB27_194:                             ;   in Loop: Header=BB27_16 Depth=1
	s_or_b64 exec, exec, s[82:83]
	s_mov_b64 s[38:39], -1
                                        ; implicit-def: $sgpr84_sgpr85
                                        ; implicit-def: $sgpr82_sgpr83
	s_and_saveexec_b64 s[70:71], s[86:87]
	s_cbranch_execz .LBB27_233
; %bb.195:                              ;   in Loop: Header=BB27_16 Depth=1
	s_cmp_eq_u32 s29, 1
	s_cselect_b64 s[8:9], -1, 0
	v_cmp_eq_u32_e32 vcc, 1, v9
	s_and_b64 s[86:87], s[8:9], vcc
                                        ; implicit-def: $sgpr84_sgpr85
                                        ; implicit-def: $sgpr82_sgpr83
	s_and_saveexec_b64 s[88:89], s[86:87]
	s_cbranch_execz .LBB27_221
; %bb.196:                              ;   in Loop: Header=BB27_16 Depth=1
	ds_read_b32 v2, v12 offset:4096
	v_writelane_b32 v46, s94, 21
	s_waitcnt lgkmcnt(0)
	s_barrier
	v_readfirstlane_b32 s94, v2
	s_and_saveexec_b64 s[8:9], s[4:5]
; %bb.197:                              ;   in Loop: Header=BB27_16 Depth=1
	v_mov_b32_e32 v11, v12
	ds_write_b64 v28, v[11:12]
; %bb.198:                              ;   in Loop: Header=BB27_16 Depth=1
	s_or_b64 exec, exec, s[8:9]
	v_or_b32_e32 v18, s7, v18
	v_or_b32_e32 v17, s6, v17
	;; [unrolled: 1-line block ×4, first 2 shown]
	s_mov_b64 s[82:83], -1
	s_mov_b64 s[84:85], 0
	s_cmp_gt_i32 s94, 0
	s_mov_b64 s[90:91], 0
	s_mov_b64 s[92:93], -1
	s_waitcnt lgkmcnt(0)
	s_barrier
                                        ; implicit-def: $vgpr4_vgpr5
	s_cbranch_scc1 .LBB27_209
; %bb.199:                              ;   in Loop: Header=BB27_16 Depth=1
	s_mov_b64 s[92:93], 0
                                        ; implicit-def: $vgpr4_vgpr5
	s_mov_b64 s[38:39], exec
	v_readlane_b32 s8, v46, 19
	v_readlane_b32 s9, v46, 20
	s_and_b64 s[8:9], s[38:39], s[8:9]
	s_mov_b64 exec, s[8:9]
	s_cbranch_execz .LBB27_208
; %bb.200:                              ;   in Loop: Header=BB27_16 Depth=1
	v_writelane_b32 v46, s38, 22
	v_mov_b32_e32 v6, v10
	v_mov_b32_e32 v11, v0
	v_writelane_b32 v46, s39, 23
                                        ; implicit-def: $sgpr38_sgpr39
	s_branch .LBB27_203
.LBB27_201:                             ;   in Loop: Header=BB27_203 Depth=2
	s_or_b64 exec, exec, s[40:41]
	s_waitcnt lgkmcnt(0)
	s_barrier
	ds_read_b128 v[2:5], v12 offset:3072
	s_mov_b64 s[40:41], -1
	s_mov_b64 s[8:9], -1
	s_waitcnt lgkmcnt(0)
	s_barrier
	v_cmp_ne_u64_e32 vcc, 0, v[2:3]
	s_cbranch_vccz .LBB27_206
.LBB27_202:                             ;   in Loop: Header=BB27_203 Depth=2
	s_and_b64 s[40:41], exec, s[40:41]
	s_or_b64 s[90:91], s[40:41], s[90:91]
	s_andn2_b64 s[38:39], s[38:39], exec
	s_and_b64 s[8:9], s[8:9], exec
	s_or_b64 s[38:39], s[38:39], s[8:9]
	s_andn2_b64 exec, exec, s[90:91]
	s_cbranch_execz .LBB27_207
.LBB27_203:                             ;   Parent Loop BB27_16 Depth=1
                                        ; =>  This Inner Loop Header: Depth=2
	v_cmp_gt_i32_e32 vcc, s28, v11
	s_and_saveexec_b64 s[40:41], vcc
	s_cbranch_execz .LBB27_201
; %bb.204:                              ;   in Loop: Header=BB27_203 Depth=2
	v_ashrrev_i32_e32 v7, 31, v6
	v_lshlrev_b64 v[2:3], 3, v[6:7]
	v_mov_b32_e32 v4, s48
	v_add_co_u32_e32 v2, vcc, s34, v2
	v_addc_co_u32_e32 v3, vcc, v4, v3, vcc
	global_load_dwordx2 v[3:4], v[2:3], off
	s_waitcnt vmcnt(0)
	v_xor_b32_e32 v2, 0x80000000, v4
	v_and_b32_e32 v22, v2, v20
	v_and_b32_e32 v21, v3, v19
	v_cmp_eq_u64_e32 vcc, v[21:22], v[17:18]
	s_and_b64 exec, exec, vcc
	s_cbranch_execz .LBB27_201
; %bb.205:                              ;   in Loop: Header=BB27_203 Depth=2
	v_mov_b32_e32 v2, v12
	ds_write_b128 v12, v[1:4] offset:3072
	s_branch .LBB27_201
.LBB27_206:                             ;   in Loop: Header=BB27_203 Depth=2
	v_add_u32_e32 v11, s36, v11
	v_cmp_le_i32_e32 vcc, s51, v11
	v_add_u32_e32 v6, s50, v6
	s_mov_b64 s[8:9], 0
	s_orn2_b64 s[40:41], vcc, exec
	s_branch .LBB27_202
.LBB27_207:                             ;   in Loop: Header=BB27_16 Depth=1
	s_or_b64 exec, exec, s[90:91]
	s_and_b64 s[90:91], s[38:39], exec
	v_readlane_b32 s38, v46, 22
	v_readlane_b32 s39, v46, 23
.LBB27_208:                             ;   in Loop: Header=BB27_16 Depth=1
	s_or_b64 exec, exec, s[38:39]
.LBB27_209:                             ;   in Loop: Header=BB27_16 Depth=1
	s_and_b64 vcc, exec, s[92:93]
	s_cbranch_vccz .LBB27_220
; %bb.210:                              ;   in Loop: Header=BB27_16 Depth=1
	s_add_i32 s92, s94, s95
	s_abs_i32 s9, s92
	v_readlane_b32 s38, v46, 21
	s_mul_hi_u32 s38, s9, s38
	s_mul_i32 s38, s38, s36
	s_sub_i32 s9, s9, s38
	s_ashr_i32 s8, s92, 31
	s_sub_i32 s38, s9, s36
	s_cmp_ge_u32 s9, s36
	s_cselect_b32 s9, s38, s9
	s_sub_i32 s38, s9, s36
	s_cmp_ge_u32 s9, s36
	s_cselect_b32 s9, s38, s9
	s_xor_b32 s9, s9, s8
	s_sub_i32 s8, s8, s9
	s_add_i32 s92, s92, s8
	v_cmp_gt_i32_e32 vcc, s92, v0
                                        ; implicit-def: $vgpr4_vgpr5
	s_and_saveexec_b64 s[82:83], vcc
	s_cbranch_execz .LBB27_219
; %bb.211:                              ;   in Loop: Header=BB27_16 Depth=1
	s_mov_b64 s[38:39], 0
	v_mov_b32_e32 v6, v27
	v_mov_b32_e32 v7, v0
                                        ; implicit-def: $sgpr84_sgpr85
	s_branch .LBB27_214
.LBB27_212:                             ;   in Loop: Header=BB27_214 Depth=2
	s_or_b64 exec, exec, s[40:41]
	s_waitcnt lgkmcnt(0)
	s_barrier
	ds_read_b128 v[2:5], v12 offset:3072
	s_mov_b64 s[8:9], -1
	s_mov_b64 s[40:41], -1
	s_waitcnt lgkmcnt(0)
	s_barrier
	v_cmp_eq_u64_e32 vcc, 0, v[2:3]
	s_cbranch_vccnz .LBB27_217
.LBB27_213:                             ;   in Loop: Header=BB27_214 Depth=2
	s_and_b64 s[8:9], exec, s[8:9]
	s_or_b64 s[38:39], s[8:9], s[38:39]
	s_andn2_b64 s[8:9], s[84:85], exec
	s_and_b64 s[40:41], s[40:41], exec
	s_or_b64 s[84:85], s[8:9], s[40:41]
	s_andn2_b64 exec, exec, s[38:39]
	s_cbranch_execz .LBB27_218
.LBB27_214:                             ;   Parent Loop BB27_16 Depth=1
                                        ; =>  This Inner Loop Header: Depth=2
	v_cmp_gt_i32_e32 vcc, s94, v7
	s_and_saveexec_b64 s[40:41], vcc
	s_cbranch_execz .LBB27_212
; %bb.215:                              ;   in Loop: Header=BB27_214 Depth=2
	ds_read_b64 v[3:4], v6
	s_waitcnt lgkmcnt(0)
	v_xor_b32_e32 v2, 0x80000000, v4
	v_and_b32_e32 v22, v2, v20
	v_and_b32_e32 v21, v3, v19
	v_cmp_eq_u64_e32 vcc, v[21:22], v[17:18]
	s_and_b64 exec, exec, vcc
	s_cbranch_execz .LBB27_212
; %bb.216:                              ;   in Loop: Header=BB27_214 Depth=2
	v_mov_b32_e32 v2, v12
	ds_write_b128 v12, v[1:4] offset:3072
	s_branch .LBB27_212
.LBB27_217:                             ;   in Loop: Header=BB27_214 Depth=2
	v_add_u32_e32 v7, s36, v7
	v_cmp_le_i32_e32 vcc, s92, v7
	v_add_u32_e32 v6, s0, v6
	s_mov_b64 s[40:41], 0
	s_orn2_b64 s[8:9], vcc, exec
	s_branch .LBB27_213
.LBB27_218:                             ;   in Loop: Header=BB27_16 Depth=1
	s_or_b64 exec, exec, s[38:39]
	s_andn2_b64 s[8:9], s[90:91], exec
	s_and_b64 s[38:39], s[84:85], exec
	s_or_b64 s[90:91], s[8:9], s[38:39]
.LBB27_219:                             ;   in Loop: Header=BB27_16 Depth=1
	s_or_b64 exec, exec, s[82:83]
	s_mov_b64 s[82:83], 0
	s_mov_b64 s[84:85], -1
.LBB27_220:                             ;   in Loop: Header=BB27_16 Depth=1
	s_orn2_b64 s[38:39], s[90:91], exec
	v_readlane_b32 s94, v46, 21
.LBB27_221:                             ;   in Loop: Header=BB27_16 Depth=1
	s_or_b64 exec, exec, s[88:89]
	s_mov_b64 s[40:41], 0
	s_and_saveexec_b64 s[88:89], s[38:39]
	s_cbranch_execz .LBB27_232
; %bb.222:                              ;   in Loop: Header=BB27_16 Depth=1
	s_xor_b64 s[8:9], s[86:87], -1
	v_mov_b32_e32 v8, 1
	v_mov_b32_e32 v2, 1
	s_and_saveexec_b64 s[86:87], s[8:9]
	s_cbranch_execz .LBB27_231
; %bb.223:                              ;   in Loop: Header=BB27_16 Depth=1
	v_cmp_ge_i32_e32 vcc, s29, v9
	s_and_saveexec_b64 s[8:9], vcc
	s_xor_b64 s[38:39], exec, s[8:9]
	s_cbranch_execz .LBB27_228
; %bb.224:                              ;   in Loop: Header=BB27_16 Depth=1
	ds_read_b32 v2, v12 offset:4096
	v_or_b32_e32 v18, s7, v18
	v_or_b32_e32 v17, s6, v17
	;; [unrolled: 1-line block ×4, first 2 shown]
	s_waitcnt lgkmcnt(0)
	v_cmp_ne_u32_e32 vcc, 0, v2
	s_cbranch_vccnz .LBB27_228
; %bb.225:                              ;   in Loop: Header=BB27_16 Depth=1
	s_mov_b64 s[6:7], exec
	v_readlane_b32 s8, v46, 5
	v_readlane_b32 s9, v46, 6
	s_and_b64 s[8:9], s[6:7], s[8:9]
	s_mov_b64 exec, s[8:9]
; %bb.226:                              ;   in Loop: Header=BB27_16 Depth=1
	v_mov_b32_e32 v2, s29
	ds_write_b32 v12, v2 offset:4100
; %bb.227:                              ;   in Loop: Header=BB27_16 Depth=1
	s_or_b64 exec, exec, s[6:7]
	s_waitcnt lgkmcnt(0)
	s_barrier
.LBB27_228:                             ;   in Loop: Header=BB27_16 Depth=1
	s_andn2_saveexec_b64 s[6:7], s[38:39]
; %bb.229:                              ;   in Loop: Header=BB27_16 Depth=1
	v_subrev_u32_e32 v9, s29, v9
; %bb.230:                              ;   in Loop: Header=BB27_16 Depth=1
	s_or_b64 exec, exec, s[6:7]
	v_mov_b32_e32 v8, 8
	v_mov_b32_e32 v2, v9
.LBB27_231:                             ;   in Loop: Header=BB27_16 Depth=1
	s_or_b64 exec, exec, s[86:87]
	s_mov_b64 s[40:41], exec
	v_mov_b32_e32 v9, v2
.LBB27_232:                             ;   in Loop: Header=BB27_16 Depth=1
	s_or_b64 exec, exec, s[88:89]
	s_orn2_b64 s[38:39], s[40:41], exec
.LBB27_233:                             ;   in Loop: Header=BB27_16 Depth=1
	s_or_b64 exec, exec, s[70:71]
	s_andn2_b64 s[6:7], s[78:79], exec
	s_and_b64 s[8:9], s[84:85], exec
	s_or_b64 s[78:79], s[6:7], s[8:9]
	s_andn2_b64 s[6:7], s[76:77], exec
	s_and_b64 s[8:9], s[82:83], exec
	s_or_b64 s[76:77], s[6:7], s[8:9]
	s_and_b64 s[40:41], s[38:39], exec
	v_mov_b32_e32 v21, v9
.LBB27_234:                             ;   in Loop: Header=BB27_16 Depth=1
	s_or_b64 exec, exec, s[80:81]
	s_orn2_b64 s[38:39], s[40:41], exec
.LBB27_235:                             ;   in Loop: Header=BB27_16 Depth=1
	s_or_b64 exec, exec, s[74:75]
	s_andn2_b64 s[6:7], s[68:69], exec
	s_and_b64 s[8:9], s[78:79], exec
	s_or_b64 s[68:69], s[6:7], s[8:9]
	s_andn2_b64 s[6:7], s[26:27], exec
	s_and_b64 s[8:9], s[76:77], exec
	s_or_b64 s[26:27], s[6:7], s[8:9]
	s_and_b64 s[40:41], s[38:39], exec
	v_mov_b32_e32 v9, v21
.LBB27_236:                             ;   in Loop: Header=BB27_16 Depth=1
	s_or_b64 exec, exec, s[72:73]
	s_orn2_b64 s[38:39], s[40:41], exec
.LBB27_237:                             ;   in Loop: Header=BB27_16 Depth=1
	s_or_b64 exec, exec, s[22:23]
	s_mov_b64 s[22:23], 0
                                        ; implicit-def: $sgpr8
                                        ; implicit-def: $sgpr9
	s_and_saveexec_b64 s[6:7], s[38:39]
	s_xor_b64 s[6:7], exec, s[6:7]
	s_cbranch_execz .LBB27_14
; %bb.238:                              ;   in Loop: Header=BB27_16 Depth=1
	v_and_b32_e32 v2, 7, v8
	v_cmp_eq_u32_e32 vcc, 0, v2
	s_mov_b64 s[20:21], -1
	s_mov_b64 s[22:23], -1
                                        ; implicit-def: $sgpr8
                                        ; implicit-def: $sgpr9
	s_and_saveexec_b64 s[38:39], vcc
	s_cbranch_execz .LBB27_13
; %bb.239:                              ;   in Loop: Header=BB27_16 Depth=1
	s_xor_b32 s9, s52, 1
	s_add_i32 s8, s1, -2
	s_cmp_eq_u32 s1, 0
	s_cselect_b64 s[20:21], -1, 0
	s_xor_b64 s[22:23], exec, -1
	s_orn2_b64 s[20:21], s[20:21], exec
	s_branch .LBB27_13
.LBB27_240:
	s_or_b64 exec, exec, s[54:55]
	s_xor_b64 s[8:9], s[60:61], -1
	s_xor_b64 s[0:1], s[56:57], -1
	;; [unrolled: 1-line block ×3, first 2 shown]
	s_mov_b64 s[4:5], 0
	s_and_saveexec_b64 s[2:3], s[0:1]
	s_xor_b64 s[2:3], exec, s[2:3]
	s_cbranch_execnz .LBB27_245
; %bb.241:
	s_andn2_saveexec_b64 s[0:1], s[2:3]
	s_cbranch_execnz .LBB27_265
.LBB27_242:
	s_or_b64 exec, exec, s[0:1]
	s_and_saveexec_b64 s[0:1], s[4:5]
.LBB27_243:
	; divergent unreachable
.LBB27_244:
	s_endpgm
.LBB27_245:
	s_and_saveexec_b64 s[0:1], s[8:9]
	s_xor_b64 s[4:5], exec, s[0:1]
	s_cbranch_execz .LBB27_263
; %bb.246:
	s_and_saveexec_b64 s[0:1], s[6:7]
	s_xor_b64 s[6:7], exec, s[0:1]
; %bb.247:
	v_xor_b32_e32 v18, 0x80000000, v18
	v_mov_b32_e32 v4, v17
	v_mov_b32_e32 v5, v18
; %bb.248:
	s_or_b64 exec, exec, s[6:7]
	s_mov_b64 s[6:7], exec
	v_readlane_b32 s0, v46, 5
	v_readlane_b32 s1, v46, 6
	s_and_b64 s[0:1], s[6:7], s[0:1]
	s_mov_b64 exec, s[0:1]
; %bb.249:
	v_mov_b32_e32 v1, 0
	v_mov_b32_e32 v2, s28
	ds_write_b32 v1, v2 offset:4108
; %bb.250:
	s_or_b64 exec, exec, s[6:7]
	v_mov_b32_e32 v1, 0
	s_waitcnt lgkmcnt(0)
	s_barrier
	ds_read_b32 v1, v1 offset:4108
	s_waitcnt lgkmcnt(0)
	v_min_i32_e32 v1, s28, v1
	v_cmp_lt_i32_e32 vcc, v0, v1
	s_and_saveexec_b64 s[6:7], vcc
	s_cbranch_execz .LBB27_260
; %bb.251:
	s_mov_b64 s[8:9], 0
	v_mov_b32_e32 v3, s48
                                        ; implicit-def: $sgpr10_sgpr11
                                        ; implicit-def: $sgpr14_sgpr15
                                        ; implicit-def: $sgpr12_sgpr13
	s_branch .LBB27_253
.LBB27_252:                             ;   in Loop: Header=BB27_253 Depth=1
	s_or_b64 exec, exec, s[16:17]
	s_and_b64 s[0:1], exec, s[14:15]
	s_or_b64 s[8:9], s[0:1], s[8:9]
	s_andn2_b64 s[0:1], s[10:11], exec
	s_and_b64 s[10:11], s[12:13], exec
	s_or_b64 s[10:11], s[0:1], s[10:11]
	s_andn2_b64 exec, exec, s[8:9]
	s_cbranch_execz .LBB27_255
.LBB27_253:                             ; =>This Inner Loop Header: Depth=1
	v_ashrrev_i32_e32 v11, 31, v10
	v_lshlrev_b64 v[6:7], 3, v[10:11]
	v_mov_b32_e32 v2, v0
	v_add_co_u32_e32 v6, vcc, s34, v6
	v_addc_co_u32_e32 v7, vcc, v3, v7, vcc
	global_load_dwordx2 v[6:7], v[6:7], off
	s_or_b64 s[12:13], s[12:13], exec
	s_or_b64 s[14:15], s[14:15], exec
                                        ; implicit-def: $vgpr0
	s_waitcnt vmcnt(0)
	v_cmp_ne_u64_e32 vcc, v[6:7], v[4:5]
	s_and_saveexec_b64 s[16:17], vcc
	s_cbranch_execz .LBB27_252
; %bb.254:                              ;   in Loop: Header=BB27_253 Depth=1
	v_add_u32_e32 v0, s36, v2
	v_cmp_ge_i32_e32 vcc, v0, v1
	s_andn2_b64 s[0:1], s[14:15], exec
	s_and_b64 s[14:15], vcc, exec
	v_add_u32_e32 v10, s50, v10
	s_andn2_b64 s[12:13], s[12:13], exec
	s_or_b64 s[14:15], s[0:1], s[14:15]
	s_branch .LBB27_252
.LBB27_255:
	s_or_b64 exec, exec, s[8:9]
	s_and_saveexec_b64 s[0:1], s[10:11]
	s_xor_b64 s[0:1], exec, s[0:1]
	s_cbranch_execz .LBB27_260
; %bb.256:
	s_mov_b64 s[8:9], exec
	s_brev_b32 s0, -2
.LBB27_257:                             ; =>This Inner Loop Header: Depth=1
	s_ff1_i32_b64 s1, s[8:9]
	v_readlane_b32 s12, v2, s1
	s_lshl_b64 s[10:11], 1, s1
	s_min_i32 s0, s0, s12
	s_andn2_b64 s[8:9], s[8:9], s[10:11]
	s_cmp_lg_u64 s[8:9], 0
	s_cbranch_scc1 .LBB27_257
; %bb.258:
	v_mbcnt_lo_u32_b32 v0, exec_lo, 0
	v_mbcnt_hi_u32_b32 v0, exec_hi, v0
	v_cmp_eq_u32_e32 vcc, 0, v0
	s_and_saveexec_b64 s[8:9], vcc
	s_xor_b64 s[8:9], exec, s[8:9]
; %bb.259:
	v_mov_b32_e32 v0, 0
	v_mov_b32_e32 v1, s0
	ds_min_i32 v0, v1 offset:4108
.LBB27_260:
	s_or_b64 exec, exec, s[6:7]
	s_waitcnt lgkmcnt(0)
	s_barrier
	s_mov_b64 s[6:7], exec
	v_readlane_b32 s0, v46, 5
	v_readlane_b32 s1, v46, 6
	s_and_b64 s[0:1], s[6:7], s[0:1]
	s_mov_b64 exec, s[0:1]
	s_cbranch_execz .LBB27_262
; %bb.261:
	v_readlane_b32 s0, v46, 0
	s_mul_i32 s0, s0, s30
	v_readlane_b32 s1, v46, 7
	s_add_i32 s0, s0, s35
	s_mul_i32 s1, s1, s33
	s_add_i32 s8, s1, s37
	s_ashr_i32 s1, s0, 31
	v_mov_b32_e32 v2, 0
	s_lshl_b64 s[0:1], s[0:1], 3
	v_readlane_b32 s10, v46, 1
	ds_read_b32 v0, v2 offset:4108
	v_readlane_b32 s11, v46, 2
	s_add_u32 s0, s10, s0
	s_addc_u32 s1, s11, s1
	s_ashr_i32 s9, s8, 31
	s_lshl_b64 s[8:9], s[8:9], 3
	v_readlane_b32 s10, v46, 3
	v_readlane_b32 s11, v46, 4
	s_add_u32 s8, s10, s8
	s_addc_u32 s9, s11, s9
	s_waitcnt lgkmcnt(0)
	v_ashrrev_i32_e32 v1, 31, v0
	global_store_dwordx2 v2, v[0:1], s[8:9]
	global_store_dwordx2 v2, v[4:5], s[0:1]
.LBB27_262:
	s_or_b64 exec, exec, s[6:7]
.LBB27_263:
	s_or_saveexec_b64 s[0:1], s[4:5]
	s_mov_b64 s[4:5], 0
	s_xor_b64 exec, exec, s[0:1]
	s_cbranch_execnz .LBB27_266
.LBB27_264:
	s_or_b64 exec, exec, s[0:1]
	s_and_b64 s[4:5], s[4:5], exec
	s_andn2_saveexec_b64 s[0:1], s[2:3]
	s_cbranch_execz .LBB27_242
.LBB27_265:
	s_or_b64 s[4:5], s[4:5], exec
	s_trap 2
	s_or_b64 exec, exec, s[0:1]
	s_and_saveexec_b64 s[0:1], s[4:5]
	s_cbranch_execnz .LBB27_243
	s_branch .LBB27_244
.LBB27_266:
	s_mov_b64 s[4:5], exec
	s_trap 2
	s_branch .LBB27_264
	.section	.rodata,"a",@progbits
	.p2align	6, 0x0
	.amdhsa_kernel _ZN2at6native12_GLOBAL__N_114gatherKthValueIliLin1EEEvNS_4cuda6detail10TensorInfoIKT_T0_EES8_S8_S8_S8_NS5_IS6_S8_EENS5_IlS8_EE
		.amdhsa_group_segment_fixed_size 4112
		.amdhsa_private_segment_fixed_size 0
		.amdhsa_kernarg_size 920
		.amdhsa_user_sgpr_count 6
		.amdhsa_user_sgpr_private_segment_buffer 1
		.amdhsa_user_sgpr_dispatch_ptr 0
		.amdhsa_user_sgpr_queue_ptr 0
		.amdhsa_user_sgpr_kernarg_segment_ptr 1
		.amdhsa_user_sgpr_dispatch_id 0
		.amdhsa_user_sgpr_flat_scratch_init 0
		.amdhsa_user_sgpr_private_segment_size 0
		.amdhsa_uses_dynamic_stack 0
		.amdhsa_system_sgpr_private_segment_wavefront_offset 0
		.amdhsa_system_sgpr_workgroup_id_x 1
		.amdhsa_system_sgpr_workgroup_id_y 1
		.amdhsa_system_sgpr_workgroup_id_z 1
		.amdhsa_system_sgpr_workgroup_info 0
		.amdhsa_system_vgpr_workitem_id 0
		.amdhsa_next_free_vgpr 47
		.amdhsa_next_free_sgpr 96
		.amdhsa_reserve_vcc 1
		.amdhsa_reserve_flat_scratch 0
		.amdhsa_float_round_mode_32 0
		.amdhsa_float_round_mode_16_64 0
		.amdhsa_float_denorm_mode_32 3
		.amdhsa_float_denorm_mode_16_64 3
		.amdhsa_dx10_clamp 1
		.amdhsa_ieee_mode 1
		.amdhsa_fp16_overflow 0
		.amdhsa_exception_fp_ieee_invalid_op 0
		.amdhsa_exception_fp_denorm_src 0
		.amdhsa_exception_fp_ieee_div_zero 0
		.amdhsa_exception_fp_ieee_overflow 0
		.amdhsa_exception_fp_ieee_underflow 0
		.amdhsa_exception_fp_ieee_inexact 0
		.amdhsa_exception_int_div_zero 0
	.end_amdhsa_kernel
	.section	.text._ZN2at6native12_GLOBAL__N_114gatherKthValueIliLin1EEEvNS_4cuda6detail10TensorInfoIKT_T0_EES8_S8_S8_S8_NS5_IS6_S8_EENS5_IlS8_EE,"axG",@progbits,_ZN2at6native12_GLOBAL__N_114gatherKthValueIliLin1EEEvNS_4cuda6detail10TensorInfoIKT_T0_EES8_S8_S8_S8_NS5_IS6_S8_EENS5_IlS8_EE,comdat
.Lfunc_end27:
	.size	_ZN2at6native12_GLOBAL__N_114gatherKthValueIliLin1EEEvNS_4cuda6detail10TensorInfoIKT_T0_EES8_S8_S8_S8_NS5_IS6_S8_EENS5_IlS8_EE, .Lfunc_end27-_ZN2at6native12_GLOBAL__N_114gatherKthValueIliLin1EEEvNS_4cuda6detail10TensorInfoIKT_T0_EES8_S8_S8_S8_NS5_IS6_S8_EENS5_IlS8_EE
                                        ; -- End function
	.set _ZN2at6native12_GLOBAL__N_114gatherKthValueIliLin1EEEvNS_4cuda6detail10TensorInfoIKT_T0_EES8_S8_S8_S8_NS5_IS6_S8_EENS5_IlS8_EE.num_vgpr, 47
	.set _ZN2at6native12_GLOBAL__N_114gatherKthValueIliLin1EEEvNS_4cuda6detail10TensorInfoIKT_T0_EES8_S8_S8_S8_NS5_IS6_S8_EENS5_IlS8_EE.num_agpr, 0
	.set _ZN2at6native12_GLOBAL__N_114gatherKthValueIliLin1EEEvNS_4cuda6detail10TensorInfoIKT_T0_EES8_S8_S8_S8_NS5_IS6_S8_EENS5_IlS8_EE.numbered_sgpr, 96
	.set _ZN2at6native12_GLOBAL__N_114gatherKthValueIliLin1EEEvNS_4cuda6detail10TensorInfoIKT_T0_EES8_S8_S8_S8_NS5_IS6_S8_EENS5_IlS8_EE.num_named_barrier, 0
	.set _ZN2at6native12_GLOBAL__N_114gatherKthValueIliLin1EEEvNS_4cuda6detail10TensorInfoIKT_T0_EES8_S8_S8_S8_NS5_IS6_S8_EENS5_IlS8_EE.private_seg_size, 0
	.set _ZN2at6native12_GLOBAL__N_114gatherKthValueIliLin1EEEvNS_4cuda6detail10TensorInfoIKT_T0_EES8_S8_S8_S8_NS5_IS6_S8_EENS5_IlS8_EE.uses_vcc, 1
	.set _ZN2at6native12_GLOBAL__N_114gatherKthValueIliLin1EEEvNS_4cuda6detail10TensorInfoIKT_T0_EES8_S8_S8_S8_NS5_IS6_S8_EENS5_IlS8_EE.uses_flat_scratch, 0
	.set _ZN2at6native12_GLOBAL__N_114gatherKthValueIliLin1EEEvNS_4cuda6detail10TensorInfoIKT_T0_EES8_S8_S8_S8_NS5_IS6_S8_EENS5_IlS8_EE.has_dyn_sized_stack, 0
	.set _ZN2at6native12_GLOBAL__N_114gatherKthValueIliLin1EEEvNS_4cuda6detail10TensorInfoIKT_T0_EES8_S8_S8_S8_NS5_IS6_S8_EENS5_IlS8_EE.has_recursion, 0
	.set _ZN2at6native12_GLOBAL__N_114gatherKthValueIliLin1EEEvNS_4cuda6detail10TensorInfoIKT_T0_EES8_S8_S8_S8_NS5_IS6_S8_EENS5_IlS8_EE.has_indirect_call, 0
	.section	.AMDGPU.csdata,"",@progbits
; Kernel info:
; codeLenInByte = 9928
; TotalNumSgprs: 100
; NumVgprs: 47
; ScratchSize: 0
; MemoryBound: 0
; FloatMode: 240
; IeeeMode: 1
; LDSByteSize: 4112 bytes/workgroup (compile time only)
; SGPRBlocks: 12
; VGPRBlocks: 11
; NumSGPRsForWavesPerEU: 100
; NumVGPRsForWavesPerEU: 47
; Occupancy: 5
; WaveLimiterHint : 1
; COMPUTE_PGM_RSRC2:SCRATCH_EN: 0
; COMPUTE_PGM_RSRC2:USER_SGPR: 6
; COMPUTE_PGM_RSRC2:TRAP_HANDLER: 0
; COMPUTE_PGM_RSRC2:TGID_X_EN: 1
; COMPUTE_PGM_RSRC2:TGID_Y_EN: 1
; COMPUTE_PGM_RSRC2:TGID_Z_EN: 1
; COMPUTE_PGM_RSRC2:TIDIG_COMP_CNT: 0
	.section	.text._ZN2at6native12_GLOBAL__N_114gatherKthValueIllLi1EEEvNS_4cuda6detail10TensorInfoIKT_T0_EES8_S8_S8_S8_NS5_IS6_S8_EENS5_IlS8_EE,"axG",@progbits,_ZN2at6native12_GLOBAL__N_114gatherKthValueIllLi1EEEvNS_4cuda6detail10TensorInfoIKT_T0_EES8_S8_S8_S8_NS5_IS6_S8_EENS5_IlS8_EE,comdat
	.globl	_ZN2at6native12_GLOBAL__N_114gatherKthValueIllLi1EEEvNS_4cuda6detail10TensorInfoIKT_T0_EES8_S8_S8_S8_NS5_IS6_S8_EENS5_IlS8_EE ; -- Begin function _ZN2at6native12_GLOBAL__N_114gatherKthValueIllLi1EEEvNS_4cuda6detail10TensorInfoIKT_T0_EES8_S8_S8_S8_NS5_IS6_S8_EENS5_IlS8_EE
	.p2align	8
	.type	_ZN2at6native12_GLOBAL__N_114gatherKthValueIllLi1EEEvNS_4cuda6detail10TensorInfoIKT_T0_EES8_S8_S8_S8_NS5_IS6_S8_EENS5_IlS8_EE,@function
_ZN2at6native12_GLOBAL__N_114gatherKthValueIllLi1EEEvNS_4cuda6detail10TensorInfoIKT_T0_EES8_S8_S8_S8_NS5_IS6_S8_EENS5_IlS8_EE: ; @_ZN2at6native12_GLOBAL__N_114gatherKthValueIllLi1EEEvNS_4cuda6detail10TensorInfoIKT_T0_EES8_S8_S8_S8_NS5_IS6_S8_EENS5_IlS8_EE
; %bb.0:
	s_load_dwordx2 s[14:15], s[4:5], 0x500
	s_load_dwordx8 s[24:31], s[4:5], 0x1a0
	s_add_u32 s12, s4, 0x500
	s_addc_u32 s13, s5, 0
	s_mov_b32 s11, 0
	s_waitcnt lgkmcnt(0)
	s_mul_i32 s0, s15, s8
	s_add_i32 s0, s0, s7
	s_mul_i32 s0, s0, s14
	s_add_i32 s10, s0, s6
	v_mov_b32_e32 v1, s10
	v_mov_b32_e32 v2, s11
	v_cmp_le_i64_e32 vcc, s[28:29], v[1:2]
	s_cbranch_vccnz .LBB28_269
; %bb.1:
	s_load_dwordx2 s[0:1], s[4:5], 0x430
                                        ; implicit-def: $vgpr60 : SGPR spill to VGPR lane
	s_load_dwordx2 s[8:9], s[4:5], 0xd0
	s_load_dwordx2 s[2:3], s[4:5], 0x0
	v_cmp_eq_u32_e64 s[94:95], 0, v0
	s_waitcnt lgkmcnt(0)
	v_writelane_b32 v60, s0, 0
	v_writelane_b32 v60, s1, 1
	s_load_dwordx2 s[0:1], s[4:5], 0x360
	s_waitcnt lgkmcnt(0)
	v_writelane_b32 v60, s0, 2
	v_writelane_b32 v60, s1, 3
	s_load_dwordx2 s[0:1], s[4:5], 0x290
	;; [unrolled: 4-line block ×3, first 2 shown]
	s_waitcnt lgkmcnt(0)
	v_writelane_b32 v60, s0, 6
	v_writelane_b32 v60, s1, 7
	s_and_saveexec_b64 s[4:5], s[94:95]
	s_cbranch_execz .LBB28_3
; %bb.2:
	v_mov_b32_e32 v1, 0
	v_mov_b32_e32 v3, s24
	;; [unrolled: 1-line block ×4, first 2 shown]
	ds_write_b32 v1, v1 offset:5136
	ds_write_b128 v1, v[1:4] offset:5120
.LBB28_3:
	s_or_b64 exec, exec, s[4:5]
	s_mul_i32 s0, s9, s10
	s_mul_hi_u32 s1, s8, s10
	s_add_i32 s1, s1, s0
	s_mov_b32 s0, s10
	v_writelane_b32 v60, s0, 8
	v_writelane_b32 v60, s1, 9
	s_mul_i32 s0, s8, s10
	s_lshl_b64 s[0:1], s[0:1], 3
	s_add_u32 s42, s2, s0
	s_addc_u32 s43, s3, s1
	v_mad_u64_u32 v[2:3], s[0:1], s30, v0, 0
	v_mbcnt_lo_u32_b32 v1, -1, 0
	v_mbcnt_hi_u32_b32 v39, -1, v1
	v_mov_b32_e32 v4, 0x180
	v_mov_b32_e32 v1, v3
	;; [unrolled: 1-line block ×3, first 2 shown]
	v_mad_u64_u32 v[6:7], s[0:1], s31, v0, v[1:2]
	v_cmp_gt_i64_e64 s[0:1], s[24:25], v[4:5]
	v_mov_b32_e32 v18, 0
	v_mov_b32_e32 v1, v18
	v_writelane_b32 v60, s0, 10
	v_writelane_b32 v60, s1, 11
	v_cmp_gt_u64_e64 s[0:1], s[24:25], v[0:1]
	s_waitcnt lgkmcnt(0)
	v_writelane_b32 v60, s0, 12
	v_writelane_b32 v60, s1, 13
	v_cmp_gt_i64_e64 s[0:1], s[24:25], v[0:1]
	s_barrier
	v_writelane_b32 v60, s0, 14
	v_writelane_b32 v60, s1, 15
	s_load_dword s0, s[12:13], 0xc
	v_mov_b32_e32 v3, v6
	v_lshlrev_b64 v[4:5], 3, v[2:3]
	v_cmp_gt_u32_e32 vcc, 64, v0
	v_cmp_gt_i32_e64 s[2:3], 4, v39
	s_and_b64 s[46:47], vcc, s[2:3]
	v_mov_b32_e32 v6, s43
	v_add_co_u32_e32 v15, vcc, s42, v4
	s_waitcnt lgkmcnt(0)
	s_and_b32 s33, s0, 0xffff
	s_bfe_u32 s7, s0, 0xa0006
	v_addc_co_u32_e32 v16, vcc, v6, v5, vcc
	v_lshlrev_b64 v[4:5], v39, -1
	s_cmp_gt_u32 s33, 63
	s_cselect_b64 s[0:1], -1, 0
	v_lshlrev_b32_e32 v43, 5, v0
	v_not_b32_e32 v41, v5
	v_writelane_b32 v60, s0, 16
	v_or_b32_e32 v5, 24, v43
	v_writelane_b32 v60, s1, 17
	v_mad_u64_u32 v[21:22], s[0:1], s30, v5, 0
	v_lshlrev_b32_e32 v6, 2, v39
	s_add_u32 s2, s33, -1
	v_and_b32_e32 v40, 0x100, v6
	s_addc_u32 s1, 0, -1
	v_or_b32_e32 v6, 16, v43
	v_not_b32_e32 v42, v4
	v_writelane_b32 v60, s2, 18
	s_add_u32 s0, s2, s24
	v_mov_b32_e32 v4, v22
	v_mad_u64_u32 v[22:23], s[2:3], s30, v6, 0
	v_or_b32_e32 v7, 8, v43
	v_mad_u64_u32 v[24:25], s[2:3], s30, v7, 0
	s_addc_u32 s51, s1, s25
	v_mad_u64_u32 v[4:5], s[2:3], s31, v5, v[4:5]
	v_mov_b32_e32 v5, v23
	s_cmp_lt_u32 s6, s14
	v_writelane_b32 v60, s1, 19
	v_mad_u64_u32 v[5:6], s[2:3], s31, v6, v[5:6]
	s_cselect_b32 s1, 12, 18
	v_mov_b32_e32 v6, v25
	s_add_u32 s52, s12, s1
	v_mad_u64_u32 v[6:7], s[2:3], s31, v7, v[6:7]
	s_addc_u32 s53, s13, 0
	s_add_i32 s1, s7, -1
	s_bfe_u32 s2, s33, 0x30006
	s_and_b32 s1, s1, 0xffff
	s_cmp_gt_u32 s1, 6
	s_cselect_b64 s[8:9], -1, 0
	v_writelane_b32 v60, s8, 20
	s_and_b32 s1, s7, 0x3f8
	v_writelane_b32 v60, s9, 21
	s_cmp_lg_u32 s2, 0
	v_writelane_b32 v60, s2, 22
	s_cselect_b64 s[2:3], -1, 0
	v_writelane_b32 v60, s2, 23
	v_lshrrev_b32_e32 v7, 1, v0
	v_writelane_b32 v60, s3, 24
	v_lshlrev_b64 v[25:26], 5, v[2:3]
	v_mov_b32_e32 v2, s25
	v_add_co_u32_e32 v47, vcc, s24, v0
	s_mul_i32 s2, s31, s33
	s_mul_hi_u32 s3, s30, s33
	v_and_b32_e32 v7, 0x1e0, v7
	v_mov_b32_e32 v45, v5
	v_mov_b32_e32 v46, v6
	v_addc_co_u32_e32 v48, vcc, 0, v2, vcc
	v_mov_b32_e32 v2, 0xc00
	s_add_i32 s3, s3, s2
	s_mul_i32 s2, s30, s33
	v_lshlrev_b32_e32 v50, 3, v0
	v_mov_b32_e32 v32, s27
	v_mov_b32_e32 v27, 0
	;; [unrolled: 1-line block ×4, first 2 shown]
	s_mov_b32 s45, 0
	v_cmp_eq_u32_e64 s[4:5], 0, v39
	v_cmp_gt_u32_e64 s[18:19], 2, v0
	v_lshlrev_b32_e32 v19, 2, v0
	v_mov_b32_e32 v20, v18
	v_or_b32_e32 v23, 0xc00, v7
	s_lshl_b64 s[58:59], s[30:31], 3
	v_mov_b32_e32 v44, v4
	s_lshl_b64 s[60:61], s[30:31], 5
	v_lshl_or_b32 v49, v39, 3, v2
	s_lshl_b64 s[40:41], s[2:3], 3
	s_lshl_b32 s8, s33, 3
	s_mov_b32 s9, 62
	s_mov_b64 s[62:63], 0
	s_mov_b32 s48, 0
	v_add_u32_e32 v51, 0xc00, v50
	v_mov_b32_e32 v31, s26
	v_mov_b32_e32 v28, 0
	;; [unrolled: 1-line block ×5, first 2 shown]
	v_writelane_b32 v60, s94, 25
                                        ; implicit-def: $sgpr64_sgpr65
                                        ; implicit-def: $sgpr68_sgpr69
                                        ; implicit-def: $sgpr66_sgpr67
                                        ; implicit-def: $sgpr72_sgpr73
                                        ; implicit-def: $sgpr74_sgpr75
                                        ; implicit-def: $sgpr70_sgpr71
	v_writelane_b32 v60, s95, 26
	s_branch .LBB28_7
.LBB28_4:                               ;   in Loop: Header=BB28_7 Depth=1
	s_or_b64 exec, exec, s[12:13]
	s_and_b64 s[12:13], s[2:3], exec
	s_andn2_b64 s[78:79], s[78:79], exec
	s_andn2_b64 s[6:7], s[6:7], exec
	s_orn2_b64 s[20:21], s[14:15], exec
.LBB28_5:                               ;   in Loop: Header=BB28_7 Depth=1
	s_or_b64 exec, exec, s[10:11]
	s_andn2_b64 s[2:3], s[70:71], exec
	s_and_b64 s[10:11], s[12:13], exec
	s_or_b64 s[70:71], s[2:3], s[10:11]
	s_andn2_b64 s[2:3], s[74:75], exec
	s_and_b64 s[10:11], s[78:79], exec
	s_or_b64 s[74:75], s[2:3], s[10:11]
	;; [unrolled: 3-line block ×3, first 2 shown]
	s_orn2_b64 s[6:7], s[20:21], exec
.LBB28_6:                               ;   in Loop: Header=BB28_7 Depth=1
	s_or_b64 exec, exec, s[16:17]
	s_and_b64 s[2:3], exec, s[6:7]
	s_or_b64 s[62:63], s[2:3], s[62:63]
	s_andn2_b64 s[2:3], s[66:67], exec
	s_and_b64 s[6:7], s[70:71], exec
	s_or_b64 s[66:67], s[2:3], s[6:7]
	s_andn2_b64 s[2:3], s[68:69], exec
	s_and_b64 s[6:7], s[74:75], exec
	;; [unrolled: 3-line block ×3, first 2 shown]
	v_mov_b32_e32 v32, v12
	s_or_b64 s[64:65], s[2:3], s[6:7]
	v_mov_b32_e32 v31, v11
	s_andn2_b64 exec, exec, s[62:63]
	s_cbranch_execz .LBB28_265
.LBB28_7:                               ; =>This Loop Header: Depth=1
                                        ;     Child Loop BB28_13 Depth 2
                                        ;     Child Loop BB28_26 Depth 2
	;; [unrolled: 1-line block ×16, first 2 shown]
	ds_read_b128 v[7:10], v18 offset:5120
	s_waitcnt lgkmcnt(0)
	v_readfirstlane_b32 s21, v8
	v_readfirstlane_b32 s20, v7
	v_cmp_gt_i64_e64 s[2:3], s[20:21], 0
	s_and_b64 vcc, exec, s[2:3]
	s_cbranch_vccnz .LBB28_34
; %bb.8:                                ;   in Loop: Header=BB28_7 Depth=1
	v_readlane_b32 s2, v60, 10
	v_readlane_b32 s3, v60, 11
	s_and_b64 vcc, exec, s[2:3]
	s_cbranch_vccz .LBB28_21
; %bb.9:                                ;   in Loop: Header=BB28_7 Depth=1
	s_mov_b64 s[2:3], 0x181
	v_cmp_gt_i64_e32 vcc, s[2:3], v[9:10]
	s_mov_b64 s[14:15], 0
	s_mov_b64 s[6:7], 0
	s_cbranch_vccz .LBB28_22
; %bb.10:                               ;   in Loop: Header=BB28_7 Depth=1
	s_mov_b64 s[16:17], exec
	v_readlane_b32 s2, v60, 12
	v_readlane_b32 s3, v60, 13
	s_and_b64 s[2:3], s[16:17], s[2:3]
	s_mov_b64 exec, s[2:3]
	s_cbranch_execz .LBB28_68
; %bb.11:                               ;   in Loop: Header=BB28_7 Depth=1
	global_load_ushort v13, v18, s[52:53]
	global_load_dwordx2 v[7:8], v[15:16], off
	v_mov_b32_e32 v3, s42
	v_mov_b32_e32 v4, s43
	s_mov_b64 s[22:23], 0
	s_waitcnt vmcnt(1)
	v_readfirstlane_b32 s2, v13
	s_and_b32 s6, 0xffff, s2
	v_add_u32_e32 v9, s6, v0
	v_mad_u64_u32 v[3:4], s[2:3], s58, v9, v[3:4]
	s_mul_i32 s7, s59, s6
	s_mul_i32 s21, s58, s6
	v_mad_u64_u32 v[9:10], s[2:3], s59, v9, v[4:5]
	s_mul_hi_u32 s2, s58, s6
	s_add_i32 s28, s2, s7
	v_mov_b32_e32 v4, v9
	v_mov_b32_e32 v10, v1
	;; [unrolled: 1-line block ×3, first 2 shown]
	s_branch .LBB28_13
.LBB28_12:                              ;   in Loop: Header=BB28_13 Depth=2
	s_or_b64 exec, exec, s[2:3]
	v_mov_b32_e32 v7, s28
	v_add_co_u32_e32 v3, vcc, s21, v3
	v_addc_co_u32_e32 v4, vcc, v4, v7, vcc
	v_mov_b32_e32 v7, v11
	v_mov_b32_e32 v8, v12
	s_andn2_b64 exec, exec, s[22:23]
	s_cbranch_execz .LBB28_68
.LBB28_13:                              ;   Parent Loop BB28_7 Depth=1
                                        ; =>  This Inner Loop Header: Depth=2
	v_add_co_u32_sdwa v9, vcc, v9, v13 dst_sel:DWORD dst_unused:UNUSED_PAD src0_sel:DWORD src1_sel:WORD_0
	v_addc_co_u32_e32 v10, vcc, 0, v10, vcc
	v_cmp_gt_i64_e64 s[6:7], s[24:25], v[9:10]
	v_cmp_le_i64_e32 vcc, s[24:25], v[9:10]
	v_mov_b32_e32 v11, 0
	v_mov_b32_e32 v12, 0
	s_and_saveexec_b64 s[2:3], s[6:7]
	s_cbranch_execz .LBB28_15
; %bb.14:                               ;   in Loop: Header=BB28_13 Depth=2
	global_load_dwordx2 v[11:12], v[3:4], off
.LBB28_15:                              ;   in Loop: Header=BB28_13 Depth=2
	s_or_b64 exec, exec, s[2:3]
	s_waitcnt vmcnt(0) lgkmcnt(0)
	v_xor_b32_e32 v14, 0x80000000, v8
	v_and_b32_e32 v34, v14, v30
	v_and_b32_e32 v33, v7, v29
	v_cmp_eq_u64_e64 s[12:13], v[33:34], v[27:28]
	v_mov_b32_e32 v14, 0
	s_cmp_lg_u64 s[12:13], 0
	s_cselect_b64 s[2:3], -1, 0
	s_and_b64 s[2:3], s[4:5], s[2:3]
	s_and_saveexec_b64 s[10:11], s[2:3]
	s_cbranch_execz .LBB28_19
; %bb.16:                               ;   in Loop: Header=BB28_13 Depth=2
	s_mov_b64 s[26:27], exec
	v_mbcnt_lo_u32_b32 v14, s26, 0
	v_mbcnt_hi_u32_b32 v14, s27, v14
	s_bcnt1_i32_b64 s29, s[12:13]
	v_cmp_eq_u32_e64 s[6:7], 0, v14
                                        ; implicit-def: $vgpr17
	s_and_saveexec_b64 s[2:3], s[6:7]
; %bb.17:                               ;   in Loop: Header=BB28_13 Depth=2
	s_bcnt1_i32_b64 s6, s[26:27]
	s_mul_i32 s6, s29, s6
	v_mov_b32_e32 v17, s6
	ds_add_rtn_u32 v17, v18, v17 offset:5136
; %bb.18:                               ;   in Loop: Header=BB28_13 Depth=2
	s_or_b64 exec, exec, s[2:3]
	s_waitcnt lgkmcnt(0)
	v_readfirstlane_b32 s2, v17
	v_mov_b32_e32 v17, s2
	v_mad_u32_u24 v14, s29, v14, v17
.LBB28_19:                              ;   in Loop: Header=BB28_13 Depth=2
	s_or_b64 exec, exec, s[10:11]
	ds_bpermute_b32 v14, v40, v14
	s_and_b64 s[2:3], exec, vcc
	s_or_b64 s[22:23], s[2:3], s[22:23]
	s_and_saveexec_b64 s[2:3], s[12:13]
	s_cbranch_execz .LBB28_12
; %bb.20:                               ;   in Loop: Header=BB28_13 Depth=2
	v_and_b32_e32 v33, s12, v42
	v_and_b32_e32 v17, s13, v41
	v_bcnt_u32_b32 v33, v33, 0
	v_bcnt_u32_b32 v17, v17, v33
	v_lshlrev_b32_e32 v17, 3, v17
	s_waitcnt lgkmcnt(0)
	v_lshl_add_u32 v14, v14, 3, v17
	ds_write_b64 v14, v[7:8]
	s_branch .LBB28_12
.LBB28_21:                              ;   in Loop: Header=BB28_7 Depth=1
	s_mov_b64 s[14:15], -1
	s_mov_b64 s[6:7], 0
.LBB28_22:                              ;   in Loop: Header=BB28_7 Depth=1
	s_and_b64 vcc, exec, s[14:15]
	s_cbranch_vccz .LBB28_32
.LBB28_23:                              ;   in Loop: Header=BB28_7 Depth=1
	s_mov_b64 s[10:11], exec
	v_readlane_b32 s2, v60, 14
	v_readlane_b32 s3, v60, 15
	s_and_b64 s[2:3], s[10:11], s[2:3]
	s_mov_b64 exec, s[2:3]
	s_cbranch_execz .LBB28_29
; %bb.24:                               ;   in Loop: Header=BB28_7 Depth=1
	global_load_ushort v7, v18, s[52:53]
	global_load_dwordx2 v[3:4], v[15:16], off
	s_waitcnt vmcnt(1)
	v_add_u32_sdwa v17, v7, v0 dst_sel:DWORD dst_unused:UNUSED_PAD src0_sel:WORD_0 src1_sel:DWORD
	v_cmp_gt_i64_e32 vcc, s[24:25], v[17:18]
	v_readfirstlane_b32 s2, v7
	v_mov_b32_e32 v7, v0
	s_and_saveexec_b64 s[12:13], vcc
	s_cbranch_execz .LBB28_28
; %bb.25:                               ;   in Loop: Header=BB28_7 Depth=1
	v_mov_b32_e32 v7, s42
	v_mov_b32_e32 v8, s43
	v_mad_u64_u32 v[7:8], s[6:7], s58, v17, v[7:8]
	s_and_b32 s2, s2, 0xffff
	s_mul_i32 s3, s59, s2
	v_mad_u64_u32 v[8:9], s[6:7], s59, v17, v[8:9]
	s_mul_hi_u32 s6, s58, s2
	v_mov_b32_e32 v11, v17
	v_mov_b32_e32 v14, v1
	s_add_i32 s3, s6, s3
	s_mul_i32 s16, s58, s2
	s_mov_b64 s[14:15], 0
	v_mov_b32_e32 v12, v18
	v_mov_b32_e32 v13, v0
.LBB28_26:                              ;   Parent Loop BB28_7 Depth=1
                                        ; =>  This Inner Loop Header: Depth=2
	global_load_dwordx2 v[9:10], v[7:8], off
	v_mov_b32_e32 v34, v12
	v_mov_b32_e32 v33, v11
	v_lshlrev_b32_e32 v11, 3, v13
	v_mov_b32_e32 v13, s3
	v_add_co_u32_e32 v7, vcc, s16, v7
	s_waitcnt vmcnt(1)
	ds_write_b64 v11, v[3:4]
	v_add_co_u32_e64 v11, s[6:7], s2, v33
	v_addc_co_u32_e64 v12, s[6:7], 0, v34, s[6:7]
	v_addc_co_u32_e32 v8, vcc, v8, v13, vcc
	v_cmp_le_i64_e32 vcc, s[24:25], v[11:12]
	v_mov_b32_e32 v13, v33
	s_or_b64 s[14:15], vcc, s[14:15]
	v_mov_b32_e32 v14, v34
	s_waitcnt vmcnt(0)
	v_mov_b32_e32 v3, v9
	v_mov_b32_e32 v4, v10
	s_andn2_b64 exec, exec, s[14:15]
	s_cbranch_execnz .LBB28_26
; %bb.27:                               ;   in Loop: Header=BB28_7 Depth=1
	s_or_b64 exec, exec, s[14:15]
	v_mov_b32_e32 v3, v9
	v_subrev_u32_e32 v7, s2, v11
	v_mov_b32_e32 v4, v10
.LBB28_28:                              ;   in Loop: Header=BB28_7 Depth=1
	s_or_b64 exec, exec, s[12:13]
	v_lshlrev_b32_e32 v7, 3, v7
	s_waitcnt vmcnt(0)
	ds_write_b64 v7, v[3:4]
.LBB28_29:                              ;   in Loop: Header=BB28_7 Depth=1
	s_or_b64 exec, exec, s[10:11]
	s_waitcnt lgkmcnt(0)
	s_barrier
	s_and_saveexec_b64 s[2:3], s[94:95]
; %bb.30:                               ;   in Loop: Header=BB28_7 Depth=1
	v_mov_b32_e32 v3, s24
	v_mov_b32_e32 v4, s25
	ds_write_b64 v18, v[3:4] offset:5120
; %bb.31:                               ;   in Loop: Header=BB28_7 Depth=1
	s_or_b64 exec, exec, s[2:3]
	s_mov_b64 s[6:7], -1
	s_waitcnt lgkmcnt(0)
	s_barrier
.LBB28_32:                              ;   in Loop: Header=BB28_7 Depth=1
	s_and_b64 vcc, exec, s[6:7]
	s_cbranch_vccz .LBB28_34
; %bb.33:                               ;   in Loop: Header=BB28_7 Depth=1
	ds_read_b64 v[3:4], v18 offset:5120
	s_waitcnt lgkmcnt(0)
	v_readfirstlane_b32 s20, v3
.LBB28_34:                              ;   in Loop: Header=BB28_7 Depth=1
	s_cmp_lt_i32 s20, 1
	s_mov_b64 s[2:3], -1
                                        ; implicit-def: $vgpr13_vgpr14
                                        ; implicit-def: $vgpr9_vgpr10
	s_cbranch_scc1 .LBB28_44
; %bb.35:                               ;   in Loop: Header=BB28_7 Depth=1
	s_and_b64 vcc, exec, s[2:3]
	s_cbranch_vccnz .LBB28_58
.LBB28_36:                              ;   in Loop: Header=BB28_7 Depth=1
	s_lshl_b32 s10, s48, 6
	s_and_saveexec_b64 s[2:3], s[4:5]
	s_cbranch_execz .LBB28_38
.LBB28_37:                              ;   in Loop: Header=BB28_7 Depth=1
	v_lshl_add_u32 v3, s10, 3, v23
	ds_write_b128 v3, v[7:10]
	ds_write_b128 v3, v[11:14] offset:16
.LBB28_38:                              ;   in Loop: Header=BB28_7 Depth=1
	s_or_b64 exec, exec, s[2:3]
	s_waitcnt lgkmcnt(0)
	s_barrier
	s_and_saveexec_b64 s[6:7], s[46:47]
	s_cbranch_execz .LBB28_76
; %bb.39:                               ;   in Loop: Header=BB28_7 Depth=1
	v_readlane_b32 s2, v60, 16
	v_mov_b32_e32 v3, 0
	v_readlane_b32 s3, v60, 17
	v_mov_b32_e32 v4, 0
	s_andn2_b64 vcc, exec, s[2:3]
	s_cbranch_vccnz .LBB28_75
; %bb.40:                               ;   in Loop: Header=BB28_7 Depth=1
	v_readlane_b32 s2, v60, 20
	v_readlane_b32 s3, v60, 21
	s_andn2_b64 vcc, exec, s[2:3]
	s_cbranch_vccnz .LBB28_71
; %bb.41:                               ;   in Loop: Header=BB28_7 Depth=1
	v_mov_b32_e32 v3, 0
	v_lshl_add_u32 v7, s48, 9, v49
	v_mov_b32_e32 v4, 0
	s_mov_b32 s2, 0
.LBB28_42:                              ;   Parent Loop BB28_7 Depth=1
                                        ; =>  This Inner Loop Header: Depth=2
	ds_read2_b64 v[8:11], v7 offset1:4
	ds_read2_b64 v[33:36], v7 offset0:8 offset1:12
	ds_read2_b64 v[52:55], v7 offset0:16 offset1:20
	;; [unrolled: 1-line block ×3, first 2 shown]
	s_add_i32 s2, s2, 8
	s_waitcnt lgkmcnt(3)
	v_add_co_u32_e32 v3, vcc, v8, v3
	v_addc_co_u32_e32 v4, vcc, v9, v4, vcc
	v_add_co_u32_e32 v3, vcc, v10, v3
	v_addc_co_u32_e32 v4, vcc, v11, v4, vcc
	s_waitcnt lgkmcnt(2)
	v_add_co_u32_e32 v3, vcc, v33, v3
	v_addc_co_u32_e32 v4, vcc, v34, v4, vcc
	v_add_co_u32_e32 v3, vcc, v35, v3
	v_addc_co_u32_e32 v4, vcc, v36, v4, vcc
	;; [unrolled: 5-line block ×3, first 2 shown]
	s_waitcnt lgkmcnt(0)
	v_add_co_u32_e32 v3, vcc, v56, v3
	v_addc_co_u32_e32 v4, vcc, v57, v4, vcc
	v_add_co_u32_e32 v3, vcc, v58, v3
	v_add_u32_e32 v7, 0x100, v7
	s_cmp_eq_u32 s1, s2
	v_addc_co_u32_e32 v4, vcc, v59, v4, vcc
	s_cbranch_scc0 .LBB28_42
; %bb.43:                               ;   in Loop: Header=BB28_7 Depth=1
	s_mov_b32 s2, s1
	s_branch .LBB28_72
.LBB28_44:                              ;   in Loop: Header=BB28_7 Depth=1
	global_load_ushort v3, v18, s[52:53]
	s_mov_b32 s2, s45
	s_waitcnt vmcnt(0)
	v_readfirstlane_b32 s3, v3
	s_and_b32 s10, s3, 0xffff
	s_lshl_b32 s11, s10, 2
	s_mov_b32 s3, s25
	s_cmp_lg_u64 s[2:3], 0
	s_cbranch_scc0 .LBB28_67
; %bb.45:                               ;   in Loop: Header=BB28_7 Depth=1
	s_add_u32 s2, s11, 0
	s_addc_u32 s3, 0, 0
	s_xor_b64 s[6:7], s[2:3], 0
	v_cvt_f32_u32_e32 v3, s6
	v_cvt_f32_u32_e32 v4, s7
	s_sub_u32 s12, 0, s6
	s_subb_u32 s13, 0, s7
	v_mac_f32_e32 v3, 0x4f800000, v4
	v_rcp_f32_e32 v3, v3
	v_mul_f32_e32 v3, 0x5f7ffffc, v3
	v_mul_f32_e32 v4, 0x2f800000, v3
	v_trunc_f32_e32 v4, v4
	v_mac_f32_e32 v3, 0xcf800000, v4
	v_cvt_u32_f32_e32 v4, v4
	v_cvt_u32_f32_e32 v3, v3
	v_readfirstlane_b32 s14, v4
	v_readfirstlane_b32 s2, v3
	s_mul_i32 s3, s12, s14
	s_mul_hi_u32 s16, s12, s2
	s_mul_i32 s15, s13, s2
	s_add_i32 s3, s16, s3
	s_mul_i32 s17, s12, s2
	s_add_i32 s3, s3, s15
	s_mul_i32 s16, s2, s3
	s_mul_hi_u32 s21, s2, s17
	s_mul_hi_u32 s15, s2, s3
	s_add_u32 s16, s21, s16
	s_addc_u32 s15, 0, s15
	s_mul_hi_u32 s22, s14, s17
	s_mul_i32 s17, s14, s17
	s_add_u32 s16, s16, s17
	s_mul_hi_u32 s21, s14, s3
	s_addc_u32 s15, s15, s22
	s_addc_u32 s16, s21, 0
	s_mul_i32 s3, s14, s3
	s_add_u32 s3, s15, s3
	s_addc_u32 s15, 0, s16
	s_add_u32 s16, s2, s3
	s_cselect_b64 s[2:3], -1, 0
	s_cmp_lg_u64 s[2:3], 0
	s_addc_u32 s14, s14, s15
	s_mul_i32 s2, s12, s14
	s_mul_hi_u32 s3, s12, s16
	s_add_i32 s2, s3, s2
	s_mul_i32 s13, s13, s16
	s_add_i32 s2, s2, s13
	s_mul_i32 s12, s12, s16
	s_mul_hi_u32 s13, s14, s12
	s_mul_i32 s15, s14, s12
	s_mul_i32 s21, s16, s2
	s_mul_hi_u32 s12, s16, s12
	s_mul_hi_u32 s17, s16, s2
	s_add_u32 s12, s12, s21
	s_addc_u32 s17, 0, s17
	s_add_u32 s12, s12, s15
	s_mul_hi_u32 s3, s14, s2
	s_addc_u32 s12, s17, s13
	s_addc_u32 s3, s3, 0
	s_mul_i32 s2, s14, s2
	s_add_u32 s2, s12, s2
	s_addc_u32 s12, 0, s3
	s_add_u32 s15, s16, s2
	s_cselect_b64 s[2:3], -1, 0
	s_cmp_lg_u64 s[2:3], 0
	s_addc_u32 s14, s14, s12
	s_ashr_i32 s2, s25, 31
	s_add_u32 s12, s24, s2
	s_mov_b32 s3, s2
	s_addc_u32 s13, s25, s2
	s_xor_b64 s[12:13], s[12:13], s[2:3]
	s_mul_i32 s17, s12, s14
	s_mul_hi_u32 s21, s12, s15
	s_mul_hi_u32 s16, s12, s14
	s_add_u32 s17, s21, s17
	s_addc_u32 s16, 0, s16
	s_mul_hi_u32 s22, s13, s15
	s_mul_i32 s15, s13, s15
	s_add_u32 s15, s17, s15
	s_mul_hi_u32 s21, s13, s14
	s_addc_u32 s15, s16, s22
	s_addc_u32 s16, s21, 0
	s_mul_i32 s14, s13, s14
	s_add_u32 s14, s15, s14
	s_addc_u32 s15, 0, s16
	s_mul_i32 s15, s6, s15
	s_mul_hi_u32 s16, s6, s14
	s_add_i32 s15, s16, s15
	s_mul_i32 s16, s7, s14
	s_add_i32 s21, s15, s16
	s_sub_i32 s16, s13, s21
	s_mul_i32 s14, s6, s14
	s_sub_u32 s12, s12, s14
	s_cselect_b64 s[14:15], -1, 0
	s_cmp_lg_u64 s[14:15], 0
	s_subb_u32 s22, s16, s7
	s_sub_u32 s23, s12, s6
	s_cselect_b64 s[16:17], -1, 0
	s_cmp_lg_u64 s[16:17], 0
	s_subb_u32 s26, s22, 0
	s_cmp_ge_u32 s26, s7
	s_cselect_b32 s27, -1, 0
	s_cmp_ge_u32 s23, s6
	s_cselect_b32 s28, -1, 0
	s_cmp_eq_u32 s26, s7
	s_cselect_b32 s27, s28, s27
	s_cmp_lg_u64 s[16:17], 0
	s_subb_u32 s22, s22, s7
	s_sub_u32 s28, s23, s6
	s_cselect_b64 s[16:17], -1, 0
	s_cmp_lg_u64 s[16:17], 0
	s_subb_u32 s16, s22, 0
	s_cmp_lg_u32 s27, 0
	s_cselect_b32 s17, s28, s23
	s_cselect_b32 s16, s16, s26
	s_cmp_lg_u64 s[14:15], 0
	s_subb_u32 s13, s13, s21
	s_cmp_ge_u32 s13, s7
	s_cselect_b32 s14, -1, 0
	s_cmp_ge_u32 s12, s6
	s_cselect_b32 s6, -1, 0
	s_cmp_eq_u32 s13, s7
	s_cselect_b32 s6, s6, s14
	s_cmp_lg_u32 s6, 0
	s_cselect_b32 s7, s16, s13
	s_cselect_b32 s6, s17, s12
	s_xor_b64 s[6:7], s[6:7], s[2:3]
	s_sub_u32 s26, s6, s2
	s_subb_u32 s27, s7, s2
	s_cbranch_execnz .LBB28_47
.LBB28_46:                              ;   in Loop: Header=BB28_7 Depth=1
	v_cvt_f32_u32_e32 v3, s11
	s_sub_i32 s2, 0, s11
	v_rcp_iflag_f32_e32 v3, v3
	v_mul_f32_e32 v3, 0x4f7ffffe, v3
	v_cvt_u32_f32_e32 v3, v3
	v_readfirstlane_b32 s3, v3
	s_mul_i32 s2, s2, s3
	s_mul_hi_u32 s2, s3, s2
	s_add_i32 s3, s3, s2
	s_mul_hi_u32 s2, s24, s3
	s_mul_i32 s2, s2, s11
	s_sub_i32 s2, s24, s2
	s_sub_i32 s3, s2, s11
	s_cmp_ge_u32 s2, s11
	s_cselect_b32 s2, s3, s2
	s_sub_i32 s3, s2, s11
	s_cmp_ge_u32 s2, s11
	s_cselect_b32 s44, s3, s2
	s_mov_b64 s[26:27], s[44:45]
.LBB28_47:                              ;   in Loop: Header=BB28_7 Depth=1
	s_sub_u32 s76, s24, s26
	s_subb_u32 s77, s25, s27
	v_cmp_gt_i64_e32 vcc, s[76:77], v[19:20]
	v_mov_b32_e32 v7, 0
	v_mov_b32_e32 v9, 0
	;; [unrolled: 1-line block ×8, first 2 shown]
	s_and_saveexec_b64 s[78:79], vcc
	s_cbranch_execz .LBB28_51
; %bb.48:                               ;   in Loop: Header=BB28_7 Depth=1
	s_mul_i32 s2, s61, s10
	s_mul_hi_u32 s3, s60, s10
	v_mov_b32_e32 v3, v19
	s_add_i32 s2, s3, s2
	s_mov_b64 s[80:81], 0
	s_mov_b64 s[82:83], s[42:43]
	s_mov_b64 s[84:85], 0
	s_mov_b64 s[86:87], 0
	s_mov_b64 s[88:89], 0
	s_mov_b64 s[90:91], 0
	v_mov_b32_e32 v4, v20
.LBB28_49:                              ;   Parent Loop BB28_7 Depth=1
                                        ; =>  This Inner Loop Header: Depth=2
	v_add_co_u32_e32 v7, vcc, s82, v25
	v_mov_b32_e32 v12, s83
	v_addc_co_u32_e32 v8, vcc, v12, v26, vcc
	global_load_dwordx2 v[7:8], v[7:8], off
	v_add_co_u32_e32 v9, vcc, s82, v24
	v_addc_co_u32_e32 v10, vcc, v12, v46, vcc
	global_load_dwordx2 v[13:14], v[9:10], off
	v_add_co_u32_e32 v9, vcc, s82, v22
	;; [unrolled: 3-line block ×3, first 2 shown]
	v_addc_co_u32_e32 v12, vcc, v12, v44, vcc
	global_load_dwordx2 v[11:12], v[11:12], off
	s_waitcnt vmcnt(3)
	v_xor_b32_e32 v8, 0x80000000, v8
	v_and_b32_e32 v34, v8, v30
	v_and_b32_e32 v33, v7, v29
	v_lshrrev_b64 v[7:8], s9, v[7:8]
	v_cmp_eq_u64_e32 vcc, v[33:34], v[27:28]
	s_waitcnt vmcnt(2)
	v_xor_b32_e32 v14, 0x80000000, v14
	v_and_b32_e32 v17, 3, v7
	v_lshrrev_b64 v[7:8], s9, v[13:14]
	v_and_b32_e32 v34, v14, v30
	v_and_b32_e32 v33, v13, v29
	s_waitcnt vmcnt(1)
	v_xor_b32_e32 v10, 0x80000000, v10
	v_cmp_eq_u64_e64 s[6:7], 0, v[17:18]
	v_cmp_eq_u64_e64 s[12:13], v[33:34], v[27:28]
	v_and_b32_e32 v34, v10, v30
	v_and_b32_e32 v33, v9, v29
	;; [unrolled: 1-line block ×3, first 2 shown]
	v_mov_b32_e32 v8, v18
	v_lshrrev_b64 v[9:10], s9, v[9:10]
	s_waitcnt vmcnt(0)
	v_xor_b32_e32 v12, 0x80000000, v12
	s_and_b64 s[22:23], vcc, s[6:7]
	v_cmp_eq_u64_e64 s[6:7], 0, v[7:8]
	v_cmp_eq_u64_e64 s[14:15], v[33:34], v[27:28]
	v_and_b32_e32 v34, v12, v30
	v_and_b32_e32 v33, v11, v29
	;; [unrolled: 1-line block ×3, first 2 shown]
	v_mov_b32_e32 v10, v18
	v_lshrrev_b64 v[11:12], s9, v[11:12]
	s_and_b64 s[28:29], s[12:13], s[6:7]
	v_cmp_eq_u64_e64 s[6:7], 0, v[9:10]
	v_and_b32_e32 v11, 3, v11
	v_mov_b32_e32 v12, v18
	v_cmp_eq_u64_e64 s[16:17], v[33:34], v[27:28]
	s_and_b64 s[34:35], s[14:15], s[6:7]
	v_cmp_eq_u64_e64 s[6:7], 0, v[11:12]
	v_cndmask_b32_e64 v13, 0, 1, s[22:23]
	s_and_b64 s[36:37], s[16:17], s[6:7]
	v_cmp_ne_u32_e64 s[6:7], 0, v13
	v_cndmask_b32_e64 v13, 0, 1, s[28:29]
	s_bcnt1_i32_b64 s3, s[6:7]
	v_cmp_ne_u32_e64 s[6:7], 0, v13
	v_cndmask_b32_e64 v13, 0, 1, s[34:35]
	s_bcnt1_i32_b64 s21, s[6:7]
	;; [unrolled: 3-line block ×3, first 2 shown]
	v_cmp_ne_u32_e64 s[6:7], 0, v13
	s_bcnt1_i32_b64 s6, s[6:7]
	s_add_u32 s3, s3, s90
	s_addc_u32 s7, 0, s91
	s_add_u32 s3, s3, s21
	s_addc_u32 s7, s7, 0
	s_add_u32 s3, s3, s22
	s_addc_u32 s7, s7, 0
	s_add_u32 s90, s3, s6
	s_addc_u32 s91, s7, 0
	v_cmp_eq_u64_e64 s[6:7], 1, v[17:18]
	s_and_b64 s[22:23], vcc, s[6:7]
	v_cmp_eq_u64_e64 s[6:7], 1, v[7:8]
	v_cndmask_b32_e64 v13, 0, 1, s[22:23]
	s_and_b64 s[28:29], s[12:13], s[6:7]
	v_cmp_eq_u64_e64 s[6:7], 1, v[9:10]
	s_and_b64 s[34:35], s[14:15], s[6:7]
	v_cmp_eq_u64_e64 s[6:7], 1, v[11:12]
	s_and_b64 s[36:37], s[16:17], s[6:7]
	v_cmp_ne_u32_e64 s[6:7], 0, v13
	v_cndmask_b32_e64 v13, 0, 1, s[28:29]
	s_bcnt1_i32_b64 s3, s[6:7]
	v_cmp_ne_u32_e64 s[6:7], 0, v13
	v_cndmask_b32_e64 v13, 0, 1, s[34:35]
	s_bcnt1_i32_b64 s21, s[6:7]
	;; [unrolled: 3-line block ×3, first 2 shown]
	v_cmp_ne_u32_e64 s[6:7], 0, v13
	s_bcnt1_i32_b64 s6, s[6:7]
	s_add_u32 s3, s3, s88
	s_addc_u32 s7, 0, s89
	s_add_u32 s3, s3, s21
	s_addc_u32 s7, s7, 0
	;; [unrolled: 2-line block ×4, first 2 shown]
	v_cmp_eq_u64_e64 s[6:7], 2, v[17:18]
	s_and_b64 s[22:23], vcc, s[6:7]
	v_cmp_eq_u64_e64 s[6:7], 2, v[7:8]
	v_cndmask_b32_e64 v13, 0, 1, s[22:23]
	s_and_b64 s[28:29], s[12:13], s[6:7]
	v_cmp_eq_u64_e64 s[6:7], 2, v[9:10]
	s_and_b64 s[34:35], s[14:15], s[6:7]
	v_cmp_eq_u64_e64 s[6:7], 2, v[11:12]
	s_and_b64 s[36:37], s[16:17], s[6:7]
	v_cmp_ne_u32_e64 s[6:7], 0, v13
	v_cndmask_b32_e64 v13, 0, 1, s[28:29]
	s_bcnt1_i32_b64 s3, s[6:7]
	v_cmp_ne_u32_e64 s[6:7], 0, v13
	v_cndmask_b32_e64 v13, 0, 1, s[34:35]
	s_bcnt1_i32_b64 s21, s[6:7]
	;; [unrolled: 3-line block ×3, first 2 shown]
	v_cmp_ne_u32_e64 s[6:7], 0, v13
	s_bcnt1_i32_b64 s6, s[6:7]
	s_add_u32 s3, s3, s86
	s_addc_u32 s7, 0, s87
	s_add_u32 s3, s3, s21
	s_addc_u32 s7, s7, 0
	;; [unrolled: 2-line block ×4, first 2 shown]
	v_cmp_eq_u64_e64 s[6:7], 3, v[17:18]
	s_and_b64 s[6:7], vcc, s[6:7]
	v_cmp_eq_u64_e32 vcc, 3, v[7:8]
	v_cndmask_b32_e64 v7, 0, 1, s[6:7]
	s_and_b64 s[12:13], s[12:13], vcc
	v_cmp_eq_u64_e32 vcc, 3, v[9:10]
	v_mov_b32_e32 v9, s88
	s_and_b64 s[14:15], s[14:15], vcc
	v_cmp_eq_u64_e32 vcc, 3, v[11:12]
	v_mov_b32_e32 v11, s86
	s_and_b64 s[16:17], s[16:17], vcc
	v_cmp_ne_u32_e32 vcc, 0, v7
	v_cndmask_b32_e64 v7, 0, 1, s[12:13]
	s_bcnt1_i32_b64 s3, vcc
	v_cmp_ne_u32_e32 vcc, 0, v7
	v_cndmask_b32_e64 v7, 0, 1, s[14:15]
	s_bcnt1_i32_b64 s6, vcc
	;; [unrolled: 3-line block ×3, first 2 shown]
	v_cmp_ne_u32_e32 vcc, 0, v7
	s_bcnt1_i32_b64 s12, vcc
	s_add_u32 s3, s3, s84
	s_addc_u32 s13, 0, s85
	s_add_u32 s3, s3, s6
	s_addc_u32 s6, s13, 0
	;; [unrolled: 2-line block ×3, first 2 shown]
	s_add_u32 s84, s3, s12
	v_add_co_u32_e32 v3, vcc, s11, v3
	s_addc_u32 s85, s6, 0
	v_addc_co_u32_e32 v4, vcc, 0, v4, vcc
	s_mul_i32 s3, s60, s10
	s_add_u32 s82, s82, s3
	v_cmp_le_i64_e32 vcc, s[76:77], v[3:4]
	s_addc_u32 s83, s83, s2
	v_mov_b32_e32 v7, s90
	v_mov_b32_e32 v13, s84
	s_or_b64 s[80:81], vcc, s[80:81]
	v_mov_b32_e32 v8, s91
	v_mov_b32_e32 v10, s89
	;; [unrolled: 1-line block ×4, first 2 shown]
	s_andn2_b64 exec, exec, s[80:81]
	s_cbranch_execnz .LBB28_49
; %bb.50:                               ;   in Loop: Header=BB28_7 Depth=1
	s_or_b64 exec, exec, s[80:81]
.LBB28_51:                              ;   in Loop: Header=BB28_7 Depth=1
	s_or_b64 exec, exec, s[78:79]
	v_mov_b32_e32 v4, s77
	v_add_co_u32_e32 v3, vcc, s76, v0
	v_addc_co_u32_e32 v4, vcc, 0, v4, vcc
	v_cmp_gt_i64_e32 vcc, s[24:25], v[3:4]
	s_and_saveexec_b64 s[14:15], vcc
	s_cbranch_execz .LBB28_57
; %bb.52:                               ;   in Loop: Header=BB28_7 Depth=1
	v_mul_lo_u32 v17, v4, s30
	v_mul_lo_u32 v35, v3, s31
	v_mad_u64_u32 v[33:34], s[2:3], v3, s30, 0
	s_mul_i32 s21, s58, s10
	s_mov_b64 s[16:17], 0
	v_add3_u32 v34, v34, v35, v17
	v_lshlrev_b64 v[33:34], 3, v[33:34]
	v_mov_b32_e32 v17, s43
	v_add_co_u32_e32 v33, vcc, s42, v33
	v_addc_co_u32_e32 v34, vcc, v17, v34, vcc
	global_load_dwordx2 v[37:38], v[33:34], off
	v_add_co_u32_e32 v17, vcc, s10, v47
	v_addc_co_u32_e32 v33, vcc, 0, v48, vcc
	v_mov_b32_e32 v34, s27
	v_subrev_co_u32_e32 v17, vcc, s26, v17
	v_subb_co_u32_e32 v33, vcc, v33, v34, vcc
	v_mul_lo_u32 v35, s58, v33
	v_mov_b32_e32 v33, s42
	v_mov_b32_e32 v34, s43
	v_mul_lo_u32 v36, s59, v17
	v_mad_u64_u32 v[33:34], s[2:3], s58, v17, v[33:34]
	s_mul_i32 s2, s59, s10
	s_mul_hi_u32 s3, s58, s10
	v_add3_u32 v34, v36, v34, v35
	s_add_i32 s11, s3, s2
	s_branch .LBB28_54
.LBB28_53:                              ;   in Loop: Header=BB28_54 Depth=2
	s_or_b64 exec, exec, s[2:3]
	s_waitcnt vmcnt(0)
	v_xor_b32_e32 v38, 0x80000000, v38
	v_and_b32_e32 v53, v38, v30
	v_and_b32_e32 v52, v37, v29
	v_lshrrev_b64 v[37:38], s9, v[37:38]
	s_and_b64 s[2:3], exec, vcc
	v_and_b32_e32 v17, 3, v37
	v_cmp_eq_u64_e32 vcc, v[52:53], v[27:28]
	v_cmp_eq_u64_e64 s[6:7], 0, v[17:18]
	s_or_b64 s[16:17], s[2:3], s[16:17]
	s_and_b64 s[2:3], vcc, s[6:7]
	v_cndmask_b32_e64 v37, 0, 1, s[2:3]
	v_cmp_ne_u32_e64 s[6:7], 0, v37
	s_bcnt1_i32_b64 s2, s[6:7]
	v_cmp_eq_u64_e64 s[6:7], 1, v[17:18]
	v_add_co_u32_e64 v7, s[12:13], s2, v7
	s_and_b64 s[2:3], vcc, s[6:7]
	v_cndmask_b32_e64 v37, 0, 1, s[2:3]
	v_cmp_ne_u32_e64 s[6:7], 0, v37
	s_bcnt1_i32_b64 s2, s[6:7]
	v_cmp_eq_u64_e64 s[6:7], 2, v[17:18]
	v_addc_co_u32_e64 v8, s[12:13], 0, v8, s[12:13]
	v_add_co_u32_e64 v9, s[12:13], s2, v9
	s_and_b64 s[2:3], vcc, s[6:7]
	v_cndmask_b32_e64 v37, 0, 1, s[2:3]
	v_cmp_ne_u32_e64 s[6:7], 0, v37
	s_bcnt1_i32_b64 s2, s[6:7]
	v_cmp_eq_u64_e64 s[6:7], 3, v[17:18]
	v_addc_co_u32_e64 v10, s[12:13], 0, v10, s[12:13]
	v_add_co_u32_e64 v11, s[12:13], s2, v11
	s_and_b64 s[2:3], vcc, s[6:7]
	v_cndmask_b32_e64 v17, 0, 1, s[2:3]
	v_cmp_ne_u32_e32 vcc, 0, v17
	s_bcnt1_i32_b64 s2, vcc
	v_add_co_u32_e32 v13, vcc, s2, v13
	v_addc_co_u32_e32 v14, vcc, 0, v14, vcc
	v_mov_b32_e32 v17, s11
	v_add_co_u32_e32 v33, vcc, s21, v33
	v_mov_b32_e32 v38, v36
	v_addc_co_u32_e64 v12, s[12:13], 0, v12, s[12:13]
	v_addc_co_u32_e32 v34, vcc, v34, v17, vcc
	v_mov_b32_e32 v37, v35
	s_andn2_b64 exec, exec, s[16:17]
	s_cbranch_execz .LBB28_56
.LBB28_54:                              ;   Parent Loop BB28_7 Depth=1
                                        ; =>  This Inner Loop Header: Depth=2
	v_add_co_u32_e32 v3, vcc, s10, v3
	v_addc_co_u32_e32 v4, vcc, 0, v4, vcc
	v_cmp_gt_i64_e64 s[6:7], s[24:25], v[3:4]
	v_cmp_le_i64_e32 vcc, s[24:25], v[3:4]
	v_mov_b32_e32 v35, 0
	v_mov_b32_e32 v36, 0
	s_and_saveexec_b64 s[2:3], s[6:7]
	s_cbranch_execz .LBB28_53
; %bb.55:                               ;   in Loop: Header=BB28_54 Depth=2
	global_load_dwordx2 v[35:36], v[33:34], off
	s_branch .LBB28_53
.LBB28_56:                              ;   in Loop: Header=BB28_7 Depth=1
	s_or_b64 exec, exec, s[16:17]
.LBB28_57:                              ;   in Loop: Header=BB28_7 Depth=1
	s_or_b64 exec, exec, s[14:15]
	s_branch .LBB28_36
.LBB28_58:                              ;   in Loop: Header=BB28_7 Depth=1
	global_load_ushort v33, v18, s[52:53]
	v_mov_b32_e32 v7, 0
	v_mov_b32_e32 v9, 0
	;; [unrolled: 1-line block ×8, first 2 shown]
	s_waitcnt vmcnt(0)
	v_readfirstlane_b32 s2, v33
	s_and_b32 s2, 0xffff, s2
	s_lshl_b32 s3, s2, 2
	v_cvt_f32_u32_e32 v3, s3
	s_sub_i32 s6, 0, s3
	v_rcp_iflag_f32_e32 v3, v3
	v_mul_f32_e32 v3, 0x4f7ffffe, v3
	v_cvt_u32_f32_e32 v3, v3
	v_readfirstlane_b32 s7, v3
	s_mul_i32 s6, s6, s7
	s_mul_hi_u32 s6, s7, s6
	s_add_i32 s7, s7, s6
	s_mul_hi_u32 s6, s20, s7
	s_mul_i32 s7, s6, s3
	s_sub_i32 s7, s20, s7
	s_add_i32 s10, s6, 1
	s_sub_i32 s11, s7, s3
	s_cmp_ge_u32 s7, s3
	s_cselect_b32 s6, s10, s6
	s_cselect_b32 s7, s11, s7
	s_add_i32 s10, s6, 1
	s_cmp_ge_u32 s7, s3
	s_cselect_b32 s6, s10, s6
	s_mul_hi_u32 s27, s2, s6
	s_mul_i32 s26, s2, s6
	s_lshl_b64 s[76:77], s[26:27], 2
	v_cmp_gt_u64_e32 vcc, s[76:77], v[19:20]
	s_and_saveexec_b64 s[78:79], vcc
	s_cbranch_execz .LBB28_62
; %bb.59:                               ;   in Loop: Header=BB28_7 Depth=1
	v_mov_b32_e32 v3, v19
	s_lshl_b32 s10, s2, 5
	s_mov_b64 s[80:81], 0
	v_mov_b32_e32 v34, v43
	s_mov_b64 s[82:83], 0
	s_mov_b64 s[84:85], 0
	;; [unrolled: 1-line block ×4, first 2 shown]
	v_mov_b32_e32 v4, v20
.LBB28_60:                              ;   Parent Loop BB28_7 Depth=1
                                        ; =>  This Inner Loop Header: Depth=2
	ds_read_b128 v[11:14], v34
	ds_read_b128 v[7:10], v34 offset:16
	v_add_u32_e32 v34, s10, v34
	s_waitcnt lgkmcnt(1)
	v_xor_b32_e32 v12, 0x80000000, v12
	v_and_b32_e32 v36, v12, v30
	v_and_b32_e32 v35, v11, v29
	v_lshrrev_b64 v[11:12], s9, v[11:12]
	v_xor_b32_e32 v14, 0x80000000, v14
	v_and_b32_e32 v17, 3, v11
	v_lshrrev_b64 v[11:12], s9, v[13:14]
	s_waitcnt lgkmcnt(0)
	v_xor_b32_e32 v8, 0x80000000, v8
	v_cmp_eq_u64_e32 vcc, v[35:36], v[27:28]
	v_and_b32_e32 v36, v14, v30
	v_and_b32_e32 v35, v13, v29
	v_cmp_eq_u64_e64 s[6:7], 0, v[17:18]
	v_cmp_eq_u64_e64 s[12:13], v[35:36], v[27:28]
	v_and_b32_e32 v36, v8, v30
	v_and_b32_e32 v35, v7, v29
	;; [unrolled: 1-line block ×3, first 2 shown]
	v_mov_b32_e32 v12, v18
	v_lshrrev_b64 v[7:8], s9, v[7:8]
	v_xor_b32_e32 v10, 0x80000000, v10
	s_and_b64 s[22:23], vcc, s[6:7]
	v_cmp_eq_u64_e64 s[6:7], 0, v[11:12]
	v_cmp_eq_u64_e64 s[14:15], v[35:36], v[27:28]
	v_and_b32_e32 v36, v10, v30
	v_and_b32_e32 v35, v9, v29
	v_and_b32_e32 v7, 3, v7
	v_mov_b32_e32 v8, v18
	v_lshrrev_b64 v[9:10], s9, v[9:10]
	s_and_b64 s[28:29], s[12:13], s[6:7]
	v_cmp_eq_u64_e64 s[6:7], 0, v[7:8]
	v_and_b32_e32 v9, 3, v9
	v_mov_b32_e32 v10, v18
	v_cmp_eq_u64_e64 s[16:17], v[35:36], v[27:28]
	s_and_b64 s[34:35], s[14:15], s[6:7]
	v_cmp_eq_u64_e64 s[6:7], 0, v[9:10]
	v_cndmask_b32_e64 v13, 0, 1, s[22:23]
	s_and_b64 s[36:37], s[16:17], s[6:7]
	v_cmp_ne_u32_e64 s[6:7], 0, v13
	v_cndmask_b32_e64 v13, 0, 1, s[28:29]
	s_bcnt1_i32_b64 s11, s[6:7]
	v_cmp_ne_u32_e64 s[6:7], 0, v13
	v_cndmask_b32_e64 v13, 0, 1, s[34:35]
	s_bcnt1_i32_b64 s21, s[6:7]
	;; [unrolled: 3-line block ×3, first 2 shown]
	v_cmp_ne_u32_e64 s[6:7], 0, v13
	s_bcnt1_i32_b64 s6, s[6:7]
	s_add_u32 s7, s11, s88
	s_addc_u32 s11, 0, s89
	s_add_u32 s7, s7, s21
	s_addc_u32 s11, s11, 0
	;; [unrolled: 2-line block ×3, first 2 shown]
	s_add_u32 s88, s7, s6
	v_cmp_eq_u64_e64 s[6:7], 1, v[17:18]
	s_addc_u32 s89, s11, 0
	s_and_b64 s[22:23], vcc, s[6:7]
	v_cmp_eq_u64_e64 s[6:7], 1, v[11:12]
	v_cndmask_b32_e64 v13, 0, 1, s[22:23]
	s_and_b64 s[28:29], s[12:13], s[6:7]
	v_cmp_eq_u64_e64 s[6:7], 1, v[7:8]
	s_and_b64 s[34:35], s[14:15], s[6:7]
	v_cmp_eq_u64_e64 s[6:7], 1, v[9:10]
	s_and_b64 s[36:37], s[16:17], s[6:7]
	v_cmp_ne_u32_e64 s[6:7], 0, v13
	v_cndmask_b32_e64 v13, 0, 1, s[28:29]
	s_bcnt1_i32_b64 s11, s[6:7]
	v_cmp_ne_u32_e64 s[6:7], 0, v13
	v_cndmask_b32_e64 v13, 0, 1, s[34:35]
	s_bcnt1_i32_b64 s21, s[6:7]
	;; [unrolled: 3-line block ×3, first 2 shown]
	v_cmp_ne_u32_e64 s[6:7], 0, v13
	s_bcnt1_i32_b64 s6, s[6:7]
	s_add_u32 s7, s11, s86
	s_addc_u32 s11, 0, s87
	s_add_u32 s7, s7, s21
	s_addc_u32 s11, s11, 0
	;; [unrolled: 2-line block ×3, first 2 shown]
	s_add_u32 s86, s7, s6
	v_cmp_eq_u64_e64 s[6:7], 2, v[17:18]
	s_addc_u32 s87, s11, 0
	s_and_b64 s[22:23], vcc, s[6:7]
	v_cmp_eq_u64_e64 s[6:7], 2, v[11:12]
	v_cndmask_b32_e64 v13, 0, 1, s[22:23]
	s_and_b64 s[28:29], s[12:13], s[6:7]
	v_cmp_eq_u64_e64 s[6:7], 2, v[7:8]
	s_and_b64 s[34:35], s[14:15], s[6:7]
	v_cmp_eq_u64_e64 s[6:7], 2, v[9:10]
	s_and_b64 s[36:37], s[16:17], s[6:7]
	v_cmp_ne_u32_e64 s[6:7], 0, v13
	v_cndmask_b32_e64 v13, 0, 1, s[28:29]
	s_bcnt1_i32_b64 s11, s[6:7]
	v_cmp_ne_u32_e64 s[6:7], 0, v13
	v_cndmask_b32_e64 v13, 0, 1, s[34:35]
	s_bcnt1_i32_b64 s21, s[6:7]
	;; [unrolled: 3-line block ×3, first 2 shown]
	v_cmp_ne_u32_e64 s[6:7], 0, v13
	s_bcnt1_i32_b64 s6, s[6:7]
	s_add_u32 s7, s11, s84
	s_addc_u32 s11, 0, s85
	s_add_u32 s7, s7, s21
	s_addc_u32 s11, s11, 0
	;; [unrolled: 2-line block ×3, first 2 shown]
	s_add_u32 s84, s7, s6
	v_cmp_eq_u64_e64 s[6:7], 3, v[17:18]
	s_addc_u32 s85, s11, 0
	s_and_b64 s[6:7], vcc, s[6:7]
	v_cmp_eq_u64_e32 vcc, 3, v[11:12]
	v_mov_b32_e32 v11, s84
	s_and_b64 s[12:13], s[12:13], vcc
	v_cmp_eq_u64_e32 vcc, 3, v[7:8]
	v_cndmask_b32_e64 v7, 0, 1, s[6:7]
	s_and_b64 s[14:15], s[14:15], vcc
	v_cmp_eq_u64_e32 vcc, 3, v[9:10]
	v_mov_b32_e32 v9, s86
	s_and_b64 s[16:17], s[16:17], vcc
	v_cmp_ne_u32_e32 vcc, 0, v7
	v_cndmask_b32_e64 v7, 0, 1, s[12:13]
	s_bcnt1_i32_b64 s6, vcc
	v_cmp_ne_u32_e32 vcc, 0, v7
	v_cndmask_b32_e64 v7, 0, 1, s[14:15]
	s_bcnt1_i32_b64 s7, vcc
	;; [unrolled: 3-line block ×3, first 2 shown]
	v_cmp_ne_u32_e32 vcc, 0, v7
	s_bcnt1_i32_b64 s12, vcc
	s_add_u32 s6, s6, s82
	s_addc_u32 s13, 0, s83
	s_add_u32 s6, s6, s7
	s_addc_u32 s7, s13, 0
	s_add_u32 s6, s6, s11
	v_add_co_u32_e32 v3, vcc, s3, v3
	s_addc_u32 s7, s7, 0
	v_addc_co_u32_e32 v4, vcc, 0, v4, vcc
	s_add_u32 s82, s6, s12
	v_cmp_le_u64_e32 vcc, s[76:77], v[3:4]
	s_addc_u32 s83, s7, 0
	v_mov_b32_e32 v7, s88
	v_mov_b32_e32 v13, s82
	s_or_b64 s[80:81], vcc, s[80:81]
	v_mov_b32_e32 v8, s89
	v_mov_b32_e32 v10, s87
	;; [unrolled: 1-line block ×4, first 2 shown]
	s_andn2_b64 exec, exec, s[80:81]
	s_cbranch_execnz .LBB28_60
; %bb.61:                               ;   in Loop: Header=BB28_7 Depth=1
	s_or_b64 exec, exec, s[80:81]
.LBB28_62:                              ;   in Loop: Header=BB28_7 Depth=1
	s_or_b64 exec, exec, s[78:79]
	v_mov_b32_e32 v4, s77
	v_add_co_u32_e32 v3, vcc, s76, v0
	s_and_b32 s44, s20, 0x7fffffff
	v_addc_co_u32_e32 v4, vcc, 0, v4, vcc
	v_cmp_gt_u64_e32 vcc, s[44:45], v[3:4]
	s_and_saveexec_b64 s[22:23], vcc
	s_cbranch_execz .LBB28_66
; %bb.63:                               ;   in Loop: Header=BB28_7 Depth=1
	v_lshl_add_u32 v34, s26, 5, v50
	s_lshl_b32 s2, s2, 3
	s_mov_b64 s[26:27], 0
.LBB28_64:                              ;   Parent Loop BB28_7 Depth=1
                                        ; =>  This Inner Loop Header: Depth=2
	ds_read_b64 v[35:36], v34
	v_add_co_u32_sdwa v3, vcc, v3, v33 dst_sel:DWORD dst_unused:UNUSED_PAD src0_sel:DWORD src1_sel:WORD_0
	v_addc_co_u32_e32 v4, vcc, 0, v4, vcc
	s_waitcnt lgkmcnt(0)
	v_xor_b32_e32 v36, 0x80000000, v36
	v_and_b32_e32 v37, v35, v29
	v_and_b32_e32 v38, v36, v30
	v_lshrrev_b64 v[35:36], s9, v[35:36]
	v_cmp_eq_u64_e64 s[6:7], v[37:38], v[27:28]
	v_and_b32_e32 v17, 3, v35
	v_cmp_eq_u64_e64 s[12:13], 0, v[17:18]
	v_cmp_eq_u64_e64 s[14:15], 1, v[17:18]
	;; [unrolled: 1-line block ×4, first 2 shown]
	s_and_b64 s[10:11], s[6:7], s[12:13]
	v_cndmask_b32_e64 v17, 0, 1, s[10:11]
	s_and_b64 s[10:11], s[6:7], s[14:15]
	v_cndmask_b32_e64 v35, 0, 1, s[10:11]
	s_and_b64 s[10:11], s[6:7], s[16:17]
	s_and_b64 s[6:7], s[6:7], s[20:21]
	v_cndmask_b32_e64 v37, 0, 1, s[6:7]
	v_cmp_ne_u32_e64 s[6:7], 0, v17
	s_bcnt1_i32_b64 s3, s[6:7]
	v_cmp_ne_u32_e64 s[12:13], 0, v35
	v_add_co_u32_e64 v7, s[6:7], s3, v7
	v_cndmask_b32_e64 v36, 0, 1, s[10:11]
	s_bcnt1_i32_b64 s10, s[12:13]
	v_addc_co_u32_e64 v8, s[6:7], 0, v8, s[6:7]
	v_cmp_le_u64_e32 vcc, s[44:45], v[3:4]
	v_cmp_ne_u32_e64 s[14:15], 0, v36
	v_cmp_ne_u32_e64 s[16:17], 0, v37
	v_add_co_u32_e64 v9, s[6:7], s10, v9
	s_bcnt1_i32_b64 s11, s[14:15]
	s_bcnt1_i32_b64 s12, s[16:17]
	v_addc_co_u32_e64 v10, s[6:7], 0, v10, s[6:7]
	v_add_co_u32_e64 v11, s[6:7], s11, v11
	s_or_b64 s[26:27], vcc, s[26:27]
	v_add_co_u32_e32 v13, vcc, s12, v13
	v_add_u32_e32 v34, s2, v34
	v_addc_co_u32_e64 v12, s[6:7], 0, v12, s[6:7]
	v_addc_co_u32_e32 v14, vcc, 0, v14, vcc
	s_andn2_b64 exec, exec, s[26:27]
	s_cbranch_execnz .LBB28_64
; %bb.65:                               ;   in Loop: Header=BB28_7 Depth=1
	s_or_b64 exec, exec, s[26:27]
.LBB28_66:                              ;   in Loop: Header=BB28_7 Depth=1
	s_or_b64 exec, exec, s[22:23]
	s_lshl_b32 s10, s48, 6
	s_and_saveexec_b64 s[2:3], s[4:5]
	s_cbranch_execnz .LBB28_37
	s_branch .LBB28_38
.LBB28_67:                              ;   in Loop: Header=BB28_7 Depth=1
                                        ; implicit-def: $sgpr26_sgpr27
	s_branch .LBB28_46
.LBB28_68:                              ;   in Loop: Header=BB28_7 Depth=1
	s_or_b64 exec, exec, s[16:17]
	s_waitcnt lgkmcnt(0)
	s_barrier
	s_and_saveexec_b64 s[2:3], s[94:95]
	s_cbranch_execz .LBB28_70
; %bb.69:                               ;   in Loop: Header=BB28_7 Depth=1
	ds_read_b32 v3, v18 offset:5136
	s_waitcnt lgkmcnt(0)
	v_ashrrev_i32_e32 v4, 31, v3
	ds_write_b64 v18, v[3:4] offset:5120
.LBB28_70:                              ;   in Loop: Header=BB28_7 Depth=1
	s_or_b64 exec, exec, s[2:3]
	s_waitcnt lgkmcnt(0)
	s_barrier
	s_mov_b64 s[6:7], -1
	s_and_b64 vcc, exec, s[14:15]
	s_cbranch_vccnz .LBB28_23
	s_branch .LBB28_32
.LBB28_71:                              ;   in Loop: Header=BB28_7 Depth=1
	v_mov_b32_e32 v3, 0
	v_mov_b32_e32 v4, 0
	s_mov_b32 s2, 0
.LBB28_72:                              ;   in Loop: Header=BB28_7 Depth=1
	v_readlane_b32 s12, v60, 23
	v_readlane_b32 s13, v60, 24
	s_andn2_b64 vcc, exec, s[12:13]
	s_cbranch_vccnz .LBB28_75
; %bb.73:                               ;   in Loop: Header=BB28_7 Depth=1
	s_lshl_b32 s3, s48, 9
	s_lshl_b32 s2, s2, 5
	s_add_i32 s3, s3, s2
	v_add_u32_e32 v7, s3, v49
	v_readlane_b32 s2, v60, 22
.LBB28_74:                              ;   Parent Loop BB28_7 Depth=1
                                        ; =>  This Inner Loop Header: Depth=2
	ds_read_b64 v[8:9], v7
	s_add_i32 s2, s2, -1
	v_add_u32_e32 v7, 32, v7
	s_cmp_lg_u32 s2, 0
	s_waitcnt lgkmcnt(0)
	v_add_co_u32_e32 v3, vcc, v8, v3
	v_addc_co_u32_e32 v4, vcc, v9, v4, vcc
	s_cbranch_scc1 .LBB28_74
.LBB28_75:                              ;   in Loop: Header=BB28_7 Depth=1
	v_add_lshl_u32 v7, s10, v39, 3
	ds_write_b64 v7, v[3:4] offset:3072
.LBB28_76:                              ;   in Loop: Header=BB28_7 Depth=1
	s_or_b64 exec, exec, s[6:7]
	s_lshl_b32 s2, s10, 3
	v_mov_b32_e32 v3, s2
	s_waitcnt lgkmcnt(0)
	s_barrier
	ds_read_b128 v[11:14], v3 offset:3088
	ds_read_b128 v[7:10], v3 offset:3072
	v_cmp_eq_u64_e64 s[6:7], 1, v[31:32]
	s_lshl_b64 s[14:15], 3, s9
	s_not_b64 s[80:81], s[14:15]
	s_waitcnt lgkmcnt(1)
	v_readfirstlane_b32 s76, v11
	s_waitcnt lgkmcnt(0)
	v_cmp_eq_u64_e32 vcc, 1, v[7:8]
	v_readfirstlane_b32 s77, v12
	v_readfirstlane_b32 s12, v13
	v_readfirstlane_b32 s13, v14
	s_and_b64 s[20:21], vcc, s[6:7]
	s_mov_b64 s[6:7], -1
	s_mov_b64 s[10:11], -1
                                        ; implicit-def: $sgpr28_sgpr29
                                        ; implicit-def: $sgpr22_sgpr23
	s_and_saveexec_b64 s[16:17], s[20:21]
	s_cbranch_execz .LBB28_108
; %bb.77:                               ;   in Loop: Header=BB28_7 Depth=1
	ds_read_b64 v[3:4], v18 offset:5120
	s_waitcnt lgkmcnt(0)
	s_barrier
	v_readfirstlane_b32 s26, v3
	v_readfirstlane_b32 s27, v4
	s_and_saveexec_b64 s[2:3], s[18:19]
; %bb.78:                               ;   in Loop: Header=BB28_7 Depth=1
	v_mov_b32_e32 v17, v18
	ds_write_b64 v51, v[17:18]
; %bb.79:                               ;   in Loop: Header=BB28_7 Depth=1
	s_or_b64 exec, exec, s[2:3]
	v_cmp_lt_i64_e64 s[2:3], s[26:27], 1
	v_and_b32_e32 v28, s81, v28
	v_and_b32_e32 v27, s80, v27
	v_or_b32_e32 v30, s15, v30
	v_or_b32_e32 v29, s14, v29
	s_mov_b64 s[22:23], -1
	s_mov_b64 s[28:29], 0
	s_and_b64 vcc, exec, s[2:3]
	s_mov_b64 s[36:37], 0
	s_mov_b64 s[38:39], -1
	s_waitcnt lgkmcnt(0)
	s_barrier
                                        ; implicit-def: $vgpr5_vgpr6
	s_cbranch_vccz .LBB28_93
; %bb.80:                               ;   in Loop: Header=BB28_7 Depth=1
	s_mov_b32 s50, s45
	s_cmp_lg_u64 s[50:51], 0
	s_cbranch_scc0 .LBB28_134
; %bb.81:                               ;   in Loop: Header=BB28_7 Depth=1
	s_add_u32 s2, s33, 0
	s_addc_u32 s3, 0, 0
	s_xor_b64 s[36:37], s[2:3], 0
	v_cvt_f32_u32_e32 v3, s36
	v_cvt_f32_u32_e32 v4, s37
	s_sub_u32 s10, 0, s36
	s_subb_u32 s11, 0, s37
	v_mac_f32_e32 v3, 0x4f800000, v4
	v_rcp_f32_e32 v3, v3
	v_mul_f32_e32 v3, 0x5f7ffffc, v3
	v_mul_f32_e32 v4, 0x2f800000, v3
	v_trunc_f32_e32 v4, v4
	v_mac_f32_e32 v3, 0xcf800000, v4
	v_cvt_u32_f32_e32 v4, v4
	v_cvt_u32_f32_e32 v3, v3
	v_readfirstlane_b32 s34, v4
	v_readfirstlane_b32 s2, v3
	s_mul_i32 s3, s10, s34
	s_mul_hi_u32 s38, s10, s2
	s_mul_i32 s35, s11, s2
	s_add_i32 s3, s38, s3
	s_mul_i32 s39, s10, s2
	s_add_i32 s3, s3, s35
	s_mul_i32 s38, s2, s3
	s_mul_hi_u32 s44, s2, s39
	s_mul_hi_u32 s35, s2, s3
	s_add_u32 s38, s44, s38
	s_addc_u32 s35, 0, s35
	s_mul_hi_u32 s49, s34, s39
	s_mul_i32 s39, s34, s39
	s_add_u32 s38, s38, s39
	s_mul_hi_u32 s44, s34, s3
	s_addc_u32 s35, s35, s49
	s_addc_u32 s38, s44, 0
	s_mul_i32 s3, s34, s3
	s_add_u32 s3, s35, s3
	s_addc_u32 s35, 0, s38
	s_add_u32 s38, s2, s3
	s_cselect_b64 s[2:3], -1, 0
	s_cmp_lg_u64 s[2:3], 0
	s_addc_u32 s34, s34, s35
	s_mul_i32 s2, s10, s34
	s_mul_hi_u32 s3, s10, s38
	s_add_i32 s2, s3, s2
	s_mul_i32 s11, s11, s38
	s_add_i32 s2, s2, s11
	s_mul_i32 s10, s10, s38
	s_mul_hi_u32 s11, s34, s10
	s_mul_i32 s35, s34, s10
	s_mul_i32 s44, s38, s2
	s_mul_hi_u32 s10, s38, s10
	s_mul_hi_u32 s39, s38, s2
	s_add_u32 s10, s10, s44
	s_addc_u32 s39, 0, s39
	s_add_u32 s10, s10, s35
	s_mul_hi_u32 s3, s34, s2
	s_addc_u32 s10, s39, s11
	s_addc_u32 s3, s3, 0
	s_mul_i32 s2, s34, s2
	s_add_u32 s2, s10, s2
	s_addc_u32 s10, 0, s3
	s_add_u32 s35, s38, s2
	s_cselect_b64 s[2:3], -1, 0
	s_cmp_lg_u64 s[2:3], 0
	s_addc_u32 s34, s34, s10
	s_ashr_i32 s10, s51, 31
	s_add_u32 s2, s0, s10
	s_mov_b32 s11, s10
	s_addc_u32 s3, s51, s10
	s_xor_b64 s[2:3], s[2:3], s[10:11]
	s_mul_i32 s39, s2, s34
	s_mul_hi_u32 s44, s2, s35
	s_mul_hi_u32 s38, s2, s34
	s_add_u32 s39, s44, s39
	s_addc_u32 s38, 0, s38
	s_mul_hi_u32 s49, s3, s35
	s_mul_i32 s35, s3, s35
	s_add_u32 s35, s39, s35
	s_mul_hi_u32 s44, s3, s34
	s_addc_u32 s35, s38, s49
	s_addc_u32 s38, s44, 0
	s_mul_i32 s34, s3, s34
	s_add_u32 s34, s35, s34
	s_addc_u32 s35, 0, s38
	s_mul_i32 s35, s36, s35
	s_mul_hi_u32 s38, s36, s34
	s_add_i32 s35, s38, s35
	s_mul_i32 s38, s37, s34
	s_add_i32 s44, s35, s38
	s_sub_i32 s38, s3, s44
	s_mul_i32 s34, s36, s34
	s_sub_u32 s2, s2, s34
	s_cselect_b64 s[34:35], -1, 0
	s_cmp_lg_u64 s[34:35], 0
	s_subb_u32 s49, s38, s37
	s_sub_u32 s50, s2, s36
	s_cselect_b64 s[38:39], -1, 0
	s_cmp_lg_u64 s[38:39], 0
	s_subb_u32 s54, s49, 0
	s_cmp_ge_u32 s54, s37
	s_cselect_b32 s55, -1, 0
	s_cmp_ge_u32 s50, s36
	s_cselect_b32 s56, -1, 0
	s_cmp_eq_u32 s54, s37
	s_cselect_b32 s55, s56, s55
	s_cmp_lg_u64 s[38:39], 0
	s_subb_u32 s49, s49, s37
	s_sub_u32 s56, s50, s36
	s_cselect_b64 s[38:39], -1, 0
	s_cmp_lg_u64 s[38:39], 0
	s_subb_u32 s38, s49, 0
	s_cmp_lg_u32 s55, 0
	s_cselect_b32 s39, s56, s50
	s_cselect_b32 s38, s38, s54
	s_cmp_lg_u64 s[34:35], 0
	s_subb_u32 s3, s3, s44
	s_cmp_ge_u32 s3, s37
	s_cselect_b32 s34, -1, 0
	s_cmp_ge_u32 s2, s36
	s_cselect_b32 s35, -1, 0
	s_cmp_eq_u32 s3, s37
	s_cselect_b32 s34, s35, s34
	s_cmp_lg_u32 s34, 0
	s_cselect_b32 s3, s38, s3
	s_cselect_b32 s2, s39, s2
	s_xor_b64 s[2:3], s[2:3], s[10:11]
	s_sub_u32 s2, s2, s10
	s_subb_u32 s3, s3, s10
	s_cbranch_execnz .LBB28_83
.LBB28_82:                              ;   in Loop: Header=BB28_7 Depth=1
	v_cvt_f32_u32_e32 v3, s33
	s_sub_i32 s2, 0, s33
	v_rcp_iflag_f32_e32 v3, v3
	v_mul_f32_e32 v3, 0x4f7ffffe, v3
	v_cvt_u32_f32_e32 v3, v3
	v_readfirstlane_b32 s3, v3
	s_mul_i32 s2, s2, s3
	s_mul_hi_u32 s2, s3, s2
	s_add_i32 s3, s3, s2
	s_mul_hi_u32 s2, s0, s3
	s_mul_i32 s2, s2, s33
	s_sub_i32 s2, s0, s2
	s_sub_i32 s3, s2, s33
	s_cmp_ge_u32 s2, s33
	s_cselect_b32 s2, s3, s2
	s_sub_i32 s3, s2, s33
	s_cmp_ge_u32 s2, s33
	s_cselect_b32 s44, s3, s2
	s_mov_b64 s[2:3], s[44:45]
.LBB28_83:                              ;   in Loop: Header=BB28_7 Depth=1
	s_sub_u32 s54, s0, s2
	s_subb_u32 s55, s51, s3
	v_cmp_gt_i64_e32 vcc, s[54:55], v[0:1]
	s_mov_b64 s[38:39], 0
	s_mov_b64 s[36:37], 0
                                        ; implicit-def: $vgpr5_vgpr6
	s_and_saveexec_b64 s[10:11], vcc
	s_cbranch_execz .LBB28_92
; %bb.84:                               ;   in Loop: Header=BB28_7 Depth=1
	v_mov_b32_e32 v11, v15
	v_mov_b32_e32 v14, v1
	;; [unrolled: 1-line block ×4, first 2 shown]
                                        ; implicit-def: $sgpr56_sgpr57
	s_branch .LBB28_87
.LBB28_85:                              ;   in Loop: Header=BB28_87 Depth=2
	s_or_b64 exec, exec, s[2:3]
	s_waitcnt lgkmcnt(0)
	s_barrier
	ds_read_b128 v[3:6], v18 offset:3072
	s_mov_b64 s[2:3], -1
	s_mov_b64 s[78:79], -1
	s_waitcnt lgkmcnt(0)
	s_barrier
	v_cmp_ne_u64_e32 vcc, 0, v[3:4]
	s_cbranch_vccz .LBB28_90
.LBB28_86:                              ;   in Loop: Header=BB28_87 Depth=2
	s_and_b64 s[2:3], exec, s[2:3]
	s_or_b64 s[36:37], s[2:3], s[36:37]
	s_andn2_b64 s[2:3], s[56:57], exec
	s_and_b64 s[34:35], s[78:79], exec
	s_or_b64 s[56:57], s[2:3], s[34:35]
	s_andn2_b64 exec, exec, s[36:37]
	s_cbranch_execz .LBB28_91
.LBB28_87:                              ;   Parent Loop BB28_7 Depth=1
                                        ; =>  This Inner Loop Header: Depth=2
	v_cmp_gt_i64_e32 vcc, s[24:25], v[13:14]
	s_and_saveexec_b64 s[2:3], vcc
	s_cbranch_execz .LBB28_85
; %bb.88:                               ;   in Loop: Header=BB28_87 Depth=2
	global_load_dwordx2 v[4:5], v[11:12], off
	s_waitcnt vmcnt(0)
	v_xor_b32_e32 v3, 0x80000000, v5
	v_and_b32_e32 v34, v3, v30
	v_and_b32_e32 v33, v4, v29
	v_cmp_eq_u64_e32 vcc, v[33:34], v[27:28]
	s_and_b64 exec, exec, vcc
	s_cbranch_execz .LBB28_85
; %bb.89:                               ;   in Loop: Header=BB28_87 Depth=2
	v_mov_b32_e32 v3, v18
	ds_write_b128 v18, v[2:5] offset:3072
	s_branch .LBB28_85
.LBB28_90:                              ;   in Loop: Header=BB28_87 Depth=2
	v_add_co_u32_e32 v13, vcc, s33, v13
	v_addc_co_u32_e32 v14, vcc, 0, v14, vcc
	v_mov_b32_e32 v3, s41
	v_add_co_u32_e32 v11, vcc, s40, v11
	v_addc_co_u32_e32 v12, vcc, v12, v3, vcc
	v_cmp_le_i64_e32 vcc, s[54:55], v[13:14]
	s_mov_b64 s[78:79], 0
	s_orn2_b64 s[2:3], vcc, exec
	s_branch .LBB28_86
.LBB28_91:                              ;   in Loop: Header=BB28_7 Depth=1
	s_or_b64 exec, exec, s[36:37]
	s_and_b64 s[36:37], s[56:57], exec
.LBB28_92:                              ;   in Loop: Header=BB28_7 Depth=1
	s_or_b64 exec, exec, s[10:11]
.LBB28_93:                              ;   in Loop: Header=BB28_7 Depth=1
	s_and_b64 vcc, exec, s[38:39]
	s_cbranch_vccz .LBB28_107
; %bb.94:                               ;   in Loop: Header=BB28_7 Depth=1
	v_readlane_b32 s2, v60, 18
	s_add_u32 s34, s26, s2
	v_readlane_b32 s2, v60, 19
	s_addc_u32 s23, s27, s2
	s_mov_b32 s22, s45
	s_cmp_lg_u64 s[22:23], 0
	s_cbranch_scc0 .LBB28_135
; %bb.95:                               ;   in Loop: Header=BB28_7 Depth=1
	s_add_u32 s2, s33, 0
	s_addc_u32 s3, 0, 0
	s_xor_b64 s[28:29], s[2:3], 0
	v_cvt_f32_u32_e32 v3, s28
	v_cvt_f32_u32_e32 v4, s29
	s_sub_u32 s10, 0, s28
	s_subb_u32 s11, 0, s29
	v_mac_f32_e32 v3, 0x4f800000, v4
	v_rcp_f32_e32 v3, v3
	v_mul_f32_e32 v3, 0x5f7ffffc, v3
	v_mul_f32_e32 v4, 0x2f800000, v3
	v_trunc_f32_e32 v4, v4
	v_mac_f32_e32 v3, 0xcf800000, v4
	v_cvt_u32_f32_e32 v4, v4
	v_cvt_u32_f32_e32 v3, v3
	v_readfirstlane_b32 s22, v4
	v_readfirstlane_b32 s2, v3
	s_mul_i32 s3, s10, s22
	s_mul_hi_u32 s38, s10, s2
	s_mul_i32 s35, s11, s2
	s_add_i32 s3, s38, s3
	s_mul_i32 s39, s10, s2
	s_add_i32 s3, s3, s35
	s_mul_i32 s38, s2, s3
	s_mul_hi_u32 s44, s2, s39
	s_mul_hi_u32 s35, s2, s3
	s_add_u32 s38, s44, s38
	s_addc_u32 s35, 0, s35
	s_mul_hi_u32 s49, s22, s39
	s_mul_i32 s39, s22, s39
	s_add_u32 s38, s38, s39
	s_mul_hi_u32 s44, s22, s3
	s_addc_u32 s35, s35, s49
	s_addc_u32 s38, s44, 0
	s_mul_i32 s3, s22, s3
	s_add_u32 s3, s35, s3
	s_addc_u32 s35, 0, s38
	s_add_u32 s38, s2, s3
	s_cselect_b64 s[2:3], -1, 0
	s_cmp_lg_u64 s[2:3], 0
	s_addc_u32 s22, s22, s35
	s_mul_i32 s2, s10, s22
	s_mul_hi_u32 s3, s10, s38
	s_add_i32 s2, s3, s2
	s_mul_i32 s11, s11, s38
	s_add_i32 s2, s2, s11
	s_mul_i32 s10, s10, s38
	s_mul_hi_u32 s11, s22, s10
	s_mul_i32 s35, s22, s10
	s_mul_i32 s44, s38, s2
	s_mul_hi_u32 s10, s38, s10
	s_mul_hi_u32 s39, s38, s2
	s_add_u32 s10, s10, s44
	s_addc_u32 s39, 0, s39
	s_add_u32 s10, s10, s35
	s_mul_hi_u32 s3, s22, s2
	s_addc_u32 s10, s39, s11
	s_addc_u32 s3, s3, 0
	s_mul_i32 s2, s22, s2
	s_add_u32 s2, s10, s2
	s_addc_u32 s10, 0, s3
	s_add_u32 s35, s38, s2
	s_cselect_b64 s[2:3], -1, 0
	s_cmp_lg_u64 s[2:3], 0
	s_addc_u32 s22, s22, s10
	s_ashr_i32 s10, s23, 31
	s_add_u32 s2, s34, s10
	s_mov_b32 s11, s10
	s_addc_u32 s3, s23, s10
	s_xor_b64 s[2:3], s[2:3], s[10:11]
	s_mul_i32 s39, s2, s22
	s_mul_hi_u32 s44, s2, s35
	s_mul_hi_u32 s38, s2, s22
	s_add_u32 s39, s44, s39
	s_addc_u32 s38, 0, s38
	s_mul_hi_u32 s49, s3, s35
	s_mul_i32 s35, s3, s35
	s_add_u32 s35, s39, s35
	s_mul_hi_u32 s44, s3, s22
	s_addc_u32 s35, s38, s49
	s_addc_u32 s38, s44, 0
	s_mul_i32 s22, s3, s22
	s_add_u32 s22, s35, s22
	s_addc_u32 s35, 0, s38
	s_mul_i32 s35, s28, s35
	s_mul_hi_u32 s38, s28, s22
	s_add_i32 s35, s38, s35
	s_mul_i32 s38, s29, s22
	s_add_i32 s35, s35, s38
	s_sub_i32 s44, s3, s35
	s_mul_i32 s22, s28, s22
	s_sub_u32 s2, s2, s22
	s_cselect_b64 s[38:39], -1, 0
	s_cmp_lg_u64 s[38:39], 0
	s_subb_u32 s22, s44, s29
	s_sub_u32 s44, s2, s28
	s_cselect_b64 s[54:55], -1, 0
	s_cmp_lg_u64 s[54:55], 0
	s_subb_u32 s49, s22, 0
	s_cmp_ge_u32 s49, s29
	s_cselect_b32 s50, -1, 0
	s_cmp_ge_u32 s44, s28
	s_cselect_b32 s56, -1, 0
	s_cmp_eq_u32 s49, s29
	s_cselect_b32 s50, s56, s50
	s_cmp_lg_u64 s[54:55], 0
	s_subb_u32 s22, s22, s29
	s_sub_u32 s56, s44, s28
	s_cselect_b64 s[54:55], -1, 0
	s_cmp_lg_u64 s[54:55], 0
	s_subb_u32 s22, s22, 0
	s_cmp_lg_u32 s50, 0
	s_cselect_b32 s44, s56, s44
	s_cselect_b32 s22, s22, s49
	s_cmp_lg_u64 s[38:39], 0
	s_subb_u32 s3, s3, s35
	s_cmp_ge_u32 s3, s29
	s_cselect_b32 s35, -1, 0
	s_cmp_ge_u32 s2, s28
	s_cselect_b32 s28, -1, 0
	s_cmp_eq_u32 s3, s29
	s_cselect_b32 s28, s28, s35
	s_cmp_lg_u32 s28, 0
	s_cselect_b32 s3, s22, s3
	s_cselect_b32 s2, s44, s2
	s_xor_b64 s[2:3], s[2:3], s[10:11]
	s_sub_u32 s2, s2, s10
	s_subb_u32 s3, s3, s10
	s_cbranch_execnz .LBB28_97
.LBB28_96:                              ;   in Loop: Header=BB28_7 Depth=1
	v_cvt_f32_u32_e32 v3, s33
	s_sub_i32 s2, 0, s33
	v_rcp_iflag_f32_e32 v3, v3
	v_mul_f32_e32 v3, 0x4f7ffffe, v3
	v_cvt_u32_f32_e32 v3, v3
	v_readfirstlane_b32 s3, v3
	s_mul_i32 s2, s2, s3
	s_mul_hi_u32 s2, s3, s2
	s_add_i32 s3, s3, s2
	s_mul_hi_u32 s2, s34, s3
	s_mul_i32 s2, s2, s33
	s_sub_i32 s2, s34, s2
	s_sub_i32 s3, s2, s33
	s_cmp_ge_u32 s2, s33
	s_cselect_b32 s2, s3, s2
	s_sub_i32 s3, s2, s33
	s_cmp_ge_u32 s2, s33
	s_cselect_b32 s44, s3, s2
	s_mov_b64 s[2:3], s[44:45]
.LBB28_97:                              ;   in Loop: Header=BB28_7 Depth=1
	s_sub_u32 s22, s34, s2
	s_subb_u32 s23, s23, s3
	v_cmp_gt_i64_e32 vcc, s[22:23], v[0:1]
                                        ; implicit-def: $vgpr5_vgpr6
	s_and_saveexec_b64 s[10:11], vcc
	s_cbranch_execz .LBB28_106
; %bb.98:                               ;   in Loop: Header=BB28_7 Depth=1
	v_mov_b32_e32 v12, v1
	s_mov_b64 s[38:39], 0
	v_mov_b32_e32 v13, v50
	v_mov_b32_e32 v11, v0
                                        ; implicit-def: $sgpr28_sgpr29
	s_branch .LBB28_101
.LBB28_99:                              ;   in Loop: Header=BB28_101 Depth=2
	s_or_b64 exec, exec, s[2:3]
	s_waitcnt lgkmcnt(0)
	s_barrier
	ds_read_b128 v[3:6], v18 offset:3072
	s_mov_b64 s[2:3], -1
	s_mov_b64 s[54:55], -1
	s_waitcnt lgkmcnt(0)
	s_barrier
	v_cmp_ne_u64_e32 vcc, 0, v[3:4]
	s_cbranch_vccz .LBB28_104
.LBB28_100:                             ;   in Loop: Header=BB28_101 Depth=2
	s_and_b64 s[2:3], exec, s[2:3]
	s_or_b64 s[38:39], s[2:3], s[38:39]
	s_andn2_b64 s[2:3], s[28:29], exec
	s_and_b64 s[28:29], s[54:55], exec
	s_or_b64 s[28:29], s[2:3], s[28:29]
	s_andn2_b64 exec, exec, s[38:39]
	s_cbranch_execz .LBB28_105
.LBB28_101:                             ;   Parent Loop BB28_7 Depth=1
                                        ; =>  This Inner Loop Header: Depth=2
	v_cmp_gt_u64_e32 vcc, s[26:27], v[11:12]
	s_and_saveexec_b64 s[2:3], vcc
	s_cbranch_execz .LBB28_99
; %bb.102:                              ;   in Loop: Header=BB28_101 Depth=2
	ds_read_b64 v[4:5], v13
	s_waitcnt lgkmcnt(0)
	v_xor_b32_e32 v3, 0x80000000, v5
	v_and_b32_e32 v34, v3, v30
	v_and_b32_e32 v33, v4, v29
	v_cmp_eq_u64_e32 vcc, v[33:34], v[27:28]
	s_and_b64 exec, exec, vcc
	s_cbranch_execz .LBB28_99
; %bb.103:                              ;   in Loop: Header=BB28_101 Depth=2
	v_mov_b32_e32 v3, v18
	ds_write_b128 v18, v[2:5] offset:3072
	s_branch .LBB28_99
.LBB28_104:                             ;   in Loop: Header=BB28_101 Depth=2
	v_add_co_u32_e32 v11, vcc, s33, v11
	v_addc_co_u32_e32 v12, vcc, 0, v12, vcc
	v_cmp_le_i64_e32 vcc, s[22:23], v[11:12]
	v_add_u32_e32 v13, s8, v13
	s_mov_b64 s[54:55], 0
	s_orn2_b64 s[2:3], vcc, exec
	s_branch .LBB28_100
.LBB28_105:                             ;   in Loop: Header=BB28_7 Depth=1
	s_or_b64 exec, exec, s[38:39]
	s_andn2_b64 s[2:3], s[36:37], exec
	s_and_b64 s[22:23], s[28:29], exec
	s_or_b64 s[36:37], s[2:3], s[22:23]
.LBB28_106:                             ;   in Loop: Header=BB28_7 Depth=1
	s_or_b64 exec, exec, s[10:11]
	s_mov_b64 s[22:23], 0
	s_mov_b64 s[28:29], -1
.LBB28_107:                             ;   in Loop: Header=BB28_7 Depth=1
	s_orn2_b64 s[10:11], s[36:37], exec
.LBB28_108:                             ;   in Loop: Header=BB28_7 Depth=1
	s_or_b64 exec, exec, s[16:17]
	s_andn2_b64 s[2:3], s[74:75], exec
	s_and_b64 s[16:17], s[28:29], exec
	s_or_b64 s[74:75], s[2:3], s[16:17]
	s_andn2_b64 s[2:3], s[72:73], exec
	s_and_b64 s[16:17], s[22:23], exec
	s_andn2_b64 s[70:71], s[70:71], exec
	s_or_b64 s[72:73], s[2:3], s[16:17]
                                        ; implicit-def: $vgpr11_vgpr12
	s_and_saveexec_b64 s[16:17], s[10:11]
	s_cbranch_execz .LBB28_6
; %bb.109:                              ;   in Loop: Header=BB28_7 Depth=1
	v_mov_b32_e32 v11, 1
	s_xor_b64 s[2:3], s[20:21], -1
	v_mov_b32_e32 v33, 1
	v_mov_b32_e32 v12, 0
	s_mov_b64 s[22:23], 0
	s_and_saveexec_b64 s[6:7], s[2:3]
	s_cbranch_execz .LBB28_118
; %bb.110:                              ;   in Loop: Header=BB28_7 Depth=1
	v_cmp_le_i64_e32 vcc, v[31:32], v[7:8]
	s_and_saveexec_b64 s[2:3], vcc
	s_xor_b64 s[10:11], exec, s[2:3]
	s_cbranch_execz .LBB28_115
; %bb.111:                              ;   in Loop: Header=BB28_7 Depth=1
	ds_read_b64 v[3:4], v18 offset:5120
	v_and_b32_e32 v28, s81, v28
	v_and_b32_e32 v27, s80, v27
	v_or_b32_e32 v30, s15, v30
	v_or_b32_e32 v29, s14, v29
	s_waitcnt lgkmcnt(0)
	v_cmp_ne_u64_e32 vcc, 0, v[3:4]
	s_cbranch_vccnz .LBB28_115
; %bb.112:                              ;   in Loop: Header=BB28_7 Depth=1
	s_and_saveexec_b64 s[2:3], s[94:95]
; %bb.113:                              ;   in Loop: Header=BB28_7 Depth=1
	ds_write_b64 v18, v[7:8] offset:5128
; %bb.114:                              ;   in Loop: Header=BB28_7 Depth=1
	s_or_b64 exec, exec, s[2:3]
	s_waitcnt lgkmcnt(0)
	s_barrier
.LBB28_115:                             ;   in Loop: Header=BB28_7 Depth=1
	s_or_saveexec_b64 s[10:11], s[10:11]
	s_mov_b64 s[20:21], 0
	v_mov_b32_e32 v33, 8
	s_xor_b64 exec, exec, s[10:11]
; %bb.116:                              ;   in Loop: Header=BB28_7 Depth=1
	v_sub_co_u32_e32 v31, vcc, v31, v7
	s_mov_b64 s[20:21], exec
	v_subb_co_u32_e32 v32, vcc, v32, v8, vcc
	v_mov_b32_e32 v33, 0
; %bb.117:                              ;   in Loop: Header=BB28_7 Depth=1
	s_or_b64 exec, exec, s[10:11]
	v_mov_b32_e32 v11, v31
	s_and_b64 s[22:23], s[20:21], exec
	v_mov_b32_e32 v12, v32
.LBB28_118:                             ;   in Loop: Header=BB28_7 Depth=1
	s_or_b64 exec, exec, s[6:7]
	s_mov_b64 s[20:21], -1
	s_mov_b64 s[10:11], -1
                                        ; implicit-def: $sgpr6_sgpr7
                                        ; implicit-def: $sgpr78_sgpr79
	s_and_saveexec_b64 s[2:3], s[22:23]
	s_xor_b64 s[26:27], exec, s[2:3]
	s_cbranch_execz .LBB28_260
; %bb.119:                              ;   in Loop: Header=BB28_7 Depth=1
	v_cmp_eq_u64_e32 vcc, 1, v[9:10]
	v_cmp_eq_u64_e64 s[6:7], 1, v[11:12]
                                        ; implicit-def: $sgpr78_sgpr79
	s_and_b64 s[84:85], vcc, s[6:7]
                                        ; implicit-def: $sgpr6_sgpr7
	s_and_saveexec_b64 s[82:83], s[84:85]
	s_cbranch_execz .LBB28_153
; %bb.120:                              ;   in Loop: Header=BB28_7 Depth=1
	ds_read_b64 v[3:4], v18 offset:5120
	s_waitcnt lgkmcnt(0)
	s_barrier
	v_readfirstlane_b32 s86, v3
	v_readfirstlane_b32 s87, v4
	s_and_saveexec_b64 s[2:3], s[18:19]
; %bb.121:                              ;   in Loop: Header=BB28_7 Depth=1
	v_mov_b32_e32 v17, v18
	ds_write_b64 v51, v[17:18]
; %bb.122:                              ;   in Loop: Header=BB28_7 Depth=1
	s_or_b64 exec, exec, s[2:3]
	s_lshl_b64 s[2:3], 1, s9
	v_and_b32_e32 v3, s81, v28
	v_and_b32_e32 v4, s80, v27
	v_or_b32_e32 v28, s3, v3
	v_or_b32_e32 v27, s2, v4
	v_cmp_gt_i64_e64 s[2:3], s[86:87], 0
	v_or_b32_e32 v30, s15, v30
	v_or_b32_e32 v29, s14, v29
	s_mov_b64 s[6:7], -1
	s_mov_b64 s[78:79], 0
	s_and_b64 vcc, exec, s[2:3]
	s_mov_b64 s[22:23], 0
	s_mov_b64 s[28:29], -1
	s_waitcnt lgkmcnt(0)
	s_barrier
                                        ; implicit-def: $vgpr5_vgpr6
	s_cbranch_vccnz .LBB28_138
; %bb.123:                              ;   in Loop: Header=BB28_7 Depth=1
	s_mov_b32 s50, s45
	s_cmp_lg_u64 s[50:51], 0
	s_cbranch_scc0 .LBB28_180
; %bb.124:                              ;   in Loop: Header=BB28_7 Depth=1
	s_add_u32 s2, s33, 0
	s_addc_u32 s3, 0, 0
	s_xor_b64 s[22:23], s[2:3], 0
	v_cvt_f32_u32_e32 v3, s22
	v_cvt_f32_u32_e32 v4, s23
	s_sub_u32 s10, 0, s22
	s_subb_u32 s11, 0, s23
	v_mac_f32_e32 v3, 0x4f800000, v4
	v_rcp_f32_e32 v3, v3
	v_mul_f32_e32 v3, 0x5f7ffffc, v3
	v_mul_f32_e32 v4, 0x2f800000, v3
	v_trunc_f32_e32 v4, v4
	v_mac_f32_e32 v3, 0xcf800000, v4
	v_cvt_u32_f32_e32 v4, v4
	v_cvt_u32_f32_e32 v3, v3
	v_readfirstlane_b32 s28, v4
	v_readfirstlane_b32 s2, v3
	s_mul_i32 s3, s10, s28
	s_mul_hi_u32 s34, s10, s2
	s_mul_i32 s29, s11, s2
	s_add_i32 s3, s34, s3
	s_mul_i32 s35, s10, s2
	s_add_i32 s3, s3, s29
	s_mul_i32 s34, s2, s3
	s_mul_hi_u32 s36, s2, s35
	s_mul_hi_u32 s29, s2, s3
	s_add_u32 s34, s36, s34
	s_addc_u32 s29, 0, s29
	s_mul_hi_u32 s37, s28, s35
	s_mul_i32 s35, s28, s35
	s_add_u32 s34, s34, s35
	s_mul_hi_u32 s36, s28, s3
	s_addc_u32 s29, s29, s37
	s_addc_u32 s34, s36, 0
	s_mul_i32 s3, s28, s3
	s_add_u32 s3, s29, s3
	s_addc_u32 s29, 0, s34
	s_add_u32 s34, s2, s3
	s_cselect_b64 s[2:3], -1, 0
	s_cmp_lg_u64 s[2:3], 0
	s_addc_u32 s28, s28, s29
	s_mul_i32 s2, s10, s28
	s_mul_hi_u32 s3, s10, s34
	s_add_i32 s2, s3, s2
	s_mul_i32 s11, s11, s34
	s_add_i32 s2, s2, s11
	s_mul_i32 s10, s10, s34
	s_mul_hi_u32 s11, s28, s10
	s_mul_i32 s29, s28, s10
	s_mul_i32 s36, s34, s2
	s_mul_hi_u32 s10, s34, s10
	s_mul_hi_u32 s35, s34, s2
	s_add_u32 s10, s10, s36
	s_addc_u32 s35, 0, s35
	s_add_u32 s10, s10, s29
	s_mul_hi_u32 s3, s28, s2
	s_addc_u32 s10, s35, s11
	s_addc_u32 s3, s3, 0
	s_mul_i32 s2, s28, s2
	s_add_u32 s2, s10, s2
	s_addc_u32 s10, 0, s3
	s_add_u32 s29, s34, s2
	s_cselect_b64 s[2:3], -1, 0
	s_cmp_lg_u64 s[2:3], 0
	s_addc_u32 s28, s28, s10
	s_ashr_i32 s10, s51, 31
	s_add_u32 s2, s0, s10
	s_mov_b32 s11, s10
	s_addc_u32 s3, s51, s10
	s_xor_b64 s[2:3], s[2:3], s[10:11]
	s_mul_i32 s35, s2, s28
	s_mul_hi_u32 s36, s2, s29
	s_mul_hi_u32 s34, s2, s28
	s_add_u32 s35, s36, s35
	s_addc_u32 s34, 0, s34
	s_mul_hi_u32 s37, s3, s29
	s_mul_i32 s29, s3, s29
	s_add_u32 s29, s35, s29
	s_mul_hi_u32 s36, s3, s28
	s_addc_u32 s29, s34, s37
	s_addc_u32 s34, s36, 0
	s_mul_i32 s28, s3, s28
	s_add_u32 s28, s29, s28
	s_addc_u32 s29, 0, s34
	s_mul_i32 s29, s22, s29
	s_mul_hi_u32 s34, s22, s28
	s_add_i32 s29, s34, s29
	s_mul_i32 s34, s23, s28
	s_add_i32 s36, s29, s34
	s_sub_i32 s34, s3, s36
	s_mul_i32 s28, s22, s28
	s_sub_u32 s2, s2, s28
	s_cselect_b64 s[28:29], -1, 0
	s_cmp_lg_u64 s[28:29], 0
	s_subb_u32 s37, s34, s23
	s_sub_u32 s38, s2, s22
	s_cselect_b64 s[34:35], -1, 0
	s_cmp_lg_u64 s[34:35], 0
	s_subb_u32 s39, s37, 0
	s_cmp_ge_u32 s39, s23
	s_cselect_b32 s44, -1, 0
	s_cmp_ge_u32 s38, s22
	s_cselect_b32 s49, -1, 0
	s_cmp_eq_u32 s39, s23
	s_cselect_b32 s44, s49, s44
	s_cmp_lg_u64 s[34:35], 0
	s_subb_u32 s37, s37, s23
	s_sub_u32 s49, s38, s22
	s_cselect_b64 s[34:35], -1, 0
	s_cmp_lg_u64 s[34:35], 0
	s_subb_u32 s34, s37, 0
	s_cmp_lg_u32 s44, 0
	s_cselect_b32 s35, s49, s38
	s_cselect_b32 s34, s34, s39
	s_cmp_lg_u64 s[28:29], 0
	s_subb_u32 s3, s3, s36
	s_cmp_ge_u32 s3, s23
	s_cselect_b32 s28, -1, 0
	s_cmp_ge_u32 s2, s22
	s_cselect_b32 s22, -1, 0
	s_cmp_eq_u32 s3, s23
	s_cselect_b32 s22, s22, s28
	s_cmp_lg_u32 s22, 0
	s_cselect_b32 s3, s34, s3
	s_cselect_b32 s2, s35, s2
	s_xor_b64 s[2:3], s[2:3], s[10:11]
	s_sub_u32 s2, s2, s10
	s_subb_u32 s3, s3, s10
	s_cbranch_execnz .LBB28_126
.LBB28_125:                             ;   in Loop: Header=BB28_7 Depth=1
	v_cvt_f32_u32_e32 v3, s33
	s_sub_i32 s2, 0, s33
	v_rcp_iflag_f32_e32 v3, v3
	v_mul_f32_e32 v3, 0x4f7ffffe, v3
	v_cvt_u32_f32_e32 v3, v3
	v_readfirstlane_b32 s3, v3
	s_mul_i32 s2, s2, s3
	s_mul_hi_u32 s2, s3, s2
	s_add_i32 s3, s3, s2
	s_mul_hi_u32 s2, s0, s3
	s_mul_i32 s2, s2, s33
	s_sub_i32 s2, s0, s2
	s_sub_i32 s3, s2, s33
	s_cmp_ge_u32 s2, s33
	s_cselect_b32 s2, s3, s2
	s_sub_i32 s3, s2, s33
	s_cmp_ge_u32 s2, s33
	s_cselect_b32 s44, s3, s2
	s_mov_b64 s[2:3], s[44:45]
.LBB28_126:                             ;   in Loop: Header=BB28_7 Depth=1
	s_sub_u32 s10, s0, s2
	s_subb_u32 s11, s51, s3
	v_cmp_gt_i64_e32 vcc, s[10:11], v[0:1]
	s_mov_b64 s[28:29], 0
	s_mov_b64 s[22:23], 0
                                        ; implicit-def: $vgpr5_vgpr6
	s_and_saveexec_b64 s[36:37], vcc
	s_cbranch_execz .LBB28_137
; %bb.127:                              ;   in Loop: Header=BB28_7 Depth=1
	v_mov_b32_e32 v7, v15
	v_mov_b32_e32 v14, v1
	;; [unrolled: 1-line block ×4, first 2 shown]
                                        ; implicit-def: $sgpr38_sgpr39
	s_branch .LBB28_130
.LBB28_128:                             ;   in Loop: Header=BB28_130 Depth=2
	s_or_b64 exec, exec, s[54:55]
	s_waitcnt lgkmcnt(0)
	s_barrier
	ds_read_b128 v[3:6], v18 offset:3072
	s_mov_b64 s[2:3], -1
	s_mov_b64 s[54:55], -1
	s_waitcnt lgkmcnt(0)
	s_barrier
	v_cmp_ne_u64_e32 vcc, 0, v[3:4]
	s_cbranch_vccz .LBB28_133
.LBB28_129:                             ;   in Loop: Header=BB28_130 Depth=2
	s_and_b64 s[2:3], exec, s[2:3]
	s_or_b64 s[22:23], s[2:3], s[22:23]
	s_andn2_b64 s[2:3], s[38:39], exec
	s_and_b64 s[34:35], s[54:55], exec
	s_or_b64 s[38:39], s[2:3], s[34:35]
	s_andn2_b64 exec, exec, s[22:23]
	s_cbranch_execz .LBB28_136
.LBB28_130:                             ;   Parent Loop BB28_7 Depth=1
                                        ; =>  This Inner Loop Header: Depth=2
	v_cmp_gt_i64_e32 vcc, s[24:25], v[13:14]
	s_and_saveexec_b64 s[54:55], vcc
	s_cbranch_execz .LBB28_128
; %bb.131:                              ;   in Loop: Header=BB28_130 Depth=2
	global_load_dwordx2 v[4:5], v[7:8], off
	s_waitcnt vmcnt(0)
	v_xor_b32_e32 v3, 0x80000000, v5
	v_and_b32_e32 v32, v3, v30
	v_and_b32_e32 v31, v4, v29
	v_cmp_eq_u64_e32 vcc, v[31:32], v[27:28]
	s_and_b64 exec, exec, vcc
	s_cbranch_execz .LBB28_128
; %bb.132:                              ;   in Loop: Header=BB28_130 Depth=2
	v_mov_b32_e32 v3, v18
	ds_write_b128 v18, v[2:5] offset:3072
	s_branch .LBB28_128
.LBB28_133:                             ;   in Loop: Header=BB28_130 Depth=2
	v_add_co_u32_e32 v13, vcc, s33, v13
	v_addc_co_u32_e32 v14, vcc, 0, v14, vcc
	v_mov_b32_e32 v3, s41
	v_add_co_u32_e32 v7, vcc, s40, v7
	v_addc_co_u32_e32 v8, vcc, v8, v3, vcc
	v_cmp_le_i64_e32 vcc, s[10:11], v[13:14]
	s_mov_b64 s[54:55], 0
	s_orn2_b64 s[2:3], vcc, exec
	s_branch .LBB28_129
.LBB28_134:                             ;   in Loop: Header=BB28_7 Depth=1
                                        ; implicit-def: $sgpr2_sgpr3
	s_andn2_b64 vcc, exec, s[10:11]
	s_cbranch_vccz .LBB28_82
	s_branch .LBB28_83
.LBB28_135:                             ;   in Loop: Header=BB28_7 Depth=1
                                        ; implicit-def: $sgpr2_sgpr3
	s_branch .LBB28_96
.LBB28_136:                             ;   in Loop: Header=BB28_7 Depth=1
	s_or_b64 exec, exec, s[22:23]
	s_and_b64 s[22:23], s[38:39], exec
.LBB28_137:                             ;   in Loop: Header=BB28_7 Depth=1
	s_or_b64 exec, exec, s[36:37]
.LBB28_138:                             ;   in Loop: Header=BB28_7 Depth=1
	s_and_b64 vcc, exec, s[28:29]
	s_cbranch_vccz .LBB28_152
; %bb.139:                              ;   in Loop: Header=BB28_7 Depth=1
	v_readlane_b32 s2, v60, 18
	s_add_u32 s34, s86, s2
	v_readlane_b32 s2, v60, 19
	s_addc_u32 s7, s87, s2
	s_mov_b32 s6, s45
	s_cmp_lg_u64 s[6:7], 0
	s_cbranch_scc0 .LBB28_181
; %bb.140:                              ;   in Loop: Header=BB28_7 Depth=1
	s_add_u32 s2, s33, 0
	s_addc_u32 s3, 0, 0
	s_xor_b64 s[28:29], s[2:3], 0
	v_cvt_f32_u32_e32 v3, s28
	v_cvt_f32_u32_e32 v4, s29
	s_sub_u32 s6, 0, s28
	s_subb_u32 s10, 0, s29
	v_mac_f32_e32 v3, 0x4f800000, v4
	v_rcp_f32_e32 v3, v3
	v_mul_f32_e32 v3, 0x5f7ffffc, v3
	v_mul_f32_e32 v4, 0x2f800000, v3
	v_trunc_f32_e32 v4, v4
	v_mac_f32_e32 v3, 0xcf800000, v4
	v_cvt_u32_f32_e32 v4, v4
	v_cvt_u32_f32_e32 v3, v3
	v_readfirstlane_b32 s11, v4
	v_readfirstlane_b32 s2, v3
	s_mul_i32 s3, s6, s11
	s_mul_hi_u32 s36, s6, s2
	s_mul_i32 s35, s10, s2
	s_add_i32 s3, s36, s3
	s_mul_i32 s37, s6, s2
	s_add_i32 s3, s3, s35
	s_mul_i32 s36, s2, s3
	s_mul_hi_u32 s38, s2, s37
	s_mul_hi_u32 s35, s2, s3
	s_add_u32 s36, s38, s36
	s_addc_u32 s35, 0, s35
	s_mul_hi_u32 s39, s11, s37
	s_mul_i32 s37, s11, s37
	s_add_u32 s36, s36, s37
	s_mul_hi_u32 s38, s11, s3
	s_addc_u32 s35, s35, s39
	s_addc_u32 s36, s38, 0
	s_mul_i32 s3, s11, s3
	s_add_u32 s3, s35, s3
	s_addc_u32 s35, 0, s36
	s_add_u32 s36, s2, s3
	s_cselect_b64 s[2:3], -1, 0
	s_cmp_lg_u64 s[2:3], 0
	s_addc_u32 s11, s11, s35
	s_mul_i32 s2, s6, s11
	s_mul_hi_u32 s3, s6, s36
	s_add_i32 s2, s3, s2
	s_mul_i32 s10, s10, s36
	s_add_i32 s2, s2, s10
	s_mul_i32 s6, s6, s36
	s_mul_hi_u32 s10, s11, s6
	s_mul_i32 s35, s11, s6
	s_mul_i32 s38, s36, s2
	s_mul_hi_u32 s6, s36, s6
	s_mul_hi_u32 s37, s36, s2
	s_add_u32 s6, s6, s38
	s_addc_u32 s37, 0, s37
	s_add_u32 s6, s6, s35
	s_mul_hi_u32 s3, s11, s2
	s_addc_u32 s6, s37, s10
	s_addc_u32 s3, s3, 0
	s_mul_i32 s2, s11, s2
	s_add_u32 s2, s6, s2
	s_addc_u32 s6, 0, s3
	s_add_u32 s35, s36, s2
	s_cselect_b64 s[2:3], -1, 0
	s_cmp_lg_u64 s[2:3], 0
	s_addc_u32 s6, s11, s6
	s_ashr_i32 s10, s7, 31
	s_add_u32 s2, s34, s10
	s_mov_b32 s11, s10
	s_addc_u32 s3, s7, s10
	s_xor_b64 s[2:3], s[2:3], s[10:11]
	s_mul_i32 s37, s2, s6
	s_mul_hi_u32 s38, s2, s35
	s_mul_hi_u32 s36, s2, s6
	s_add_u32 s37, s38, s37
	s_addc_u32 s36, 0, s36
	s_mul_hi_u32 s39, s3, s35
	s_mul_i32 s35, s3, s35
	s_add_u32 s35, s37, s35
	s_mul_hi_u32 s38, s3, s6
	s_addc_u32 s35, s36, s39
	s_addc_u32 s36, s38, 0
	s_mul_i32 s6, s3, s6
	s_add_u32 s6, s35, s6
	s_addc_u32 s35, 0, s36
	s_mul_i32 s35, s28, s35
	s_mul_hi_u32 s36, s28, s6
	s_add_i32 s35, s36, s35
	s_mul_i32 s36, s29, s6
	s_add_i32 s35, s35, s36
	s_sub_i32 s38, s3, s35
	s_mul_i32 s6, s28, s6
	s_sub_u32 s2, s2, s6
	s_cselect_b64 s[36:37], -1, 0
	s_cmp_lg_u64 s[36:37], 0
	s_subb_u32 s6, s38, s29
	s_sub_u32 s44, s2, s28
	s_cselect_b64 s[38:39], -1, 0
	s_cmp_lg_u64 s[38:39], 0
	s_subb_u32 s49, s6, 0
	s_cmp_ge_u32 s49, s29
	s_cselect_b32 s50, -1, 0
	s_cmp_ge_u32 s44, s28
	s_cselect_b32 s54, -1, 0
	s_cmp_eq_u32 s49, s29
	s_cselect_b32 s50, s54, s50
	s_cmp_lg_u64 s[38:39], 0
	s_subb_u32 s6, s6, s29
	s_sub_u32 s54, s44, s28
	s_cselect_b64 s[38:39], -1, 0
	s_cmp_lg_u64 s[38:39], 0
	s_subb_u32 s6, s6, 0
	s_cmp_lg_u32 s50, 0
	s_cselect_b32 s38, s54, s44
	s_cselect_b32 s6, s6, s49
	s_cmp_lg_u64 s[36:37], 0
	s_subb_u32 s3, s3, s35
	s_cmp_ge_u32 s3, s29
	s_cselect_b32 s35, -1, 0
	s_cmp_ge_u32 s2, s28
	s_cselect_b32 s28, -1, 0
	s_cmp_eq_u32 s3, s29
	s_cselect_b32 s28, s28, s35
	s_cmp_lg_u32 s28, 0
	s_cselect_b32 s3, s6, s3
	s_cselect_b32 s2, s38, s2
	s_xor_b64 s[2:3], s[2:3], s[10:11]
	s_sub_u32 s2, s2, s10
	s_subb_u32 s3, s3, s10
	s_cbranch_execnz .LBB28_142
.LBB28_141:                             ;   in Loop: Header=BB28_7 Depth=1
	v_cvt_f32_u32_e32 v3, s33
	s_sub_i32 s2, 0, s33
	v_rcp_iflag_f32_e32 v3, v3
	v_mul_f32_e32 v3, 0x4f7ffffe, v3
	v_cvt_u32_f32_e32 v3, v3
	v_readfirstlane_b32 s3, v3
	s_mul_i32 s2, s2, s3
	s_mul_hi_u32 s2, s3, s2
	s_add_i32 s3, s3, s2
	s_mul_hi_u32 s2, s34, s3
	s_mul_i32 s2, s2, s33
	s_sub_i32 s2, s34, s2
	s_sub_i32 s3, s2, s33
	s_cmp_ge_u32 s2, s33
	s_cselect_b32 s2, s3, s2
	s_sub_i32 s3, s2, s33
	s_cmp_ge_u32 s2, s33
	s_cselect_b32 s44, s3, s2
	s_mov_b64 s[2:3], s[44:45]
.LBB28_142:                             ;   in Loop: Header=BB28_7 Depth=1
	s_sub_u32 s10, s34, s2
	s_subb_u32 s11, s7, s3
	v_cmp_gt_i64_e32 vcc, s[10:11], v[0:1]
                                        ; implicit-def: $vgpr5_vgpr6
	s_and_saveexec_b64 s[6:7], vcc
	s_cbranch_execz .LBB28_151
; %bb.143:                              ;   in Loop: Header=BB28_7 Depth=1
	v_mov_b32_e32 v8, v1
	s_mov_b64 s[28:29], 0
	v_mov_b32_e32 v13, v50
	v_mov_b32_e32 v7, v0
                                        ; implicit-def: $sgpr36_sgpr37
	s_branch .LBB28_146
.LBB28_144:                             ;   in Loop: Header=BB28_146 Depth=2
	s_or_b64 exec, exec, s[38:39]
	s_waitcnt lgkmcnt(0)
	s_barrier
	ds_read_b128 v[3:6], v18 offset:3072
	s_mov_b64 s[2:3], -1
	s_mov_b64 s[38:39], -1
	s_waitcnt lgkmcnt(0)
	s_barrier
	v_cmp_eq_u64_e32 vcc, 0, v[3:4]
	s_cbranch_vccnz .LBB28_149
.LBB28_145:                             ;   in Loop: Header=BB28_146 Depth=2
	s_and_b64 s[2:3], exec, s[2:3]
	s_or_b64 s[28:29], s[2:3], s[28:29]
	s_andn2_b64 s[2:3], s[36:37], exec
	s_and_b64 s[34:35], s[38:39], exec
	s_or_b64 s[36:37], s[2:3], s[34:35]
	s_andn2_b64 exec, exec, s[28:29]
	s_cbranch_execz .LBB28_150
.LBB28_146:                             ;   Parent Loop BB28_7 Depth=1
                                        ; =>  This Inner Loop Header: Depth=2
	v_cmp_gt_u64_e32 vcc, s[86:87], v[7:8]
	s_and_saveexec_b64 s[38:39], vcc
	s_cbranch_execz .LBB28_144
; %bb.147:                              ;   in Loop: Header=BB28_146 Depth=2
	ds_read_b64 v[4:5], v13
	s_waitcnt lgkmcnt(0)
	v_xor_b32_e32 v3, 0x80000000, v5
	v_and_b32_e32 v32, v3, v30
	v_and_b32_e32 v31, v4, v29
	v_cmp_eq_u64_e32 vcc, v[31:32], v[27:28]
	s_and_b64 exec, exec, vcc
	s_cbranch_execz .LBB28_144
; %bb.148:                              ;   in Loop: Header=BB28_146 Depth=2
	v_mov_b32_e32 v3, v18
	ds_write_b128 v18, v[2:5] offset:3072
	s_branch .LBB28_144
.LBB28_149:                             ;   in Loop: Header=BB28_146 Depth=2
	v_add_co_u32_e32 v7, vcc, s33, v7
	v_addc_co_u32_e32 v8, vcc, 0, v8, vcc
	v_cmp_le_i64_e32 vcc, s[10:11], v[7:8]
	v_add_u32_e32 v13, s8, v13
	s_mov_b64 s[38:39], 0
	s_orn2_b64 s[2:3], vcc, exec
	s_branch .LBB28_145
.LBB28_150:                             ;   in Loop: Header=BB28_7 Depth=1
	s_or_b64 exec, exec, s[28:29]
	s_andn2_b64 s[2:3], s[22:23], exec
	s_and_b64 s[10:11], s[36:37], exec
	s_or_b64 s[22:23], s[2:3], s[10:11]
.LBB28_151:                             ;   in Loop: Header=BB28_7 Depth=1
	s_or_b64 exec, exec, s[6:7]
	s_mov_b64 s[6:7], 0
	s_mov_b64 s[78:79], -1
.LBB28_152:                             ;   in Loop: Header=BB28_7 Depth=1
	s_orn2_b64 s[10:11], s[22:23], exec
.LBB28_153:                             ;   in Loop: Header=BB28_7 Depth=1
	s_or_b64 exec, exec, s[82:83]
	s_mov_b64 s[22:23], 0
	s_and_saveexec_b64 s[82:83], s[10:11]
	s_cbranch_execz .LBB28_259
; %bb.154:                              ;   in Loop: Header=BB28_7 Depth=1
	v_mov_b32_e32 v7, 1
	s_xor_b64 s[2:3], s[84:85], -1
	v_mov_b32_e32 v33, 1
	v_mov_b32_e32 v8, 0
	s_mov_b64 s[28:29], 0
	s_and_saveexec_b64 s[22:23], s[2:3]
	s_cbranch_execz .LBB28_164
; %bb.155:                              ;   in Loop: Header=BB28_7 Depth=1
	v_cmp_le_i64_e32 vcc, v[11:12], v[9:10]
	s_and_saveexec_b64 s[2:3], vcc
	s_xor_b64 s[10:11], exec, s[2:3]
	s_cbranch_execz .LBB28_161
; %bb.156:                              ;   in Loop: Header=BB28_7 Depth=1
	ds_read_b64 v[3:4], v18 offset:5120
	s_lshl_b64 s[2:3], 1, s9
	v_and_b32_e32 v7, s81, v28
	v_and_b32_e32 v8, s80, v27
	v_or_b32_e32 v28, s3, v7
	s_waitcnt lgkmcnt(0)
	v_cmp_ne_u64_e32 vcc, 0, v[3:4]
	v_or_b32_e32 v27, s2, v8
	v_or_b32_e32 v30, s15, v30
	;; [unrolled: 1-line block ×3, first 2 shown]
	s_cbranch_vccnz .LBB28_160
; %bb.157:                              ;   in Loop: Header=BB28_7 Depth=1
	s_and_saveexec_b64 s[2:3], s[94:95]
; %bb.158:                              ;   in Loop: Header=BB28_7 Depth=1
	ds_write_b64 v18, v[9:10] offset:5128
; %bb.159:                              ;   in Loop: Header=BB28_7 Depth=1
	s_or_b64 exec, exec, s[2:3]
	s_waitcnt lgkmcnt(0)
	s_barrier
.LBB28_160:                             ;   in Loop: Header=BB28_7 Depth=1
                                        ; implicit-def: $vgpr7_vgpr8_vgpr9_vgpr10
.LBB28_161:                             ;   in Loop: Header=BB28_7 Depth=1
	s_or_saveexec_b64 s[10:11], s[10:11]
	v_mov_b32_e32 v33, 8
	s_xor_b64 exec, exec, s[10:11]
; %bb.162:                              ;   in Loop: Header=BB28_7 Depth=1
	v_sub_co_u32_e32 v11, vcc, v11, v9
	s_mov_b64 s[28:29], exec
	v_subb_co_u32_e32 v12, vcc, v12, v10, vcc
	v_mov_b32_e32 v33, 0
; %bb.163:                              ;   in Loop: Header=BB28_7 Depth=1
	s_or_b64 exec, exec, s[10:11]
	v_mov_b32_e32 v7, v11
	s_and_b64 s[28:29], s[28:29], exec
	v_mov_b32_e32 v8, v12
.LBB28_164:                             ;   in Loop: Header=BB28_7 Depth=1
	s_or_b64 exec, exec, s[22:23]
	s_mov_b64 s[10:11], -1
                                        ; implicit-def: $sgpr86_sgpr87
                                        ; implicit-def: $sgpr88_sgpr89
	s_and_saveexec_b64 s[84:85], s[28:29]
	s_cbranch_execz .LBB28_258
; %bb.165:                              ;   in Loop: Header=BB28_7 Depth=1
	s_cmp_eq_u64 s[76:77], 1
	v_cmp_eq_u64_e32 vcc, 1, v[7:8]
	s_cselect_b64 s[2:3], -1, 0
	s_and_b64 s[92:93], s[2:3], vcc
                                        ; implicit-def: $sgpr88_sgpr89
                                        ; implicit-def: $sgpr86_sgpr87
	s_and_saveexec_b64 s[90:91], s[92:93]
	s_cbranch_execz .LBB28_199
; %bb.166:                              ;   in Loop: Header=BB28_7 Depth=1
	ds_read_b64 v[3:4], v18 offset:5120
	s_waitcnt lgkmcnt(0)
	s_barrier
	v_readfirstlane_b32 s94, v3
	v_readfirstlane_b32 s95, v4
	s_and_saveexec_b64 s[2:3], s[18:19]
; %bb.167:                              ;   in Loop: Header=BB28_7 Depth=1
	v_mov_b32_e32 v17, v18
	ds_write_b64 v51, v[17:18]
; %bb.168:                              ;   in Loop: Header=BB28_7 Depth=1
	s_or_b64 exec, exec, s[2:3]
	s_lshl_b64 s[2:3], 2, s9
	v_and_b32_e32 v3, s81, v28
	v_and_b32_e32 v4, s80, v27
	v_or_b32_e32 v28, s3, v3
	v_or_b32_e32 v27, s2, v4
	v_cmp_gt_i64_e64 s[2:3], s[94:95], 0
	v_or_b32_e32 v30, s15, v30
	v_or_b32_e32 v29, s14, v29
	s_mov_b64 s[86:87], -1
	s_mov_b64 s[88:89], 0
	s_and_b64 vcc, exec, s[2:3]
	s_mov_b64 s[22:23], 0
	s_mov_b64 s[28:29], -1
	s_waitcnt lgkmcnt(0)
	s_barrier
                                        ; implicit-def: $vgpr5_vgpr6
	s_cbranch_vccnz .LBB28_184
; %bb.169:                              ;   in Loop: Header=BB28_7 Depth=1
	s_mov_b32 s50, s45
	s_cmp_lg_u64 s[50:51], 0
	s_cbranch_scc0 .LBB28_225
; %bb.170:                              ;   in Loop: Header=BB28_7 Depth=1
	s_add_u32 s2, s33, 0
	s_addc_u32 s3, 0, 0
	s_xor_b64 s[22:23], s[2:3], 0
	v_cvt_f32_u32_e32 v3, s22
	v_cvt_f32_u32_e32 v4, s23
	s_sub_u32 s10, 0, s22
	s_subb_u32 s11, 0, s23
	v_mac_f32_e32 v3, 0x4f800000, v4
	v_rcp_f32_e32 v3, v3
	v_mul_f32_e32 v3, 0x5f7ffffc, v3
	v_mul_f32_e32 v4, 0x2f800000, v3
	v_trunc_f32_e32 v4, v4
	v_mac_f32_e32 v3, 0xcf800000, v4
	v_cvt_u32_f32_e32 v4, v4
	v_cvt_u32_f32_e32 v3, v3
	v_readfirstlane_b32 s28, v4
	v_readfirstlane_b32 s2, v3
	s_mul_i32 s3, s10, s28
	s_mul_hi_u32 s34, s10, s2
	s_mul_i32 s29, s11, s2
	s_add_i32 s3, s34, s3
	s_mul_i32 s35, s10, s2
	s_add_i32 s3, s3, s29
	s_mul_i32 s34, s2, s3
	s_mul_hi_u32 s36, s2, s35
	s_mul_hi_u32 s29, s2, s3
	s_add_u32 s34, s36, s34
	s_addc_u32 s29, 0, s29
	s_mul_hi_u32 s37, s28, s35
	s_mul_i32 s35, s28, s35
	s_add_u32 s34, s34, s35
	s_mul_hi_u32 s36, s28, s3
	s_addc_u32 s29, s29, s37
	s_addc_u32 s34, s36, 0
	s_mul_i32 s3, s28, s3
	s_add_u32 s3, s29, s3
	s_addc_u32 s29, 0, s34
	s_add_u32 s34, s2, s3
	s_cselect_b64 s[2:3], -1, 0
	s_cmp_lg_u64 s[2:3], 0
	s_addc_u32 s28, s28, s29
	s_mul_i32 s2, s10, s28
	s_mul_hi_u32 s3, s10, s34
	s_add_i32 s2, s3, s2
	s_mul_i32 s11, s11, s34
	s_add_i32 s2, s2, s11
	s_mul_i32 s10, s10, s34
	s_mul_hi_u32 s11, s28, s10
	s_mul_i32 s29, s28, s10
	s_mul_i32 s36, s34, s2
	s_mul_hi_u32 s10, s34, s10
	s_mul_hi_u32 s35, s34, s2
	s_add_u32 s10, s10, s36
	s_addc_u32 s35, 0, s35
	s_add_u32 s10, s10, s29
	s_mul_hi_u32 s3, s28, s2
	s_addc_u32 s10, s35, s11
	s_addc_u32 s3, s3, 0
	s_mul_i32 s2, s28, s2
	s_add_u32 s2, s10, s2
	s_addc_u32 s10, 0, s3
	s_add_u32 s29, s34, s2
	s_cselect_b64 s[2:3], -1, 0
	s_cmp_lg_u64 s[2:3], 0
	s_addc_u32 s28, s28, s10
	s_ashr_i32 s10, s51, 31
	s_add_u32 s2, s0, s10
	s_mov_b32 s11, s10
	s_addc_u32 s3, s51, s10
	s_xor_b64 s[2:3], s[2:3], s[10:11]
	s_mul_i32 s35, s2, s28
	s_mul_hi_u32 s36, s2, s29
	s_mul_hi_u32 s34, s2, s28
	s_add_u32 s35, s36, s35
	s_addc_u32 s34, 0, s34
	s_mul_hi_u32 s37, s3, s29
	s_mul_i32 s29, s3, s29
	s_add_u32 s29, s35, s29
	s_mul_hi_u32 s36, s3, s28
	s_addc_u32 s29, s34, s37
	s_addc_u32 s34, s36, 0
	s_mul_i32 s28, s3, s28
	s_add_u32 s28, s29, s28
	s_addc_u32 s29, 0, s34
	s_mul_i32 s29, s22, s29
	s_mul_hi_u32 s34, s22, s28
	s_add_i32 s29, s34, s29
	s_mul_i32 s34, s23, s28
	s_add_i32 s36, s29, s34
	s_sub_i32 s34, s3, s36
	s_mul_i32 s28, s22, s28
	s_sub_u32 s2, s2, s28
	s_cselect_b64 s[28:29], -1, 0
	s_cmp_lg_u64 s[28:29], 0
	s_subb_u32 s37, s34, s23
	s_sub_u32 s38, s2, s22
	s_cselect_b64 s[34:35], -1, 0
	s_cmp_lg_u64 s[34:35], 0
	s_subb_u32 s39, s37, 0
	s_cmp_ge_u32 s39, s23
	s_cselect_b32 s44, -1, 0
	s_cmp_ge_u32 s38, s22
	s_cselect_b32 s49, -1, 0
	s_cmp_eq_u32 s39, s23
	s_cselect_b32 s44, s49, s44
	s_cmp_lg_u64 s[34:35], 0
	s_subb_u32 s37, s37, s23
	s_sub_u32 s49, s38, s22
	s_cselect_b64 s[34:35], -1, 0
	s_cmp_lg_u64 s[34:35], 0
	s_subb_u32 s34, s37, 0
	s_cmp_lg_u32 s44, 0
	s_cselect_b32 s35, s49, s38
	s_cselect_b32 s34, s34, s39
	s_cmp_lg_u64 s[28:29], 0
	s_subb_u32 s3, s3, s36
	s_cmp_ge_u32 s3, s23
	s_cselect_b32 s28, -1, 0
	s_cmp_ge_u32 s2, s22
	s_cselect_b32 s22, -1, 0
	s_cmp_eq_u32 s3, s23
	s_cselect_b32 s22, s22, s28
	s_cmp_lg_u32 s22, 0
	s_cselect_b32 s3, s34, s3
	s_cselect_b32 s2, s35, s2
	s_xor_b64 s[2:3], s[2:3], s[10:11]
	s_sub_u32 s2, s2, s10
	s_subb_u32 s3, s3, s10
	s_cbranch_execnz .LBB28_172
.LBB28_171:                             ;   in Loop: Header=BB28_7 Depth=1
	v_cvt_f32_u32_e32 v3, s33
	s_sub_i32 s2, 0, s33
	v_rcp_iflag_f32_e32 v3, v3
	v_mul_f32_e32 v3, 0x4f7ffffe, v3
	v_cvt_u32_f32_e32 v3, v3
	v_readfirstlane_b32 s3, v3
	s_mul_i32 s2, s2, s3
	s_mul_hi_u32 s2, s3, s2
	s_add_i32 s3, s3, s2
	s_mul_hi_u32 s2, s0, s3
	s_mul_i32 s2, s2, s33
	s_sub_i32 s2, s0, s2
	s_sub_i32 s3, s2, s33
	s_cmp_ge_u32 s2, s33
	s_cselect_b32 s2, s3, s2
	s_sub_i32 s3, s2, s33
	s_cmp_ge_u32 s2, s33
	s_cselect_b32 s44, s3, s2
	s_mov_b64 s[2:3], s[44:45]
.LBB28_172:                             ;   in Loop: Header=BB28_7 Depth=1
	s_sub_u32 s10, s0, s2
	s_subb_u32 s11, s51, s3
	v_cmp_gt_i64_e32 vcc, s[10:11], v[0:1]
	s_mov_b64 s[28:29], 0
	s_mov_b64 s[22:23], 0
                                        ; implicit-def: $vgpr5_vgpr6
	s_and_saveexec_b64 s[36:37], vcc
	s_cbranch_execz .LBB28_183
; %bb.173:                              ;   in Loop: Header=BB28_7 Depth=1
	v_mov_b32_e32 v9, v15
	v_mov_b32_e32 v12, v1
	;; [unrolled: 1-line block ×4, first 2 shown]
                                        ; implicit-def: $sgpr38_sgpr39
	s_branch .LBB28_176
.LBB28_174:                             ;   in Loop: Header=BB28_176 Depth=2
	s_or_b64 exec, exec, s[54:55]
	s_waitcnt lgkmcnt(0)
	s_barrier
	ds_read_b128 v[3:6], v18 offset:3072
	s_mov_b64 s[2:3], -1
	s_mov_b64 s[54:55], -1
	s_waitcnt lgkmcnt(0)
	s_barrier
	v_cmp_ne_u64_e32 vcc, 0, v[3:4]
	s_cbranch_vccz .LBB28_179
.LBB28_175:                             ;   in Loop: Header=BB28_176 Depth=2
	s_and_b64 s[2:3], exec, s[2:3]
	s_or_b64 s[22:23], s[2:3], s[22:23]
	s_andn2_b64 s[2:3], s[38:39], exec
	s_and_b64 s[34:35], s[54:55], exec
	s_or_b64 s[38:39], s[2:3], s[34:35]
	s_andn2_b64 exec, exec, s[22:23]
	s_cbranch_execz .LBB28_182
.LBB28_176:                             ;   Parent Loop BB28_7 Depth=1
                                        ; =>  This Inner Loop Header: Depth=2
	v_cmp_gt_i64_e32 vcc, s[24:25], v[11:12]
	s_and_saveexec_b64 s[54:55], vcc
	s_cbranch_execz .LBB28_174
; %bb.177:                              ;   in Loop: Header=BB28_176 Depth=2
	global_load_dwordx2 v[4:5], v[9:10], off
	s_waitcnt vmcnt(0)
	v_xor_b32_e32 v3, 0x80000000, v5
	v_and_b32_e32 v14, v3, v30
	v_and_b32_e32 v13, v4, v29
	v_cmp_eq_u64_e32 vcc, v[13:14], v[27:28]
	s_and_b64 exec, exec, vcc
	s_cbranch_execz .LBB28_174
; %bb.178:                              ;   in Loop: Header=BB28_176 Depth=2
	v_mov_b32_e32 v3, v18
	ds_write_b128 v18, v[2:5] offset:3072
	s_branch .LBB28_174
.LBB28_179:                             ;   in Loop: Header=BB28_176 Depth=2
	v_add_co_u32_e32 v11, vcc, s33, v11
	v_addc_co_u32_e32 v12, vcc, 0, v12, vcc
	v_mov_b32_e32 v3, s41
	v_add_co_u32_e32 v9, vcc, s40, v9
	v_addc_co_u32_e32 v10, vcc, v10, v3, vcc
	v_cmp_le_i64_e32 vcc, s[10:11], v[11:12]
	s_mov_b64 s[54:55], 0
	s_orn2_b64 s[2:3], vcc, exec
	s_branch .LBB28_175
.LBB28_180:                             ;   in Loop: Header=BB28_7 Depth=1
                                        ; implicit-def: $sgpr2_sgpr3
	s_andn2_b64 vcc, exec, s[10:11]
	s_cbranch_vccz .LBB28_125
	s_branch .LBB28_126
.LBB28_181:                             ;   in Loop: Header=BB28_7 Depth=1
                                        ; implicit-def: $sgpr2_sgpr3
	s_branch .LBB28_141
.LBB28_182:                             ;   in Loop: Header=BB28_7 Depth=1
	s_or_b64 exec, exec, s[22:23]
	s_and_b64 s[22:23], s[38:39], exec
.LBB28_183:                             ;   in Loop: Header=BB28_7 Depth=1
	s_or_b64 exec, exec, s[36:37]
.LBB28_184:                             ;   in Loop: Header=BB28_7 Depth=1
	s_and_b64 vcc, exec, s[28:29]
	s_cbranch_vccz .LBB28_198
; %bb.185:                              ;   in Loop: Header=BB28_7 Depth=1
	v_readlane_b32 s2, v60, 18
	s_add_u32 s34, s94, s2
	v_readlane_b32 s2, v60, 19
	s_addc_u32 s29, s95, s2
	s_mov_b32 s28, s45
	s_cmp_lg_u64 s[28:29], 0
	s_cbranch_scc0 .LBB28_226
; %bb.186:                              ;   in Loop: Header=BB28_7 Depth=1
	s_add_u32 s2, s33, 0
	s_addc_u32 s3, 0, 0
	s_xor_b64 s[36:37], s[2:3], 0
	v_cvt_f32_u32_e32 v3, s36
	v_cvt_f32_u32_e32 v4, s37
	s_sub_u32 s10, 0, s36
	s_subb_u32 s11, 0, s37
	v_mac_f32_e32 v3, 0x4f800000, v4
	v_rcp_f32_e32 v3, v3
	v_mul_f32_e32 v3, 0x5f7ffffc, v3
	v_mul_f32_e32 v4, 0x2f800000, v3
	v_trunc_f32_e32 v4, v4
	v_mac_f32_e32 v3, 0xcf800000, v4
	v_cvt_u32_f32_e32 v4, v4
	v_cvt_u32_f32_e32 v3, v3
	v_readfirstlane_b32 s28, v4
	v_readfirstlane_b32 s2, v3
	s_mul_i32 s3, s10, s28
	s_mul_hi_u32 s38, s10, s2
	s_mul_i32 s35, s11, s2
	s_add_i32 s3, s38, s3
	s_mul_i32 s39, s10, s2
	s_add_i32 s3, s3, s35
	s_mul_i32 s38, s2, s3
	s_mul_hi_u32 s44, s2, s39
	s_mul_hi_u32 s35, s2, s3
	s_add_u32 s38, s44, s38
	s_addc_u32 s35, 0, s35
	s_mul_hi_u32 s49, s28, s39
	s_mul_i32 s39, s28, s39
	s_add_u32 s38, s38, s39
	s_mul_hi_u32 s44, s28, s3
	s_addc_u32 s35, s35, s49
	s_addc_u32 s38, s44, 0
	s_mul_i32 s3, s28, s3
	s_add_u32 s3, s35, s3
	s_addc_u32 s35, 0, s38
	s_add_u32 s38, s2, s3
	s_cselect_b64 s[2:3], -1, 0
	s_cmp_lg_u64 s[2:3], 0
	s_addc_u32 s28, s28, s35
	s_mul_i32 s2, s10, s28
	s_mul_hi_u32 s3, s10, s38
	s_add_i32 s2, s3, s2
	s_mul_i32 s11, s11, s38
	s_add_i32 s2, s2, s11
	s_mul_i32 s10, s10, s38
	s_mul_hi_u32 s11, s28, s10
	s_mul_i32 s35, s28, s10
	s_mul_i32 s44, s38, s2
	s_mul_hi_u32 s10, s38, s10
	s_mul_hi_u32 s39, s38, s2
	s_add_u32 s10, s10, s44
	s_addc_u32 s39, 0, s39
	s_add_u32 s10, s10, s35
	s_mul_hi_u32 s3, s28, s2
	s_addc_u32 s10, s39, s11
	s_addc_u32 s3, s3, 0
	s_mul_i32 s2, s28, s2
	s_add_u32 s2, s10, s2
	s_addc_u32 s10, 0, s3
	s_add_u32 s35, s38, s2
	s_cselect_b64 s[2:3], -1, 0
	s_cmp_lg_u64 s[2:3], 0
	s_addc_u32 s28, s28, s10
	s_ashr_i32 s10, s29, 31
	s_add_u32 s2, s34, s10
	s_mov_b32 s11, s10
	s_addc_u32 s3, s29, s10
	s_xor_b64 s[2:3], s[2:3], s[10:11]
	s_mul_i32 s39, s2, s28
	s_mul_hi_u32 s44, s2, s35
	s_mul_hi_u32 s38, s2, s28
	s_add_u32 s39, s44, s39
	s_addc_u32 s38, 0, s38
	s_mul_hi_u32 s49, s3, s35
	s_mul_i32 s35, s3, s35
	s_add_u32 s35, s39, s35
	s_mul_hi_u32 s44, s3, s28
	s_addc_u32 s35, s38, s49
	s_addc_u32 s38, s44, 0
	s_mul_i32 s28, s3, s28
	s_add_u32 s28, s35, s28
	s_addc_u32 s35, 0, s38
	s_mul_i32 s35, s36, s35
	s_mul_hi_u32 s38, s36, s28
	s_add_i32 s35, s38, s35
	s_mul_i32 s38, s37, s28
	s_add_i32 s35, s35, s38
	s_sub_i32 s44, s3, s35
	s_mul_i32 s28, s36, s28
	s_sub_u32 s2, s2, s28
	s_cselect_b64 s[38:39], -1, 0
	s_cmp_lg_u64 s[38:39], 0
	s_subb_u32 s28, s44, s37
	s_sub_u32 s44, s2, s36
	s_cselect_b64 s[54:55], -1, 0
	s_cmp_lg_u64 s[54:55], 0
	s_subb_u32 s49, s28, 0
	s_cmp_ge_u32 s49, s37
	s_cselect_b32 s50, -1, 0
	s_cmp_ge_u32 s44, s36
	s_cselect_b32 s56, -1, 0
	s_cmp_eq_u32 s49, s37
	s_cselect_b32 s50, s56, s50
	s_cmp_lg_u64 s[54:55], 0
	s_subb_u32 s28, s28, s37
	s_sub_u32 s56, s44, s36
	s_cselect_b64 s[54:55], -1, 0
	s_cmp_lg_u64 s[54:55], 0
	s_subb_u32 s28, s28, 0
	s_cmp_lg_u32 s50, 0
	s_cselect_b32 s44, s56, s44
	s_cselect_b32 s28, s28, s49
	s_cmp_lg_u64 s[38:39], 0
	s_subb_u32 s3, s3, s35
	s_cmp_ge_u32 s3, s37
	s_cselect_b32 s35, -1, 0
	s_cmp_ge_u32 s2, s36
	s_cselect_b32 s36, -1, 0
	s_cmp_eq_u32 s3, s37
	s_cselect_b32 s35, s36, s35
	s_cmp_lg_u32 s35, 0
	s_cselect_b32 s3, s28, s3
	s_cselect_b32 s2, s44, s2
	s_xor_b64 s[2:3], s[2:3], s[10:11]
	s_sub_u32 s2, s2, s10
	s_subb_u32 s3, s3, s10
	s_cbranch_execnz .LBB28_188
.LBB28_187:                             ;   in Loop: Header=BB28_7 Depth=1
	v_cvt_f32_u32_e32 v3, s33
	s_sub_i32 s2, 0, s33
	v_rcp_iflag_f32_e32 v3, v3
	v_mul_f32_e32 v3, 0x4f7ffffe, v3
	v_cvt_u32_f32_e32 v3, v3
	v_readfirstlane_b32 s3, v3
	s_mul_i32 s2, s2, s3
	s_mul_hi_u32 s2, s3, s2
	s_add_i32 s3, s3, s2
	s_mul_hi_u32 s2, s34, s3
	s_mul_i32 s2, s2, s33
	s_sub_i32 s2, s34, s2
	s_sub_i32 s3, s2, s33
	s_cmp_ge_u32 s2, s33
	s_cselect_b32 s2, s3, s2
	s_sub_i32 s3, s2, s33
	s_cmp_ge_u32 s2, s33
	s_cselect_b32 s44, s3, s2
	s_mov_b64 s[2:3], s[44:45]
.LBB28_188:                             ;   in Loop: Header=BB28_7 Depth=1
	s_sub_u32 s28, s34, s2
	s_subb_u32 s29, s29, s3
	v_cmp_gt_i64_e32 vcc, s[28:29], v[0:1]
                                        ; implicit-def: $vgpr5_vgpr6
	s_and_saveexec_b64 s[10:11], vcc
	s_cbranch_execz .LBB28_197
; %bb.189:                              ;   in Loop: Header=BB28_7 Depth=1
	v_mov_b32_e32 v10, v1
	s_mov_b64 s[36:37], 0
	v_mov_b32_e32 v11, v50
	v_mov_b32_e32 v9, v0
                                        ; implicit-def: $sgpr38_sgpr39
	s_branch .LBB28_192
.LBB28_190:                             ;   in Loop: Header=BB28_192 Depth=2
	s_or_b64 exec, exec, s[54:55]
	s_waitcnt lgkmcnt(0)
	s_barrier
	ds_read_b128 v[3:6], v18 offset:3072
	s_mov_b64 s[2:3], -1
	s_mov_b64 s[54:55], -1
	s_waitcnt lgkmcnt(0)
	s_barrier
	v_cmp_eq_u64_e32 vcc, 0, v[3:4]
	s_cbranch_vccnz .LBB28_195
.LBB28_191:                             ;   in Loop: Header=BB28_192 Depth=2
	s_and_b64 s[2:3], exec, s[2:3]
	s_or_b64 s[36:37], s[2:3], s[36:37]
	s_andn2_b64 s[2:3], s[38:39], exec
	s_and_b64 s[34:35], s[54:55], exec
	s_or_b64 s[38:39], s[2:3], s[34:35]
	s_andn2_b64 exec, exec, s[36:37]
	s_cbranch_execz .LBB28_196
.LBB28_192:                             ;   Parent Loop BB28_7 Depth=1
                                        ; =>  This Inner Loop Header: Depth=2
	v_cmp_gt_u64_e32 vcc, s[94:95], v[9:10]
	s_and_saveexec_b64 s[54:55], vcc
	s_cbranch_execz .LBB28_190
; %bb.193:                              ;   in Loop: Header=BB28_192 Depth=2
	ds_read_b64 v[4:5], v11
	s_waitcnt lgkmcnt(0)
	v_xor_b32_e32 v3, 0x80000000, v5
	v_and_b32_e32 v13, v3, v30
	v_and_b32_e32 v12, v4, v29
	v_cmp_eq_u64_e32 vcc, v[12:13], v[27:28]
	s_and_b64 exec, exec, vcc
	s_cbranch_execz .LBB28_190
; %bb.194:                              ;   in Loop: Header=BB28_192 Depth=2
	v_mov_b32_e32 v3, v18
	ds_write_b128 v18, v[2:5] offset:3072
	s_branch .LBB28_190
.LBB28_195:                             ;   in Loop: Header=BB28_192 Depth=2
	v_add_co_u32_e32 v9, vcc, s33, v9
	v_addc_co_u32_e32 v10, vcc, 0, v10, vcc
	v_cmp_le_i64_e32 vcc, s[28:29], v[9:10]
	v_add_u32_e32 v11, s8, v11
	s_mov_b64 s[54:55], 0
	s_orn2_b64 s[2:3], vcc, exec
	s_branch .LBB28_191
.LBB28_196:                             ;   in Loop: Header=BB28_7 Depth=1
	s_or_b64 exec, exec, s[36:37]
	s_andn2_b64 s[2:3], s[22:23], exec
	s_and_b64 s[22:23], s[38:39], exec
	s_or_b64 s[22:23], s[2:3], s[22:23]
.LBB28_197:                             ;   in Loop: Header=BB28_7 Depth=1
	s_or_b64 exec, exec, s[10:11]
	s_mov_b64 s[86:87], 0
	s_mov_b64 s[88:89], -1
.LBB28_198:                             ;   in Loop: Header=BB28_7 Depth=1
	v_readlane_b32 s94, v60, 25
	s_orn2_b64 s[10:11], s[22:23], exec
	v_readlane_b32 s95, v60, 26
.LBB28_199:                             ;   in Loop: Header=BB28_7 Depth=1
	s_or_b64 exec, exec, s[90:91]
	s_mov_b64 s[22:23], 0
	s_and_saveexec_b64 s[90:91], s[10:11]
	s_cbranch_execz .LBB28_257
; %bb.200:                              ;   in Loop: Header=BB28_7 Depth=1
	v_mov_b32_e32 v9, 1
	s_xor_b64 s[2:3], s[92:93], -1
	v_mov_b32_e32 v33, 1
	v_mov_b32_e32 v10, 0
	s_mov_b64 s[36:37], 0
	s_and_saveexec_b64 s[22:23], s[2:3]
	s_cbranch_execz .LBB28_209
; %bb.201:                              ;   in Loop: Header=BB28_7 Depth=1
	v_cmp_ge_i64_e32 vcc, s[76:77], v[7:8]
	s_and_saveexec_b64 s[2:3], vcc
	s_xor_b64 s[10:11], exec, s[2:3]
	s_cbranch_execz .LBB28_206
; %bb.202:                              ;   in Loop: Header=BB28_7 Depth=1
	s_lshl_b64 s[2:3], 2, s9
	v_and_b32_e32 v3, s81, v28
	v_and_b32_e32 v4, s80, v27
	v_or_b32_e32 v28, s3, v3
	v_or_b32_e32 v27, s2, v4
	ds_read_b64 v[3:4], v18 offset:5120
	v_or_b32_e32 v30, s15, v30
	v_or_b32_e32 v29, s14, v29
	s_waitcnt lgkmcnt(0)
	v_cmp_ne_u64_e32 vcc, 0, v[3:4]
	s_cbranch_vccnz .LBB28_206
; %bb.203:                              ;   in Loop: Header=BB28_7 Depth=1
	s_and_saveexec_b64 s[2:3], s[94:95]
; %bb.204:                              ;   in Loop: Header=BB28_7 Depth=1
	v_mov_b32_e32 v3, s76
	v_mov_b32_e32 v4, s77
	ds_write_b64 v18, v[3:4] offset:5128
; %bb.205:                              ;   in Loop: Header=BB28_7 Depth=1
	s_or_b64 exec, exec, s[2:3]
	s_waitcnt lgkmcnt(0)
	s_barrier
.LBB28_206:                             ;   in Loop: Header=BB28_7 Depth=1
	s_or_saveexec_b64 s[10:11], s[10:11]
	s_mov_b64 s[28:29], 0
	v_mov_b32_e32 v33, 8
	s_xor_b64 exec, exec, s[10:11]
; %bb.207:                              ;   in Loop: Header=BB28_7 Depth=1
	v_subrev_co_u32_e32 v7, vcc, s76, v7
	v_mov_b32_e32 v3, s77
	v_subb_co_u32_e32 v8, vcc, v8, v3, vcc
	v_mov_b32_e32 v33, 0
	s_mov_b64 s[28:29], exec
; %bb.208:                              ;   in Loop: Header=BB28_7 Depth=1
	s_or_b64 exec, exec, s[10:11]
	v_mov_b32_e32 v10, v8
	s_and_b64 s[36:37], s[28:29], exec
	v_mov_b32_e32 v9, v7
.LBB28_209:                             ;   in Loop: Header=BB28_7 Depth=1
	s_or_b64 exec, exec, s[22:23]
	s_mov_b64 s[10:11], -1
                                        ; implicit-def: $sgpr28_sgpr29
                                        ; implicit-def: $sgpr22_sgpr23
	s_and_saveexec_b64 s[76:77], s[36:37]
	s_cbranch_execz .LBB28_256
; %bb.210:                              ;   in Loop: Header=BB28_7 Depth=1
	s_cmp_eq_u64 s[12:13], 1
	v_cmp_eq_u64_e32 vcc, 1, v[9:10]
	s_cselect_b64 s[2:3], -1, 0
	s_and_b64 s[80:81], s[2:3], vcc
                                        ; implicit-def: $sgpr28_sgpr29
                                        ; implicit-def: $sgpr22_sgpr23
	s_and_saveexec_b64 s[92:93], s[80:81]
	s_cbranch_execz .LBB28_244
; %bb.211:                              ;   in Loop: Header=BB28_7 Depth=1
	ds_read_b64 v[3:4], v18 offset:5120
	s_waitcnt lgkmcnt(0)
	s_barrier
	v_readfirstlane_b32 s94, v3
	v_readfirstlane_b32 s95, v4
	s_and_saveexec_b64 s[2:3], s[18:19]
; %bb.212:                              ;   in Loop: Header=BB28_7 Depth=1
	v_mov_b32_e32 v17, v18
	ds_write_b64 v51, v[17:18]
; %bb.213:                              ;   in Loop: Header=BB28_7 Depth=1
	s_or_b64 exec, exec, s[2:3]
	v_cmp_gt_i64_e64 s[2:3], s[94:95], 0
	v_or_b32_e32 v28, s15, v28
	v_or_b32_e32 v27, s14, v27
	;; [unrolled: 1-line block ×4, first 2 shown]
	s_mov_b64 s[22:23], -1
	s_mov_b64 s[28:29], 0
	s_and_b64 vcc, exec, s[2:3]
	s_mov_b64 s[36:37], 0
	s_mov_b64 s[38:39], -1
	s_waitcnt lgkmcnt(0)
	s_barrier
                                        ; implicit-def: $vgpr5_vgpr6
	s_cbranch_vccnz .LBB28_229
; %bb.214:                              ;   in Loop: Header=BB28_7 Depth=1
	s_mov_b32 s50, s45
	s_cmp_lg_u64 s[50:51], 0
	s_cbranch_scc0 .LBB28_263
; %bb.215:                              ;   in Loop: Header=BB28_7 Depth=1
	s_add_u32 s2, s33, 0
	s_addc_u32 s3, 0, 0
	s_xor_b64 s[36:37], s[2:3], 0
	v_cvt_f32_u32_e32 v3, s36
	v_cvt_f32_u32_e32 v4, s37
	s_sub_u32 s10, 0, s36
	s_subb_u32 s11, 0, s37
	v_mac_f32_e32 v3, 0x4f800000, v4
	v_rcp_f32_e32 v3, v3
	v_mul_f32_e32 v3, 0x5f7ffffc, v3
	v_mul_f32_e32 v4, 0x2f800000, v3
	v_trunc_f32_e32 v4, v4
	v_mac_f32_e32 v3, 0xcf800000, v4
	v_cvt_u32_f32_e32 v4, v4
	v_cvt_u32_f32_e32 v3, v3
	v_readfirstlane_b32 s34, v4
	v_readfirstlane_b32 s2, v3
	s_mul_i32 s3, s10, s34
	s_mul_hi_u32 s38, s10, s2
	s_mul_i32 s35, s11, s2
	s_add_i32 s3, s38, s3
	s_mul_i32 s39, s10, s2
	s_add_i32 s3, s3, s35
	s_mul_i32 s38, s2, s3
	s_mul_hi_u32 s44, s2, s39
	s_mul_hi_u32 s35, s2, s3
	s_add_u32 s38, s44, s38
	s_addc_u32 s35, 0, s35
	s_mul_hi_u32 s49, s34, s39
	s_mul_i32 s39, s34, s39
	s_add_u32 s38, s38, s39
	s_mul_hi_u32 s44, s34, s3
	s_addc_u32 s35, s35, s49
	s_addc_u32 s38, s44, 0
	s_mul_i32 s3, s34, s3
	s_add_u32 s3, s35, s3
	s_addc_u32 s35, 0, s38
	s_add_u32 s38, s2, s3
	s_cselect_b64 s[2:3], -1, 0
	s_cmp_lg_u64 s[2:3], 0
	s_addc_u32 s34, s34, s35
	s_mul_i32 s2, s10, s34
	s_mul_hi_u32 s3, s10, s38
	s_add_i32 s2, s3, s2
	s_mul_i32 s11, s11, s38
	s_add_i32 s2, s2, s11
	s_mul_i32 s10, s10, s38
	s_mul_hi_u32 s11, s34, s10
	s_mul_i32 s35, s34, s10
	s_mul_i32 s44, s38, s2
	s_mul_hi_u32 s10, s38, s10
	s_mul_hi_u32 s39, s38, s2
	s_add_u32 s10, s10, s44
	s_addc_u32 s39, 0, s39
	s_add_u32 s10, s10, s35
	s_mul_hi_u32 s3, s34, s2
	s_addc_u32 s10, s39, s11
	s_addc_u32 s3, s3, 0
	s_mul_i32 s2, s34, s2
	s_add_u32 s2, s10, s2
	s_addc_u32 s10, 0, s3
	s_add_u32 s35, s38, s2
	s_cselect_b64 s[2:3], -1, 0
	s_cmp_lg_u64 s[2:3], 0
	s_addc_u32 s34, s34, s10
	s_ashr_i32 s10, s51, 31
	s_add_u32 s2, s0, s10
	s_mov_b32 s11, s10
	s_addc_u32 s3, s51, s10
	s_xor_b64 s[2:3], s[2:3], s[10:11]
	s_mul_i32 s39, s2, s34
	s_mul_hi_u32 s44, s2, s35
	s_mul_hi_u32 s38, s2, s34
	s_add_u32 s39, s44, s39
	s_addc_u32 s38, 0, s38
	s_mul_hi_u32 s49, s3, s35
	s_mul_i32 s35, s3, s35
	s_add_u32 s35, s39, s35
	s_mul_hi_u32 s44, s3, s34
	s_addc_u32 s35, s38, s49
	s_addc_u32 s38, s44, 0
	s_mul_i32 s34, s3, s34
	s_add_u32 s34, s35, s34
	s_addc_u32 s35, 0, s38
	s_mul_i32 s35, s36, s35
	s_mul_hi_u32 s38, s36, s34
	s_add_i32 s35, s38, s35
	s_mul_i32 s38, s37, s34
	s_add_i32 s44, s35, s38
	s_sub_i32 s38, s3, s44
	s_mul_i32 s34, s36, s34
	s_sub_u32 s2, s2, s34
	s_cselect_b64 s[34:35], -1, 0
	s_cmp_lg_u64 s[34:35], 0
	s_subb_u32 s49, s38, s37
	s_sub_u32 s50, s2, s36
	s_cselect_b64 s[38:39], -1, 0
	s_cmp_lg_u64 s[38:39], 0
	s_subb_u32 s54, s49, 0
	s_cmp_ge_u32 s54, s37
	s_cselect_b32 s55, -1, 0
	s_cmp_ge_u32 s50, s36
	s_cselect_b32 s56, -1, 0
	s_cmp_eq_u32 s54, s37
	s_cselect_b32 s55, s56, s55
	s_cmp_lg_u64 s[38:39], 0
	s_subb_u32 s49, s49, s37
	s_sub_u32 s56, s50, s36
	s_cselect_b64 s[38:39], -1, 0
	s_cmp_lg_u64 s[38:39], 0
	s_subb_u32 s38, s49, 0
	s_cmp_lg_u32 s55, 0
	s_cselect_b32 s39, s56, s50
	s_cselect_b32 s38, s38, s54
	s_cmp_lg_u64 s[34:35], 0
	s_subb_u32 s3, s3, s44
	s_cmp_ge_u32 s3, s37
	s_cselect_b32 s34, -1, 0
	s_cmp_ge_u32 s2, s36
	s_cselect_b32 s35, -1, 0
	s_cmp_eq_u32 s3, s37
	s_cselect_b32 s34, s35, s34
	s_cmp_lg_u32 s34, 0
	s_cselect_b32 s3, s38, s3
	s_cselect_b32 s2, s39, s2
	s_xor_b64 s[2:3], s[2:3], s[10:11]
	s_sub_u32 s2, s2, s10
	s_subb_u32 s3, s3, s10
	s_cbranch_execnz .LBB28_217
.LBB28_216:                             ;   in Loop: Header=BB28_7 Depth=1
	v_cvt_f32_u32_e32 v3, s33
	s_sub_i32 s2, 0, s33
	v_rcp_iflag_f32_e32 v3, v3
	v_mul_f32_e32 v3, 0x4f7ffffe, v3
	v_cvt_u32_f32_e32 v3, v3
	v_readfirstlane_b32 s3, v3
	s_mul_i32 s2, s2, s3
	s_mul_hi_u32 s2, s3, s2
	s_add_i32 s3, s3, s2
	s_mul_hi_u32 s2, s0, s3
	s_mul_i32 s2, s2, s33
	s_sub_i32 s2, s0, s2
	s_sub_i32 s3, s2, s33
	s_cmp_ge_u32 s2, s33
	s_cselect_b32 s2, s3, s2
	s_sub_i32 s3, s2, s33
	s_cmp_ge_u32 s2, s33
	s_cselect_b32 s44, s3, s2
	s_mov_b64 s[2:3], s[44:45]
.LBB28_217:                             ;   in Loop: Header=BB28_7 Depth=1
	s_sub_u32 s54, s0, s2
	s_subb_u32 s55, s51, s3
	v_cmp_gt_i64_e32 vcc, s[54:55], v[0:1]
	s_mov_b64 s[38:39], 0
	s_mov_b64 s[36:37], 0
                                        ; implicit-def: $vgpr5_vgpr6
	s_and_saveexec_b64 s[10:11], vcc
	s_cbranch_execz .LBB28_228
; %bb.218:                              ;   in Loop: Header=BB28_7 Depth=1
	v_mov_b32_e32 v7, v15
	v_mov_b32_e32 v12, v1
	;; [unrolled: 1-line block ×4, first 2 shown]
                                        ; implicit-def: $sgpr56_sgpr57
	s_branch .LBB28_221
.LBB28_219:                             ;   in Loop: Header=BB28_221 Depth=2
	s_or_b64 exec, exec, s[2:3]
	s_waitcnt lgkmcnt(0)
	s_barrier
	ds_read_b128 v[3:6], v18 offset:3072
	s_mov_b64 s[2:3], -1
	s_mov_b64 s[34:35], -1
	s_waitcnt lgkmcnt(0)
	s_barrier
	v_cmp_ne_u64_e32 vcc, 0, v[3:4]
	s_cbranch_vccz .LBB28_224
.LBB28_220:                             ;   in Loop: Header=BB28_221 Depth=2
	s_and_b64 s[2:3], exec, s[2:3]
	s_or_b64 s[36:37], s[2:3], s[36:37]
	s_andn2_b64 s[2:3], s[56:57], exec
	s_and_b64 s[34:35], s[34:35], exec
	s_or_b64 s[56:57], s[2:3], s[34:35]
	s_andn2_b64 exec, exec, s[36:37]
	s_cbranch_execz .LBB28_227
.LBB28_221:                             ;   Parent Loop BB28_7 Depth=1
                                        ; =>  This Inner Loop Header: Depth=2
	v_cmp_gt_i64_e32 vcc, s[24:25], v[11:12]
	s_and_saveexec_b64 s[2:3], vcc
	s_cbranch_execz .LBB28_219
; %bb.222:                              ;   in Loop: Header=BB28_221 Depth=2
	global_load_dwordx2 v[4:5], v[7:8], off
	s_waitcnt vmcnt(0)
	v_xor_b32_e32 v3, 0x80000000, v5
	v_and_b32_e32 v14, v3, v30
	v_and_b32_e32 v13, v4, v29
	v_cmp_eq_u64_e32 vcc, v[13:14], v[27:28]
	s_and_b64 exec, exec, vcc
	s_cbranch_execz .LBB28_219
; %bb.223:                              ;   in Loop: Header=BB28_221 Depth=2
	v_mov_b32_e32 v3, v18
	ds_write_b128 v18, v[2:5] offset:3072
	s_branch .LBB28_219
.LBB28_224:                             ;   in Loop: Header=BB28_221 Depth=2
	v_add_co_u32_e32 v11, vcc, s33, v11
	v_addc_co_u32_e32 v12, vcc, 0, v12, vcc
	v_mov_b32_e32 v3, s41
	v_add_co_u32_e32 v7, vcc, s40, v7
	v_addc_co_u32_e32 v8, vcc, v8, v3, vcc
	v_cmp_le_i64_e32 vcc, s[54:55], v[11:12]
	s_mov_b64 s[34:35], 0
	s_orn2_b64 s[2:3], vcc, exec
	s_branch .LBB28_220
.LBB28_225:                             ;   in Loop: Header=BB28_7 Depth=1
                                        ; implicit-def: $sgpr2_sgpr3
	s_andn2_b64 vcc, exec, s[10:11]
	s_cbranch_vccz .LBB28_171
	s_branch .LBB28_172
.LBB28_226:                             ;   in Loop: Header=BB28_7 Depth=1
                                        ; implicit-def: $sgpr2_sgpr3
	s_branch .LBB28_187
.LBB28_227:                             ;   in Loop: Header=BB28_7 Depth=1
	s_or_b64 exec, exec, s[36:37]
	s_and_b64 s[36:37], s[56:57], exec
.LBB28_228:                             ;   in Loop: Header=BB28_7 Depth=1
	s_or_b64 exec, exec, s[10:11]
.LBB28_229:                             ;   in Loop: Header=BB28_7 Depth=1
	s_and_b64 vcc, exec, s[38:39]
	s_cbranch_vccz .LBB28_243
; %bb.230:                              ;   in Loop: Header=BB28_7 Depth=1
	v_readlane_b32 s2, v60, 18
	s_add_u32 s34, s94, s2
	v_readlane_b32 s2, v60, 19
	s_addc_u32 s23, s95, s2
	s_mov_b32 s22, s45
	s_cmp_lg_u64 s[22:23], 0
	s_cbranch_scc0 .LBB28_264
; %bb.231:                              ;   in Loop: Header=BB28_7 Depth=1
	s_add_u32 s2, s33, 0
	s_addc_u32 s3, 0, 0
	s_xor_b64 s[28:29], s[2:3], 0
	v_cvt_f32_u32_e32 v3, s28
	v_cvt_f32_u32_e32 v4, s29
	s_sub_u32 s10, 0, s28
	s_subb_u32 s11, 0, s29
	v_mac_f32_e32 v3, 0x4f800000, v4
	v_rcp_f32_e32 v3, v3
	v_mul_f32_e32 v3, 0x5f7ffffc, v3
	v_mul_f32_e32 v4, 0x2f800000, v3
	v_trunc_f32_e32 v4, v4
	v_mac_f32_e32 v3, 0xcf800000, v4
	v_cvt_u32_f32_e32 v4, v4
	v_cvt_u32_f32_e32 v3, v3
	v_readfirstlane_b32 s22, v4
	v_readfirstlane_b32 s2, v3
	s_mul_i32 s3, s10, s22
	s_mul_hi_u32 s38, s10, s2
	s_mul_i32 s35, s11, s2
	s_add_i32 s3, s38, s3
	s_mul_i32 s39, s10, s2
	s_add_i32 s3, s3, s35
	s_mul_i32 s38, s2, s3
	s_mul_hi_u32 s44, s2, s39
	s_mul_hi_u32 s35, s2, s3
	s_add_u32 s38, s44, s38
	s_addc_u32 s35, 0, s35
	s_mul_hi_u32 s49, s22, s39
	s_mul_i32 s39, s22, s39
	s_add_u32 s38, s38, s39
	s_mul_hi_u32 s44, s22, s3
	s_addc_u32 s35, s35, s49
	s_addc_u32 s38, s44, 0
	s_mul_i32 s3, s22, s3
	s_add_u32 s3, s35, s3
	s_addc_u32 s35, 0, s38
	s_add_u32 s38, s2, s3
	s_cselect_b64 s[2:3], -1, 0
	s_cmp_lg_u64 s[2:3], 0
	s_addc_u32 s22, s22, s35
	s_mul_i32 s2, s10, s22
	s_mul_hi_u32 s3, s10, s38
	s_add_i32 s2, s3, s2
	s_mul_i32 s11, s11, s38
	s_add_i32 s2, s2, s11
	s_mul_i32 s10, s10, s38
	s_mul_hi_u32 s11, s22, s10
	s_mul_i32 s35, s22, s10
	s_mul_i32 s44, s38, s2
	s_mul_hi_u32 s10, s38, s10
	s_mul_hi_u32 s39, s38, s2
	s_add_u32 s10, s10, s44
	s_addc_u32 s39, 0, s39
	s_add_u32 s10, s10, s35
	s_mul_hi_u32 s3, s22, s2
	s_addc_u32 s10, s39, s11
	s_addc_u32 s3, s3, 0
	s_mul_i32 s2, s22, s2
	s_add_u32 s2, s10, s2
	s_addc_u32 s10, 0, s3
	s_add_u32 s35, s38, s2
	s_cselect_b64 s[2:3], -1, 0
	s_cmp_lg_u64 s[2:3], 0
	s_addc_u32 s22, s22, s10
	s_ashr_i32 s10, s23, 31
	s_add_u32 s2, s34, s10
	s_mov_b32 s11, s10
	s_addc_u32 s3, s23, s10
	s_xor_b64 s[2:3], s[2:3], s[10:11]
	s_mul_i32 s39, s2, s22
	s_mul_hi_u32 s44, s2, s35
	s_mul_hi_u32 s38, s2, s22
	s_add_u32 s39, s44, s39
	s_addc_u32 s38, 0, s38
	s_mul_hi_u32 s49, s3, s35
	s_mul_i32 s35, s3, s35
	s_add_u32 s35, s39, s35
	s_mul_hi_u32 s44, s3, s22
	s_addc_u32 s35, s38, s49
	s_addc_u32 s38, s44, 0
	s_mul_i32 s22, s3, s22
	s_add_u32 s22, s35, s22
	s_addc_u32 s35, 0, s38
	s_mul_i32 s35, s28, s35
	s_mul_hi_u32 s38, s28, s22
	s_add_i32 s35, s38, s35
	s_mul_i32 s38, s29, s22
	s_add_i32 s35, s35, s38
	s_sub_i32 s44, s3, s35
	s_mul_i32 s22, s28, s22
	s_sub_u32 s2, s2, s22
	s_cselect_b64 s[38:39], -1, 0
	s_cmp_lg_u64 s[38:39], 0
	s_subb_u32 s22, s44, s29
	s_sub_u32 s44, s2, s28
	s_cselect_b64 s[54:55], -1, 0
	s_cmp_lg_u64 s[54:55], 0
	s_subb_u32 s49, s22, 0
	s_cmp_ge_u32 s49, s29
	s_cselect_b32 s50, -1, 0
	s_cmp_ge_u32 s44, s28
	s_cselect_b32 s56, -1, 0
	s_cmp_eq_u32 s49, s29
	s_cselect_b32 s50, s56, s50
	s_cmp_lg_u64 s[54:55], 0
	s_subb_u32 s22, s22, s29
	s_sub_u32 s56, s44, s28
	s_cselect_b64 s[54:55], -1, 0
	s_cmp_lg_u64 s[54:55], 0
	s_subb_u32 s22, s22, 0
	s_cmp_lg_u32 s50, 0
	s_cselect_b32 s44, s56, s44
	s_cselect_b32 s22, s22, s49
	s_cmp_lg_u64 s[38:39], 0
	s_subb_u32 s3, s3, s35
	s_cmp_ge_u32 s3, s29
	s_cselect_b32 s35, -1, 0
	s_cmp_ge_u32 s2, s28
	s_cselect_b32 s28, -1, 0
	s_cmp_eq_u32 s3, s29
	s_cselect_b32 s28, s28, s35
	s_cmp_lg_u32 s28, 0
	s_cselect_b32 s3, s22, s3
	s_cselect_b32 s2, s44, s2
	s_xor_b64 s[2:3], s[2:3], s[10:11]
	s_sub_u32 s2, s2, s10
	s_subb_u32 s3, s3, s10
	s_cbranch_execnz .LBB28_233
.LBB28_232:                             ;   in Loop: Header=BB28_7 Depth=1
	v_cvt_f32_u32_e32 v3, s33
	s_sub_i32 s2, 0, s33
	v_rcp_iflag_f32_e32 v3, v3
	v_mul_f32_e32 v3, 0x4f7ffffe, v3
	v_cvt_u32_f32_e32 v3, v3
	v_readfirstlane_b32 s3, v3
	s_mul_i32 s2, s2, s3
	s_mul_hi_u32 s2, s3, s2
	s_add_i32 s3, s3, s2
	s_mul_hi_u32 s2, s34, s3
	s_mul_i32 s2, s2, s33
	s_sub_i32 s2, s34, s2
	s_sub_i32 s3, s2, s33
	s_cmp_ge_u32 s2, s33
	s_cselect_b32 s2, s3, s2
	s_sub_i32 s3, s2, s33
	s_cmp_ge_u32 s2, s33
	s_cselect_b32 s44, s3, s2
	s_mov_b64 s[2:3], s[44:45]
.LBB28_233:                             ;   in Loop: Header=BB28_7 Depth=1
	s_sub_u32 s22, s34, s2
	s_subb_u32 s23, s23, s3
	v_cmp_gt_i64_e32 vcc, s[22:23], v[0:1]
                                        ; implicit-def: $vgpr5_vgpr6
	s_and_saveexec_b64 s[10:11], vcc
	s_cbranch_execz .LBB28_242
; %bb.234:                              ;   in Loop: Header=BB28_7 Depth=1
	v_mov_b32_e32 v8, v1
	s_mov_b64 s[28:29], 0
	v_mov_b32_e32 v11, v50
	v_mov_b32_e32 v7, v0
                                        ; implicit-def: $sgpr38_sgpr39
	s_branch .LBB28_237
.LBB28_235:                             ;   in Loop: Header=BB28_237 Depth=2
	s_or_b64 exec, exec, s[2:3]
	s_waitcnt lgkmcnt(0)
	s_barrier
	ds_read_b128 v[3:6], v18 offset:3072
	s_mov_b64 s[2:3], -1
	s_mov_b64 s[34:35], -1
	s_waitcnt lgkmcnt(0)
	s_barrier
	v_cmp_eq_u64_e32 vcc, 0, v[3:4]
	s_cbranch_vccnz .LBB28_240
.LBB28_236:                             ;   in Loop: Header=BB28_237 Depth=2
	s_and_b64 s[2:3], exec, s[2:3]
	s_or_b64 s[28:29], s[2:3], s[28:29]
	s_andn2_b64 s[2:3], s[38:39], exec
	s_and_b64 s[34:35], s[34:35], exec
	s_or_b64 s[38:39], s[2:3], s[34:35]
	s_andn2_b64 exec, exec, s[28:29]
	s_cbranch_execz .LBB28_241
.LBB28_237:                             ;   Parent Loop BB28_7 Depth=1
                                        ; =>  This Inner Loop Header: Depth=2
	v_cmp_gt_u64_e32 vcc, s[94:95], v[7:8]
	s_and_saveexec_b64 s[2:3], vcc
	s_cbranch_execz .LBB28_235
; %bb.238:                              ;   in Loop: Header=BB28_237 Depth=2
	ds_read_b64 v[4:5], v11
	s_waitcnt lgkmcnt(0)
	v_xor_b32_e32 v3, 0x80000000, v5
	v_and_b32_e32 v13, v3, v30
	v_and_b32_e32 v12, v4, v29
	v_cmp_eq_u64_e32 vcc, v[12:13], v[27:28]
	s_and_b64 exec, exec, vcc
	s_cbranch_execz .LBB28_235
; %bb.239:                              ;   in Loop: Header=BB28_237 Depth=2
	v_mov_b32_e32 v3, v18
	ds_write_b128 v18, v[2:5] offset:3072
	s_branch .LBB28_235
.LBB28_240:                             ;   in Loop: Header=BB28_237 Depth=2
	v_add_co_u32_e32 v7, vcc, s33, v7
	v_addc_co_u32_e32 v8, vcc, 0, v8, vcc
	v_cmp_le_i64_e32 vcc, s[22:23], v[7:8]
	v_add_u32_e32 v11, s8, v11
	s_mov_b64 s[34:35], 0
	s_orn2_b64 s[2:3], vcc, exec
	s_branch .LBB28_236
.LBB28_241:                             ;   in Loop: Header=BB28_7 Depth=1
	s_or_b64 exec, exec, s[28:29]
	s_andn2_b64 s[2:3], s[36:37], exec
	s_and_b64 s[22:23], s[38:39], exec
	s_or_b64 s[36:37], s[2:3], s[22:23]
.LBB28_242:                             ;   in Loop: Header=BB28_7 Depth=1
	s_or_b64 exec, exec, s[10:11]
	s_mov_b64 s[22:23], 0
	s_mov_b64 s[28:29], -1
.LBB28_243:                             ;   in Loop: Header=BB28_7 Depth=1
	v_readlane_b32 s94, v60, 25
	s_orn2_b64 s[10:11], s[36:37], exec
	v_readlane_b32 s95, v60, 26
.LBB28_244:                             ;   in Loop: Header=BB28_7 Depth=1
	s_or_b64 exec, exec, s[92:93]
	s_mov_b64 s[2:3], 0
	s_and_saveexec_b64 s[36:37], s[10:11]
	s_cbranch_execz .LBB28_255
; %bb.245:                              ;   in Loop: Header=BB28_7 Depth=1
	v_mov_b32_e32 v3, 1
	s_xor_b64 s[2:3], s[80:81], -1
	v_mov_b32_e32 v4, 0
	v_mov_b32_e32 v33, 1
	s_and_saveexec_b64 s[38:39], s[2:3]
	s_cbranch_execz .LBB28_254
; %bb.246:                              ;   in Loop: Header=BB28_7 Depth=1
	v_cmp_ge_i64_e32 vcc, s[12:13], v[9:10]
	s_and_saveexec_b64 s[2:3], vcc
	s_xor_b64 s[10:11], exec, s[2:3]
	s_cbranch_execz .LBB28_251
; %bb.247:                              ;   in Loop: Header=BB28_7 Depth=1
	ds_read_b64 v[3:4], v18 offset:5120
	v_or_b32_e32 v28, s15, v28
	v_or_b32_e32 v27, s14, v27
	;; [unrolled: 1-line block ×4, first 2 shown]
	s_waitcnt lgkmcnt(0)
	v_cmp_ne_u64_e32 vcc, 0, v[3:4]
	s_cbranch_vccnz .LBB28_251
; %bb.248:                              ;   in Loop: Header=BB28_7 Depth=1
	s_and_saveexec_b64 s[2:3], s[94:95]
; %bb.249:                              ;   in Loop: Header=BB28_7 Depth=1
	v_mov_b32_e32 v3, s12
	v_mov_b32_e32 v4, s13
	ds_write_b64 v18, v[3:4] offset:5128
; %bb.250:                              ;   in Loop: Header=BB28_7 Depth=1
	s_or_b64 exec, exec, s[2:3]
	s_waitcnt lgkmcnt(0)
	s_barrier
.LBB28_251:                             ;   in Loop: Header=BB28_7 Depth=1
	s_andn2_saveexec_b64 s[2:3], s[10:11]
; %bb.252:                              ;   in Loop: Header=BB28_7 Depth=1
	v_mov_b32_e32 v3, s13
	v_subrev_co_u32_e32 v9, vcc, s12, v9
	v_subb_co_u32_e32 v10, vcc, v10, v3, vcc
; %bb.253:                              ;   in Loop: Header=BB28_7 Depth=1
	s_or_b64 exec, exec, s[2:3]
	v_mov_b32_e32 v3, v9
	v_mov_b32_e32 v33, 8
	;; [unrolled: 1-line block ×3, first 2 shown]
.LBB28_254:                             ;   in Loop: Header=BB28_7 Depth=1
	s_or_b64 exec, exec, s[38:39]
	v_mov_b32_e32 v10, v4
	s_mov_b64 s[2:3], exec
	v_mov_b32_e32 v9, v3
.LBB28_255:                             ;   in Loop: Header=BB28_7 Depth=1
	s_or_b64 exec, exec, s[36:37]
	s_orn2_b64 s[10:11], s[2:3], exec
.LBB28_256:                             ;   in Loop: Header=BB28_7 Depth=1
	s_or_b64 exec, exec, s[76:77]
	s_andn2_b64 s[2:3], s[88:89], exec
	s_and_b64 s[12:13], s[28:29], exec
	s_or_b64 s[88:89], s[2:3], s[12:13]
	s_andn2_b64 s[2:3], s[86:87], exec
	s_and_b64 s[12:13], s[22:23], exec
	v_mov_b32_e32 v7, v9
	s_or_b64 s[86:87], s[2:3], s[12:13]
	s_and_b64 s[22:23], s[10:11], exec
	v_mov_b32_e32 v8, v10
.LBB28_257:                             ;   in Loop: Header=BB28_7 Depth=1
	s_or_b64 exec, exec, s[90:91]
	s_orn2_b64 s[10:11], s[22:23], exec
.LBB28_258:                             ;   in Loop: Header=BB28_7 Depth=1
	s_or_b64 exec, exec, s[84:85]
	s_andn2_b64 s[2:3], s[78:79], exec
	s_and_b64 s[12:13], s[88:89], exec
	s_or_b64 s[78:79], s[2:3], s[12:13]
	s_andn2_b64 s[2:3], s[6:7], exec
	s_and_b64 s[6:7], s[86:87], exec
	v_mov_b32_e32 v12, v8
	s_or_b64 s[6:7], s[2:3], s[6:7]
	s_and_b64 s[22:23], s[10:11], exec
	v_mov_b32_e32 v11, v7
.LBB28_259:                             ;   in Loop: Header=BB28_7 Depth=1
	s_or_b64 exec, exec, s[82:83]
	s_orn2_b64 s[10:11], s[22:23], exec
.LBB28_260:                             ;   in Loop: Header=BB28_7 Depth=1
	s_or_b64 exec, exec, s[26:27]
	s_mov_b64 s[12:13], 0
	s_and_saveexec_b64 s[2:3], s[10:11]
	s_xor_b64 s[10:11], exec, s[2:3]
	s_cbranch_execz .LBB28_5
; %bb.261:                              ;   in Loop: Header=BB28_7 Depth=1
	v_and_b32_e32 v3, 7, v33
	v_cmp_eq_u32_e32 vcc, 0, v3
	s_mov_b64 s[14:15], -1
	s_mov_b64 s[2:3], -1
	s_and_saveexec_b64 s[12:13], vcc
	s_cbranch_execz .LBB28_4
; %bb.262:                              ;   in Loop: Header=BB28_7 Depth=1
	s_xor_b32 s48, s48, 1
	s_add_i32 s20, s9, -2
	s_cmp_eq_u32 s9, 0
	s_cselect_b64 s[14:15], -1, 0
	s_xor_b64 s[2:3], exec, -1
	s_orn2_b64 s[14:15], s[14:15], exec
	s_mov_b32 s9, s20
	s_branch .LBB28_4
.LBB28_263:                             ;   in Loop: Header=BB28_7 Depth=1
                                        ; implicit-def: $sgpr2_sgpr3
	s_andn2_b64 vcc, exec, s[10:11]
	s_cbranch_vccz .LBB28_216
	s_branch .LBB28_217
.LBB28_264:                             ;   in Loop: Header=BB28_7 Depth=1
                                        ; implicit-def: $sgpr2_sgpr3
	s_branch .LBB28_232
.LBB28_265:
	s_or_b64 exec, exec, s[62:63]
	s_xor_b64 s[8:9], s[68:69], -1
	s_xor_b64 s[0:1], s[64:65], -1
	;; [unrolled: 1-line block ×3, first 2 shown]
	s_mov_b64 s[6:7], 0
	s_and_saveexec_b64 s[4:5], s[0:1]
	s_xor_b64 s[4:5], exec, s[4:5]
	s_cbranch_execnz .LBB28_270
; %bb.266:
	s_andn2_saveexec_b64 s[0:1], s[4:5]
	s_cbranch_execnz .LBB28_292
.LBB28_267:
	s_or_b64 exec, exec, s[0:1]
	s_and_saveexec_b64 s[0:1], s[6:7]
.LBB28_268:
	; divergent unreachable
.LBB28_269:
	s_endpgm
.LBB28_270:
	s_and_saveexec_b64 s[0:1], s[8:9]
	s_xor_b64 s[6:7], exec, s[0:1]
	s_cbranch_execz .LBB28_290
; %bb.271:
	s_and_saveexec_b64 s[0:1], s[2:3]
	s_xor_b64 s[2:3], exec, s[0:1]
; %bb.272:
	v_xor_b32_e32 v28, 0x80000000, v28
	v_mov_b32_e32 v5, v27
	v_mov_b32_e32 v6, v28
; %bb.273:
	s_or_b64 exec, exec, s[2:3]
	s_and_saveexec_b64 s[2:3], s[94:95]
	v_readlane_b32 s26, v60, 8
	v_readlane_b32 s27, v60, 9
; %bb.274:
	v_mov_b32_e32 v2, 0
	v_mov_b32_e32 v3, s24
	ds_write_b32 v2, v3 offset:5140
; %bb.275:
	s_or_b64 exec, exec, s[2:3]
	s_waitcnt lgkmcnt(0)
	s_barrier
	s_mov_b64 s[8:9], exec
	v_readlane_b32 s0, v60, 14
	v_readlane_b32 s1, v60, 15
	s_and_b64 s[0:1], s[8:9], s[0:1]
	s_mov_b64 exec, s[0:1]
	s_cbranch_execz .LBB28_287
; %bb.276:
	v_mov_b32_e32 v2, 0
	ds_read_b32 v7, v2 offset:5140
	s_mov_b64 s[10:11], 0
                                        ; implicit-def: $sgpr12_sgpr13
                                        ; implicit-def: $sgpr14_sgpr15
                                        ; implicit-def: $sgpr16_sgpr17
	s_waitcnt lgkmcnt(0)
	v_ashrrev_i32_e32 v8, 31, v7
	s_branch .LBB28_279
.LBB28_277:                             ;   in Loop: Header=BB28_279 Depth=1
	s_or_b64 exec, exec, s[22:23]
	s_andn2_b64 s[0:1], s[16:17], exec
	s_and_b64 s[16:17], s[20:21], exec
	s_or_b64 s[16:17], s[0:1], s[16:17]
	s_andn2_b64 s[0:1], s[14:15], exec
	s_and_b64 s[2:3], s[2:3], exec
	s_or_b64 s[14:15], s[0:1], s[2:3]
.LBB28_278:                             ;   in Loop: Header=BB28_279 Depth=1
	s_or_b64 exec, exec, s[18:19]
	s_and_b64 s[0:1], exec, s[14:15]
	s_or_b64 s[10:11], s[0:1], s[10:11]
	s_andn2_b64 s[0:1], s[12:13], exec
	s_and_b64 s[2:3], s[16:17], exec
	s_or_b64 s[12:13], s[0:1], s[2:3]
	s_andn2_b64 exec, exec, s[10:11]
	s_cbranch_execz .LBB28_282
.LBB28_279:                             ; =>This Inner Loop Header: Depth=1
	v_mov_b32_e32 v3, v1
	v_mov_b32_e32 v2, v0
	v_cmp_lt_i64_e32 vcc, v[2:3], v[7:8]
	s_or_b64 s[16:17], s[16:17], exec
	s_or_b64 s[14:15], s[14:15], exec
                                        ; implicit-def: $vgpr0_vgpr1
	s_and_saveexec_b64 s[18:19], vcc
	s_cbranch_execz .LBB28_278
; %bb.280:                              ;   in Loop: Header=BB28_279 Depth=1
	global_load_dwordx2 v[0:1], v[15:16], off
	s_mov_b64 s[2:3], -1
	s_mov_b64 s[20:21], 0
	s_waitcnt vmcnt(0)
	v_cmp_ne_u64_e32 vcc, v[0:1], v[5:6]
                                        ; implicit-def: $vgpr0_vgpr1
	s_and_saveexec_b64 s[22:23], vcc
	s_cbranch_execz .LBB28_277
; %bb.281:                              ;   in Loop: Header=BB28_279 Depth=1
	v_add_co_u32_e32 v0, vcc, s33, v2
	v_addc_co_u32_e32 v1, vcc, 0, v3, vcc
	v_mov_b32_e32 v3, s41
	v_cmp_le_i64_e32 vcc, s[24:25], v[0:1]
	v_add_co_u32_e64 v15, s[2:3], s40, v15
	v_addc_co_u32_e64 v16, s[2:3], v16, v3, s[2:3]
	s_mov_b64 s[20:21], exec
	s_orn2_b64 s[2:3], vcc, exec
	s_branch .LBB28_277
.LBB28_282:
	s_or_b64 exec, exec, s[10:11]
	s_xor_b64 s[0:1], s[12:13], -1
	s_and_saveexec_b64 s[2:3], s[0:1]
	s_xor_b64 s[2:3], exec, s[2:3]
	s_cbranch_execz .LBB28_287
; %bb.283:
	s_mov_b64 s[2:3], exec
	s_brev_b32 s0, -2
.LBB28_284:                             ; =>This Inner Loop Header: Depth=1
	s_ff1_i32_b64 s1, s[2:3]
	v_readlane_b32 s12, v2, s1
	s_lshl_b64 s[10:11], 1, s1
	s_min_i32 s0, s0, s12
	s_andn2_b64 s[2:3], s[2:3], s[10:11]
	s_cmp_lg_u64 s[2:3], 0
	s_cbranch_scc1 .LBB28_284
; %bb.285:
	v_mbcnt_lo_u32_b32 v0, exec_lo, 0
	v_mbcnt_hi_u32_b32 v0, exec_hi, v0
	v_cmp_eq_u32_e32 vcc, 0, v0
	s_and_saveexec_b64 s[2:3], vcc
	s_xor_b64 s[2:3], exec, s[2:3]
; %bb.286:
	v_mov_b32_e32 v0, 0
	v_mov_b32_e32 v1, s0
	ds_min_i32 v0, v1 offset:5140
.LBB28_287:
	s_or_b64 exec, exec, s[8:9]
	s_waitcnt lgkmcnt(0)
	s_barrier
	s_and_saveexec_b64 s[2:3], s[94:95]
	s_cbranch_execz .LBB28_289
; %bb.288:
	v_readlane_b32 s8, v60, 4
	v_readlane_b32 s9, v60, 5
	;; [unrolled: 1-line block ×3, first 2 shown]
	s_mul_i32 s0, s9, s26
	s_mul_hi_u32 s1, s8, s26
	v_readlane_b32 s11, v60, 1
	v_mov_b32_e32 v2, 0
	s_add_i32 s1, s1, s0
	s_mul_i32 s0, s8, s26
	s_mul_i32 s8, s11, s26
	s_mul_hi_u32 s9, s10, s26
	ds_read_b32 v0, v2 offset:5140
	s_add_i32 s9, s9, s8
	s_mul_i32 s8, s10, s26
	s_lshl_b64 s[0:1], s[0:1], 3
	v_readlane_b32 s10, v60, 6
	v_readlane_b32 s11, v60, 7
	s_add_u32 s0, s10, s0
	s_addc_u32 s1, s11, s1
	s_lshl_b64 s[8:9], s[8:9], 3
	v_readlane_b32 s10, v60, 2
	v_readlane_b32 s11, v60, 3
	s_add_u32 s8, s10, s8
	s_addc_u32 s9, s11, s9
	s_waitcnt lgkmcnt(0)
	v_ashrrev_i32_e32 v1, 31, v0
	global_store_dwordx2 v2, v[0:1], s[8:9]
	global_store_dwordx2 v2, v[5:6], s[0:1]
.LBB28_289:
	s_or_b64 exec, exec, s[2:3]
.LBB28_290:
	s_or_saveexec_b64 s[0:1], s[6:7]
	s_mov_b64 s[2:3], 0
	s_xor_b64 exec, exec, s[0:1]
	s_cbranch_execnz .LBB28_293
.LBB28_291:
	s_or_b64 exec, exec, s[0:1]
	s_and_b64 s[6:7], s[2:3], exec
	s_andn2_saveexec_b64 s[0:1], s[4:5]
	s_cbranch_execz .LBB28_267
.LBB28_292:
	s_or_b64 s[6:7], s[6:7], exec
	s_trap 2
	s_or_b64 exec, exec, s[0:1]
	s_and_saveexec_b64 s[0:1], s[6:7]
	s_cbranch_execnz .LBB28_268
	s_branch .LBB28_269
.LBB28_293:
	s_mov_b64 s[2:3], exec
	s_trap 2
	s_branch .LBB28_291
	.section	.rodata,"a",@progbits
	.p2align	6, 0x0
	.amdhsa_kernel _ZN2at6native12_GLOBAL__N_114gatherKthValueIllLi1EEEvNS_4cuda6detail10TensorInfoIKT_T0_EES8_S8_S8_S8_NS5_IS6_S8_EENS5_IlS8_EE
		.amdhsa_group_segment_fixed_size 5144
		.amdhsa_private_segment_fixed_size 0
		.amdhsa_kernarg_size 1536
		.amdhsa_user_sgpr_count 6
		.amdhsa_user_sgpr_private_segment_buffer 1
		.amdhsa_user_sgpr_dispatch_ptr 0
		.amdhsa_user_sgpr_queue_ptr 0
		.amdhsa_user_sgpr_kernarg_segment_ptr 1
		.amdhsa_user_sgpr_dispatch_id 0
		.amdhsa_user_sgpr_flat_scratch_init 0
		.amdhsa_user_sgpr_private_segment_size 0
		.amdhsa_uses_dynamic_stack 0
		.amdhsa_system_sgpr_private_segment_wavefront_offset 0
		.amdhsa_system_sgpr_workgroup_id_x 1
		.amdhsa_system_sgpr_workgroup_id_y 1
		.amdhsa_system_sgpr_workgroup_id_z 1
		.amdhsa_system_sgpr_workgroup_info 0
		.amdhsa_system_vgpr_workitem_id 0
		.amdhsa_next_free_vgpr 61
		.amdhsa_next_free_sgpr 96
		.amdhsa_reserve_vcc 1
		.amdhsa_reserve_flat_scratch 0
		.amdhsa_float_round_mode_32 0
		.amdhsa_float_round_mode_16_64 0
		.amdhsa_float_denorm_mode_32 3
		.amdhsa_float_denorm_mode_16_64 3
		.amdhsa_dx10_clamp 1
		.amdhsa_ieee_mode 1
		.amdhsa_fp16_overflow 0
		.amdhsa_exception_fp_ieee_invalid_op 0
		.amdhsa_exception_fp_denorm_src 0
		.amdhsa_exception_fp_ieee_div_zero 0
		.amdhsa_exception_fp_ieee_overflow 0
		.amdhsa_exception_fp_ieee_underflow 0
		.amdhsa_exception_fp_ieee_inexact 0
		.amdhsa_exception_int_div_zero 0
	.end_amdhsa_kernel
	.section	.text._ZN2at6native12_GLOBAL__N_114gatherKthValueIllLi1EEEvNS_4cuda6detail10TensorInfoIKT_T0_EES8_S8_S8_S8_NS5_IS6_S8_EENS5_IlS8_EE,"axG",@progbits,_ZN2at6native12_GLOBAL__N_114gatherKthValueIllLi1EEEvNS_4cuda6detail10TensorInfoIKT_T0_EES8_S8_S8_S8_NS5_IS6_S8_EENS5_IlS8_EE,comdat
.Lfunc_end28:
	.size	_ZN2at6native12_GLOBAL__N_114gatherKthValueIllLi1EEEvNS_4cuda6detail10TensorInfoIKT_T0_EES8_S8_S8_S8_NS5_IS6_S8_EENS5_IlS8_EE, .Lfunc_end28-_ZN2at6native12_GLOBAL__N_114gatherKthValueIllLi1EEEvNS_4cuda6detail10TensorInfoIKT_T0_EES8_S8_S8_S8_NS5_IS6_S8_EENS5_IlS8_EE
                                        ; -- End function
	.set _ZN2at6native12_GLOBAL__N_114gatherKthValueIllLi1EEEvNS_4cuda6detail10TensorInfoIKT_T0_EES8_S8_S8_S8_NS5_IS6_S8_EENS5_IlS8_EE.num_vgpr, 61
	.set _ZN2at6native12_GLOBAL__N_114gatherKthValueIllLi1EEEvNS_4cuda6detail10TensorInfoIKT_T0_EES8_S8_S8_S8_NS5_IS6_S8_EENS5_IlS8_EE.num_agpr, 0
	.set _ZN2at6native12_GLOBAL__N_114gatherKthValueIllLi1EEEvNS_4cuda6detail10TensorInfoIKT_T0_EES8_S8_S8_S8_NS5_IS6_S8_EENS5_IlS8_EE.numbered_sgpr, 96
	.set _ZN2at6native12_GLOBAL__N_114gatherKthValueIllLi1EEEvNS_4cuda6detail10TensorInfoIKT_T0_EES8_S8_S8_S8_NS5_IS6_S8_EENS5_IlS8_EE.num_named_barrier, 0
	.set _ZN2at6native12_GLOBAL__N_114gatherKthValueIllLi1EEEvNS_4cuda6detail10TensorInfoIKT_T0_EES8_S8_S8_S8_NS5_IS6_S8_EENS5_IlS8_EE.private_seg_size, 0
	.set _ZN2at6native12_GLOBAL__N_114gatherKthValueIllLi1EEEvNS_4cuda6detail10TensorInfoIKT_T0_EES8_S8_S8_S8_NS5_IS6_S8_EENS5_IlS8_EE.uses_vcc, 1
	.set _ZN2at6native12_GLOBAL__N_114gatherKthValueIllLi1EEEvNS_4cuda6detail10TensorInfoIKT_T0_EES8_S8_S8_S8_NS5_IS6_S8_EENS5_IlS8_EE.uses_flat_scratch, 0
	.set _ZN2at6native12_GLOBAL__N_114gatherKthValueIllLi1EEEvNS_4cuda6detail10TensorInfoIKT_T0_EES8_S8_S8_S8_NS5_IS6_S8_EENS5_IlS8_EE.has_dyn_sized_stack, 0
	.set _ZN2at6native12_GLOBAL__N_114gatherKthValueIllLi1EEEvNS_4cuda6detail10TensorInfoIKT_T0_EES8_S8_S8_S8_NS5_IS6_S8_EENS5_IlS8_EE.has_recursion, 0
	.set _ZN2at6native12_GLOBAL__N_114gatherKthValueIllLi1EEEvNS_4cuda6detail10TensorInfoIKT_T0_EES8_S8_S8_S8_NS5_IS6_S8_EENS5_IlS8_EE.has_indirect_call, 0
	.section	.AMDGPU.csdata,"",@progbits
; Kernel info:
; codeLenInByte = 15408
; TotalNumSgprs: 100
; NumVgprs: 61
; ScratchSize: 0
; MemoryBound: 0
; FloatMode: 240
; IeeeMode: 1
; LDSByteSize: 5144 bytes/workgroup (compile time only)
; SGPRBlocks: 12
; VGPRBlocks: 15
; NumSGPRsForWavesPerEU: 100
; NumVGPRsForWavesPerEU: 61
; Occupancy: 4
; WaveLimiterHint : 1
; COMPUTE_PGM_RSRC2:SCRATCH_EN: 0
; COMPUTE_PGM_RSRC2:USER_SGPR: 6
; COMPUTE_PGM_RSRC2:TRAP_HANDLER: 0
; COMPUTE_PGM_RSRC2:TGID_X_EN: 1
; COMPUTE_PGM_RSRC2:TGID_Y_EN: 1
; COMPUTE_PGM_RSRC2:TGID_Z_EN: 1
; COMPUTE_PGM_RSRC2:TIDIG_COMP_CNT: 0
	.section	.text._ZN2at6native12_GLOBAL__N_114gatherKthValueIllLi2EEEvNS_4cuda6detail10TensorInfoIKT_T0_EES8_S8_S8_S8_NS5_IS6_S8_EENS5_IlS8_EE,"axG",@progbits,_ZN2at6native12_GLOBAL__N_114gatherKthValueIllLi2EEEvNS_4cuda6detail10TensorInfoIKT_T0_EES8_S8_S8_S8_NS5_IS6_S8_EENS5_IlS8_EE,comdat
	.globl	_ZN2at6native12_GLOBAL__N_114gatherKthValueIllLi2EEEvNS_4cuda6detail10TensorInfoIKT_T0_EES8_S8_S8_S8_NS5_IS6_S8_EENS5_IlS8_EE ; -- Begin function _ZN2at6native12_GLOBAL__N_114gatherKthValueIllLi2EEEvNS_4cuda6detail10TensorInfoIKT_T0_EES8_S8_S8_S8_NS5_IS6_S8_EENS5_IlS8_EE
	.p2align	8
	.type	_ZN2at6native12_GLOBAL__N_114gatherKthValueIllLi2EEEvNS_4cuda6detail10TensorInfoIKT_T0_EES8_S8_S8_S8_NS5_IS6_S8_EENS5_IlS8_EE,@function
_ZN2at6native12_GLOBAL__N_114gatherKthValueIllLi2EEEvNS_4cuda6detail10TensorInfoIKT_T0_EES8_S8_S8_S8_NS5_IS6_S8_EENS5_IlS8_EE: ; @_ZN2at6native12_GLOBAL__N_114gatherKthValueIllLi2EEEvNS_4cuda6detail10TensorInfoIKT_T0_EES8_S8_S8_S8_NS5_IS6_S8_EENS5_IlS8_EE
; %bb.0:
	s_load_dwordx2 s[14:15], s[4:5], 0x500
	s_load_dwordx8 s[20:27], s[4:5], 0x1a0
	s_add_u32 s12, s4, 0x500
	s_addc_u32 s13, s5, 0
	s_mov_b32 s37, 0
	s_waitcnt lgkmcnt(0)
	s_mul_i32 s0, s15, s8
	s_add_i32 s0, s0, s7
	s_mul_i32 s0, s0, s14
	s_add_i32 s36, s0, s6
	v_mov_b32_e32 v1, s36
	v_mov_b32_e32 v2, s37
	v_cmp_le_i64_e32 vcc, s[24:25], v[1:2]
	s_cbranch_vccnz .LBB29_278
; %bb.1:
	s_load_dwordx2 s[2:3], s[4:5], 0x10
	s_load_dwordx2 s[34:35], s[4:5], 0x1d0
	s_mov_b32 s0, s37
	s_waitcnt lgkmcnt(0)
	s_mov_b32 s1, s3
	s_cmp_lg_u64 s[0:1], 0
	s_cbranch_scc0 .LBB29_291
; %bb.2:
	s_ashr_i32 s0, s3, 31
	s_add_u32 s8, s2, s0
	s_mov_b32 s1, s0
	s_addc_u32 s9, s3, s0
	s_xor_b64 s[10:11], s[8:9], s[0:1]
	v_cvt_f32_u32_e32 v1, s10
	v_cvt_f32_u32_e32 v2, s11
	s_sub_u32 s7, 0, s10
	s_subb_u32 s15, 0, s11
	v_madmk_f32 v1, v2, 0x4f800000, v1
	v_rcp_f32_e32 v1, v1
	v_mul_f32_e32 v1, 0x5f7ffffc, v1
	v_mul_f32_e32 v2, 0x2f800000, v1
	v_trunc_f32_e32 v2, v2
	v_madmk_f32 v1, v2, 0xcf800000, v1
	v_cvt_u32_f32_e32 v2, v2
	v_cvt_u32_f32_e32 v1, v1
	v_readfirstlane_b32 s18, v2
	v_readfirstlane_b32 s16, v1
	s_mul_i32 s17, s7, s18
	s_mul_hi_u32 s24, s7, s16
	s_mul_i32 s19, s15, s16
	s_add_i32 s17, s24, s17
	s_add_i32 s17, s17, s19
	s_mul_i32 s25, s7, s16
	s_mul_i32 s24, s16, s17
	s_mul_hi_u32 s28, s16, s25
	s_mul_hi_u32 s19, s16, s17
	s_add_u32 s24, s28, s24
	s_addc_u32 s19, 0, s19
	s_mul_hi_u32 s29, s18, s25
	s_mul_i32 s25, s18, s25
	s_add_u32 s24, s24, s25
	s_mul_hi_u32 s28, s18, s17
	s_addc_u32 s19, s19, s29
	s_addc_u32 s24, s28, 0
	s_mul_i32 s17, s18, s17
	s_add_u32 s17, s19, s17
	s_addc_u32 s19, 0, s24
	s_add_u32 s24, s16, s17
	s_cselect_b64 s[16:17], -1, 0
	s_cmp_lg_u64 s[16:17], 0
	s_addc_u32 s18, s18, s19
	s_mul_i32 s16, s7, s18
	s_mul_hi_u32 s17, s7, s24
	s_add_i32 s16, s17, s16
	s_mul_i32 s15, s15, s24
	s_add_i32 s16, s16, s15
	s_mul_i32 s7, s7, s24
	s_mul_hi_u32 s17, s18, s7
	s_mul_i32 s19, s18, s7
	s_mul_i32 s28, s24, s16
	s_mul_hi_u32 s7, s24, s7
	s_mul_hi_u32 s25, s24, s16
	s_add_u32 s7, s7, s28
	s_addc_u32 s25, 0, s25
	s_add_u32 s7, s7, s19
	s_mul_hi_u32 s15, s18, s16
	s_addc_u32 s7, s25, s17
	s_addc_u32 s15, s15, 0
	s_mul_i32 s16, s18, s16
	s_add_u32 s7, s7, s16
	s_addc_u32 s15, 0, s15
	s_add_u32 s7, s24, s7
	s_cselect_b64 s[16:17], -1, 0
	s_cmp_lg_u64 s[16:17], 0
	s_addc_u32 s15, s18, s15
	s_add_u32 s16, s36, 0
	s_addc_u32 s17, 0, 0
	s_xor_b64 s[16:17], s[16:17], 0
	s_mul_i32 s19, s16, s15
	s_mul_hi_u32 s24, s16, s7
	s_mul_hi_u32 s18, s16, s15
	s_add_u32 s19, s24, s19
	s_addc_u32 s18, 0, s18
	s_mul_hi_u32 s25, s17, s7
	s_mul_i32 s7, s17, s7
	s_add_u32 s7, s19, s7
	s_mul_hi_u32 s24, s17, s15
	s_addc_u32 s7, s18, s25
	s_addc_u32 s18, s24, 0
	s_mul_i32 s15, s17, s15
	s_add_u32 s7, s7, s15
	s_addc_u32 s15, 0, s18
	s_mul_i32 s18, s10, s15
	s_mul_hi_u32 s19, s10, s7
	s_add_i32 s18, s19, s18
	s_mul_i32 s19, s11, s7
	s_add_i32 s28, s18, s19
	s_sub_i32 s24, s17, s28
	s_mul_i32 s18, s10, s7
	s_sub_u32 s16, s16, s18
	s_cselect_b64 s[18:19], -1, 0
	s_cmp_lg_u64 s[18:19], 0
	s_subb_u32 s29, s24, s11
	s_sub_u32 s30, s16, s10
	s_cselect_b64 s[24:25], -1, 0
	s_cmp_lg_u64 s[24:25], 0
	s_subb_u32 s24, s29, 0
	s_cmp_ge_u32 s24, s11
	s_cselect_b32 s25, -1, 0
	s_cmp_ge_u32 s30, s10
	s_cselect_b32 s29, -1, 0
	s_cmp_eq_u32 s24, s11
	s_cselect_b32 s24, s29, s25
	s_add_u32 s25, s7, 1
	s_addc_u32 s29, s15, 0
	s_add_u32 s30, s7, 2
	s_addc_u32 s31, s15, 0
	s_cmp_lg_u32 s24, 0
	s_cselect_b32 s24, s30, s25
	s_cselect_b32 s25, s31, s29
	s_cmp_lg_u64 s[18:19], 0
	s_subb_u32 s17, s17, s28
	s_cmp_ge_u32 s17, s11
	s_cselect_b32 s18, -1, 0
	s_cmp_ge_u32 s16, s10
	s_cselect_b32 s10, -1, 0
	s_cmp_eq_u32 s17, s11
	s_cselect_b32 s10, s10, s18
	s_cmp_lg_u32 s10, 0
	s_cselect_b32 s11, s25, s15
	s_cselect_b32 s10, s24, s7
	s_xor_b64 s[0:1], 0, s[0:1]
	s_xor_b64 s[10:11], s[10:11], s[0:1]
	s_sub_u32 s16, s10, s0
	s_subb_u32 s17, s11, s1
	s_cbranch_execnz .LBB29_4
.LBB29_3:
	v_cvt_f32_u32_e32 v1, s2
	s_sub_i32 s0, 0, s2
	s_mov_b32 s17, 0
	v_rcp_iflag_f32_e32 v1, v1
	v_mul_f32_e32 v1, 0x4f7ffffe, v1
	v_cvt_u32_f32_e32 v1, v1
	v_readfirstlane_b32 s1, v1
	s_mul_i32 s0, s0, s1
	s_mul_hi_u32 s0, s1, s0
	s_add_i32 s1, s1, s0
	s_mul_hi_u32 s0, s36, s1
	s_mul_i32 s7, s0, s2
	s_sub_i32 s7, s36, s7
	s_add_i32 s1, s0, 1
	s_sub_i32 s8, s7, s2
	s_cmp_ge_u32 s7, s2
	s_cselect_b32 s0, s1, s0
	s_cselect_b32 s7, s8, s7
	s_add_i32 s1, s0, 1
	s_cmp_ge_u32 s7, s2
	s_cselect_b32 s16, s1, s0
.LBB29_4:
	s_load_dwordx2 s[0:1], s[4:5], 0x370
                                        ; implicit-def: $vgpr62 : SGPR spill to VGPR lane
	s_mov_b64 s[68:69], s[34:35]
	s_waitcnt lgkmcnt(0)
	v_writelane_b32 v62, s0, 0
	v_writelane_b32 v62, s1, 1
	s_mov_b32 s0, 0
	s_mov_b32 s1, s35
	s_cmp_lg_u64 s[0:1], 0
	s_cbranch_scc0 .LBB29_292
; %bb.5:
	s_ashr_i32 s0, s35, 31
	s_add_u32 s8, s34, s0
	s_mov_b32 s1, s0
	s_addc_u32 s9, s35, s0
	s_xor_b64 s[10:11], s[8:9], s[0:1]
	v_cvt_f32_u32_e32 v1, s10
	v_cvt_f32_u32_e32 v2, s11
	s_sub_u32 s7, 0, s10
	s_subb_u32 s15, 0, s11
	v_madmk_f32 v1, v2, 0x4f800000, v1
	v_rcp_f32_e32 v1, v1
	v_mul_f32_e32 v1, 0x5f7ffffc, v1
	v_mul_f32_e32 v2, 0x2f800000, v1
	v_trunc_f32_e32 v2, v2
	v_madmk_f32 v1, v2, 0xcf800000, v1
	v_cvt_u32_f32_e32 v2, v2
	v_cvt_u32_f32_e32 v1, v1
	v_readfirstlane_b32 s24, v2
	v_readfirstlane_b32 s18, v1
	s_mul_i32 s19, s7, s24
	s_mul_hi_u32 s28, s7, s18
	s_mul_i32 s25, s15, s18
	s_add_i32 s19, s28, s19
	s_add_i32 s19, s19, s25
	s_mul_i32 s29, s7, s18
	s_mul_i32 s28, s18, s19
	s_mul_hi_u32 s30, s18, s29
	s_mul_hi_u32 s25, s18, s19
	s_add_u32 s28, s30, s28
	s_addc_u32 s25, 0, s25
	s_mul_hi_u32 s31, s24, s29
	s_mul_i32 s29, s24, s29
	s_add_u32 s28, s28, s29
	s_mul_hi_u32 s30, s24, s19
	s_addc_u32 s25, s25, s31
	s_addc_u32 s28, s30, 0
	s_mul_i32 s19, s24, s19
	s_add_u32 s19, s25, s19
	s_addc_u32 s25, 0, s28
	s_add_u32 s28, s18, s19
	s_cselect_b64 s[18:19], -1, 0
	s_cmp_lg_u64 s[18:19], 0
	s_addc_u32 s24, s24, s25
	s_mul_i32 s18, s7, s24
	s_mul_hi_u32 s19, s7, s28
	s_add_i32 s18, s19, s18
	s_mul_i32 s15, s15, s28
	s_add_i32 s18, s18, s15
	s_mul_i32 s7, s7, s28
	s_mul_hi_u32 s19, s24, s7
	s_mul_i32 s25, s24, s7
	s_mul_i32 s30, s28, s18
	s_mul_hi_u32 s7, s28, s7
	s_mul_hi_u32 s29, s28, s18
	s_add_u32 s7, s7, s30
	s_addc_u32 s29, 0, s29
	s_add_u32 s7, s7, s25
	s_mul_hi_u32 s15, s24, s18
	s_addc_u32 s7, s29, s19
	s_addc_u32 s15, s15, 0
	s_mul_i32 s18, s24, s18
	s_add_u32 s7, s7, s18
	s_addc_u32 s15, 0, s15
	s_add_u32 s7, s28, s7
	s_cselect_b64 s[18:19], -1, 0
	s_cmp_lg_u64 s[18:19], 0
	s_addc_u32 s15, s24, s15
	s_add_u32 s18, s36, 0
	s_addc_u32 s19, 0, 0
	s_xor_b64 s[18:19], s[18:19], 0
	s_mul_i32 s25, s18, s15
	s_mul_hi_u32 s28, s18, s7
	s_mul_hi_u32 s24, s18, s15
	s_add_u32 s25, s28, s25
	s_addc_u32 s24, 0, s24
	s_mul_hi_u32 s29, s19, s7
	s_mul_i32 s7, s19, s7
	s_add_u32 s7, s25, s7
	s_mul_hi_u32 s28, s19, s15
	s_addc_u32 s7, s24, s29
	s_addc_u32 s24, s28, 0
	s_mul_i32 s15, s19, s15
	s_add_u32 s7, s7, s15
	s_addc_u32 s15, 0, s24
	s_mul_i32 s24, s10, s15
	s_mul_hi_u32 s25, s10, s7
	s_add_i32 s24, s25, s24
	s_mul_i32 s25, s11, s7
	s_add_i32 s30, s24, s25
	s_sub_i32 s28, s19, s30
	s_mul_i32 s24, s10, s7
	s_sub_u32 s18, s18, s24
	s_cselect_b64 s[24:25], -1, 0
	s_cmp_lg_u64 s[24:25], 0
	s_subb_u32 s31, s28, s11
	s_sub_u32 s33, s18, s10
	s_cselect_b64 s[28:29], -1, 0
	s_cmp_lg_u64 s[28:29], 0
	s_subb_u32 s28, s31, 0
	s_cmp_ge_u32 s28, s11
	s_cselect_b32 s29, -1, 0
	s_cmp_ge_u32 s33, s10
	s_cselect_b32 s31, -1, 0
	s_cmp_eq_u32 s28, s11
	s_cselect_b32 s28, s31, s29
	s_add_u32 s29, s7, 1
	s_addc_u32 s31, s15, 0
	s_add_u32 s33, s7, 2
	s_addc_u32 s34, s15, 0
	s_cmp_lg_u32 s28, 0
	s_cselect_b32 s28, s33, s29
	s_cselect_b32 s29, s34, s31
	s_cmp_lg_u64 s[24:25], 0
	s_subb_u32 s19, s19, s30
	s_cmp_ge_u32 s19, s11
	s_cselect_b32 s24, -1, 0
	s_cmp_ge_u32 s18, s10
	s_cselect_b32 s10, -1, 0
	s_cmp_eq_u32 s19, s11
	s_cselect_b32 s10, s10, s24
	s_cmp_lg_u32 s10, 0
	s_cselect_b32 s11, s29, s15
	s_cselect_b32 s10, s28, s7
	s_xor_b64 s[0:1], 0, s[0:1]
	s_xor_b64 s[10:11], s[10:11], s[0:1]
	s_sub_u32 s0, s10, s0
	s_subb_u32 s1, s11, s1
	v_writelane_b32 v62, s0, 2
	s_mov_b64 s[34:35], s[68:69]
	v_writelane_b32 v62, s1, 3
	s_cbranch_execnz .LBB29_7
.LBB29_6:
	v_cvt_f32_u32_e32 v1, s34
	s_sub_i32 s0, 0, s34
	s_mov_b32 s9, 0
	v_rcp_iflag_f32_e32 v1, v1
	v_mul_f32_e32 v1, 0x4f7ffffe, v1
	v_cvt_u32_f32_e32 v1, v1
	v_readfirstlane_b32 s1, v1
	s_mul_i32 s0, s0, s1
	s_mul_hi_u32 s0, s1, s0
	s_add_i32 s1, s1, s0
	s_mul_hi_u32 s0, s36, s1
	s_mul_i32 s7, s0, s34
	s_sub_i32 s7, s36, s7
	s_add_i32 s1, s0, 1
	s_sub_i32 s8, s7, s34
	s_cmp_ge_u32 s7, s34
	s_cselect_b32 s0, s1, s0
	s_cselect_b32 s7, s8, s7
	s_add_i32 s1, s0, 1
	s_cmp_ge_u32 s7, s34
	s_cselect_b32 s8, s1, s0
	v_writelane_b32 v62, s8, 2
	v_writelane_b32 v62, s9, 3
.LBB29_7:
	s_load_dwordx2 s[34:35], s[4:5], 0x370
	s_mov_b32 s0, 0
	s_waitcnt lgkmcnt(0)
	s_mov_b32 s1, s35
	s_cmp_lg_u64 s[0:1], 0
	s_cbranch_scc0 .LBB29_293
; %bb.8:
	s_ashr_i32 s8, s35, 31
	s_add_u32 s0, s34, s8
	s_mov_b32 s9, s8
	s_addc_u32 s1, s35, s8
	s_xor_b64 s[10:11], s[0:1], s[8:9]
	v_cvt_f32_u32_e32 v1, s10
	v_cvt_f32_u32_e32 v2, s11
	s_sub_u32 s7, 0, s10
	s_subb_u32 s15, 0, s11
	v_madmk_f32 v1, v2, 0x4f800000, v1
	v_rcp_f32_e32 v1, v1
	v_mul_f32_e32 v1, 0x5f7ffffc, v1
	v_mul_f32_e32 v2, 0x2f800000, v1
	v_trunc_f32_e32 v2, v2
	v_madmk_f32 v1, v2, 0xcf800000, v1
	v_cvt_u32_f32_e32 v2, v2
	v_cvt_u32_f32_e32 v1, v1
	v_readfirstlane_b32 s24, v2
	v_readfirstlane_b32 s18, v1
	s_mul_i32 s19, s7, s24
	s_mul_hi_u32 s28, s7, s18
	s_mul_i32 s25, s15, s18
	s_add_i32 s19, s28, s19
	s_add_i32 s19, s19, s25
	s_mul_i32 s29, s7, s18
	s_mul_i32 s28, s18, s19
	s_mul_hi_u32 s30, s18, s29
	s_mul_hi_u32 s25, s18, s19
	s_add_u32 s28, s30, s28
	s_addc_u32 s25, 0, s25
	s_mul_hi_u32 s31, s24, s29
	s_mul_i32 s29, s24, s29
	s_add_u32 s28, s28, s29
	s_mul_hi_u32 s30, s24, s19
	s_addc_u32 s25, s25, s31
	s_addc_u32 s28, s30, 0
	s_mul_i32 s19, s24, s19
	s_add_u32 s19, s25, s19
	s_addc_u32 s25, 0, s28
	s_add_u32 s28, s18, s19
	s_cselect_b64 s[18:19], -1, 0
	s_cmp_lg_u64 s[18:19], 0
	s_addc_u32 s24, s24, s25
	s_mul_i32 s18, s7, s24
	s_mul_hi_u32 s19, s7, s28
	s_add_i32 s18, s19, s18
	s_mul_i32 s15, s15, s28
	s_add_i32 s18, s18, s15
	s_mul_i32 s7, s7, s28
	s_mul_hi_u32 s19, s24, s7
	s_mul_i32 s25, s24, s7
	s_mul_i32 s30, s28, s18
	s_mul_hi_u32 s7, s28, s7
	s_mul_hi_u32 s29, s28, s18
	s_add_u32 s7, s7, s30
	s_addc_u32 s29, 0, s29
	s_add_u32 s7, s7, s25
	s_mul_hi_u32 s15, s24, s18
	s_addc_u32 s7, s29, s19
	s_addc_u32 s15, s15, 0
	s_mul_i32 s18, s24, s18
	s_add_u32 s7, s7, s18
	s_addc_u32 s15, 0, s15
	s_add_u32 s7, s28, s7
	s_cselect_b64 s[18:19], -1, 0
	s_cmp_lg_u64 s[18:19], 0
	s_addc_u32 s15, s24, s15
	s_add_u32 s18, s36, 0
	s_addc_u32 s19, 0, 0
	s_xor_b64 s[18:19], s[18:19], 0
	s_mul_i32 s25, s18, s15
	s_mul_hi_u32 s28, s18, s7
	s_mul_hi_u32 s24, s18, s15
	s_add_u32 s25, s28, s25
	s_addc_u32 s24, 0, s24
	s_mul_hi_u32 s29, s19, s7
	s_mul_i32 s7, s19, s7
	s_add_u32 s7, s25, s7
	s_mul_hi_u32 s28, s19, s15
	s_addc_u32 s7, s24, s29
	s_addc_u32 s24, s28, 0
	s_mul_i32 s15, s19, s15
	s_add_u32 s7, s7, s15
	s_addc_u32 s15, 0, s24
	s_mul_i32 s24, s10, s15
	s_mul_hi_u32 s25, s10, s7
	s_add_i32 s24, s25, s24
	s_mul_i32 s25, s11, s7
	s_add_i32 s30, s24, s25
	s_sub_i32 s28, s19, s30
	s_mul_i32 s24, s10, s7
	s_sub_u32 s18, s18, s24
	s_cselect_b64 s[24:25], -1, 0
	s_cmp_lg_u64 s[24:25], 0
	s_subb_u32 s31, s28, s11
	s_sub_u32 s33, s18, s10
	s_cselect_b64 s[28:29], -1, 0
	s_cmp_lg_u64 s[28:29], 0
	s_subb_u32 s28, s31, 0
	s_cmp_ge_u32 s28, s11
	s_cselect_b32 s29, -1, 0
	s_cmp_ge_u32 s33, s10
	s_cselect_b32 s31, -1, 0
	s_cmp_eq_u32 s28, s11
	s_cselect_b32 s28, s31, s29
	s_add_u32 s29, s7, 1
	s_addc_u32 s31, s15, 0
	s_add_u32 s33, s7, 2
	s_addc_u32 s34, s15, 0
	s_cmp_lg_u32 s28, 0
	s_cselect_b32 s28, s33, s29
	s_cselect_b32 s29, s34, s31
	s_cmp_lg_u64 s[24:25], 0
	s_subb_u32 s19, s19, s30
	s_cmp_ge_u32 s19, s11
	s_cselect_b32 s24, -1, 0
	s_cmp_ge_u32 s18, s10
	s_cselect_b32 s10, -1, 0
	s_cmp_eq_u32 s19, s11
	s_cselect_b32 s10, s10, s24
	s_cmp_lg_u32 s10, 0
	s_cselect_b32 s11, s29, s15
	s_cselect_b32 s10, s28, s7
	s_xor_b64 s[8:9], 0, s[8:9]
	s_load_dwordx2 s[34:35], s[4:5], 0x370
	s_xor_b64 s[10:11], s[10:11], s[8:9]
	s_sub_u32 s8, s10, s8
	s_subb_u32 s9, s11, s9
	v_writelane_b32 v62, s8, 4
	v_writelane_b32 v62, s9, 5
	s_load_dwordx2 s[24:25], s[4:5], 0x0
	s_cbranch_execnz .LBB29_10
.LBB29_9:
	s_waitcnt lgkmcnt(0)
	v_cvt_f32_u32_e32 v1, s34
	s_sub_i32 s0, 0, s34
	s_mov_b32 s9, 0
	v_rcp_iflag_f32_e32 v1, v1
	v_mul_f32_e32 v1, 0x4f7ffffe, v1
	v_cvt_u32_f32_e32 v1, v1
	v_readfirstlane_b32 s1, v1
	s_mul_i32 s0, s0, s1
	s_mul_hi_u32 s0, s1, s0
	s_add_i32 s1, s1, s0
	s_mul_hi_u32 s0, s36, s1
	s_mul_i32 s7, s0, s34
	s_sub_i32 s7, s36, s7
	s_add_i32 s1, s0, 1
	s_sub_i32 s8, s7, s34
	s_cmp_ge_u32 s7, s34
	s_cselect_b32 s0, s1, s0
	s_cselect_b32 s7, s8, s7
	s_add_i32 s1, s0, 1
	s_cmp_ge_u32 s7, s34
	s_cselect_b32 s8, s1, s0
	v_writelane_b32 v62, s8, 4
	v_writelane_b32 v62, s9, 5
.LBB29_10:
	s_load_dwordx2 s[0:1], s[4:5], 0x360
	s_mov_b32 s51, 0
	s_load_dwordx4 s[8:11], s[4:5], 0xd0
	s_waitcnt lgkmcnt(0)
	v_writelane_b32 v62, s0, 6
	v_writelane_b32 v62, s1, 7
	s_load_dwordx2 s[0:1], s[4:5], 0x1c0
	s_waitcnt lgkmcnt(0)
	v_writelane_b32 v62, s0, 8
	v_writelane_b32 v62, s1, 9
	v_cmp_eq_u32_e64 s[0:1], 0, v0
	s_mov_b64 s[18:19], exec
	v_writelane_b32 v62, s0, 10
	v_writelane_b32 v62, s1, 11
	s_and_b64 s[0:1], s[18:19], s[0:1]
	s_mov_b64 s[34:35], s[68:69]
	s_mov_b64 exec, s[0:1]
	s_cbranch_execz .LBB29_12
; %bb.11:
	v_mov_b32_e32 v1, 0
	v_mov_b32_e32 v3, s20
	;; [unrolled: 1-line block ×4, first 2 shown]
	ds_write_b32 v1, v1 offset:5136
	ds_write_b128 v1, v[1:4] offset:5120
.LBB29_12:
	s_or_b64 exec, exec, s[18:19]
	s_load_dwordx4 s[28:31], s[4:5], 0x430
	s_mul_i32 s0, s16, s3
	s_mul_hi_u32 s1, s16, s2
	s_add_i32 s0, s1, s0
	s_mul_i32 s1, s17, s2
	s_waitcnt lgkmcnt(0)
	v_writelane_b32 v62, s28, 12
	v_writelane_b32 v62, s29, 13
	;; [unrolled: 1-line block ×4, first 2 shown]
	s_load_dwordx4 s[28:31], s[4:5], 0x290
	s_add_i32 s0, s0, s1
	s_mul_i32 s1, s16, s2
	s_mov_b32 s2, s36
	v_mbcnt_lo_u32_b32 v1, -1, 0
	s_waitcnt lgkmcnt(0)
	v_writelane_b32 v62, s28, 16
	v_writelane_b32 v62, s29, 17
	;; [unrolled: 1-line block ×6, first 2 shown]
	s_sub_u32 s2, s36, s1
	s_subb_u32 s0, 0, s0
	s_mul_i32 s1, s2, s11
	s_mul_hi_u32 s3, s2, s10
	s_add_i32 s1, s3, s1
	s_mul_i32 s0, s0, s10
	s_add_i32 s1, s1, s0
	s_mul_i32 s0, s2, s10
	s_mul_i32 s2, s16, s9
	s_mul_hi_u32 s3, s16, s8
	s_add_i32 s2, s3, s2
	s_mul_i32 s3, s17, s8
	s_add_i32 s3, s2, s3
	s_mul_i32 s2, s16, s8
	s_lshl_b64 s[8:9], s[2:3], 3
	s_add_u32 s2, s24, s8
	s_addc_u32 s3, s25, s9
	s_lshl_b64 s[10:11], s[0:1], 3
	v_mad_u64_u32 v[2:3], s[0:1], s26, v0, 0
	v_mbcnt_hi_u32_b32 v41, -1, v1
	v_mov_b32_e32 v4, 0x180
	v_mov_b32_e32 v1, v3
	;; [unrolled: 1-line block ×3, first 2 shown]
	v_mad_u64_u32 v[6:7], s[0:1], s27, v0, v[1:2]
	v_cmp_gt_i64_e64 s[0:1], s[20:21], v[4:5]
	v_mov_b32_e32 v18, 0
	v_mov_b32_e32 v1, v18
	v_writelane_b32 v62, s0, 22
	v_writelane_b32 v62, s1, 23
	v_cmp_gt_u64_e64 s[0:1], s[20:21], v[0:1]
	v_writelane_b32 v62, s0, 24
	v_writelane_b32 v62, s1, 25
	v_cmp_gt_i64_e64 s[0:1], s[20:21], v[0:1]
	s_barrier
	v_writelane_b32 v62, s0, 26
	v_writelane_b32 v62, s1, 27
	s_load_dword s0, s[12:13], 0xc
	s_add_u32 s54, s2, s10
	s_addc_u32 s55, s3, s11
	v_cmp_gt_u32_e32 vcc, 64, v0
	v_cmp_gt_i32_e64 s[2:3], 4, v41
	s_and_b64 s[56:57], vcc, s[2:3]
	s_waitcnt lgkmcnt(0)
	s_and_b32 s33, s0, 0xffff
	s_bfe_u32 s1, s0, 0xa0006
	s_cmp_gt_u32 s33, 63
	s_cselect_b64 s[2:3], -1, 0
	v_writelane_b32 v62, s2, 28
	s_add_u32 s59, s33, -1
	v_writelane_b32 v62, s3, 29
	s_addc_u32 s2, 0, -1
	s_add_u32 s0, s59, s20
	s_addc_u32 s61, s2, s21
	s_cmp_lt_u32 s6, s14
	v_writelane_b32 v62, s2, 30
	s_cselect_b32 s2, 12, 18
	s_add_u32 s62, s12, s2
	s_addc_u32 s63, s13, 0
	s_add_i32 s2, s1, -1
	s_bfe_u32 s3, s33, 0x30006
	s_and_b32 s2, s2, 0xffff
	s_cmp_gt_u32 s2, 6
	s_cselect_b64 s[6:7], -1, 0
	v_mov_b32_e32 v3, v6
	v_writelane_b32 v62, s6, 31
	s_and_b32 s1, s1, 0x3f8
	v_lshlrev_b64 v[4:5], 3, v[2:3]
	v_writelane_b32 v62, s7, 32
	s_cmp_lg_u32 s3, 0
	v_writelane_b32 v62, s3, 33
	s_cselect_b64 s[2:3], -1, 0
	v_mov_b32_e32 v6, s55
	v_add_co_u32_e32 v19, vcc, s54, v4
	v_writelane_b32 v62, s2, 34
	v_addc_co_u32_e32 v20, vcc, v6, v5, vcc
	v_lshlrev_b64 v[6:7], v41, -1
	v_writelane_b32 v62, s3, 35
	s_add_u32 s2, s8, s10
	s_addc_u32 s3, s9, s11
	v_lshlrev_b32_e32 v44, 5, v0
	v_not_b32_e32 v42, v7
	s_add_u32 s6, s24, s2
	v_or_b32_e32 v7, 24, v44
	s_addc_u32 s7, s25, s3
	v_mad_u64_u32 v[23:24], s[2:3], s26, v7, 0
	v_or_b32_e32 v8, 16, v44
	v_mad_u64_u32 v[25:26], s[2:3], s26, v8, 0
	v_not_b32_e32 v43, v6
	v_mov_b32_e32 v6, v24
	v_mad_u64_u32 v[6:7], s[2:3], s27, v7, v[6:7]
	v_mov_b32_e32 v7, v26
	v_mad_u64_u32 v[7:8], s[2:3], s27, v8, v[7:8]
	v_mov_b32_e32 v8, s7
	v_writelane_b32 v62, s6, 36
	v_add_co_u32_e32 v15, vcc, s6, v4
	v_addc_co_u32_e32 v16, vcc, v8, v5, vcc
	v_or_b32_e32 v5, 8, v44
	v_mad_u64_u32 v[26:27], s[2:3], s26, v5, 0
	v_add_co_u32_e32 v49, vcc, s20, v0
	v_mov_b32_e32 v4, v27
	v_mad_u64_u32 v[4:5], s[2:3], s27, v5, v[4:5]
	v_lshrrev_b32_e32 v5, 1, v0
	v_and_b32_e32 v5, 0x1e0, v5
	v_lshlrev_b64 v[27:28], 5, v[2:3]
	v_mov_b32_e32 v2, s21
	s_mul_i32 s2, s27, s33
	s_mul_hi_u32 s3, s26, s33
	v_lshlrev_b32_e32 v9, 2, v41
	v_mov_b32_e32 v45, v6
	v_or_b32_e32 v47, 0xc00, v5
	v_addc_co_u32_e32 v50, vcc, 0, v2, vcc
	v_mov_b32_e32 v2, 0xc00
	s_add_i32 s3, s3, s2
	s_mul_i32 s2, s26, s33
	v_lshlrev_b32_e32 v52, 3, v0
	v_mov_b32_e32 v34, s23
	v_mov_b32_e32 v29, 0
	;; [unrolled: 1-line block ×4, first 2 shown]
                                        ; kill: killed $sgpr4 killed $sgpr5
	v_cmp_eq_u32_e64 s[4:5], 0, v41
	v_cmp_gt_u32_e64 s[18:19], 2, v0
	v_lshlrev_b32_e32 v21, 2, v0
	v_mov_b32_e32 v22, v18
	v_and_b32_e32 v24, 0x100, v9
	v_mov_b32_e32 v46, v7
	s_lshl_b64 s[70:71], s[26:27], 3
	s_lshl_b64 s[72:73], s[26:27], 5
	v_mov_b32_e32 v48, v4
	v_lshl_or_b32 v51, v41, 3, v2
	s_lshl_b64 s[52:53], s[2:3], 3
	s_lshl_b32 s8, s33, 3
	s_mov_b32 s9, 62
	s_mov_b64 s[74:75], 0
	s_mov_b32 s58, 0
	v_add_u32_e32 v53, 0xc00, v52
	v_mov_b32_e32 v33, s22
	v_mov_b32_e32 v30, 0
	;; [unrolled: 1-line block ×5, first 2 shown]
	v_writelane_b32 v62, s7, 37
                                        ; implicit-def: $sgpr76_sgpr77
                                        ; implicit-def: $sgpr80_sgpr81
                                        ; implicit-def: $sgpr78_sgpr79
                                        ; implicit-def: $sgpr84_sgpr85
                                        ; implicit-def: $sgpr86_sgpr87
                                        ; implicit-def: $sgpr82_sgpr83
	s_branch .LBB29_16
.LBB29_13:                              ;   in Loop: Header=BB29_16 Depth=1
	s_or_b64 exec, exec, s[14:15]
	s_and_b64 s[10:11], s[10:11], exec
	s_andn2_b64 s[94:95], s[94:95], exec
	s_andn2_b64 s[6:7], s[6:7], exec
	s_orn2_b64 s[22:23], s[12:13], exec
.LBB29_14:                              ;   in Loop: Header=BB29_16 Depth=1
	s_or_b64 exec, exec, s[2:3]
	s_andn2_b64 s[2:3], s[82:83], exec
	s_and_b64 s[10:11], s[10:11], exec
	s_or_b64 s[82:83], s[2:3], s[10:11]
	s_andn2_b64 s[2:3], s[86:87], exec
	s_and_b64 s[10:11], s[94:95], exec
	s_or_b64 s[86:87], s[2:3], s[10:11]
	s_andn2_b64 s[2:3], s[84:85], exec
	s_and_b64 s[6:7], s[6:7], exec
	s_or_b64 s[84:85], s[2:3], s[6:7]
	s_orn2_b64 s[6:7], s[22:23], exec
.LBB29_15:                              ;   in Loop: Header=BB29_16 Depth=1
	s_or_b64 exec, exec, s[16:17]
	s_and_b64 s[2:3], exec, s[6:7]
	s_or_b64 s[74:75], s[2:3], s[74:75]
	s_andn2_b64 s[2:3], s[78:79], exec
	s_and_b64 s[6:7], s[82:83], exec
	s_or_b64 s[78:79], s[2:3], s[6:7]
	s_andn2_b64 s[2:3], s[80:81], exec
	s_and_b64 s[6:7], s[86:87], exec
	;; [unrolled: 3-line block ×3, first 2 shown]
	v_mov_b32_e32 v34, v12
	s_or_b64 s[76:77], s[2:3], s[6:7]
	v_mov_b32_e32 v33, v11
	s_andn2_b64 exec, exec, s[74:75]
	s_cbranch_execz .LBB29_274
.LBB29_16:                              ; =>This Loop Header: Depth=1
                                        ;     Child Loop BB29_22 Depth 2
                                        ;     Child Loop BB29_35 Depth 2
	;; [unrolled: 1-line block ×16, first 2 shown]
	ds_read_b128 v[7:10], v18 offset:5120
	s_waitcnt lgkmcnt(0)
	v_readfirstlane_b32 s23, v8
	v_readfirstlane_b32 s22, v7
	v_cmp_gt_i64_e64 s[2:3], s[22:23], 0
	s_and_b64 vcc, exec, s[2:3]
	s_cbranch_vccnz .LBB29_43
; %bb.17:                               ;   in Loop: Header=BB29_16 Depth=1
	v_readlane_b32 s2, v62, 22
	v_readlane_b32 s3, v62, 23
	s_and_b64 vcc, exec, s[2:3]
	s_cbranch_vccz .LBB29_30
; %bb.18:                               ;   in Loop: Header=BB29_16 Depth=1
	s_mov_b64 s[2:3], 0x181
	v_cmp_gt_i64_e32 vcc, s[2:3], v[9:10]
	s_mov_b64 s[10:11], 0
	s_mov_b64 s[2:3], 0
	s_cbranch_vccz .LBB29_31
; %bb.19:                               ;   in Loop: Header=BB29_16 Depth=1
	s_mov_b64 s[14:15], exec
	v_readlane_b32 s2, v62, 24
	v_readlane_b32 s3, v62, 25
	s_and_b64 s[2:3], s[14:15], s[2:3]
	s_mov_b64 exec, s[2:3]
	s_cbranch_execz .LBB29_77
; %bb.20:                               ;   in Loop: Header=BB29_16 Depth=1
	global_load_ushort v13, v18, s[62:63]
	global_load_dwordx2 v[7:8], v[19:20], off
	v_readlane_b32 s2, v62, 36
	v_readlane_b32 s3, v62, 37
	v_mov_b32_e32 v4, s3
	v_mov_b32_e32 v3, s2
	s_mov_b64 s[16:17], 0
	s_waitcnt vmcnt(1)
	v_readfirstlane_b32 s2, v13
	s_and_b32 s6, 0xffff, s2
	v_add_u32_e32 v9, s6, v0
	v_mad_u64_u32 v[3:4], s[2:3], s70, v9, v[3:4]
	s_mul_i32 s7, s71, s6
	s_mul_i32 s23, s70, s6
	v_mad_u64_u32 v[9:10], s[2:3], s71, v9, v[4:5]
	s_mul_hi_u32 s2, s70, s6
	s_add_i32 s30, s2, s7
	v_mov_b32_e32 v4, v9
	v_mov_b32_e32 v10, v1
	;; [unrolled: 1-line block ×3, first 2 shown]
	s_branch .LBB29_22
.LBB29_21:                              ;   in Loop: Header=BB29_22 Depth=2
	s_or_b64 exec, exec, s[2:3]
	v_mov_b32_e32 v7, s30
	v_add_co_u32_e32 v3, vcc, s23, v3
	v_addc_co_u32_e32 v4, vcc, v4, v7, vcc
	v_mov_b32_e32 v7, v11
	v_mov_b32_e32 v8, v12
	s_andn2_b64 exec, exec, s[16:17]
	s_cbranch_execz .LBB29_77
.LBB29_22:                              ;   Parent Loop BB29_16 Depth=1
                                        ; =>  This Inner Loop Header: Depth=2
	v_add_co_u32_sdwa v9, vcc, v9, v13 dst_sel:DWORD dst_unused:UNUSED_PAD src0_sel:DWORD src1_sel:WORD_0
	v_addc_co_u32_e32 v10, vcc, 0, v10, vcc
	v_cmp_gt_i64_e64 s[6:7], s[20:21], v[9:10]
	v_cmp_le_i64_e32 vcc, s[20:21], v[9:10]
	v_mov_b32_e32 v11, 0
	v_mov_b32_e32 v12, 0
	s_and_saveexec_b64 s[2:3], s[6:7]
	s_cbranch_execz .LBB29_24
; %bb.23:                               ;   in Loop: Header=BB29_22 Depth=2
	global_load_dwordx2 v[11:12], v[3:4], off
.LBB29_24:                              ;   in Loop: Header=BB29_22 Depth=2
	s_or_b64 exec, exec, s[2:3]
	s_waitcnt vmcnt(0) lgkmcnt(0)
	v_xor_b32_e32 v14, 0x80000000, v8
	v_and_b32_e32 v36, v14, v32
	v_and_b32_e32 v35, v7, v31
	v_cmp_eq_u64_e64 s[12:13], v[35:36], v[29:30]
	v_mov_b32_e32 v14, 0
	s_cmp_lg_u64 s[12:13], 0
	s_cselect_b64 s[2:3], -1, 0
	s_and_b64 s[6:7], s[4:5], s[2:3]
	s_and_saveexec_b64 s[2:3], s[6:7]
	s_cbranch_execz .LBB29_28
; %bb.25:                               ;   in Loop: Header=BB29_22 Depth=2
	s_mov_b64 s[28:29], exec
	v_mbcnt_lo_u32_b32 v14, s28, 0
	v_mbcnt_hi_u32_b32 v14, s29, v14
	s_bcnt1_i32_b64 s31, s[12:13]
	v_cmp_eq_u32_e64 s[6:7], 0, v14
                                        ; implicit-def: $vgpr17
	s_and_saveexec_b64 s[24:25], s[6:7]
; %bb.26:                               ;   in Loop: Header=BB29_22 Depth=2
	s_bcnt1_i32_b64 s6, s[28:29]
	s_mul_i32 s6, s31, s6
	v_mov_b32_e32 v17, s6
	ds_add_rtn_u32 v17, v18, v17 offset:5136
; %bb.27:                               ;   in Loop: Header=BB29_22 Depth=2
	s_or_b64 exec, exec, s[24:25]
	s_waitcnt lgkmcnt(0)
	v_readfirstlane_b32 s6, v17
	v_mov_b32_e32 v17, s6
	v_mad_u32_u24 v14, s31, v14, v17
.LBB29_28:                              ;   in Loop: Header=BB29_22 Depth=2
	s_or_b64 exec, exec, s[2:3]
	ds_bpermute_b32 v14, v24, v14
	s_and_b64 s[2:3], exec, vcc
	s_or_b64 s[16:17], s[2:3], s[16:17]
	s_and_saveexec_b64 s[2:3], s[12:13]
	s_cbranch_execz .LBB29_21
; %bb.29:                               ;   in Loop: Header=BB29_22 Depth=2
	v_and_b32_e32 v35, s12, v43
	v_and_b32_e32 v17, s13, v42
	v_bcnt_u32_b32 v35, v35, 0
	v_bcnt_u32_b32 v17, v17, v35
	v_lshlrev_b32_e32 v17, 3, v17
	s_waitcnt lgkmcnt(0)
	v_lshl_add_u32 v14, v14, 3, v17
	ds_write_b64 v14, v[7:8]
	s_branch .LBB29_21
.LBB29_30:                              ;   in Loop: Header=BB29_16 Depth=1
	s_mov_b64 s[10:11], -1
	s_mov_b64 s[2:3], 0
.LBB29_31:                              ;   in Loop: Header=BB29_16 Depth=1
	s_and_b64 vcc, exec, s[10:11]
	s_cbranch_vccz .LBB29_41
.LBB29_32:                              ;   in Loop: Header=BB29_16 Depth=1
	s_mov_b64 s[10:11], exec
	v_readlane_b32 s2, v62, 26
	v_readlane_b32 s3, v62, 27
	s_and_b64 s[2:3], s[10:11], s[2:3]
	s_mov_b64 exec, s[2:3]
	s_cbranch_execz .LBB29_38
; %bb.33:                               ;   in Loop: Header=BB29_16 Depth=1
	global_load_ushort v7, v18, s[62:63]
	global_load_dwordx2 v[3:4], v[19:20], off
	s_waitcnt vmcnt(1)
	v_add_u32_sdwa v17, v7, v0 dst_sel:DWORD dst_unused:UNUSED_PAD src0_sel:WORD_0 src1_sel:DWORD
	v_cmp_gt_i64_e32 vcc, s[20:21], v[17:18]
	v_readfirstlane_b32 s6, v7
	v_mov_b32_e32 v7, v0
	s_and_saveexec_b64 s[2:3], vcc
	s_cbranch_execz .LBB29_37
; %bb.34:                               ;   in Loop: Header=BB29_16 Depth=1
	v_readlane_b32 s12, v62, 36
	v_readlane_b32 s13, v62, 37
	v_mov_b32_e32 v7, s12
	v_mov_b32_e32 v8, s13
	v_mad_u64_u32 v[7:8], s[12:13], s70, v17, v[7:8]
	s_and_b32 s14, s6, 0xffff
	v_mov_b32_e32 v11, v17
	v_mad_u64_u32 v[8:9], s[6:7], s71, v17, v[8:9]
	s_mul_i32 s6, s71, s14
	s_mul_hi_u32 s7, s70, s14
	v_mov_b32_e32 v14, v1
	s_add_i32 s15, s7, s6
	s_mul_i32 s16, s70, s14
	s_mov_b64 s[12:13], 0
	v_mov_b32_e32 v12, v18
	v_mov_b32_e32 v13, v0
.LBB29_35:                              ;   Parent Loop BB29_16 Depth=1
                                        ; =>  This Inner Loop Header: Depth=2
	global_load_dwordx2 v[9:10], v[7:8], off
	v_mov_b32_e32 v36, v12
	v_mov_b32_e32 v35, v11
	v_lshlrev_b32_e32 v11, 3, v13
	v_mov_b32_e32 v13, s15
	v_add_co_u32_e32 v7, vcc, s16, v7
	s_waitcnt vmcnt(1)
	ds_write_b64 v11, v[3:4]
	v_add_co_u32_e64 v11, s[6:7], s14, v35
	v_addc_co_u32_e64 v12, s[6:7], 0, v36, s[6:7]
	v_addc_co_u32_e32 v8, vcc, v8, v13, vcc
	v_cmp_le_i64_e32 vcc, s[20:21], v[11:12]
	v_mov_b32_e32 v13, v35
	s_or_b64 s[12:13], vcc, s[12:13]
	v_mov_b32_e32 v14, v36
	s_waitcnt vmcnt(0)
	v_mov_b32_e32 v3, v9
	v_mov_b32_e32 v4, v10
	s_andn2_b64 exec, exec, s[12:13]
	s_cbranch_execnz .LBB29_35
; %bb.36:                               ;   in Loop: Header=BB29_16 Depth=1
	s_or_b64 exec, exec, s[12:13]
	v_mov_b32_e32 v3, v9
	v_subrev_u32_e32 v7, s14, v11
	v_mov_b32_e32 v4, v10
.LBB29_37:                              ;   in Loop: Header=BB29_16 Depth=1
	s_or_b64 exec, exec, s[2:3]
	v_lshlrev_b32_e32 v7, 3, v7
	s_waitcnt vmcnt(0)
	ds_write_b64 v7, v[3:4]
.LBB29_38:                              ;   in Loop: Header=BB29_16 Depth=1
	s_or_b64 exec, exec, s[10:11]
	s_waitcnt lgkmcnt(0)
	s_barrier
	s_mov_b64 s[2:3], exec
	v_readlane_b32 s6, v62, 10
	v_readlane_b32 s7, v62, 11
	s_and_b64 s[6:7], s[2:3], s[6:7]
	s_mov_b64 exec, s[6:7]
; %bb.39:                               ;   in Loop: Header=BB29_16 Depth=1
	v_mov_b32_e32 v3, s20
	v_mov_b32_e32 v4, s21
	ds_write_b64 v18, v[3:4] offset:5120
; %bb.40:                               ;   in Loop: Header=BB29_16 Depth=1
	s_or_b64 exec, exec, s[2:3]
	s_mov_b64 s[2:3], -1
	s_waitcnt lgkmcnt(0)
	s_barrier
.LBB29_41:                              ;   in Loop: Header=BB29_16 Depth=1
	s_and_b64 vcc, exec, s[2:3]
	s_cbranch_vccz .LBB29_43
; %bb.42:                               ;   in Loop: Header=BB29_16 Depth=1
	ds_read_b64 v[3:4], v18 offset:5120
	s_waitcnt lgkmcnt(0)
	v_readfirstlane_b32 s22, v3
.LBB29_43:                              ;   in Loop: Header=BB29_16 Depth=1
	s_cmp_lt_i32 s22, 1
	s_mov_b64 s[2:3], -1
                                        ; implicit-def: $vgpr13_vgpr14
                                        ; implicit-def: $vgpr9_vgpr10
	s_cbranch_scc1 .LBB29_53
; %bb.44:                               ;   in Loop: Header=BB29_16 Depth=1
	s_and_b64 vcc, exec, s[2:3]
	s_cbranch_vccnz .LBB29_67
.LBB29_45:                              ;   in Loop: Header=BB29_16 Depth=1
	s_lshl_b32 s10, s58, 6
	s_and_saveexec_b64 s[2:3], s[4:5]
	s_cbranch_execz .LBB29_47
.LBB29_46:                              ;   in Loop: Header=BB29_16 Depth=1
	v_lshl_add_u32 v3, s10, 3, v47
	ds_write_b128 v3, v[7:10]
	ds_write_b128 v3, v[11:14] offset:16
.LBB29_47:                              ;   in Loop: Header=BB29_16 Depth=1
	s_or_b64 exec, exec, s[2:3]
	s_waitcnt lgkmcnt(0)
	s_barrier
	s_and_saveexec_b64 s[6:7], s[56:57]
	s_cbranch_execz .LBB29_85
; %bb.48:                               ;   in Loop: Header=BB29_16 Depth=1
	v_readlane_b32 s2, v62, 28
	v_mov_b32_e32 v3, 0
	v_readlane_b32 s3, v62, 29
	v_mov_b32_e32 v4, 0
	s_andn2_b64 vcc, exec, s[2:3]
	s_cbranch_vccnz .LBB29_84
; %bb.49:                               ;   in Loop: Header=BB29_16 Depth=1
	v_readlane_b32 s2, v62, 31
	v_readlane_b32 s3, v62, 32
	s_andn2_b64 vcc, exec, s[2:3]
	s_cbranch_vccnz .LBB29_80
; %bb.50:                               ;   in Loop: Header=BB29_16 Depth=1
	v_mov_b32_e32 v3, 0
	v_lshl_add_u32 v7, s58, 9, v51
	v_mov_b32_e32 v4, 0
	s_mov_b32 s2, 0
.LBB29_51:                              ;   Parent Loop BB29_16 Depth=1
                                        ; =>  This Inner Loop Header: Depth=2
	ds_read2_b64 v[8:11], v7 offset1:4
	ds_read2_b64 v[35:38], v7 offset0:8 offset1:12
	ds_read2_b64 v[54:57], v7 offset0:16 offset1:20
	;; [unrolled: 1-line block ×3, first 2 shown]
	s_add_i32 s2, s2, 8
	s_waitcnt lgkmcnt(3)
	v_add_co_u32_e32 v3, vcc, v8, v3
	v_addc_co_u32_e32 v4, vcc, v9, v4, vcc
	v_add_co_u32_e32 v3, vcc, v10, v3
	v_addc_co_u32_e32 v4, vcc, v11, v4, vcc
	s_waitcnt lgkmcnt(2)
	v_add_co_u32_e32 v3, vcc, v35, v3
	v_addc_co_u32_e32 v4, vcc, v36, v4, vcc
	v_add_co_u32_e32 v3, vcc, v37, v3
	v_addc_co_u32_e32 v4, vcc, v38, v4, vcc
	;; [unrolled: 5-line block ×3, first 2 shown]
	s_waitcnt lgkmcnt(0)
	v_add_co_u32_e32 v3, vcc, v58, v3
	v_addc_co_u32_e32 v4, vcc, v59, v4, vcc
	v_add_co_u32_e32 v3, vcc, v60, v3
	v_add_u32_e32 v7, 0x100, v7
	s_cmp_eq_u32 s1, s2
	v_addc_co_u32_e32 v4, vcc, v61, v4, vcc
	s_cbranch_scc0 .LBB29_51
; %bb.52:                               ;   in Loop: Header=BB29_16 Depth=1
	s_mov_b32 s2, s1
	s_branch .LBB29_81
.LBB29_53:                              ;   in Loop: Header=BB29_16 Depth=1
	global_load_ushort v3, v18, s[62:63]
	s_mov_b32 s2, s51
	s_waitcnt vmcnt(0)
	v_readfirstlane_b32 s3, v3
	s_and_b32 s23, s3, 0xffff
	s_lshl_b32 s10, s23, 2
	s_mov_b32 s3, s21
	s_cmp_lg_u64 s[2:3], 0
	s_cbranch_scc0 .LBB29_76
; %bb.54:                               ;   in Loop: Header=BB29_16 Depth=1
	s_add_u32 s2, s10, 0
	s_addc_u32 s3, 0, 0
	s_xor_b64 s[6:7], s[2:3], 0
	v_cvt_f32_u32_e32 v3, s6
	v_cvt_f32_u32_e32 v4, s7
	s_sub_u32 s11, 0, s6
	s_subb_u32 s12, 0, s7
	v_mac_f32_e32 v3, 0x4f800000, v4
	v_rcp_f32_e32 v3, v3
	v_mul_f32_e32 v3, 0x5f7ffffc, v3
	v_mul_f32_e32 v4, 0x2f800000, v3
	v_trunc_f32_e32 v4, v4
	v_mac_f32_e32 v3, 0xcf800000, v4
	v_cvt_u32_f32_e32 v4, v4
	v_cvt_u32_f32_e32 v3, v3
	v_readfirstlane_b32 s13, v4
	v_readfirstlane_b32 s2, v3
	s_mul_i32 s3, s11, s13
	s_mul_hi_u32 s15, s11, s2
	s_mul_i32 s14, s12, s2
	s_add_i32 s3, s15, s3
	s_mul_i32 s16, s11, s2
	s_add_i32 s3, s3, s14
	s_mul_i32 s15, s2, s3
	s_mul_hi_u32 s17, s2, s16
	s_mul_hi_u32 s14, s2, s3
	s_add_u32 s15, s17, s15
	s_addc_u32 s14, 0, s14
	s_mul_hi_u32 s24, s13, s16
	s_mul_i32 s16, s13, s16
	s_add_u32 s15, s15, s16
	s_mul_hi_u32 s17, s13, s3
	s_addc_u32 s14, s14, s24
	s_addc_u32 s15, s17, 0
	s_mul_i32 s3, s13, s3
	s_add_u32 s3, s14, s3
	s_addc_u32 s14, 0, s15
	s_add_u32 s15, s2, s3
	s_cselect_b64 s[2:3], -1, 0
	s_cmp_lg_u64 s[2:3], 0
	s_addc_u32 s13, s13, s14
	s_mul_i32 s2, s11, s13
	s_mul_hi_u32 s3, s11, s15
	s_add_i32 s2, s3, s2
	s_mul_i32 s12, s12, s15
	s_add_i32 s2, s2, s12
	s_mul_i32 s11, s11, s15
	s_mul_hi_u32 s12, s13, s11
	s_mul_i32 s14, s13, s11
	s_mul_i32 s17, s15, s2
	s_mul_hi_u32 s11, s15, s11
	s_mul_hi_u32 s16, s15, s2
	s_add_u32 s11, s11, s17
	s_addc_u32 s16, 0, s16
	s_add_u32 s11, s11, s14
	s_mul_hi_u32 s3, s13, s2
	s_addc_u32 s11, s16, s12
	s_addc_u32 s3, s3, 0
	s_mul_i32 s2, s13, s2
	s_add_u32 s2, s11, s2
	s_addc_u32 s11, 0, s3
	s_add_u32 s14, s15, s2
	s_cselect_b64 s[2:3], -1, 0
	s_cmp_lg_u64 s[2:3], 0
	s_addc_u32 s11, s13, s11
	s_ashr_i32 s2, s21, 31
	s_add_u32 s12, s20, s2
	s_mov_b32 s3, s2
	s_addc_u32 s13, s21, s2
	s_xor_b64 s[12:13], s[12:13], s[2:3]
	s_mul_i32 s16, s12, s11
	s_mul_hi_u32 s17, s12, s14
	s_mul_hi_u32 s15, s12, s11
	s_add_u32 s16, s17, s16
	s_addc_u32 s15, 0, s15
	s_mul_hi_u32 s24, s13, s14
	s_mul_i32 s14, s13, s14
	s_add_u32 s14, s16, s14
	s_mul_hi_u32 s17, s13, s11
	s_addc_u32 s14, s15, s24
	s_addc_u32 s15, s17, 0
	s_mul_i32 s11, s13, s11
	s_add_u32 s11, s14, s11
	s_addc_u32 s14, 0, s15
	s_mul_i32 s14, s6, s14
	s_mul_hi_u32 s15, s6, s11
	s_add_i32 s14, s15, s14
	s_mul_i32 s15, s7, s11
	s_add_i32 s24, s14, s15
	s_sub_i32 s16, s13, s24
	s_mul_i32 s11, s6, s11
	s_sub_u32 s11, s12, s11
	s_cselect_b64 s[14:15], -1, 0
	s_cmp_lg_u64 s[14:15], 0
	s_subb_u32 s12, s16, s7
	s_sub_u32 s25, s11, s6
	s_cselect_b64 s[16:17], -1, 0
	s_cmp_lg_u64 s[16:17], 0
	s_subb_u32 s28, s12, 0
	s_cmp_ge_u32 s28, s7
	s_cselect_b32 s29, -1, 0
	s_cmp_ge_u32 s25, s6
	s_cselect_b32 s30, -1, 0
	s_cmp_eq_u32 s28, s7
	s_cselect_b32 s29, s30, s29
	s_cmp_lg_u64 s[16:17], 0
	s_subb_u32 s12, s12, s7
	s_sub_u32 s30, s25, s6
	s_cselect_b64 s[16:17], -1, 0
	s_cmp_lg_u64 s[16:17], 0
	s_subb_u32 s12, s12, 0
	s_cmp_lg_u32 s29, 0
	s_cselect_b32 s16, s30, s25
	s_cselect_b32 s12, s12, s28
	s_cmp_lg_u64 s[14:15], 0
	s_subb_u32 s13, s13, s24
	s_cmp_ge_u32 s13, s7
	s_cselect_b32 s14, -1, 0
	s_cmp_ge_u32 s11, s6
	s_cselect_b32 s6, -1, 0
	s_cmp_eq_u32 s13, s7
	s_cselect_b32 s6, s6, s14
	s_cmp_lg_u32 s6, 0
	s_cselect_b32 s7, s12, s13
	s_cselect_b32 s6, s16, s11
	s_xor_b64 s[6:7], s[6:7], s[2:3]
	s_sub_u32 s28, s6, s2
	s_subb_u32 s29, s7, s2
	s_cbranch_execnz .LBB29_56
.LBB29_55:                              ;   in Loop: Header=BB29_16 Depth=1
	v_cvt_f32_u32_e32 v3, s10
	s_sub_i32 s2, 0, s10
	v_rcp_iflag_f32_e32 v3, v3
	v_mul_f32_e32 v3, 0x4f7ffffe, v3
	v_cvt_u32_f32_e32 v3, v3
	v_readfirstlane_b32 s3, v3
	s_mul_i32 s2, s2, s3
	s_mul_hi_u32 s2, s3, s2
	s_add_i32 s3, s3, s2
	s_mul_hi_u32 s2, s20, s3
	s_mul_i32 s2, s2, s10
	s_sub_i32 s2, s20, s2
	s_sub_i32 s3, s2, s10
	s_cmp_ge_u32 s2, s10
	s_cselect_b32 s2, s3, s2
	s_sub_i32 s3, s2, s10
	s_cmp_ge_u32 s2, s10
	s_cselect_b32 s50, s3, s2
	s_mov_b64 s[28:29], s[50:51]
.LBB29_56:                              ;   in Loop: Header=BB29_16 Depth=1
	s_sub_u32 s30, s20, s28
	s_subb_u32 s31, s21, s29
	v_cmp_gt_i64_e32 vcc, s[30:31], v[21:22]
	v_mov_b32_e32 v7, 0
	v_mov_b32_e32 v9, 0
	;; [unrolled: 1-line block ×8, first 2 shown]
	s_and_saveexec_b64 s[46:47], vcc
	s_cbranch_execz .LBB29_60
; %bb.57:                               ;   in Loop: Header=BB29_16 Depth=1
	s_mul_i32 s2, s73, s23
	s_mul_hi_u32 s3, s72, s23
	v_mov_b32_e32 v3, v21
	s_add_i32 s2, s3, s2
	s_mov_b64 s[48:49], 0
	s_mov_b64 s[88:89], s[54:55]
	;; [unrolled: 1-line block ×6, first 2 shown]
	v_mov_b32_e32 v4, v22
.LBB29_58:                              ;   Parent Loop BB29_16 Depth=1
                                        ; =>  This Inner Loop Header: Depth=2
	v_add_co_u32_e32 v7, vcc, s88, v27
	v_mov_b32_e32 v12, s89
	v_addc_co_u32_e32 v8, vcc, v12, v28, vcc
	global_load_dwordx2 v[7:8], v[7:8], off
	v_add_co_u32_e32 v9, vcc, s88, v26
	v_addc_co_u32_e32 v10, vcc, v12, v48, vcc
	global_load_dwordx2 v[13:14], v[9:10], off
	v_add_co_u32_e32 v9, vcc, s88, v25
	;; [unrolled: 3-line block ×3, first 2 shown]
	v_addc_co_u32_e32 v12, vcc, v12, v45, vcc
	global_load_dwordx2 v[11:12], v[11:12], off
	s_waitcnt vmcnt(3)
	v_xor_b32_e32 v8, 0x80000000, v8
	v_and_b32_e32 v36, v8, v32
	v_and_b32_e32 v35, v7, v31
	v_lshrrev_b64 v[7:8], s9, v[7:8]
	v_cmp_eq_u64_e32 vcc, v[35:36], v[29:30]
	s_waitcnt vmcnt(2)
	v_xor_b32_e32 v14, 0x80000000, v14
	v_and_b32_e32 v17, 3, v7
	v_lshrrev_b64 v[7:8], s9, v[13:14]
	v_and_b32_e32 v36, v14, v32
	v_and_b32_e32 v35, v13, v31
	s_waitcnt vmcnt(1)
	v_xor_b32_e32 v10, 0x80000000, v10
	v_cmp_eq_u64_e64 s[6:7], 0, v[17:18]
	v_cmp_eq_u64_e64 s[12:13], v[35:36], v[29:30]
	v_and_b32_e32 v36, v10, v32
	v_and_b32_e32 v35, v9, v31
	;; [unrolled: 1-line block ×3, first 2 shown]
	v_mov_b32_e32 v8, v18
	v_lshrrev_b64 v[9:10], s9, v[9:10]
	s_waitcnt vmcnt(0)
	v_xor_b32_e32 v12, 0x80000000, v12
	s_and_b64 s[24:25], vcc, s[6:7]
	v_cmp_eq_u64_e64 s[6:7], 0, v[7:8]
	v_cmp_eq_u64_e64 s[14:15], v[35:36], v[29:30]
	v_and_b32_e32 v36, v12, v32
	v_and_b32_e32 v35, v11, v31
	;; [unrolled: 1-line block ×3, first 2 shown]
	v_mov_b32_e32 v10, v18
	v_lshrrev_b64 v[11:12], s9, v[11:12]
	s_and_b64 s[34:35], s[12:13], s[6:7]
	v_cmp_eq_u64_e64 s[6:7], 0, v[9:10]
	v_and_b32_e32 v11, 3, v11
	v_mov_b32_e32 v12, v18
	v_cmp_eq_u64_e64 s[16:17], v[35:36], v[29:30]
	s_and_b64 s[38:39], s[14:15], s[6:7]
	v_cmp_eq_u64_e64 s[6:7], 0, v[11:12]
	v_cndmask_b32_e64 v13, 0, 1, s[24:25]
	s_and_b64 s[40:41], s[16:17], s[6:7]
	v_cmp_ne_u32_e64 s[6:7], 0, v13
	v_cndmask_b32_e64 v13, 0, 1, s[34:35]
	s_bcnt1_i32_b64 s3, s[6:7]
	v_cmp_ne_u32_e64 s[6:7], 0, v13
	v_cndmask_b32_e64 v13, 0, 1, s[38:39]
	s_bcnt1_i32_b64 s11, s[6:7]
	;; [unrolled: 3-line block ×3, first 2 shown]
	v_cmp_ne_u32_e64 s[6:7], 0, v13
	s_bcnt1_i32_b64 s6, s[6:7]
	s_add_u32 s3, s3, s36
	s_addc_u32 s7, 0, s37
	s_add_u32 s3, s3, s11
	s_addc_u32 s7, s7, 0
	;; [unrolled: 2-line block ×4, first 2 shown]
	v_cmp_eq_u64_e64 s[6:7], 1, v[17:18]
	s_and_b64 s[24:25], vcc, s[6:7]
	v_cmp_eq_u64_e64 s[6:7], 1, v[7:8]
	v_cndmask_b32_e64 v13, 0, 1, s[24:25]
	s_and_b64 s[34:35], s[12:13], s[6:7]
	v_cmp_eq_u64_e64 s[6:7], 1, v[9:10]
	s_and_b64 s[38:39], s[14:15], s[6:7]
	v_cmp_eq_u64_e64 s[6:7], 1, v[11:12]
	s_and_b64 s[40:41], s[16:17], s[6:7]
	v_cmp_ne_u32_e64 s[6:7], 0, v13
	v_cndmask_b32_e64 v13, 0, 1, s[34:35]
	s_bcnt1_i32_b64 s3, s[6:7]
	v_cmp_ne_u32_e64 s[6:7], 0, v13
	v_cndmask_b32_e64 v13, 0, 1, s[38:39]
	s_bcnt1_i32_b64 s11, s[6:7]
	;; [unrolled: 3-line block ×3, first 2 shown]
	v_cmp_ne_u32_e64 s[6:7], 0, v13
	s_bcnt1_i32_b64 s6, s[6:7]
	s_add_u32 s3, s3, s94
	s_addc_u32 s7, 0, s95
	s_add_u32 s3, s3, s11
	s_addc_u32 s7, s7, 0
	;; [unrolled: 2-line block ×4, first 2 shown]
	v_cmp_eq_u64_e64 s[6:7], 2, v[17:18]
	s_and_b64 s[24:25], vcc, s[6:7]
	v_cmp_eq_u64_e64 s[6:7], 2, v[7:8]
	v_cndmask_b32_e64 v13, 0, 1, s[24:25]
	s_and_b64 s[34:35], s[12:13], s[6:7]
	v_cmp_eq_u64_e64 s[6:7], 2, v[9:10]
	s_and_b64 s[38:39], s[14:15], s[6:7]
	v_cmp_eq_u64_e64 s[6:7], 2, v[11:12]
	s_and_b64 s[40:41], s[16:17], s[6:7]
	v_cmp_ne_u32_e64 s[6:7], 0, v13
	v_cndmask_b32_e64 v13, 0, 1, s[34:35]
	s_bcnt1_i32_b64 s3, s[6:7]
	v_cmp_ne_u32_e64 s[6:7], 0, v13
	v_cndmask_b32_e64 v13, 0, 1, s[38:39]
	s_bcnt1_i32_b64 s11, s[6:7]
	;; [unrolled: 3-line block ×3, first 2 shown]
	v_cmp_ne_u32_e64 s[6:7], 0, v13
	s_bcnt1_i32_b64 s6, s[6:7]
	s_add_u32 s3, s3, s92
	s_addc_u32 s7, 0, s93
	s_add_u32 s3, s3, s11
	s_addc_u32 s7, s7, 0
	;; [unrolled: 2-line block ×4, first 2 shown]
	v_cmp_eq_u64_e64 s[6:7], 3, v[17:18]
	s_and_b64 s[6:7], vcc, s[6:7]
	v_cmp_eq_u64_e32 vcc, 3, v[7:8]
	v_cndmask_b32_e64 v7, 0, 1, s[6:7]
	s_and_b64 s[12:13], s[12:13], vcc
	v_cmp_eq_u64_e32 vcc, 3, v[9:10]
	v_mov_b32_e32 v9, s94
	s_and_b64 s[14:15], s[14:15], vcc
	v_cmp_eq_u64_e32 vcc, 3, v[11:12]
	v_mov_b32_e32 v11, s92
	s_and_b64 s[16:17], s[16:17], vcc
	v_cmp_ne_u32_e32 vcc, 0, v7
	v_cndmask_b32_e64 v7, 0, 1, s[12:13]
	s_bcnt1_i32_b64 s3, vcc
	v_cmp_ne_u32_e32 vcc, 0, v7
	v_cndmask_b32_e64 v7, 0, 1, s[14:15]
	s_bcnt1_i32_b64 s6, vcc
	;; [unrolled: 3-line block ×3, first 2 shown]
	v_cmp_ne_u32_e32 vcc, 0, v7
	s_bcnt1_i32_b64 s11, vcc
	s_add_u32 s3, s3, s90
	s_addc_u32 s12, 0, s91
	s_add_u32 s3, s3, s6
	s_addc_u32 s6, s12, 0
	;; [unrolled: 2-line block ×3, first 2 shown]
	s_add_u32 s90, s3, s11
	v_add_co_u32_e32 v3, vcc, s10, v3
	s_addc_u32 s91, s6, 0
	v_addc_co_u32_e32 v4, vcc, 0, v4, vcc
	s_mul_i32 s3, s72, s23
	s_add_u32 s88, s88, s3
	v_cmp_le_i64_e32 vcc, s[30:31], v[3:4]
	s_addc_u32 s89, s89, s2
	v_mov_b32_e32 v7, s36
	v_mov_b32_e32 v13, s90
	s_or_b64 s[48:49], vcc, s[48:49]
	v_mov_b32_e32 v8, s37
	v_mov_b32_e32 v10, s95
	;; [unrolled: 1-line block ×4, first 2 shown]
	s_andn2_b64 exec, exec, s[48:49]
	s_cbranch_execnz .LBB29_58
; %bb.59:                               ;   in Loop: Header=BB29_16 Depth=1
	s_or_b64 exec, exec, s[48:49]
	s_mov_b64 s[34:35], s[68:69]
.LBB29_60:                              ;   in Loop: Header=BB29_16 Depth=1
	s_or_b64 exec, exec, s[46:47]
	v_mov_b32_e32 v4, s31
	v_add_co_u32_e32 v3, vcc, s30, v0
	v_addc_co_u32_e32 v4, vcc, 0, v4, vcc
	v_cmp_gt_i64_e32 vcc, s[20:21], v[3:4]
	s_and_saveexec_b64 s[10:11], vcc
	s_cbranch_execz .LBB29_66
; %bb.61:                               ;   in Loop: Header=BB29_16 Depth=1
	v_mul_lo_u32 v17, v4, s26
	v_mul_lo_u32 v37, v3, s27
	v_mad_u64_u32 v[35:36], s[2:3], v3, s26, 0
	v_readlane_b32 s2, v62, 36
	v_readlane_b32 s3, v62, 37
	v_add3_u32 v36, v36, v37, v17
	v_lshlrev_b64 v[35:36], 3, v[35:36]
	v_mov_b32_e32 v17, s55
	v_add_co_u32_e32 v35, vcc, s54, v35
	v_addc_co_u32_e32 v36, vcc, v17, v36, vcc
	global_load_dwordx2 v[39:40], v[35:36], off
	v_add_co_u32_e32 v17, vcc, s23, v49
	v_addc_co_u32_e32 v35, vcc, 0, v50, vcc
	v_mov_b32_e32 v36, s29
	v_subrev_co_u32_e32 v17, vcc, s28, v17
	v_subb_co_u32_e32 v35, vcc, v35, v36, vcc
	v_mul_lo_u32 v37, s70, v35
	v_mov_b32_e32 v36, s3
	v_mov_b32_e32 v35, s2
	v_mul_lo_u32 v38, s71, v17
	v_mad_u64_u32 v[35:36], s[2:3], s70, v17, v[35:36]
	s_mul_i32 s2, s71, s23
	s_mul_hi_u32 s3, s70, s23
	v_add3_u32 v36, v38, v36, v37
	s_add_i32 s16, s3, s2
	s_mul_i32 s17, s70, s23
	s_mov_b64 s[14:15], 0
	s_branch .LBB29_63
.LBB29_62:                              ;   in Loop: Header=BB29_63 Depth=2
	s_or_b64 exec, exec, s[2:3]
	s_waitcnt vmcnt(0)
	v_xor_b32_e32 v40, 0x80000000, v40
	v_and_b32_e32 v55, v40, v32
	v_and_b32_e32 v54, v39, v31
	v_lshrrev_b64 v[39:40], s9, v[39:40]
	s_and_b64 s[2:3], exec, vcc
	v_and_b32_e32 v17, 3, v39
	v_cmp_eq_u64_e32 vcc, v[54:55], v[29:30]
	v_cmp_eq_u64_e64 s[6:7], 0, v[17:18]
	s_or_b64 s[14:15], s[2:3], s[14:15]
	s_and_b64 s[2:3], vcc, s[6:7]
	v_cndmask_b32_e64 v39, 0, 1, s[2:3]
	v_cmp_ne_u32_e64 s[6:7], 0, v39
	s_bcnt1_i32_b64 s2, s[6:7]
	v_cmp_eq_u64_e64 s[6:7], 1, v[17:18]
	v_add_co_u32_e64 v7, s[12:13], s2, v7
	s_and_b64 s[2:3], vcc, s[6:7]
	v_cndmask_b32_e64 v39, 0, 1, s[2:3]
	v_cmp_ne_u32_e64 s[6:7], 0, v39
	s_bcnt1_i32_b64 s2, s[6:7]
	v_cmp_eq_u64_e64 s[6:7], 2, v[17:18]
	v_addc_co_u32_e64 v8, s[12:13], 0, v8, s[12:13]
	v_add_co_u32_e64 v9, s[12:13], s2, v9
	s_and_b64 s[2:3], vcc, s[6:7]
	v_cndmask_b32_e64 v39, 0, 1, s[2:3]
	v_cmp_ne_u32_e64 s[6:7], 0, v39
	s_bcnt1_i32_b64 s2, s[6:7]
	v_cmp_eq_u64_e64 s[6:7], 3, v[17:18]
	v_addc_co_u32_e64 v10, s[12:13], 0, v10, s[12:13]
	v_add_co_u32_e64 v11, s[12:13], s2, v11
	s_and_b64 s[2:3], vcc, s[6:7]
	v_cndmask_b32_e64 v17, 0, 1, s[2:3]
	v_cmp_ne_u32_e32 vcc, 0, v17
	s_bcnt1_i32_b64 s2, vcc
	v_add_co_u32_e32 v13, vcc, s2, v13
	v_addc_co_u32_e32 v14, vcc, 0, v14, vcc
	v_mov_b32_e32 v17, s16
	v_add_co_u32_e32 v35, vcc, s17, v35
	v_mov_b32_e32 v40, v38
	v_addc_co_u32_e64 v12, s[12:13], 0, v12, s[12:13]
	v_addc_co_u32_e32 v36, vcc, v36, v17, vcc
	v_mov_b32_e32 v39, v37
	s_andn2_b64 exec, exec, s[14:15]
	s_cbranch_execz .LBB29_65
.LBB29_63:                              ;   Parent Loop BB29_16 Depth=1
                                        ; =>  This Inner Loop Header: Depth=2
	v_add_co_u32_e32 v3, vcc, s23, v3
	v_addc_co_u32_e32 v4, vcc, 0, v4, vcc
	v_cmp_gt_i64_e64 s[6:7], s[20:21], v[3:4]
	v_cmp_le_i64_e32 vcc, s[20:21], v[3:4]
	v_mov_b32_e32 v37, 0
	v_mov_b32_e32 v38, 0
	s_and_saveexec_b64 s[2:3], s[6:7]
	s_cbranch_execz .LBB29_62
; %bb.64:                               ;   in Loop: Header=BB29_63 Depth=2
	global_load_dwordx2 v[37:38], v[35:36], off
	s_branch .LBB29_62
.LBB29_65:                              ;   in Loop: Header=BB29_16 Depth=1
	s_or_b64 exec, exec, s[14:15]
.LBB29_66:                              ;   in Loop: Header=BB29_16 Depth=1
	s_or_b64 exec, exec, s[10:11]
	s_branch .LBB29_45
.LBB29_67:                              ;   in Loop: Header=BB29_16 Depth=1
	global_load_ushort v35, v18, s[62:63]
	v_mov_b32_e32 v7, 0
	v_mov_b32_e32 v9, 0
	;; [unrolled: 1-line block ×8, first 2 shown]
	s_waitcnt vmcnt(0)
	v_readfirstlane_b32 s2, v35
	s_and_b32 s2, 0xffff, s2
	s_lshl_b32 s3, s2, 2
	v_cvt_f32_u32_e32 v3, s3
	s_sub_i32 s6, 0, s3
	v_rcp_iflag_f32_e32 v3, v3
	v_mul_f32_e32 v3, 0x4f7ffffe, v3
	v_cvt_u32_f32_e32 v3, v3
	v_readfirstlane_b32 s7, v3
	s_mul_i32 s6, s6, s7
	s_mul_hi_u32 s6, s7, s6
	s_add_i32 s7, s7, s6
	s_mul_hi_u32 s6, s22, s7
	s_mul_i32 s7, s6, s3
	s_sub_i32 s7, s22, s7
	s_add_i32 s10, s6, 1
	s_sub_i32 s11, s7, s3
	s_cmp_ge_u32 s7, s3
	s_cselect_b32 s6, s10, s6
	s_cselect_b32 s7, s11, s7
	s_add_i32 s10, s6, 1
	s_cmp_ge_u32 s7, s3
	s_cselect_b32 s6, s10, s6
	s_mul_hi_u32 s29, s2, s6
	s_mul_i32 s28, s2, s6
	s_lshl_b64 s[30:31], s[28:29], 2
	v_cmp_gt_u64_e32 vcc, s[30:31], v[21:22]
	s_and_saveexec_b64 s[36:37], vcc
	s_cbranch_execz .LBB29_71
; %bb.68:                               ;   in Loop: Header=BB29_16 Depth=1
	v_mov_b32_e32 v3, v21
	s_lshl_b32 s10, s2, 5
	s_mov_b64 s[38:39], 0
	v_mov_b32_e32 v36, v44
	s_mov_b64 s[46:47], 0
	s_mov_b64 s[48:49], 0
	;; [unrolled: 1-line block ×4, first 2 shown]
	v_mov_b32_e32 v4, v22
.LBB29_69:                              ;   Parent Loop BB29_16 Depth=1
                                        ; =>  This Inner Loop Header: Depth=2
	ds_read_b128 v[11:14], v36
	ds_read_b128 v[7:10], v36 offset:16
	v_add_u32_e32 v36, s10, v36
	s_waitcnt lgkmcnt(1)
	v_xor_b32_e32 v12, 0x80000000, v12
	v_and_b32_e32 v38, v12, v32
	v_and_b32_e32 v37, v11, v31
	v_lshrrev_b64 v[11:12], s9, v[11:12]
	v_xor_b32_e32 v14, 0x80000000, v14
	v_and_b32_e32 v17, 3, v11
	v_lshrrev_b64 v[11:12], s9, v[13:14]
	s_waitcnt lgkmcnt(0)
	v_xor_b32_e32 v8, 0x80000000, v8
	v_cmp_eq_u64_e32 vcc, v[37:38], v[29:30]
	v_and_b32_e32 v38, v14, v32
	v_and_b32_e32 v37, v13, v31
	v_cmp_eq_u64_e64 s[6:7], 0, v[17:18]
	v_cmp_eq_u64_e64 s[12:13], v[37:38], v[29:30]
	v_and_b32_e32 v38, v8, v32
	v_and_b32_e32 v37, v7, v31
	;; [unrolled: 1-line block ×3, first 2 shown]
	v_mov_b32_e32 v12, v18
	v_lshrrev_b64 v[7:8], s9, v[7:8]
	v_xor_b32_e32 v10, 0x80000000, v10
	s_and_b64 s[24:25], vcc, s[6:7]
	v_cmp_eq_u64_e64 s[6:7], 0, v[11:12]
	v_cmp_eq_u64_e64 s[14:15], v[37:38], v[29:30]
	v_and_b32_e32 v38, v10, v32
	v_and_b32_e32 v37, v9, v31
	;; [unrolled: 1-line block ×3, first 2 shown]
	v_mov_b32_e32 v8, v18
	v_lshrrev_b64 v[9:10], s9, v[9:10]
	s_and_b64 s[34:35], s[12:13], s[6:7]
	v_cmp_eq_u64_e64 s[6:7], 0, v[7:8]
	v_and_b32_e32 v9, 3, v9
	v_mov_b32_e32 v10, v18
	v_cmp_eq_u64_e64 s[16:17], v[37:38], v[29:30]
	s_and_b64 s[40:41], s[14:15], s[6:7]
	v_cmp_eq_u64_e64 s[6:7], 0, v[9:10]
	v_cndmask_b32_e64 v13, 0, 1, s[24:25]
	s_and_b64 s[42:43], s[16:17], s[6:7]
	v_cmp_ne_u32_e64 s[6:7], 0, v13
	v_cndmask_b32_e64 v13, 0, 1, s[34:35]
	s_bcnt1_i32_b64 s11, s[6:7]
	v_cmp_ne_u32_e64 s[6:7], 0, v13
	v_cndmask_b32_e64 v13, 0, 1, s[40:41]
	s_bcnt1_i32_b64 s23, s[6:7]
	;; [unrolled: 3-line block ×3, first 2 shown]
	v_cmp_ne_u32_e64 s[6:7], 0, v13
	s_bcnt1_i32_b64 s6, s[6:7]
	s_add_u32 s7, s11, s90
	s_addc_u32 s11, 0, s91
	s_add_u32 s7, s7, s23
	s_addc_u32 s11, s11, 0
	;; [unrolled: 2-line block ×3, first 2 shown]
	s_add_u32 s90, s7, s6
	v_cmp_eq_u64_e64 s[6:7], 1, v[17:18]
	s_addc_u32 s91, s11, 0
	s_and_b64 s[24:25], vcc, s[6:7]
	v_cmp_eq_u64_e64 s[6:7], 1, v[11:12]
	v_cndmask_b32_e64 v13, 0, 1, s[24:25]
	s_and_b64 s[34:35], s[12:13], s[6:7]
	v_cmp_eq_u64_e64 s[6:7], 1, v[7:8]
	s_and_b64 s[40:41], s[14:15], s[6:7]
	v_cmp_eq_u64_e64 s[6:7], 1, v[9:10]
	s_and_b64 s[42:43], s[16:17], s[6:7]
	v_cmp_ne_u32_e64 s[6:7], 0, v13
	v_cndmask_b32_e64 v13, 0, 1, s[34:35]
	s_bcnt1_i32_b64 s11, s[6:7]
	v_cmp_ne_u32_e64 s[6:7], 0, v13
	v_cndmask_b32_e64 v13, 0, 1, s[40:41]
	s_bcnt1_i32_b64 s23, s[6:7]
	;; [unrolled: 3-line block ×3, first 2 shown]
	v_cmp_ne_u32_e64 s[6:7], 0, v13
	s_bcnt1_i32_b64 s6, s[6:7]
	s_add_u32 s7, s11, s88
	s_addc_u32 s11, 0, s89
	s_add_u32 s7, s7, s23
	s_addc_u32 s11, s11, 0
	s_add_u32 s7, s7, s24
	s_addc_u32 s11, s11, 0
	s_add_u32 s88, s7, s6
	v_cmp_eq_u64_e64 s[6:7], 2, v[17:18]
	s_addc_u32 s89, s11, 0
	s_and_b64 s[24:25], vcc, s[6:7]
	v_cmp_eq_u64_e64 s[6:7], 2, v[11:12]
	v_cndmask_b32_e64 v13, 0, 1, s[24:25]
	s_and_b64 s[34:35], s[12:13], s[6:7]
	v_cmp_eq_u64_e64 s[6:7], 2, v[7:8]
	s_and_b64 s[40:41], s[14:15], s[6:7]
	v_cmp_eq_u64_e64 s[6:7], 2, v[9:10]
	s_and_b64 s[42:43], s[16:17], s[6:7]
	v_cmp_ne_u32_e64 s[6:7], 0, v13
	v_cndmask_b32_e64 v13, 0, 1, s[34:35]
	s_bcnt1_i32_b64 s11, s[6:7]
	v_cmp_ne_u32_e64 s[6:7], 0, v13
	v_cndmask_b32_e64 v13, 0, 1, s[40:41]
	s_bcnt1_i32_b64 s23, s[6:7]
	;; [unrolled: 3-line block ×3, first 2 shown]
	v_cmp_ne_u32_e64 s[6:7], 0, v13
	s_bcnt1_i32_b64 s6, s[6:7]
	s_add_u32 s7, s11, s48
	s_addc_u32 s11, 0, s49
	s_add_u32 s7, s7, s23
	s_addc_u32 s11, s11, 0
	;; [unrolled: 2-line block ×3, first 2 shown]
	s_add_u32 s48, s7, s6
	v_cmp_eq_u64_e64 s[6:7], 3, v[17:18]
	s_addc_u32 s49, s11, 0
	s_and_b64 s[6:7], vcc, s[6:7]
	v_cmp_eq_u64_e32 vcc, 3, v[11:12]
	v_mov_b32_e32 v11, s48
	s_and_b64 s[12:13], s[12:13], vcc
	v_cmp_eq_u64_e32 vcc, 3, v[7:8]
	v_cndmask_b32_e64 v7, 0, 1, s[6:7]
	s_and_b64 s[14:15], s[14:15], vcc
	v_cmp_eq_u64_e32 vcc, 3, v[9:10]
	v_mov_b32_e32 v9, s88
	s_and_b64 s[16:17], s[16:17], vcc
	v_cmp_ne_u32_e32 vcc, 0, v7
	v_cndmask_b32_e64 v7, 0, 1, s[12:13]
	s_bcnt1_i32_b64 s6, vcc
	v_cmp_ne_u32_e32 vcc, 0, v7
	v_cndmask_b32_e64 v7, 0, 1, s[14:15]
	s_bcnt1_i32_b64 s7, vcc
	;; [unrolled: 3-line block ×3, first 2 shown]
	v_cmp_ne_u32_e32 vcc, 0, v7
	s_bcnt1_i32_b64 s12, vcc
	s_add_u32 s6, s6, s46
	s_addc_u32 s13, 0, s47
	s_add_u32 s6, s6, s7
	s_addc_u32 s7, s13, 0
	s_add_u32 s6, s6, s11
	v_add_co_u32_e32 v3, vcc, s3, v3
	s_addc_u32 s7, s7, 0
	v_addc_co_u32_e32 v4, vcc, 0, v4, vcc
	s_add_u32 s46, s6, s12
	v_cmp_le_u64_e32 vcc, s[30:31], v[3:4]
	s_addc_u32 s47, s7, 0
	v_mov_b32_e32 v7, s90
	v_mov_b32_e32 v13, s46
	s_or_b64 s[38:39], vcc, s[38:39]
	v_mov_b32_e32 v8, s91
	v_mov_b32_e32 v10, s89
	;; [unrolled: 1-line block ×4, first 2 shown]
	s_andn2_b64 exec, exec, s[38:39]
	s_cbranch_execnz .LBB29_69
; %bb.70:                               ;   in Loop: Header=BB29_16 Depth=1
	s_or_b64 exec, exec, s[38:39]
	s_mov_b64 s[34:35], s[68:69]
.LBB29_71:                              ;   in Loop: Header=BB29_16 Depth=1
	s_or_b64 exec, exec, s[36:37]
	v_mov_b32_e32 v4, s31
	v_add_co_u32_e32 v3, vcc, s30, v0
	s_and_b32 s50, s22, 0x7fffffff
	v_addc_co_u32_e32 v4, vcc, 0, v4, vcc
	v_cmp_gt_u64_e32 vcc, s[50:51], v[3:4]
	s_and_saveexec_b64 s[10:11], vcc
	s_cbranch_execz .LBB29_75
; %bb.72:                               ;   in Loop: Header=BB29_16 Depth=1
	v_lshl_add_u32 v36, s28, 5, v52
	s_lshl_b32 s2, s2, 3
	s_mov_b64 s[12:13], 0
.LBB29_73:                              ;   Parent Loop BB29_16 Depth=1
                                        ; =>  This Inner Loop Header: Depth=2
	ds_read_b64 v[37:38], v36
	v_add_u32_e32 v36, s2, v36
	s_waitcnt lgkmcnt(0)
	v_xor_b32_e32 v38, 0x80000000, v38
	v_and_b32_e32 v40, v38, v32
	v_and_b32_e32 v39, v37, v31
	v_lshrrev_b64 v[37:38], s9, v[37:38]
	v_cmp_eq_u64_e32 vcc, v[39:40], v[29:30]
	v_and_b32_e32 v17, 3, v37
	v_cmp_eq_u64_e64 s[6:7], 0, v[17:18]
	s_and_b64 s[6:7], vcc, s[6:7]
	v_cndmask_b32_e64 v37, 0, 1, s[6:7]
	v_cmp_ne_u32_e64 s[6:7], 0, v37
	s_bcnt1_i32_b64 s3, s[6:7]
	v_add_co_u32_e64 v7, s[6:7], s3, v7
	v_addc_co_u32_e64 v8, s[6:7], 0, v8, s[6:7]
	v_cmp_eq_u64_e64 s[6:7], 1, v[17:18]
	s_and_b64 s[6:7], vcc, s[6:7]
	v_cndmask_b32_e64 v37, 0, 1, s[6:7]
	v_cmp_ne_u32_e64 s[6:7], 0, v37
	s_bcnt1_i32_b64 s3, s[6:7]
	v_add_co_u32_e64 v9, s[6:7], s3, v9
	v_addc_co_u32_e64 v10, s[6:7], 0, v10, s[6:7]
	;; [unrolled: 7-line block ×3, first 2 shown]
	v_cmp_eq_u64_e64 s[6:7], 3, v[17:18]
	s_and_b64 s[6:7], vcc, s[6:7]
	v_cndmask_b32_e64 v17, 0, 1, s[6:7]
	v_cmp_ne_u32_e32 vcc, 0, v17
	s_bcnt1_i32_b64 s3, vcc
	v_add_co_u32_e32 v13, vcc, s3, v13
	v_addc_co_u32_e32 v14, vcc, 0, v14, vcc
	v_add_co_u32_sdwa v3, vcc, v3, v35 dst_sel:DWORD dst_unused:UNUSED_PAD src0_sel:DWORD src1_sel:WORD_0
	v_addc_co_u32_e32 v4, vcc, 0, v4, vcc
	v_cmp_le_u64_e32 vcc, s[50:51], v[3:4]
	s_or_b64 s[12:13], vcc, s[12:13]
	s_andn2_b64 exec, exec, s[12:13]
	s_cbranch_execnz .LBB29_73
; %bb.74:                               ;   in Loop: Header=BB29_16 Depth=1
	s_or_b64 exec, exec, s[12:13]
.LBB29_75:                              ;   in Loop: Header=BB29_16 Depth=1
	s_or_b64 exec, exec, s[10:11]
	s_lshl_b32 s10, s58, 6
	s_and_saveexec_b64 s[2:3], s[4:5]
	s_cbranch_execnz .LBB29_46
	s_branch .LBB29_47
.LBB29_76:                              ;   in Loop: Header=BB29_16 Depth=1
                                        ; implicit-def: $sgpr28_sgpr29
	s_branch .LBB29_55
.LBB29_77:                              ;   in Loop: Header=BB29_16 Depth=1
	s_or_b64 exec, exec, s[14:15]
	s_waitcnt lgkmcnt(0)
	s_barrier
	s_mov_b64 s[2:3], exec
	v_readlane_b32 s6, v62, 10
	v_readlane_b32 s7, v62, 11
	s_and_b64 s[6:7], s[2:3], s[6:7]
	s_mov_b64 exec, s[6:7]
	s_cbranch_execz .LBB29_79
; %bb.78:                               ;   in Loop: Header=BB29_16 Depth=1
	ds_read_b32 v3, v18 offset:5136
	s_waitcnt lgkmcnt(0)
	v_ashrrev_i32_e32 v4, 31, v3
	ds_write_b64 v18, v[3:4] offset:5120
.LBB29_79:                              ;   in Loop: Header=BB29_16 Depth=1
	s_or_b64 exec, exec, s[2:3]
	s_waitcnt lgkmcnt(0)
	s_barrier
	s_mov_b64 s[2:3], -1
	s_and_b64 vcc, exec, s[10:11]
	s_cbranch_vccnz .LBB29_32
	s_branch .LBB29_41
.LBB29_80:                              ;   in Loop: Header=BB29_16 Depth=1
	v_mov_b32_e32 v3, 0
	v_mov_b32_e32 v4, 0
	s_mov_b32 s2, 0
.LBB29_81:                              ;   in Loop: Header=BB29_16 Depth=1
	v_readlane_b32 s12, v62, 34
	v_readlane_b32 s13, v62, 35
	s_andn2_b64 vcc, exec, s[12:13]
	s_cbranch_vccnz .LBB29_84
; %bb.82:                               ;   in Loop: Header=BB29_16 Depth=1
	s_lshl_b32 s3, s58, 9
	s_lshl_b32 s2, s2, 5
	s_add_i32 s3, s3, s2
	v_add_u32_e32 v7, s3, v51
	v_readlane_b32 s2, v62, 33
.LBB29_83:                              ;   Parent Loop BB29_16 Depth=1
                                        ; =>  This Inner Loop Header: Depth=2
	ds_read_b64 v[8:9], v7
	s_add_i32 s2, s2, -1
	v_add_u32_e32 v7, 32, v7
	s_cmp_lg_u32 s2, 0
	s_waitcnt lgkmcnt(0)
	v_add_co_u32_e32 v3, vcc, v8, v3
	v_addc_co_u32_e32 v4, vcc, v9, v4, vcc
	s_cbranch_scc1 .LBB29_83
.LBB29_84:                              ;   in Loop: Header=BB29_16 Depth=1
	v_add_lshl_u32 v7, s10, v41, 3
	ds_write_b64 v7, v[3:4] offset:3072
.LBB29_85:                              ;   in Loop: Header=BB29_16 Depth=1
	s_or_b64 exec, exec, s[6:7]
	s_lshl_b32 s2, s10, 3
	v_mov_b32_e32 v3, s2
	s_waitcnt lgkmcnt(0)
	s_barrier
	ds_read_b128 v[11:14], v3 offset:3088
	ds_read_b128 v[7:10], v3 offset:3072
	v_cmp_eq_u64_e64 s[6:7], 1, v[33:34]
	s_lshl_b64 s[14:15], 3, s9
	s_not_b64 s[92:93], s[14:15]
	s_waitcnt lgkmcnt(1)
	v_readfirstlane_b32 s90, v11
	s_waitcnt lgkmcnt(0)
	v_cmp_eq_u64_e32 vcc, 1, v[7:8]
	v_readfirstlane_b32 s91, v12
	v_readfirstlane_b32 s12, v13
	;; [unrolled: 1-line block ×3, first 2 shown]
	s_and_b64 s[22:23], vcc, s[6:7]
	s_mov_b64 s[6:7], -1
	s_mov_b64 s[2:3], -1
                                        ; implicit-def: $sgpr30_sgpr31
                                        ; implicit-def: $sgpr10_sgpr11
	s_and_saveexec_b64 s[16:17], s[22:23]
	s_cbranch_execz .LBB29_117
; %bb.86:                               ;   in Loop: Header=BB29_16 Depth=1
	ds_read_b64 v[3:4], v18 offset:5120
	s_waitcnt lgkmcnt(0)
	s_barrier
	v_readfirstlane_b32 s28, v3
	v_readfirstlane_b32 s29, v4
	s_and_saveexec_b64 s[2:3], s[18:19]
; %bb.87:                               ;   in Loop: Header=BB29_16 Depth=1
	v_mov_b32_e32 v17, v18
	ds_write_b64 v53, v[17:18]
; %bb.88:                               ;   in Loop: Header=BB29_16 Depth=1
	s_or_b64 exec, exec, s[2:3]
	v_cmp_lt_i64_e64 s[2:3], s[28:29], 1
	v_and_b32_e32 v30, s93, v30
	v_and_b32_e32 v29, s92, v29
	v_or_b32_e32 v32, s15, v32
	v_or_b32_e32 v31, s14, v31
	s_mov_b64 s[10:11], -1
	s_mov_b64 s[30:31], 0
	s_and_b64 vcc, exec, s[2:3]
	s_mov_b64 s[24:25], 0
	s_mov_b64 s[36:37], -1
	s_waitcnt lgkmcnt(0)
	s_barrier
                                        ; implicit-def: $vgpr5_vgpr6
	s_cbranch_vccz .LBB29_102
; %bb.89:                               ;   in Loop: Header=BB29_16 Depth=1
	s_mov_b32 s60, s51
	s_cmp_lg_u64 s[60:61], 0
	s_cbranch_scc0 .LBB29_143
; %bb.90:                               ;   in Loop: Header=BB29_16 Depth=1
	s_add_u32 s2, s33, 0
	s_addc_u32 s3, 0, 0
	s_xor_b64 s[24:25], s[2:3], 0
	v_cvt_f32_u32_e32 v3, s24
	v_cvt_f32_u32_e32 v4, s25
	s_sub_u32 s34, 0, s24
	s_subb_u32 s35, 0, s25
	v_mac_f32_e32 v3, 0x4f800000, v4
	v_rcp_f32_e32 v3, v3
	v_mul_f32_e32 v3, 0x5f7ffffc, v3
	v_mul_f32_e32 v4, 0x2f800000, v3
	v_trunc_f32_e32 v4, v4
	v_mac_f32_e32 v3, 0xcf800000, v4
	v_cvt_u32_f32_e32 v4, v4
	v_cvt_u32_f32_e32 v3, v3
	v_readfirstlane_b32 s36, v4
	v_readfirstlane_b32 s2, v3
	s_mul_i32 s3, s34, s36
	s_mul_hi_u32 s38, s34, s2
	s_mul_i32 s37, s35, s2
	s_add_i32 s3, s38, s3
	s_mul_i32 s39, s34, s2
	s_add_i32 s3, s3, s37
	s_mul_i32 s38, s2, s3
	s_mul_hi_u32 s40, s2, s39
	s_mul_hi_u32 s37, s2, s3
	s_add_u32 s38, s40, s38
	s_addc_u32 s37, 0, s37
	s_mul_hi_u32 s41, s36, s39
	s_mul_i32 s39, s36, s39
	s_add_u32 s38, s38, s39
	s_mul_hi_u32 s40, s36, s3
	s_addc_u32 s37, s37, s41
	s_addc_u32 s38, s40, 0
	s_mul_i32 s3, s36, s3
	s_add_u32 s3, s37, s3
	s_addc_u32 s37, 0, s38
	s_add_u32 s38, s2, s3
	s_cselect_b64 s[2:3], -1, 0
	s_cmp_lg_u64 s[2:3], 0
	s_addc_u32 s36, s36, s37
	s_mul_i32 s2, s34, s36
	s_mul_hi_u32 s3, s34, s38
	s_add_i32 s2, s3, s2
	s_mul_i32 s35, s35, s38
	s_add_i32 s2, s2, s35
	s_mul_i32 s34, s34, s38
	s_mul_hi_u32 s35, s36, s34
	s_mul_i32 s37, s36, s34
	s_mul_i32 s40, s38, s2
	s_mul_hi_u32 s34, s38, s34
	s_mul_hi_u32 s39, s38, s2
	s_add_u32 s34, s34, s40
	s_addc_u32 s39, 0, s39
	s_add_u32 s34, s34, s37
	s_mul_hi_u32 s3, s36, s2
	s_addc_u32 s34, s39, s35
	s_addc_u32 s3, s3, 0
	s_mul_i32 s2, s36, s2
	s_add_u32 s2, s34, s2
	s_addc_u32 s34, 0, s3
	s_add_u32 s37, s38, s2
	s_cselect_b64 s[2:3], -1, 0
	s_cmp_lg_u64 s[2:3], 0
	s_addc_u32 s36, s36, s34
	s_ashr_i32 s34, s61, 31
	s_add_u32 s2, s0, s34
	s_mov_b32 s35, s34
	s_addc_u32 s3, s61, s34
	s_xor_b64 s[2:3], s[2:3], s[34:35]
	s_mul_i32 s39, s2, s36
	s_mul_hi_u32 s40, s2, s37
	s_mul_hi_u32 s38, s2, s36
	s_add_u32 s39, s40, s39
	s_addc_u32 s38, 0, s38
	s_mul_hi_u32 s41, s3, s37
	s_mul_i32 s37, s3, s37
	s_add_u32 s37, s39, s37
	s_mul_hi_u32 s40, s3, s36
	s_addc_u32 s37, s38, s41
	s_addc_u32 s38, s40, 0
	s_mul_i32 s36, s3, s36
	s_add_u32 s36, s37, s36
	s_addc_u32 s37, 0, s38
	s_mul_i32 s37, s24, s37
	s_mul_hi_u32 s38, s24, s36
	s_add_i32 s37, s38, s37
	s_mul_i32 s38, s25, s36
	s_add_i32 s40, s37, s38
	s_sub_i32 s38, s3, s40
	s_mul_i32 s36, s24, s36
	s_sub_u32 s2, s2, s36
	s_cselect_b64 s[36:37], -1, 0
	s_cmp_lg_u64 s[36:37], 0
	s_subb_u32 s41, s38, s25
	s_sub_u32 s42, s2, s24
	s_cselect_b64 s[38:39], -1, 0
	s_cmp_lg_u64 s[38:39], 0
	s_subb_u32 s43, s41, 0
	s_cmp_ge_u32 s43, s25
	s_cselect_b32 s44, -1, 0
	s_cmp_ge_u32 s42, s24
	s_cselect_b32 s45, -1, 0
	s_cmp_eq_u32 s43, s25
	s_cselect_b32 s44, s45, s44
	s_cmp_lg_u64 s[38:39], 0
	s_subb_u32 s41, s41, s25
	s_sub_u32 s45, s42, s24
	s_cselect_b64 s[38:39], -1, 0
	s_cmp_lg_u64 s[38:39], 0
	s_subb_u32 s38, s41, 0
	s_cmp_lg_u32 s44, 0
	s_cselect_b32 s39, s45, s42
	s_cselect_b32 s38, s38, s43
	s_cmp_lg_u64 s[36:37], 0
	s_subb_u32 s3, s3, s40
	s_cmp_ge_u32 s3, s25
	s_cselect_b32 s36, -1, 0
	s_cmp_ge_u32 s2, s24
	s_cselect_b32 s24, -1, 0
	s_cmp_eq_u32 s3, s25
	s_cselect_b32 s24, s24, s36
	s_cmp_lg_u32 s24, 0
	s_cselect_b32 s3, s38, s3
	s_cselect_b32 s2, s39, s2
	s_xor_b64 s[2:3], s[2:3], s[34:35]
	s_sub_u32 s2, s2, s34
	s_subb_u32 s3, s3, s34
	s_cbranch_execnz .LBB29_92
.LBB29_91:                              ;   in Loop: Header=BB29_16 Depth=1
	v_cvt_f32_u32_e32 v3, s33
	s_sub_i32 s2, 0, s33
	v_rcp_iflag_f32_e32 v3, v3
	v_mul_f32_e32 v3, 0x4f7ffffe, v3
	v_cvt_u32_f32_e32 v3, v3
	v_readfirstlane_b32 s3, v3
	s_mul_i32 s2, s2, s3
	s_mul_hi_u32 s2, s3, s2
	s_add_i32 s3, s3, s2
	s_mul_hi_u32 s2, s0, s3
	s_mul_i32 s2, s2, s33
	s_sub_i32 s2, s0, s2
	s_sub_i32 s3, s2, s33
	s_cmp_ge_u32 s2, s33
	s_cselect_b32 s2, s3, s2
	s_sub_i32 s3, s2, s33
	s_cmp_ge_u32 s2, s33
	s_cselect_b32 s50, s3, s2
	s_mov_b64 s[2:3], s[50:51]
.LBB29_92:                              ;   in Loop: Header=BB29_16 Depth=1
	s_sub_u32 s40, s0, s2
	s_subb_u32 s41, s61, s3
	v_cmp_gt_i64_e32 vcc, s[40:41], v[0:1]
	s_mov_b64 s[36:37], 0
	s_mov_b64 s[24:25], 0
                                        ; implicit-def: $vgpr5_vgpr6
	s_and_saveexec_b64 s[38:39], vcc
	s_cbranch_execz .LBB29_101
; %bb.93:                               ;   in Loop: Header=BB29_16 Depth=1
	v_mov_b32_e32 v11, v15
	v_mov_b32_e32 v14, v1
	;; [unrolled: 1-line block ×4, first 2 shown]
                                        ; implicit-def: $sgpr2_sgpr3
	s_branch .LBB29_96
.LBB29_94:                              ;   in Loop: Header=BB29_96 Depth=2
	s_or_b64 exec, exec, s[42:43]
	s_waitcnt lgkmcnt(0)
	s_barrier
	ds_read_b128 v[3:6], v18 offset:3072
	s_mov_b64 s[42:43], -1
	s_mov_b64 s[44:45], -1
	s_waitcnt lgkmcnt(0)
	s_barrier
	v_cmp_ne_u64_e32 vcc, 0, v[3:4]
	s_cbranch_vccz .LBB29_99
.LBB29_95:                              ;   in Loop: Header=BB29_96 Depth=2
	s_and_b64 s[34:35], exec, s[42:43]
	s_or_b64 s[24:25], s[34:35], s[24:25]
	s_andn2_b64 s[2:3], s[2:3], exec
	s_and_b64 s[34:35], s[44:45], exec
	s_or_b64 s[2:3], s[2:3], s[34:35]
	s_andn2_b64 exec, exec, s[24:25]
	s_cbranch_execz .LBB29_100
.LBB29_96:                              ;   Parent Loop BB29_16 Depth=1
                                        ; =>  This Inner Loop Header: Depth=2
	v_cmp_gt_i64_e32 vcc, s[20:21], v[13:14]
	s_and_saveexec_b64 s[42:43], vcc
	s_cbranch_execz .LBB29_94
; %bb.97:                               ;   in Loop: Header=BB29_96 Depth=2
	global_load_dwordx2 v[4:5], v[11:12], off
	s_waitcnt vmcnt(0)
	v_xor_b32_e32 v3, 0x80000000, v5
	v_and_b32_e32 v36, v3, v32
	v_and_b32_e32 v35, v4, v31
	v_cmp_eq_u64_e32 vcc, v[35:36], v[29:30]
	s_and_b64 exec, exec, vcc
	s_cbranch_execz .LBB29_94
; %bb.98:                               ;   in Loop: Header=BB29_96 Depth=2
	v_mov_b32_e32 v3, v18
	ds_write_b128 v18, v[2:5] offset:3072
	s_branch .LBB29_94
.LBB29_99:                              ;   in Loop: Header=BB29_96 Depth=2
	v_add_co_u32_e32 v13, vcc, s33, v13
	v_addc_co_u32_e32 v14, vcc, 0, v14, vcc
	v_mov_b32_e32 v3, s53
	v_add_co_u32_e32 v11, vcc, s52, v11
	v_addc_co_u32_e32 v12, vcc, v12, v3, vcc
	v_cmp_le_i64_e32 vcc, s[40:41], v[13:14]
	s_mov_b64 s[44:45], 0
	s_orn2_b64 s[42:43], vcc, exec
	s_branch .LBB29_95
.LBB29_100:                             ;   in Loop: Header=BB29_16 Depth=1
	s_or_b64 exec, exec, s[24:25]
	s_and_b64 s[24:25], s[2:3], exec
.LBB29_101:                             ;   in Loop: Header=BB29_16 Depth=1
	s_or_b64 exec, exec, s[38:39]
	s_mov_b64 s[34:35], s[68:69]
.LBB29_102:                             ;   in Loop: Header=BB29_16 Depth=1
	s_and_b64 vcc, exec, s[36:37]
	s_cbranch_vccz .LBB29_116
; %bb.103:                              ;   in Loop: Header=BB29_16 Depth=1
	s_add_u32 s34, s28, s59
	v_readlane_b32 s2, v62, 30
	s_addc_u32 s11, s29, s2
	s_mov_b32 s10, s51
	s_cmp_lg_u64 s[10:11], 0
	s_cbranch_scc0 .LBB29_144
; %bb.104:                              ;   in Loop: Header=BB29_16 Depth=1
	s_add_u32 s2, s33, 0
	s_addc_u32 s3, 0, 0
	s_xor_b64 s[30:31], s[2:3], 0
	v_cvt_f32_u32_e32 v3, s30
	v_cvt_f32_u32_e32 v4, s31
	s_sub_u32 s10, 0, s30
	s_subb_u32 s35, 0, s31
	v_mac_f32_e32 v3, 0x4f800000, v4
	v_rcp_f32_e32 v3, v3
	v_mul_f32_e32 v3, 0x5f7ffffc, v3
	v_mul_f32_e32 v4, 0x2f800000, v3
	v_trunc_f32_e32 v4, v4
	v_mac_f32_e32 v3, 0xcf800000, v4
	v_cvt_u32_f32_e32 v4, v4
	v_cvt_u32_f32_e32 v3, v3
	v_readfirstlane_b32 s36, v4
	v_readfirstlane_b32 s2, v3
	s_mul_i32 s3, s10, s36
	s_mul_hi_u32 s38, s10, s2
	s_mul_i32 s37, s35, s2
	s_add_i32 s3, s38, s3
	s_mul_i32 s39, s10, s2
	s_add_i32 s3, s3, s37
	s_mul_i32 s38, s2, s3
	s_mul_hi_u32 s40, s2, s39
	s_mul_hi_u32 s37, s2, s3
	s_add_u32 s38, s40, s38
	s_addc_u32 s37, 0, s37
	s_mul_hi_u32 s41, s36, s39
	s_mul_i32 s39, s36, s39
	s_add_u32 s38, s38, s39
	s_mul_hi_u32 s40, s36, s3
	s_addc_u32 s37, s37, s41
	s_addc_u32 s38, s40, 0
	s_mul_i32 s3, s36, s3
	s_add_u32 s3, s37, s3
	s_addc_u32 s37, 0, s38
	s_add_u32 s38, s2, s3
	s_cselect_b64 s[2:3], -1, 0
	s_cmp_lg_u64 s[2:3], 0
	s_addc_u32 s36, s36, s37
	s_mul_i32 s2, s10, s36
	s_mul_hi_u32 s3, s10, s38
	s_add_i32 s2, s3, s2
	s_mul_i32 s35, s35, s38
	s_add_i32 s2, s2, s35
	s_mul_i32 s10, s10, s38
	s_mul_hi_u32 s35, s36, s10
	s_mul_i32 s37, s36, s10
	s_mul_i32 s40, s38, s2
	s_mul_hi_u32 s10, s38, s10
	s_mul_hi_u32 s39, s38, s2
	s_add_u32 s10, s10, s40
	s_addc_u32 s39, 0, s39
	s_add_u32 s10, s10, s37
	s_mul_hi_u32 s3, s36, s2
	s_addc_u32 s10, s39, s35
	s_addc_u32 s3, s3, 0
	s_mul_i32 s2, s36, s2
	s_add_u32 s2, s10, s2
	s_addc_u32 s10, 0, s3
	s_add_u32 s35, s38, s2
	s_cselect_b64 s[2:3], -1, 0
	s_cmp_lg_u64 s[2:3], 0
	s_addc_u32 s10, s36, s10
	s_ashr_i32 s36, s11, 31
	s_add_u32 s2, s34, s36
	s_mov_b32 s37, s36
	s_addc_u32 s3, s11, s36
	s_xor_b64 s[2:3], s[2:3], s[36:37]
	s_mul_i32 s39, s2, s10
	s_mul_hi_u32 s40, s2, s35
	s_mul_hi_u32 s38, s2, s10
	s_add_u32 s39, s40, s39
	s_addc_u32 s38, 0, s38
	s_mul_hi_u32 s41, s3, s35
	s_mul_i32 s35, s3, s35
	s_add_u32 s35, s39, s35
	s_mul_hi_u32 s40, s3, s10
	s_addc_u32 s35, s38, s41
	s_addc_u32 s38, s40, 0
	s_mul_i32 s10, s3, s10
	s_add_u32 s10, s35, s10
	s_addc_u32 s35, 0, s38
	s_mul_i32 s35, s30, s35
	s_mul_hi_u32 s38, s30, s10
	s_add_i32 s35, s38, s35
	s_mul_i32 s38, s31, s10
	s_add_i32 s35, s35, s38
	s_sub_i32 s40, s3, s35
	s_mul_i32 s10, s30, s10
	s_sub_u32 s2, s2, s10
	s_cselect_b64 s[38:39], -1, 0
	s_cmp_lg_u64 s[38:39], 0
	s_subb_u32 s10, s40, s31
	s_sub_u32 s42, s2, s30
	s_cselect_b64 s[40:41], -1, 0
	s_cmp_lg_u64 s[40:41], 0
	s_subb_u32 s43, s10, 0
	s_cmp_ge_u32 s43, s31
	s_cselect_b32 s44, -1, 0
	s_cmp_ge_u32 s42, s30
	s_cselect_b32 s45, -1, 0
	s_cmp_eq_u32 s43, s31
	s_cselect_b32 s44, s45, s44
	s_cmp_lg_u64 s[40:41], 0
	s_subb_u32 s10, s10, s31
	s_sub_u32 s45, s42, s30
	s_cselect_b64 s[40:41], -1, 0
	s_cmp_lg_u64 s[40:41], 0
	s_subb_u32 s10, s10, 0
	s_cmp_lg_u32 s44, 0
	s_cselect_b32 s40, s45, s42
	s_cselect_b32 s10, s10, s43
	s_cmp_lg_u64 s[38:39], 0
	s_subb_u32 s3, s3, s35
	s_cmp_ge_u32 s3, s31
	s_cselect_b32 s35, -1, 0
	s_cmp_ge_u32 s2, s30
	s_cselect_b32 s30, -1, 0
	s_cmp_eq_u32 s3, s31
	s_cselect_b32 s30, s30, s35
	s_cmp_lg_u32 s30, 0
	s_cselect_b32 s3, s10, s3
	s_cselect_b32 s2, s40, s2
	s_xor_b64 s[2:3], s[2:3], s[36:37]
	s_sub_u32 s2, s2, s36
	s_subb_u32 s3, s3, s36
	s_cbranch_execnz .LBB29_106
.LBB29_105:                             ;   in Loop: Header=BB29_16 Depth=1
	v_cvt_f32_u32_e32 v3, s33
	s_sub_i32 s2, 0, s33
	v_rcp_iflag_f32_e32 v3, v3
	v_mul_f32_e32 v3, 0x4f7ffffe, v3
	v_cvt_u32_f32_e32 v3, v3
	v_readfirstlane_b32 s3, v3
	s_mul_i32 s2, s2, s3
	s_mul_hi_u32 s2, s3, s2
	s_add_i32 s3, s3, s2
	s_mul_hi_u32 s2, s34, s3
	s_mul_i32 s2, s2, s33
	s_sub_i32 s2, s34, s2
	s_sub_i32 s3, s2, s33
	s_cmp_ge_u32 s2, s33
	s_cselect_b32 s2, s3, s2
	s_sub_i32 s3, s2, s33
	s_cmp_ge_u32 s2, s33
	s_cselect_b32 s50, s3, s2
	s_mov_b64 s[2:3], s[50:51]
.LBB29_106:                             ;   in Loop: Header=BB29_16 Depth=1
	s_sub_u32 s30, s34, s2
	s_subb_u32 s31, s11, s3
	v_cmp_gt_i64_e32 vcc, s[30:31], v[0:1]
                                        ; implicit-def: $vgpr5_vgpr6
	s_and_saveexec_b64 s[10:11], vcc
	s_cbranch_execz .LBB29_115
; %bb.107:                              ;   in Loop: Header=BB29_16 Depth=1
	v_mov_b32_e32 v12, v1
	s_mov_b64 s[36:37], 0
	v_mov_b32_e32 v13, v52
	v_mov_b32_e32 v11, v0
                                        ; implicit-def: $sgpr2_sgpr3
	s_branch .LBB29_110
.LBB29_108:                             ;   in Loop: Header=BB29_110 Depth=2
	s_or_b64 exec, exec, s[38:39]
	s_waitcnt lgkmcnt(0)
	s_barrier
	ds_read_b128 v[3:6], v18 offset:3072
	s_mov_b64 s[38:39], -1
	s_mov_b64 s[40:41], -1
	s_waitcnt lgkmcnt(0)
	s_barrier
	v_cmp_ne_u64_e32 vcc, 0, v[3:4]
	s_cbranch_vccz .LBB29_113
.LBB29_109:                             ;   in Loop: Header=BB29_110 Depth=2
	s_and_b64 s[34:35], exec, s[38:39]
	s_or_b64 s[36:37], s[34:35], s[36:37]
	s_andn2_b64 s[2:3], s[2:3], exec
	s_and_b64 s[34:35], s[40:41], exec
	s_or_b64 s[2:3], s[2:3], s[34:35]
	s_andn2_b64 exec, exec, s[36:37]
	s_cbranch_execz .LBB29_114
.LBB29_110:                             ;   Parent Loop BB29_16 Depth=1
                                        ; =>  This Inner Loop Header: Depth=2
	v_cmp_gt_u64_e32 vcc, s[28:29], v[11:12]
	s_and_saveexec_b64 s[38:39], vcc
	s_cbranch_execz .LBB29_108
; %bb.111:                              ;   in Loop: Header=BB29_110 Depth=2
	ds_read_b64 v[4:5], v13
	s_waitcnt lgkmcnt(0)
	v_xor_b32_e32 v3, 0x80000000, v5
	v_and_b32_e32 v36, v3, v32
	v_and_b32_e32 v35, v4, v31
	v_cmp_eq_u64_e32 vcc, v[35:36], v[29:30]
	s_and_b64 exec, exec, vcc
	s_cbranch_execz .LBB29_108
; %bb.112:                              ;   in Loop: Header=BB29_110 Depth=2
	v_mov_b32_e32 v3, v18
	ds_write_b128 v18, v[2:5] offset:3072
	s_branch .LBB29_108
.LBB29_113:                             ;   in Loop: Header=BB29_110 Depth=2
	v_add_co_u32_e32 v11, vcc, s33, v11
	v_addc_co_u32_e32 v12, vcc, 0, v12, vcc
	v_cmp_le_i64_e32 vcc, s[30:31], v[11:12]
	v_add_u32_e32 v13, s8, v13
	s_mov_b64 s[40:41], 0
	s_orn2_b64 s[38:39], vcc, exec
	s_branch .LBB29_109
.LBB29_114:                             ;   in Loop: Header=BB29_16 Depth=1
	s_or_b64 exec, exec, s[36:37]
	s_andn2_b64 s[24:25], s[24:25], exec
	s_and_b64 s[2:3], s[2:3], exec
	s_or_b64 s[24:25], s[24:25], s[2:3]
.LBB29_115:                             ;   in Loop: Header=BB29_16 Depth=1
	s_or_b64 exec, exec, s[10:11]
	s_mov_b64 s[10:11], 0
	s_mov_b64 s[30:31], -1
	s_mov_b64 s[34:35], s[68:69]
.LBB29_116:                             ;   in Loop: Header=BB29_16 Depth=1
	s_orn2_b64 s[2:3], s[24:25], exec
.LBB29_117:                             ;   in Loop: Header=BB29_16 Depth=1
	s_or_b64 exec, exec, s[16:17]
	s_andn2_b64 s[16:17], s[86:87], exec
	s_and_b64 s[24:25], s[30:31], exec
	s_or_b64 s[86:87], s[16:17], s[24:25]
	s_andn2_b64 s[16:17], s[84:85], exec
	s_and_b64 s[10:11], s[10:11], exec
	s_andn2_b64 s[82:83], s[82:83], exec
	s_or_b64 s[84:85], s[16:17], s[10:11]
                                        ; implicit-def: $vgpr11_vgpr12
	s_and_saveexec_b64 s[16:17], s[2:3]
	s_cbranch_execz .LBB29_15
; %bb.118:                              ;   in Loop: Header=BB29_16 Depth=1
	v_mov_b32_e32 v11, 1
	s_xor_b64 s[2:3], s[22:23], -1
	v_mov_b32_e32 v35, 1
	v_mov_b32_e32 v12, 0
	s_mov_b64 s[10:11], 0
	s_and_saveexec_b64 s[6:7], s[2:3]
	s_cbranch_execz .LBB29_127
; %bb.119:                              ;   in Loop: Header=BB29_16 Depth=1
	v_cmp_le_i64_e32 vcc, v[33:34], v[7:8]
	s_and_saveexec_b64 s[2:3], vcc
	s_xor_b64 s[2:3], exec, s[2:3]
	s_cbranch_execz .LBB29_124
; %bb.120:                              ;   in Loop: Header=BB29_16 Depth=1
	ds_read_b64 v[3:4], v18 offset:5120
	v_and_b32_e32 v30, s93, v30
	v_and_b32_e32 v29, s92, v29
	v_or_b32_e32 v32, s15, v32
	v_or_b32_e32 v31, s14, v31
	s_waitcnt lgkmcnt(0)
	v_cmp_ne_u64_e32 vcc, 0, v[3:4]
	s_cbranch_vccnz .LBB29_124
; %bb.121:                              ;   in Loop: Header=BB29_16 Depth=1
	s_mov_b64 s[10:11], exec
	v_readlane_b32 s22, v62, 10
	v_readlane_b32 s23, v62, 11
	s_and_b64 s[22:23], s[10:11], s[22:23]
	s_mov_b64 exec, s[22:23]
; %bb.122:                              ;   in Loop: Header=BB29_16 Depth=1
	ds_write_b64 v18, v[7:8] offset:5128
; %bb.123:                              ;   in Loop: Header=BB29_16 Depth=1
	s_or_b64 exec, exec, s[10:11]
	s_waitcnt lgkmcnt(0)
	s_barrier
.LBB29_124:                             ;   in Loop: Header=BB29_16 Depth=1
	s_or_saveexec_b64 s[2:3], s[2:3]
	s_mov_b64 s[10:11], 0
	v_mov_b32_e32 v35, 8
	s_xor_b64 exec, exec, s[2:3]
; %bb.125:                              ;   in Loop: Header=BB29_16 Depth=1
	v_sub_co_u32_e32 v33, vcc, v33, v7
	v_subb_co_u32_e32 v34, vcc, v34, v8, vcc
	v_mov_b32_e32 v35, 0
	s_mov_b64 s[10:11], exec
; %bb.126:                              ;   in Loop: Header=BB29_16 Depth=1
	s_or_b64 exec, exec, s[2:3]
	v_mov_b32_e32 v11, v33
	s_and_b64 s[10:11], s[10:11], exec
	v_mov_b32_e32 v12, v34
.LBB29_127:                             ;   in Loop: Header=BB29_16 Depth=1
	s_or_b64 exec, exec, s[6:7]
	s_mov_b64 s[22:23], -1
	s_mov_b64 s[2:3], -1
                                        ; implicit-def: $sgpr6_sgpr7
                                        ; implicit-def: $sgpr94_sgpr95
	s_and_saveexec_b64 s[24:25], s[10:11]
	s_xor_b64 s[88:89], exec, s[24:25]
	s_cbranch_execz .LBB29_269
; %bb.128:                              ;   in Loop: Header=BB29_16 Depth=1
	v_cmp_eq_u64_e32 vcc, 1, v[9:10]
	v_cmp_eq_u64_e64 s[6:7], 1, v[11:12]
                                        ; implicit-def: $sgpr94_sgpr95
	s_and_b64 s[28:29], vcc, s[6:7]
                                        ; implicit-def: $sgpr6_sgpr7
	s_and_saveexec_b64 s[30:31], s[28:29]
	s_cbranch_execz .LBB29_162
; %bb.129:                              ;   in Loop: Header=BB29_16 Depth=1
	ds_read_b64 v[3:4], v18 offset:5120
	s_waitcnt lgkmcnt(0)
	s_barrier
	v_readfirstlane_b32 s36, v3
	v_readfirstlane_b32 s37, v4
	s_and_saveexec_b64 s[2:3], s[18:19]
; %bb.130:                              ;   in Loop: Header=BB29_16 Depth=1
	v_mov_b32_e32 v17, v18
	ds_write_b64 v53, v[17:18]
; %bb.131:                              ;   in Loop: Header=BB29_16 Depth=1
	s_or_b64 exec, exec, s[2:3]
	s_lshl_b64 s[2:3], 1, s9
	v_and_b32_e32 v3, s93, v30
	v_and_b32_e32 v4, s92, v29
	v_or_b32_e32 v30, s3, v3
	v_or_b32_e32 v29, s2, v4
	v_cmp_gt_i64_e64 s[2:3], s[36:37], 0
	v_or_b32_e32 v32, s15, v32
	v_or_b32_e32 v31, s14, v31
	s_mov_b64 s[6:7], -1
	s_mov_b64 s[94:95], 0
	s_and_b64 vcc, exec, s[2:3]
	s_mov_b64 s[10:11], 0
	s_mov_b64 s[24:25], -1
	s_waitcnt lgkmcnt(0)
	s_barrier
                                        ; implicit-def: $vgpr5_vgpr6
	s_cbranch_vccnz .LBB29_147
; %bb.132:                              ;   in Loop: Header=BB29_16 Depth=1
	s_mov_b32 s60, s51
	s_cmp_lg_u64 s[60:61], 0
	s_cbranch_scc0 .LBB29_189
; %bb.133:                              ;   in Loop: Header=BB29_16 Depth=1
	s_add_u32 s2, s33, 0
	s_addc_u32 s3, 0, 0
	s_xor_b64 s[10:11], s[2:3], 0
	v_cvt_f32_u32_e32 v3, s10
	v_cvt_f32_u32_e32 v4, s11
	s_sub_u32 s24, 0, s10
	s_subb_u32 s25, 0, s11
	v_mac_f32_e32 v3, 0x4f800000, v4
	v_rcp_f32_e32 v3, v3
	v_mul_f32_e32 v3, 0x5f7ffffc, v3
	v_mul_f32_e32 v4, 0x2f800000, v3
	v_trunc_f32_e32 v4, v4
	v_mac_f32_e32 v3, 0xcf800000, v4
	v_cvt_u32_f32_e32 v4, v4
	v_cvt_u32_f32_e32 v3, v3
	v_readfirstlane_b32 s34, v4
	v_readfirstlane_b32 s2, v3
	s_mul_i32 s3, s24, s34
	s_mul_hi_u32 s38, s24, s2
	s_mul_i32 s35, s25, s2
	s_add_i32 s3, s38, s3
	s_mul_i32 s39, s24, s2
	s_add_i32 s3, s3, s35
	s_mul_i32 s38, s2, s3
	s_mul_hi_u32 s40, s2, s39
	s_mul_hi_u32 s35, s2, s3
	s_add_u32 s38, s40, s38
	s_addc_u32 s35, 0, s35
	s_mul_hi_u32 s41, s34, s39
	s_mul_i32 s39, s34, s39
	s_add_u32 s38, s38, s39
	s_mul_hi_u32 s40, s34, s3
	s_addc_u32 s35, s35, s41
	s_addc_u32 s38, s40, 0
	s_mul_i32 s3, s34, s3
	s_add_u32 s3, s35, s3
	s_addc_u32 s35, 0, s38
	s_add_u32 s38, s2, s3
	s_cselect_b64 s[2:3], -1, 0
	s_cmp_lg_u64 s[2:3], 0
	s_addc_u32 s34, s34, s35
	s_mul_i32 s2, s24, s34
	s_mul_hi_u32 s3, s24, s38
	s_add_i32 s2, s3, s2
	s_mul_i32 s25, s25, s38
	s_add_i32 s2, s2, s25
	s_mul_i32 s24, s24, s38
	s_mul_hi_u32 s25, s34, s24
	s_mul_i32 s35, s34, s24
	s_mul_i32 s40, s38, s2
	s_mul_hi_u32 s24, s38, s24
	s_mul_hi_u32 s39, s38, s2
	s_add_u32 s24, s24, s40
	s_addc_u32 s39, 0, s39
	s_add_u32 s24, s24, s35
	s_mul_hi_u32 s3, s34, s2
	s_addc_u32 s24, s39, s25
	s_addc_u32 s3, s3, 0
	s_mul_i32 s2, s34, s2
	s_add_u32 s2, s24, s2
	s_addc_u32 s24, 0, s3
	s_add_u32 s35, s38, s2
	s_cselect_b64 s[2:3], -1, 0
	s_cmp_lg_u64 s[2:3], 0
	s_addc_u32 s34, s34, s24
	s_ashr_i32 s24, s61, 31
	s_add_u32 s2, s0, s24
	s_mov_b32 s25, s24
	s_addc_u32 s3, s61, s24
	s_xor_b64 s[2:3], s[2:3], s[24:25]
	s_mul_i32 s39, s2, s34
	s_mul_hi_u32 s40, s2, s35
	s_mul_hi_u32 s38, s2, s34
	s_add_u32 s39, s40, s39
	s_addc_u32 s38, 0, s38
	s_mul_hi_u32 s41, s3, s35
	s_mul_i32 s35, s3, s35
	s_add_u32 s35, s39, s35
	s_mul_hi_u32 s40, s3, s34
	s_addc_u32 s35, s38, s41
	s_addc_u32 s38, s40, 0
	s_mul_i32 s34, s3, s34
	s_add_u32 s34, s35, s34
	s_addc_u32 s35, 0, s38
	s_mul_i32 s35, s10, s35
	s_mul_hi_u32 s38, s10, s34
	s_add_i32 s35, s38, s35
	s_mul_i32 s38, s11, s34
	s_add_i32 s40, s35, s38
	s_sub_i32 s38, s3, s40
	s_mul_i32 s34, s10, s34
	s_sub_u32 s2, s2, s34
	s_cselect_b64 s[34:35], -1, 0
	s_cmp_lg_u64 s[34:35], 0
	s_subb_u32 s41, s38, s11
	s_sub_u32 s42, s2, s10
	s_cselect_b64 s[38:39], -1, 0
	s_cmp_lg_u64 s[38:39], 0
	s_subb_u32 s43, s41, 0
	s_cmp_ge_u32 s43, s11
	s_cselect_b32 s44, -1, 0
	s_cmp_ge_u32 s42, s10
	s_cselect_b32 s45, -1, 0
	s_cmp_eq_u32 s43, s11
	s_cselect_b32 s44, s45, s44
	s_cmp_lg_u64 s[38:39], 0
	s_subb_u32 s41, s41, s11
	s_sub_u32 s45, s42, s10
	s_cselect_b64 s[38:39], -1, 0
	s_cmp_lg_u64 s[38:39], 0
	s_subb_u32 s38, s41, 0
	s_cmp_lg_u32 s44, 0
	s_cselect_b32 s39, s45, s42
	s_cselect_b32 s38, s38, s43
	s_cmp_lg_u64 s[34:35], 0
	s_subb_u32 s3, s3, s40
	s_cmp_ge_u32 s3, s11
	s_cselect_b32 s34, -1, 0
	s_cmp_ge_u32 s2, s10
	s_cselect_b32 s10, -1, 0
	s_cmp_eq_u32 s3, s11
	s_cselect_b32 s10, s10, s34
	s_cmp_lg_u32 s10, 0
	s_cselect_b32 s3, s38, s3
	s_cselect_b32 s2, s39, s2
	s_xor_b64 s[2:3], s[2:3], s[24:25]
	s_sub_u32 s2, s2, s24
	s_subb_u32 s3, s3, s24
	s_cbranch_execnz .LBB29_135
.LBB29_134:                             ;   in Loop: Header=BB29_16 Depth=1
	v_cvt_f32_u32_e32 v3, s33
	s_sub_i32 s2, 0, s33
	v_rcp_iflag_f32_e32 v3, v3
	v_mul_f32_e32 v3, 0x4f7ffffe, v3
	v_cvt_u32_f32_e32 v3, v3
	v_readfirstlane_b32 s3, v3
	s_mul_i32 s2, s2, s3
	s_mul_hi_u32 s2, s3, s2
	s_add_i32 s3, s3, s2
	s_mul_hi_u32 s2, s0, s3
	s_mul_i32 s2, s2, s33
	s_sub_i32 s2, s0, s2
	s_sub_i32 s3, s2, s33
	s_cmp_ge_u32 s2, s33
	s_cselect_b32 s2, s3, s2
	s_sub_i32 s3, s2, s33
	s_cmp_ge_u32 s2, s33
	s_cselect_b32 s50, s3, s2
	s_mov_b64 s[2:3], s[50:51]
.LBB29_135:                             ;   in Loop: Header=BB29_16 Depth=1
	s_sub_u32 s40, s0, s2
	s_subb_u32 s41, s61, s3
	v_cmp_gt_i64_e32 vcc, s[40:41], v[0:1]
	s_mov_b64 s[24:25], 0
	s_mov_b64 s[10:11], 0
                                        ; implicit-def: $vgpr5_vgpr6
	s_and_saveexec_b64 s[38:39], vcc
	s_cbranch_execz .LBB29_146
; %bb.136:                              ;   in Loop: Header=BB29_16 Depth=1
	v_mov_b32_e32 v7, v15
	v_mov_b32_e32 v14, v1
	;; [unrolled: 1-line block ×4, first 2 shown]
                                        ; implicit-def: $sgpr42_sgpr43
	s_branch .LBB29_139
.LBB29_137:                             ;   in Loop: Header=BB29_139 Depth=2
	s_or_b64 exec, exec, s[2:3]
	s_waitcnt lgkmcnt(0)
	s_barrier
	ds_read_b128 v[3:6], v18 offset:3072
	s_mov_b64 s[2:3], -1
	s_mov_b64 s[44:45], -1
	s_waitcnt lgkmcnt(0)
	s_barrier
	v_cmp_ne_u64_e32 vcc, 0, v[3:4]
	s_cbranch_vccz .LBB29_142
.LBB29_138:                             ;   in Loop: Header=BB29_139 Depth=2
	s_and_b64 s[2:3], exec, s[2:3]
	s_or_b64 s[10:11], s[2:3], s[10:11]
	s_andn2_b64 s[2:3], s[42:43], exec
	s_and_b64 s[34:35], s[44:45], exec
	s_or_b64 s[42:43], s[2:3], s[34:35]
	s_andn2_b64 exec, exec, s[10:11]
	s_cbranch_execz .LBB29_145
.LBB29_139:                             ;   Parent Loop BB29_16 Depth=1
                                        ; =>  This Inner Loop Header: Depth=2
	v_cmp_gt_i64_e32 vcc, s[20:21], v[13:14]
	s_and_saveexec_b64 s[2:3], vcc
	s_cbranch_execz .LBB29_137
; %bb.140:                              ;   in Loop: Header=BB29_139 Depth=2
	global_load_dwordx2 v[4:5], v[7:8], off
	s_waitcnt vmcnt(0)
	v_xor_b32_e32 v3, 0x80000000, v5
	v_and_b32_e32 v34, v3, v32
	v_and_b32_e32 v33, v4, v31
	v_cmp_eq_u64_e32 vcc, v[33:34], v[29:30]
	s_and_b64 exec, exec, vcc
	s_cbranch_execz .LBB29_137
; %bb.141:                              ;   in Loop: Header=BB29_139 Depth=2
	v_mov_b32_e32 v3, v18
	ds_write_b128 v18, v[2:5] offset:3072
	s_branch .LBB29_137
.LBB29_142:                             ;   in Loop: Header=BB29_139 Depth=2
	v_add_co_u32_e32 v13, vcc, s33, v13
	v_addc_co_u32_e32 v14, vcc, 0, v14, vcc
	v_mov_b32_e32 v3, s53
	v_add_co_u32_e32 v7, vcc, s52, v7
	v_addc_co_u32_e32 v8, vcc, v8, v3, vcc
	v_cmp_le_i64_e32 vcc, s[40:41], v[13:14]
	s_mov_b64 s[44:45], 0
	s_orn2_b64 s[2:3], vcc, exec
	s_branch .LBB29_138
.LBB29_143:                             ;   in Loop: Header=BB29_16 Depth=1
                                        ; implicit-def: $sgpr2_sgpr3
	s_branch .LBB29_91
.LBB29_144:                             ;   in Loop: Header=BB29_16 Depth=1
                                        ; implicit-def: $sgpr2_sgpr3
	s_branch .LBB29_105
.LBB29_145:                             ;   in Loop: Header=BB29_16 Depth=1
	s_or_b64 exec, exec, s[10:11]
	s_and_b64 s[10:11], s[42:43], exec
.LBB29_146:                             ;   in Loop: Header=BB29_16 Depth=1
	s_or_b64 exec, exec, s[38:39]
	s_mov_b64 s[34:35], s[68:69]
.LBB29_147:                             ;   in Loop: Header=BB29_16 Depth=1
	s_and_b64 vcc, exec, s[24:25]
	s_cbranch_vccz .LBB29_161
; %bb.148:                              ;   in Loop: Header=BB29_16 Depth=1
	s_add_u32 s34, s36, s59
	v_readlane_b32 s2, v62, 30
	s_addc_u32 s7, s37, s2
	s_mov_b32 s6, s51
	s_cmp_lg_u64 s[6:7], 0
	s_cbranch_scc0 .LBB29_190
; %bb.149:                              ;   in Loop: Header=BB29_16 Depth=1
	s_add_u32 s2, s33, 0
	s_addc_u32 s3, 0, 0
	s_xor_b64 s[24:25], s[2:3], 0
	v_cvt_f32_u32_e32 v3, s24
	v_cvt_f32_u32_e32 v4, s25
	s_sub_u32 s6, 0, s24
	s_subb_u32 s35, 0, s25
	v_mac_f32_e32 v3, 0x4f800000, v4
	v_rcp_f32_e32 v3, v3
	v_mul_f32_e32 v3, 0x5f7ffffc, v3
	v_mul_f32_e32 v4, 0x2f800000, v3
	v_trunc_f32_e32 v4, v4
	v_mac_f32_e32 v3, 0xcf800000, v4
	v_cvt_u32_f32_e32 v4, v4
	v_cvt_u32_f32_e32 v3, v3
	v_readfirstlane_b32 s38, v4
	v_readfirstlane_b32 s2, v3
	s_mul_i32 s3, s6, s38
	s_mul_hi_u32 s40, s6, s2
	s_mul_i32 s39, s35, s2
	s_add_i32 s3, s40, s3
	s_mul_i32 s41, s6, s2
	s_add_i32 s3, s3, s39
	s_mul_i32 s40, s2, s3
	s_mul_hi_u32 s42, s2, s41
	s_mul_hi_u32 s39, s2, s3
	s_add_u32 s40, s42, s40
	s_addc_u32 s39, 0, s39
	s_mul_hi_u32 s43, s38, s41
	s_mul_i32 s41, s38, s41
	s_add_u32 s40, s40, s41
	s_mul_hi_u32 s42, s38, s3
	s_addc_u32 s39, s39, s43
	s_addc_u32 s40, s42, 0
	s_mul_i32 s3, s38, s3
	s_add_u32 s3, s39, s3
	s_addc_u32 s39, 0, s40
	s_add_u32 s40, s2, s3
	s_cselect_b64 s[2:3], -1, 0
	s_cmp_lg_u64 s[2:3], 0
	s_addc_u32 s38, s38, s39
	s_mul_i32 s2, s6, s38
	s_mul_hi_u32 s3, s6, s40
	s_add_i32 s2, s3, s2
	s_mul_i32 s35, s35, s40
	s_add_i32 s2, s2, s35
	s_mul_i32 s6, s6, s40
	s_mul_hi_u32 s35, s38, s6
	s_mul_i32 s39, s38, s6
	s_mul_i32 s42, s40, s2
	s_mul_hi_u32 s6, s40, s6
	s_mul_hi_u32 s41, s40, s2
	s_add_u32 s6, s6, s42
	s_addc_u32 s41, 0, s41
	s_add_u32 s6, s6, s39
	s_mul_hi_u32 s3, s38, s2
	s_addc_u32 s6, s41, s35
	s_addc_u32 s3, s3, 0
	s_mul_i32 s2, s38, s2
	s_add_u32 s2, s6, s2
	s_addc_u32 s6, 0, s3
	s_add_u32 s35, s40, s2
	s_cselect_b64 s[2:3], -1, 0
	s_cmp_lg_u64 s[2:3], 0
	s_addc_u32 s6, s38, s6
	s_ashr_i32 s38, s7, 31
	s_add_u32 s2, s34, s38
	s_mov_b32 s39, s38
	s_addc_u32 s3, s7, s38
	s_xor_b64 s[2:3], s[2:3], s[38:39]
	s_mul_i32 s41, s2, s6
	s_mul_hi_u32 s42, s2, s35
	s_mul_hi_u32 s40, s2, s6
	s_add_u32 s41, s42, s41
	s_addc_u32 s40, 0, s40
	s_mul_hi_u32 s43, s3, s35
	s_mul_i32 s35, s3, s35
	s_add_u32 s35, s41, s35
	s_mul_hi_u32 s42, s3, s6
	s_addc_u32 s35, s40, s43
	s_addc_u32 s40, s42, 0
	s_mul_i32 s6, s3, s6
	s_add_u32 s6, s35, s6
	s_addc_u32 s35, 0, s40
	s_mul_i32 s35, s24, s35
	s_mul_hi_u32 s40, s24, s6
	s_add_i32 s35, s40, s35
	s_mul_i32 s40, s25, s6
	s_add_i32 s35, s35, s40
	s_sub_i32 s42, s3, s35
	s_mul_i32 s6, s24, s6
	s_sub_u32 s2, s2, s6
	s_cselect_b64 s[40:41], -1, 0
	s_cmp_lg_u64 s[40:41], 0
	s_subb_u32 s6, s42, s25
	s_sub_u32 s44, s2, s24
	s_cselect_b64 s[42:43], -1, 0
	s_cmp_lg_u64 s[42:43], 0
	s_subb_u32 s45, s6, 0
	s_cmp_ge_u32 s45, s25
	s_cselect_b32 s46, -1, 0
	s_cmp_ge_u32 s44, s24
	s_cselect_b32 s47, -1, 0
	s_cmp_eq_u32 s45, s25
	s_cselect_b32 s46, s47, s46
	s_cmp_lg_u64 s[42:43], 0
	s_subb_u32 s6, s6, s25
	s_sub_u32 s47, s44, s24
	s_cselect_b64 s[42:43], -1, 0
	s_cmp_lg_u64 s[42:43], 0
	s_subb_u32 s6, s6, 0
	s_cmp_lg_u32 s46, 0
	s_cselect_b32 s42, s47, s44
	s_cselect_b32 s6, s6, s45
	s_cmp_lg_u64 s[40:41], 0
	s_subb_u32 s3, s3, s35
	s_cmp_ge_u32 s3, s25
	s_cselect_b32 s35, -1, 0
	s_cmp_ge_u32 s2, s24
	s_cselect_b32 s24, -1, 0
	s_cmp_eq_u32 s3, s25
	s_cselect_b32 s24, s24, s35
	s_cmp_lg_u32 s24, 0
	s_cselect_b32 s3, s6, s3
	s_cselect_b32 s2, s42, s2
	s_xor_b64 s[2:3], s[2:3], s[38:39]
	s_sub_u32 s2, s2, s38
	s_subb_u32 s3, s3, s38
	s_cbranch_execnz .LBB29_151
.LBB29_150:                             ;   in Loop: Header=BB29_16 Depth=1
	v_cvt_f32_u32_e32 v3, s33
	s_sub_i32 s2, 0, s33
	v_rcp_iflag_f32_e32 v3, v3
	v_mul_f32_e32 v3, 0x4f7ffffe, v3
	v_cvt_u32_f32_e32 v3, v3
	v_readfirstlane_b32 s3, v3
	s_mul_i32 s2, s2, s3
	s_mul_hi_u32 s2, s3, s2
	s_add_i32 s3, s3, s2
	s_mul_hi_u32 s2, s34, s3
	s_mul_i32 s2, s2, s33
	s_sub_i32 s2, s34, s2
	s_sub_i32 s3, s2, s33
	s_cmp_ge_u32 s2, s33
	s_cselect_b32 s2, s3, s2
	s_sub_i32 s3, s2, s33
	s_cmp_ge_u32 s2, s33
	s_cselect_b32 s50, s3, s2
	s_mov_b64 s[2:3], s[50:51]
.LBB29_151:                             ;   in Loop: Header=BB29_16 Depth=1
	s_sub_u32 s24, s34, s2
	s_subb_u32 s25, s7, s3
	v_cmp_gt_i64_e32 vcc, s[24:25], v[0:1]
                                        ; implicit-def: $vgpr5_vgpr6
	s_and_saveexec_b64 s[6:7], vcc
	s_cbranch_execz .LBB29_160
; %bb.152:                              ;   in Loop: Header=BB29_16 Depth=1
	v_mov_b32_e32 v8, v1
	s_mov_b64 s[2:3], 0
	v_mov_b32_e32 v13, v52
	v_mov_b32_e32 v7, v0
                                        ; implicit-def: $sgpr38_sgpr39
	s_branch .LBB29_155
.LBB29_153:                             ;   in Loop: Header=BB29_155 Depth=2
	s_or_b64 exec, exec, s[40:41]
	s_waitcnt lgkmcnt(0)
	s_barrier
	ds_read_b128 v[3:6], v18 offset:3072
	s_mov_b64 s[40:41], -1
	s_mov_b64 s[42:43], -1
	s_waitcnt lgkmcnt(0)
	s_barrier
	v_cmp_eq_u64_e32 vcc, 0, v[3:4]
	s_cbranch_vccnz .LBB29_158
.LBB29_154:                             ;   in Loop: Header=BB29_155 Depth=2
	s_and_b64 s[34:35], exec, s[40:41]
	s_or_b64 s[2:3], s[34:35], s[2:3]
	s_andn2_b64 s[34:35], s[38:39], exec
	s_and_b64 s[38:39], s[42:43], exec
	s_or_b64 s[38:39], s[34:35], s[38:39]
	s_andn2_b64 exec, exec, s[2:3]
	s_cbranch_execz .LBB29_159
.LBB29_155:                             ;   Parent Loop BB29_16 Depth=1
                                        ; =>  This Inner Loop Header: Depth=2
	v_cmp_gt_u64_e32 vcc, s[36:37], v[7:8]
	s_and_saveexec_b64 s[40:41], vcc
	s_cbranch_execz .LBB29_153
; %bb.156:                              ;   in Loop: Header=BB29_155 Depth=2
	ds_read_b64 v[4:5], v13
	s_waitcnt lgkmcnt(0)
	v_xor_b32_e32 v3, 0x80000000, v5
	v_and_b32_e32 v34, v3, v32
	v_and_b32_e32 v33, v4, v31
	v_cmp_eq_u64_e32 vcc, v[33:34], v[29:30]
	s_and_b64 exec, exec, vcc
	s_cbranch_execz .LBB29_153
; %bb.157:                              ;   in Loop: Header=BB29_155 Depth=2
	v_mov_b32_e32 v3, v18
	ds_write_b128 v18, v[2:5] offset:3072
	s_branch .LBB29_153
.LBB29_158:                             ;   in Loop: Header=BB29_155 Depth=2
	v_add_co_u32_e32 v7, vcc, s33, v7
	v_addc_co_u32_e32 v8, vcc, 0, v8, vcc
	v_cmp_le_i64_e32 vcc, s[24:25], v[7:8]
	v_add_u32_e32 v13, s8, v13
	s_mov_b64 s[42:43], 0
	s_orn2_b64 s[40:41], vcc, exec
	s_branch .LBB29_154
.LBB29_159:                             ;   in Loop: Header=BB29_16 Depth=1
	s_or_b64 exec, exec, s[2:3]
	s_andn2_b64 s[2:3], s[10:11], exec
	s_and_b64 s[10:11], s[38:39], exec
	s_or_b64 s[10:11], s[2:3], s[10:11]
.LBB29_160:                             ;   in Loop: Header=BB29_16 Depth=1
	s_or_b64 exec, exec, s[6:7]
	s_mov_b64 s[6:7], 0
	s_mov_b64 s[94:95], -1
	s_mov_b64 s[34:35], s[68:69]
.LBB29_161:                             ;   in Loop: Header=BB29_16 Depth=1
	s_orn2_b64 s[2:3], s[10:11], exec
.LBB29_162:                             ;   in Loop: Header=BB29_16 Depth=1
	s_or_b64 exec, exec, s[30:31]
	s_mov_b64 s[10:11], 0
	s_and_saveexec_b64 s[46:47], s[2:3]
	s_cbranch_execz .LBB29_268
; %bb.163:                              ;   in Loop: Header=BB29_16 Depth=1
	v_mov_b32_e32 v7, 1
	s_xor_b64 s[2:3], s[28:29], -1
	v_mov_b32_e32 v35, 1
	v_mov_b32_e32 v8, 0
	s_mov_b64 s[24:25], 0
	s_and_saveexec_b64 s[10:11], s[2:3]
	s_cbranch_execz .LBB29_173
; %bb.164:                              ;   in Loop: Header=BB29_16 Depth=1
	v_cmp_le_i64_e32 vcc, v[11:12], v[9:10]
	s_and_saveexec_b64 s[2:3], vcc
	s_xor_b64 s[24:25], exec, s[2:3]
	s_cbranch_execz .LBB29_170
; %bb.165:                              ;   in Loop: Header=BB29_16 Depth=1
	s_lshl_b64 s[2:3], 1, s9
	v_and_b32_e32 v3, s93, v30
	v_and_b32_e32 v4, s92, v29
	v_or_b32_e32 v30, s3, v3
	v_or_b32_e32 v29, s2, v4
	ds_read_b64 v[3:4], v18 offset:5120
	v_or_b32_e32 v32, s15, v32
	v_or_b32_e32 v31, s14, v31
	s_waitcnt lgkmcnt(0)
	v_cmp_ne_u64_e32 vcc, 0, v[3:4]
	s_cbranch_vccnz .LBB29_169
; %bb.166:                              ;   in Loop: Header=BB29_16 Depth=1
	s_mov_b64 s[2:3], exec
	v_readlane_b32 s28, v62, 10
	v_readlane_b32 s29, v62, 11
	s_and_b64 s[28:29], s[2:3], s[28:29]
	s_mov_b64 exec, s[28:29]
; %bb.167:                              ;   in Loop: Header=BB29_16 Depth=1
	ds_write_b64 v18, v[9:10] offset:5128
; %bb.168:                              ;   in Loop: Header=BB29_16 Depth=1
	s_or_b64 exec, exec, s[2:3]
	s_waitcnt lgkmcnt(0)
	s_barrier
.LBB29_169:                             ;   in Loop: Header=BB29_16 Depth=1
                                        ; implicit-def: $vgpr7_vgpr8_vgpr9_vgpr10
.LBB29_170:                             ;   in Loop: Header=BB29_16 Depth=1
	s_or_saveexec_b64 s[2:3], s[24:25]
	s_mov_b64 s[24:25], 0
	v_mov_b32_e32 v35, 8
	s_xor_b64 exec, exec, s[2:3]
; %bb.171:                              ;   in Loop: Header=BB29_16 Depth=1
	v_sub_co_u32_e32 v11, vcc, v11, v9
	v_subb_co_u32_e32 v12, vcc, v12, v10, vcc
	v_mov_b32_e32 v35, 0
	s_mov_b64 s[24:25], exec
; %bb.172:                              ;   in Loop: Header=BB29_16 Depth=1
	s_or_b64 exec, exec, s[2:3]
	v_mov_b32_e32 v7, v11
	s_and_b64 s[24:25], s[24:25], exec
	v_mov_b32_e32 v8, v12
.LBB29_173:                             ;   in Loop: Header=BB29_16 Depth=1
	s_or_b64 exec, exec, s[10:11]
	s_mov_b64 s[2:3], -1
                                        ; implicit-def: $sgpr28_sgpr29
                                        ; implicit-def: $sgpr30_sgpr31
	s_and_saveexec_b64 s[48:49], s[24:25]
	s_cbranch_execz .LBB29_267
; %bb.174:                              ;   in Loop: Header=BB29_16 Depth=1
	s_cmp_eq_u64 s[90:91], 1
	v_cmp_eq_u64_e32 vcc, 1, v[7:8]
	s_cselect_b64 s[2:3], -1, 0
	s_and_b64 s[38:39], s[2:3], vcc
	s_mov_b64 s[2:3], -1
                                        ; implicit-def: $sgpr30_sgpr31
                                        ; implicit-def: $sgpr28_sgpr29
	s_and_saveexec_b64 s[36:37], s[38:39]
	s_cbranch_execz .LBB29_208
; %bb.175:                              ;   in Loop: Header=BB29_16 Depth=1
	ds_read_b64 v[3:4], v18 offset:5120
	s_waitcnt lgkmcnt(0)
	s_barrier
	v_readfirstlane_b32 s42, v3
	v_readfirstlane_b32 s43, v4
	s_and_saveexec_b64 s[2:3], s[18:19]
; %bb.176:                              ;   in Loop: Header=BB29_16 Depth=1
	v_mov_b32_e32 v17, v18
	ds_write_b64 v53, v[17:18]
; %bb.177:                              ;   in Loop: Header=BB29_16 Depth=1
	s_or_b64 exec, exec, s[2:3]
	s_lshl_b64 s[2:3], 2, s9
	v_and_b32_e32 v3, s93, v30
	v_and_b32_e32 v4, s92, v29
	v_or_b32_e32 v30, s3, v3
	v_or_b32_e32 v29, s2, v4
	v_cmp_gt_i64_e64 s[2:3], s[42:43], 0
	v_or_b32_e32 v32, s15, v32
	v_or_b32_e32 v31, s14, v31
	s_mov_b64 s[28:29], -1
	s_mov_b64 s[30:31], 0
	s_and_b64 vcc, exec, s[2:3]
	s_mov_b64 s[10:11], 0
	s_mov_b64 s[24:25], -1
	s_waitcnt lgkmcnt(0)
	s_barrier
                                        ; implicit-def: $vgpr5_vgpr6
	s_cbranch_vccnz .LBB29_193
; %bb.178:                              ;   in Loop: Header=BB29_16 Depth=1
	s_mov_b32 s60, s51
	s_mov_b32 s65, s59
	s_cmp_lg_u64 s[60:61], 0
	s_cbranch_scc0 .LBB29_234
; %bb.179:                              ;   in Loop: Header=BB29_16 Depth=1
	s_add_u32 s2, s33, 0
	s_addc_u32 s3, 0, 0
	s_xor_b64 s[10:11], s[2:3], 0
	v_cvt_f32_u32_e32 v3, s10
	v_cvt_f32_u32_e32 v4, s11
	s_sub_u32 s24, 0, s10
	s_subb_u32 s25, 0, s11
	v_mac_f32_e32 v3, 0x4f800000, v4
	v_rcp_f32_e32 v3, v3
	v_mul_f32_e32 v3, 0x5f7ffffc, v3
	v_mul_f32_e32 v4, 0x2f800000, v3
	v_trunc_f32_e32 v4, v4
	v_mac_f32_e32 v3, 0xcf800000, v4
	v_cvt_u32_f32_e32 v4, v4
	v_cvt_u32_f32_e32 v3, v3
	v_readfirstlane_b32 s34, v4
	v_readfirstlane_b32 s2, v3
	s_mul_i32 s3, s24, s34
	s_mul_hi_u32 s40, s24, s2
	s_mul_i32 s35, s25, s2
	s_add_i32 s3, s40, s3
	s_mul_i32 s41, s24, s2
	s_add_i32 s3, s3, s35
	s_mul_i32 s40, s2, s3
	s_mul_hi_u32 s44, s2, s41
	s_mul_hi_u32 s35, s2, s3
	s_add_u32 s40, s44, s40
	s_addc_u32 s35, 0, s35
	s_mul_hi_u32 s45, s34, s41
	s_mul_i32 s41, s34, s41
	s_add_u32 s40, s40, s41
	s_mul_hi_u32 s44, s34, s3
	s_addc_u32 s35, s35, s45
	s_addc_u32 s40, s44, 0
	s_mul_i32 s3, s34, s3
	s_add_u32 s3, s35, s3
	s_addc_u32 s35, 0, s40
	s_add_u32 s40, s2, s3
	s_cselect_b64 s[2:3], -1, 0
	s_cmp_lg_u64 s[2:3], 0
	s_addc_u32 s34, s34, s35
	s_mul_i32 s2, s24, s34
	s_mul_hi_u32 s3, s24, s40
	s_add_i32 s2, s3, s2
	s_mul_i32 s25, s25, s40
	s_add_i32 s2, s2, s25
	s_mul_i32 s24, s24, s40
	s_mul_hi_u32 s25, s34, s24
	s_mul_i32 s35, s34, s24
	s_mul_i32 s44, s40, s2
	s_mul_hi_u32 s24, s40, s24
	s_mul_hi_u32 s41, s40, s2
	s_add_u32 s24, s24, s44
	s_addc_u32 s41, 0, s41
	s_add_u32 s24, s24, s35
	s_mul_hi_u32 s3, s34, s2
	s_addc_u32 s24, s41, s25
	s_addc_u32 s3, s3, 0
	s_mul_i32 s2, s34, s2
	s_add_u32 s2, s24, s2
	s_addc_u32 s24, 0, s3
	s_add_u32 s35, s40, s2
	s_cselect_b64 s[2:3], -1, 0
	s_cmp_lg_u64 s[2:3], 0
	s_addc_u32 s34, s34, s24
	s_ashr_i32 s24, s61, 31
	s_add_u32 s2, s0, s24
	s_mov_b32 s25, s24
	s_addc_u32 s3, s61, s24
	s_xor_b64 s[2:3], s[2:3], s[24:25]
	s_mul_i32 s41, s2, s34
	s_mul_hi_u32 s44, s2, s35
	s_mul_hi_u32 s40, s2, s34
	s_add_u32 s41, s44, s41
	s_addc_u32 s40, 0, s40
	s_mul_hi_u32 s45, s3, s35
	s_mul_i32 s35, s3, s35
	s_add_u32 s35, s41, s35
	s_mul_hi_u32 s44, s3, s34
	s_addc_u32 s35, s40, s45
	s_addc_u32 s40, s44, 0
	s_mul_i32 s34, s3, s34
	s_add_u32 s34, s35, s34
	s_addc_u32 s35, 0, s40
	s_mul_i32 s35, s10, s35
	s_mul_hi_u32 s40, s10, s34
	s_add_i32 s35, s40, s35
	s_mul_i32 s40, s11, s34
	s_add_i32 s44, s35, s40
	s_sub_i32 s40, s3, s44
	s_mul_i32 s34, s10, s34
	s_sub_u32 s2, s2, s34
	s_cselect_b64 s[34:35], -1, 0
	s_cmp_lg_u64 s[34:35], 0
	s_subb_u32 s45, s40, s11
	s_sub_u32 s50, s2, s10
	s_cselect_b64 s[40:41], -1, 0
	s_cmp_lg_u64 s[40:41], 0
	s_subb_u32 s59, s45, 0
	s_cmp_ge_u32 s59, s11
	s_cselect_b32 s60, -1, 0
	s_cmp_ge_u32 s50, s10
	s_cselect_b32 s64, -1, 0
	s_cmp_eq_u32 s59, s11
	s_cselect_b32 s60, s64, s60
	s_cmp_lg_u64 s[40:41], 0
	s_subb_u32 s45, s45, s11
	s_sub_u32 s64, s50, s10
	s_cselect_b64 s[40:41], -1, 0
	s_cmp_lg_u64 s[40:41], 0
	s_subb_u32 s40, s45, 0
	s_cmp_lg_u32 s60, 0
	s_cselect_b32 s41, s64, s50
	s_cselect_b32 s40, s40, s59
	s_cmp_lg_u64 s[34:35], 0
	s_subb_u32 s3, s3, s44
	s_cmp_ge_u32 s3, s11
	s_cselect_b32 s34, -1, 0
	s_cmp_ge_u32 s2, s10
	s_cselect_b32 s10, -1, 0
	s_cmp_eq_u32 s3, s11
	s_cselect_b32 s10, s10, s34
	s_cmp_lg_u32 s10, 0
	s_cselect_b32 s3, s40, s3
	s_cselect_b32 s2, s41, s2
	s_xor_b64 s[2:3], s[2:3], s[24:25]
	s_sub_u32 s2, s2, s24
	s_subb_u32 s3, s3, s24
	s_cbranch_execnz .LBB29_181
.LBB29_180:                             ;   in Loop: Header=BB29_16 Depth=1
	v_cvt_f32_u32_e32 v3, s33
	s_sub_i32 s2, 0, s33
	v_rcp_iflag_f32_e32 v3, v3
	v_mul_f32_e32 v3, 0x4f7ffffe, v3
	v_cvt_u32_f32_e32 v3, v3
	v_readfirstlane_b32 s3, v3
	s_mul_i32 s2, s2, s3
	s_mul_hi_u32 s2, s3, s2
	s_add_i32 s3, s3, s2
	s_mul_hi_u32 s2, s0, s3
	s_mul_i32 s2, s2, s33
	s_sub_i32 s2, s0, s2
	s_sub_i32 s3, s2, s33
	s_cmp_ge_u32 s2, s33
	s_cselect_b32 s2, s3, s2
	s_sub_i32 s3, s2, s33
	s_cmp_ge_u32 s2, s33
	s_cselect_b32 s50, s3, s2
	s_mov_b64 s[2:3], s[50:51]
.LBB29_181:                             ;   in Loop: Header=BB29_16 Depth=1
	s_sub_u32 s44, s0, s2
	s_subb_u32 s45, s61, s3
	v_cmp_gt_i64_e32 vcc, s[44:45], v[0:1]
	s_mov_b64 s[24:25], 0
	s_mov_b64 s[10:11], 0
                                        ; implicit-def: $vgpr5_vgpr6
	s_and_saveexec_b64 s[40:41], vcc
	s_mov_b32 s59, s65
	s_cbranch_execz .LBB29_192
; %bb.182:                              ;   in Loop: Header=BB29_16 Depth=1
	v_mov_b32_e32 v9, v15
	v_mov_b32_e32 v12, v1
	;; [unrolled: 1-line block ×4, first 2 shown]
                                        ; implicit-def: $sgpr64_sgpr65
	s_branch .LBB29_185
.LBB29_183:                             ;   in Loop: Header=BB29_185 Depth=2
	s_or_b64 exec, exec, s[2:3]
	s_waitcnt lgkmcnt(0)
	s_barrier
	ds_read_b128 v[3:6], v18 offset:3072
	s_mov_b64 s[2:3], -1
	s_mov_b64 s[66:67], -1
	s_waitcnt lgkmcnt(0)
	s_barrier
	v_cmp_ne_u64_e32 vcc, 0, v[3:4]
	s_cbranch_vccz .LBB29_188
.LBB29_184:                             ;   in Loop: Header=BB29_185 Depth=2
	s_and_b64 s[2:3], exec, s[2:3]
	s_or_b64 s[10:11], s[2:3], s[10:11]
	s_andn2_b64 s[2:3], s[64:65], exec
	s_and_b64 s[34:35], s[66:67], exec
	s_or_b64 s[64:65], s[2:3], s[34:35]
	s_andn2_b64 exec, exec, s[10:11]
	s_cbranch_execz .LBB29_191
.LBB29_185:                             ;   Parent Loop BB29_16 Depth=1
                                        ; =>  This Inner Loop Header: Depth=2
	v_cmp_gt_i64_e32 vcc, s[20:21], v[11:12]
	s_and_saveexec_b64 s[2:3], vcc
	s_cbranch_execz .LBB29_183
; %bb.186:                              ;   in Loop: Header=BB29_185 Depth=2
	global_load_dwordx2 v[4:5], v[9:10], off
	s_waitcnt vmcnt(0)
	v_xor_b32_e32 v3, 0x80000000, v5
	v_and_b32_e32 v14, v3, v32
	v_and_b32_e32 v13, v4, v31
	v_cmp_eq_u64_e32 vcc, v[13:14], v[29:30]
	s_and_b64 exec, exec, vcc
	s_cbranch_execz .LBB29_183
; %bb.187:                              ;   in Loop: Header=BB29_185 Depth=2
	v_mov_b32_e32 v3, v18
	ds_write_b128 v18, v[2:5] offset:3072
	s_branch .LBB29_183
.LBB29_188:                             ;   in Loop: Header=BB29_185 Depth=2
	v_add_co_u32_e32 v11, vcc, s33, v11
	v_addc_co_u32_e32 v12, vcc, 0, v12, vcc
	v_mov_b32_e32 v3, s53
	v_add_co_u32_e32 v9, vcc, s52, v9
	v_addc_co_u32_e32 v10, vcc, v10, v3, vcc
	v_cmp_le_i64_e32 vcc, s[44:45], v[11:12]
	s_mov_b64 s[66:67], 0
	s_orn2_b64 s[2:3], vcc, exec
	s_branch .LBB29_184
.LBB29_189:                             ;   in Loop: Header=BB29_16 Depth=1
                                        ; implicit-def: $sgpr2_sgpr3
	s_branch .LBB29_134
.LBB29_190:                             ;   in Loop: Header=BB29_16 Depth=1
                                        ; implicit-def: $sgpr2_sgpr3
	s_branch .LBB29_150
.LBB29_191:                             ;   in Loop: Header=BB29_16 Depth=1
	s_or_b64 exec, exec, s[10:11]
	s_and_b64 s[10:11], s[64:65], exec
.LBB29_192:                             ;   in Loop: Header=BB29_16 Depth=1
	s_or_b64 exec, exec, s[40:41]
	s_mov_b64 s[34:35], s[68:69]
.LBB29_193:                             ;   in Loop: Header=BB29_16 Depth=1
	s_and_b64 vcc, exec, s[24:25]
	s_cbranch_vccz .LBB29_207
; %bb.194:                              ;   in Loop: Header=BB29_16 Depth=1
	s_add_u32 s30, s42, s59
	v_readlane_b32 s2, v62, 30
	s_addc_u32 s25, s43, s2
	s_mov_b32 s24, s51
	s_mov_b32 s65, s59
	s_cmp_lg_u64 s[24:25], 0
	s_cbranch_scc0 .LBB29_235
; %bb.195:                              ;   in Loop: Header=BB29_16 Depth=1
	s_add_u32 s2, s33, 0
	s_addc_u32 s3, 0, 0
	s_xor_b64 s[28:29], s[2:3], 0
	v_cvt_f32_u32_e32 v3, s28
	v_cvt_f32_u32_e32 v4, s29
	s_sub_u32 s24, 0, s28
	s_subb_u32 s31, 0, s29
	v_mac_f32_e32 v3, 0x4f800000, v4
	v_rcp_f32_e32 v3, v3
	v_mul_f32_e32 v3, 0x5f7ffffc, v3
	v_mul_f32_e32 v4, 0x2f800000, v3
	v_trunc_f32_e32 v4, v4
	v_mac_f32_e32 v3, 0xcf800000, v4
	v_cvt_u32_f32_e32 v4, v4
	v_cvt_u32_f32_e32 v3, v3
	v_readfirstlane_b32 s34, v4
	v_readfirstlane_b32 s2, v3
	s_mul_i32 s3, s24, s34
	s_mul_hi_u32 s40, s24, s2
	s_mul_i32 s35, s31, s2
	s_add_i32 s3, s40, s3
	s_mul_i32 s41, s24, s2
	s_add_i32 s3, s3, s35
	s_mul_i32 s40, s2, s3
	s_mul_hi_u32 s44, s2, s41
	s_mul_hi_u32 s35, s2, s3
	s_add_u32 s40, s44, s40
	s_addc_u32 s35, 0, s35
	s_mul_hi_u32 s45, s34, s41
	s_mul_i32 s41, s34, s41
	s_add_u32 s40, s40, s41
	s_mul_hi_u32 s44, s34, s3
	s_addc_u32 s35, s35, s45
	s_addc_u32 s40, s44, 0
	s_mul_i32 s3, s34, s3
	s_add_u32 s3, s35, s3
	s_addc_u32 s35, 0, s40
	s_add_u32 s40, s2, s3
	s_cselect_b64 s[2:3], -1, 0
	s_cmp_lg_u64 s[2:3], 0
	s_addc_u32 s34, s34, s35
	s_mul_i32 s2, s24, s34
	s_mul_hi_u32 s3, s24, s40
	s_add_i32 s2, s3, s2
	s_mul_i32 s31, s31, s40
	s_add_i32 s2, s2, s31
	s_mul_i32 s24, s24, s40
	s_mul_hi_u32 s31, s34, s24
	s_mul_i32 s35, s34, s24
	s_mul_i32 s44, s40, s2
	s_mul_hi_u32 s24, s40, s24
	s_mul_hi_u32 s41, s40, s2
	s_add_u32 s24, s24, s44
	s_addc_u32 s41, 0, s41
	s_add_u32 s24, s24, s35
	s_mul_hi_u32 s3, s34, s2
	s_addc_u32 s24, s41, s31
	s_addc_u32 s3, s3, 0
	s_mul_i32 s2, s34, s2
	s_add_u32 s2, s24, s2
	s_addc_u32 s24, 0, s3
	s_add_u32 s31, s40, s2
	s_cselect_b64 s[2:3], -1, 0
	s_cmp_lg_u64 s[2:3], 0
	s_addc_u32 s24, s34, s24
	s_ashr_i32 s34, s25, 31
	s_add_u32 s2, s30, s34
	s_mov_b32 s35, s34
	s_addc_u32 s3, s25, s34
	s_xor_b64 s[2:3], s[2:3], s[34:35]
	s_mul_i32 s41, s2, s24
	s_mul_hi_u32 s44, s2, s31
	s_mul_hi_u32 s40, s2, s24
	s_add_u32 s41, s44, s41
	s_addc_u32 s40, 0, s40
	s_mul_hi_u32 s45, s3, s31
	s_mul_i32 s31, s3, s31
	s_add_u32 s31, s41, s31
	s_mul_hi_u32 s44, s3, s24
	s_addc_u32 s31, s40, s45
	s_addc_u32 s40, s44, 0
	s_mul_i32 s24, s3, s24
	s_add_u32 s24, s31, s24
	s_addc_u32 s31, 0, s40
	s_mul_i32 s31, s28, s31
	s_mul_hi_u32 s40, s28, s24
	s_add_i32 s31, s40, s31
	s_mul_i32 s40, s29, s24
	s_add_i32 s31, s31, s40
	s_sub_i32 s44, s3, s31
	s_mul_i32 s24, s28, s24
	s_sub_u32 s2, s2, s24
	s_cselect_b64 s[40:41], -1, 0
	s_cmp_lg_u64 s[40:41], 0
	s_subb_u32 s24, s44, s29
	s_sub_u32 s50, s2, s28
	s_cselect_b64 s[44:45], -1, 0
	s_cmp_lg_u64 s[44:45], 0
	s_subb_u32 s59, s24, 0
	s_cmp_ge_u32 s59, s29
	s_cselect_b32 s60, -1, 0
	s_cmp_ge_u32 s50, s28
	s_cselect_b32 s64, -1, 0
	s_cmp_eq_u32 s59, s29
	s_cselect_b32 s60, s64, s60
	s_cmp_lg_u64 s[44:45], 0
	s_subb_u32 s24, s24, s29
	s_sub_u32 s64, s50, s28
	s_cselect_b64 s[44:45], -1, 0
	s_cmp_lg_u64 s[44:45], 0
	s_subb_u32 s24, s24, 0
	s_cmp_lg_u32 s60, 0
	s_cselect_b32 s44, s64, s50
	s_cselect_b32 s24, s24, s59
	s_cmp_lg_u64 s[40:41], 0
	s_subb_u32 s3, s3, s31
	s_cmp_ge_u32 s3, s29
	s_cselect_b32 s31, -1, 0
	s_cmp_ge_u32 s2, s28
	s_cselect_b32 s28, -1, 0
	s_cmp_eq_u32 s3, s29
	s_cselect_b32 s28, s28, s31
	s_cmp_lg_u32 s28, 0
	s_cselect_b32 s3, s24, s3
	s_cselect_b32 s2, s44, s2
	s_xor_b64 s[2:3], s[2:3], s[34:35]
	s_sub_u32 s2, s2, s34
	s_subb_u32 s3, s3, s34
	s_mov_b64 s[34:35], s[68:69]
	s_cbranch_execnz .LBB29_197
.LBB29_196:                             ;   in Loop: Header=BB29_16 Depth=1
	v_cvt_f32_u32_e32 v3, s33
	s_sub_i32 s2, 0, s33
	v_rcp_iflag_f32_e32 v3, v3
	v_mul_f32_e32 v3, 0x4f7ffffe, v3
	v_cvt_u32_f32_e32 v3, v3
	v_readfirstlane_b32 s3, v3
	s_mul_i32 s2, s2, s3
	s_mul_hi_u32 s2, s3, s2
	s_add_i32 s3, s3, s2
	s_mul_hi_u32 s2, s30, s3
	s_mul_i32 s2, s2, s33
	s_sub_i32 s2, s30, s2
	s_sub_i32 s3, s2, s33
	s_cmp_ge_u32 s2, s33
	s_cselect_b32 s2, s3, s2
	s_sub_i32 s3, s2, s33
	s_cmp_ge_u32 s2, s33
	s_cselect_b32 s50, s3, s2
	s_mov_b64 s[2:3], s[50:51]
.LBB29_197:                             ;   in Loop: Header=BB29_16 Depth=1
	s_sub_u32 s28, s30, s2
	s_subb_u32 s29, s25, s3
	v_cmp_gt_i64_e32 vcc, s[28:29], v[0:1]
                                        ; implicit-def: $vgpr5_vgpr6
	s_and_saveexec_b64 s[24:25], vcc
	s_mov_b32 s59, s65
	s_cbranch_execz .LBB29_206
; %bb.198:                              ;   in Loop: Header=BB29_16 Depth=1
	v_mov_b32_e32 v10, v1
	s_mov_b64 s[2:3], 0
	v_mov_b32_e32 v11, v52
	v_mov_b32_e32 v9, v0
                                        ; implicit-def: $sgpr30_sgpr31
	s_branch .LBB29_201
.LBB29_199:                             ;   in Loop: Header=BB29_201 Depth=2
	s_or_b64 exec, exec, s[40:41]
	s_waitcnt lgkmcnt(0)
	s_barrier
	ds_read_b128 v[3:6], v18 offset:3072
	s_mov_b64 s[40:41], -1
	s_mov_b64 s[44:45], -1
	s_waitcnt lgkmcnt(0)
	s_barrier
	v_cmp_eq_u64_e32 vcc, 0, v[3:4]
	s_cbranch_vccnz .LBB29_204
.LBB29_200:                             ;   in Loop: Header=BB29_201 Depth=2
	s_and_b64 s[34:35], exec, s[40:41]
	s_or_b64 s[2:3], s[34:35], s[2:3]
	s_andn2_b64 s[30:31], s[30:31], exec
	s_and_b64 s[34:35], s[44:45], exec
	s_or_b64 s[30:31], s[30:31], s[34:35]
	s_andn2_b64 exec, exec, s[2:3]
	s_cbranch_execz .LBB29_205
.LBB29_201:                             ;   Parent Loop BB29_16 Depth=1
                                        ; =>  This Inner Loop Header: Depth=2
	v_cmp_gt_u64_e32 vcc, s[42:43], v[9:10]
	s_and_saveexec_b64 s[40:41], vcc
	s_cbranch_execz .LBB29_199
; %bb.202:                              ;   in Loop: Header=BB29_201 Depth=2
	ds_read_b64 v[4:5], v11
	s_waitcnt lgkmcnt(0)
	v_xor_b32_e32 v3, 0x80000000, v5
	v_and_b32_e32 v13, v3, v32
	v_and_b32_e32 v12, v4, v31
	v_cmp_eq_u64_e32 vcc, v[12:13], v[29:30]
	s_and_b64 exec, exec, vcc
	s_cbranch_execz .LBB29_199
; %bb.203:                              ;   in Loop: Header=BB29_201 Depth=2
	v_mov_b32_e32 v3, v18
	ds_write_b128 v18, v[2:5] offset:3072
	s_branch .LBB29_199
.LBB29_204:                             ;   in Loop: Header=BB29_201 Depth=2
	v_add_co_u32_e32 v9, vcc, s33, v9
	v_addc_co_u32_e32 v10, vcc, 0, v10, vcc
	v_cmp_le_i64_e32 vcc, s[28:29], v[9:10]
	v_add_u32_e32 v11, s8, v11
	s_mov_b64 s[44:45], 0
	s_orn2_b64 s[40:41], vcc, exec
	s_branch .LBB29_200
.LBB29_205:                             ;   in Loop: Header=BB29_16 Depth=1
	s_or_b64 exec, exec, s[2:3]
	s_andn2_b64 s[2:3], s[10:11], exec
	s_and_b64 s[10:11], s[30:31], exec
	s_or_b64 s[10:11], s[2:3], s[10:11]
	s_mov_b64 s[34:35], s[68:69]
.LBB29_206:                             ;   in Loop: Header=BB29_16 Depth=1
	s_or_b64 exec, exec, s[24:25]
	s_mov_b64 s[28:29], 0
	s_mov_b64 s[30:31], -1
.LBB29_207:                             ;   in Loop: Header=BB29_16 Depth=1
	s_orn2_b64 s[2:3], s[10:11], exec
.LBB29_208:                             ;   in Loop: Header=BB29_16 Depth=1
	s_or_b64 exec, exec, s[36:37]
	s_mov_b64 s[10:11], 0
	s_and_saveexec_b64 s[36:37], s[2:3]
	s_cbranch_execz .LBB29_266
; %bb.209:                              ;   in Loop: Header=BB29_16 Depth=1
	v_mov_b32_e32 v9, 1
	s_xor_b64 s[2:3], s[38:39], -1
	v_mov_b32_e32 v35, 1
	v_mov_b32_e32 v10, 0
	s_mov_b64 s[24:25], 0
	s_and_saveexec_b64 s[10:11], s[2:3]
	s_cbranch_execz .LBB29_218
; %bb.210:                              ;   in Loop: Header=BB29_16 Depth=1
	v_cmp_ge_i64_e32 vcc, s[90:91], v[7:8]
	s_and_saveexec_b64 s[2:3], vcc
	s_xor_b64 s[24:25], exec, s[2:3]
	s_cbranch_execz .LBB29_215
; %bb.211:                              ;   in Loop: Header=BB29_16 Depth=1
	s_lshl_b64 s[2:3], 2, s9
	v_and_b32_e32 v3, s93, v30
	v_and_b32_e32 v4, s92, v29
	v_or_b32_e32 v30, s3, v3
	v_or_b32_e32 v29, s2, v4
	ds_read_b64 v[3:4], v18 offset:5120
	v_or_b32_e32 v32, s15, v32
	v_or_b32_e32 v31, s14, v31
	s_waitcnt lgkmcnt(0)
	v_cmp_ne_u64_e32 vcc, 0, v[3:4]
	s_cbranch_vccnz .LBB29_215
; %bb.212:                              ;   in Loop: Header=BB29_16 Depth=1
	s_mov_b64 s[2:3], exec
	v_readlane_b32 s34, v62, 10
	v_readlane_b32 s35, v62, 11
	s_and_b64 s[34:35], s[2:3], s[34:35]
	s_mov_b64 exec, s[34:35]
; %bb.213:                              ;   in Loop: Header=BB29_16 Depth=1
	v_mov_b32_e32 v3, s90
	v_mov_b32_e32 v4, s91
	ds_write_b64 v18, v[3:4] offset:5128
; %bb.214:                              ;   in Loop: Header=BB29_16 Depth=1
	s_or_b64 exec, exec, s[2:3]
	s_waitcnt lgkmcnt(0)
	s_barrier
.LBB29_215:                             ;   in Loop: Header=BB29_16 Depth=1
	s_or_saveexec_b64 s[2:3], s[24:25]
	s_mov_b64 s[24:25], 0
	v_mov_b32_e32 v35, 8
	s_xor_b64 exec, exec, s[2:3]
; %bb.216:                              ;   in Loop: Header=BB29_16 Depth=1
	v_subrev_co_u32_e32 v7, vcc, s90, v7
	v_mov_b32_e32 v3, s91
	v_subb_co_u32_e32 v8, vcc, v8, v3, vcc
	v_mov_b32_e32 v35, 0
	s_mov_b64 s[24:25], exec
; %bb.217:                              ;   in Loop: Header=BB29_16 Depth=1
	s_or_b64 exec, exec, s[2:3]
	v_mov_b32_e32 v10, v8
	s_and_b64 s[24:25], s[24:25], exec
	v_mov_b32_e32 v9, v7
	s_mov_b64 s[34:35], s[68:69]
.LBB29_218:                             ;   in Loop: Header=BB29_16 Depth=1
	s_or_b64 exec, exec, s[10:11]
	s_mov_b64 s[2:3], -1
                                        ; implicit-def: $sgpr10_sgpr11
                                        ; implicit-def: $sgpr44_sgpr45
	s_and_saveexec_b64 s[38:39], s[24:25]
	s_cbranch_execz .LBB29_265
; %bb.219:                              ;   in Loop: Header=BB29_16 Depth=1
	s_cmp_eq_u64 s[12:13], 1
	v_cmp_eq_u64_e32 vcc, 1, v[9:10]
	s_cselect_b64 s[2:3], -1, 0
	s_and_b64 s[66:67], s[2:3], vcc
	s_mov_b64 s[2:3], -1
                                        ; implicit-def: $sgpr10_sgpr11
                                        ; implicit-def: $sgpr44_sgpr45
	s_and_saveexec_b64 s[92:93], s[66:67]
	s_cbranch_execz .LBB29_253
; %bb.220:                              ;   in Loop: Header=BB29_16 Depth=1
	ds_read_b64 v[3:4], v18 offset:5120
	s_waitcnt lgkmcnt(0)
	s_barrier
	v_readfirstlane_b32 s42, v3
	v_readfirstlane_b32 s43, v4
	s_and_saveexec_b64 s[2:3], s[18:19]
; %bb.221:                              ;   in Loop: Header=BB29_16 Depth=1
	v_mov_b32_e32 v17, v18
	ds_write_b64 v53, v[17:18]
; %bb.222:                              ;   in Loop: Header=BB29_16 Depth=1
	s_or_b64 exec, exec, s[2:3]
	v_cmp_gt_i64_e64 s[2:3], s[42:43], 0
	v_or_b32_e32 v30, s15, v30
	v_or_b32_e32 v29, s14, v29
	;; [unrolled: 1-line block ×4, first 2 shown]
	s_mov_b64 s[44:45], -1
	s_mov_b64 s[10:11], 0
	s_and_b64 vcc, exec, s[2:3]
	s_mov_b64 s[24:25], 0
	s_mov_b64 s[40:41], -1
	s_waitcnt lgkmcnt(0)
	s_barrier
                                        ; implicit-def: $vgpr5_vgpr6
	s_cbranch_vccnz .LBB29_238
; %bb.223:                              ;   in Loop: Header=BB29_16 Depth=1
	s_mov_b32 s60, s51
	v_writelane_b32 v62, s66, 38
	s_mov_b32 s91, s59
	s_cmp_lg_u64 s[60:61], 0
	v_writelane_b32 v62, s67, 39
	s_cbranch_scc0 .LBB29_272
; %bb.224:                              ;   in Loop: Header=BB29_16 Depth=1
	s_add_u32 s2, s33, 0
	s_addc_u32 s3, 0, 0
	s_xor_b64 s[24:25], s[2:3], 0
	v_cvt_f32_u32_e32 v3, s24
	v_cvt_f32_u32_e32 v4, s25
	s_sub_u32 s34, 0, s24
	s_subb_u32 s35, 0, s25
	v_mac_f32_e32 v3, 0x4f800000, v4
	v_rcp_f32_e32 v3, v3
	v_mul_f32_e32 v3, 0x5f7ffffc, v3
	v_mul_f32_e32 v4, 0x2f800000, v3
	v_trunc_f32_e32 v4, v4
	v_mac_f32_e32 v3, 0xcf800000, v4
	v_cvt_u32_f32_e32 v4, v4
	v_cvt_u32_f32_e32 v3, v3
	v_readfirstlane_b32 s40, v4
	v_readfirstlane_b32 s2, v3
	s_mul_i32 s3, s34, s40
	s_mul_hi_u32 s50, s34, s2
	s_mul_i32 s41, s35, s2
	s_add_i32 s3, s50, s3
	s_mul_i32 s59, s34, s2
	s_add_i32 s3, s3, s41
	s_mul_i32 s50, s2, s3
	s_mul_hi_u32 s60, s2, s59
	s_mul_hi_u32 s41, s2, s3
	s_add_u32 s50, s60, s50
	s_addc_u32 s41, 0, s41
	s_mul_hi_u32 s64, s40, s59
	s_mul_i32 s59, s40, s59
	s_add_u32 s50, s50, s59
	s_mul_hi_u32 s60, s40, s3
	s_addc_u32 s41, s41, s64
	s_addc_u32 s50, s60, 0
	s_mul_i32 s3, s40, s3
	s_add_u32 s3, s41, s3
	s_addc_u32 s41, 0, s50
	s_add_u32 s50, s2, s3
	s_cselect_b64 s[2:3], -1, 0
	s_cmp_lg_u64 s[2:3], 0
	s_addc_u32 s40, s40, s41
	s_mul_i32 s2, s34, s40
	s_mul_hi_u32 s3, s34, s50
	s_add_i32 s2, s3, s2
	s_mul_i32 s35, s35, s50
	s_add_i32 s2, s2, s35
	s_mul_i32 s34, s34, s50
	s_mul_hi_u32 s35, s40, s34
	s_mul_i32 s41, s40, s34
	s_mul_i32 s60, s50, s2
	s_mul_hi_u32 s34, s50, s34
	s_mul_hi_u32 s59, s50, s2
	s_add_u32 s34, s34, s60
	s_addc_u32 s59, 0, s59
	s_add_u32 s34, s34, s41
	s_mul_hi_u32 s3, s40, s2
	s_addc_u32 s34, s59, s35
	s_addc_u32 s3, s3, 0
	s_mul_i32 s2, s40, s2
	s_add_u32 s2, s34, s2
	s_addc_u32 s34, 0, s3
	s_add_u32 s41, s50, s2
	s_cselect_b64 s[2:3], -1, 0
	s_cmp_lg_u64 s[2:3], 0
	s_addc_u32 s40, s40, s34
	s_ashr_i32 s34, s61, 31
	s_add_u32 s2, s0, s34
	s_mov_b32 s35, s34
	s_addc_u32 s3, s61, s34
	s_xor_b64 s[2:3], s[2:3], s[34:35]
	s_mul_i32 s59, s2, s40
	s_mul_hi_u32 s60, s2, s41
	s_mul_hi_u32 s50, s2, s40
	s_add_u32 s59, s60, s59
	s_addc_u32 s50, 0, s50
	s_mul_hi_u32 s64, s3, s41
	s_mul_i32 s41, s3, s41
	s_add_u32 s41, s59, s41
	s_mul_hi_u32 s60, s3, s40
	s_addc_u32 s41, s50, s64
	s_addc_u32 s50, s60, 0
	s_mul_i32 s40, s3, s40
	s_add_u32 s40, s41, s40
	s_addc_u32 s41, 0, s50
	s_mul_i32 s41, s24, s41
	s_mul_hi_u32 s50, s24, s40
	s_add_i32 s41, s50, s41
	s_mul_i32 s50, s25, s40
	s_add_i32 s50, s41, s50
	s_sub_i32 s59, s3, s50
	s_mul_i32 s40, s24, s40
	s_sub_u32 s2, s2, s40
	s_cselect_b64 s[40:41], -1, 0
	s_cmp_lg_u64 s[40:41], 0
	s_subb_u32 s59, s59, s25
	s_sub_u32 s60, s2, s24
	s_cselect_b64 s[64:65], -1, 0
	s_cmp_lg_u64 s[64:65], 0
	s_subb_u32 s66, s59, 0
	s_cmp_ge_u32 s66, s25
	s_cselect_b32 s67, -1, 0
	s_cmp_ge_u32 s60, s24
	s_cselect_b32 s90, -1, 0
	s_cmp_eq_u32 s66, s25
	s_cselect_b32 s67, s90, s67
	s_cmp_lg_u64 s[64:65], 0
	s_subb_u32 s59, s59, s25
	s_sub_u32 s90, s60, s24
	s_cselect_b64 s[64:65], -1, 0
	s_cmp_lg_u64 s[64:65], 0
	s_subb_u32 s59, s59, 0
	s_cmp_lg_u32 s67, 0
	s_cselect_b32 s60, s90, s60
	s_cselect_b32 s59, s59, s66
	s_cmp_lg_u64 s[40:41], 0
	s_subb_u32 s3, s3, s50
	s_cmp_ge_u32 s3, s25
	s_cselect_b32 s40, -1, 0
	s_cmp_ge_u32 s2, s24
	s_cselect_b32 s24, -1, 0
	s_cmp_eq_u32 s3, s25
	s_cselect_b32 s24, s24, s40
	s_cmp_lg_u32 s24, 0
	s_cselect_b32 s3, s59, s3
	s_cselect_b32 s2, s60, s2
	s_xor_b64 s[2:3], s[2:3], s[34:35]
	s_sub_u32 s2, s2, s34
	s_subb_u32 s3, s3, s34
	s_cbranch_execnz .LBB29_226
.LBB29_225:                             ;   in Loop: Header=BB29_16 Depth=1
	v_cvt_f32_u32_e32 v3, s33
	s_sub_i32 s2, 0, s33
	v_rcp_iflag_f32_e32 v3, v3
	v_mul_f32_e32 v3, 0x4f7ffffe, v3
	v_cvt_u32_f32_e32 v3, v3
	v_readfirstlane_b32 s3, v3
	s_mul_i32 s2, s2, s3
	s_mul_hi_u32 s2, s3, s2
	s_add_i32 s3, s3, s2
	s_mul_hi_u32 s2, s0, s3
	s_mul_i32 s2, s2, s33
	s_sub_i32 s2, s0, s2
	s_sub_i32 s3, s2, s33
	s_cmp_ge_u32 s2, s33
	s_cselect_b32 s2, s3, s2
	s_sub_i32 s3, s2, s33
	s_cmp_ge_u32 s2, s33
	s_cselect_b32 s50, s3, s2
	s_mov_b64 s[2:3], s[50:51]
.LBB29_226:                             ;   in Loop: Header=BB29_16 Depth=1
	s_sub_u32 s66, s0, s2
	s_subb_u32 s67, s61, s3
	v_cmp_gt_i64_e32 vcc, s[66:67], v[0:1]
	s_mov_b64 s[40:41], 0
	s_mov_b64 s[24:25], 0
                                        ; implicit-def: $vgpr5_vgpr6
	s_and_saveexec_b64 s[64:65], vcc
	s_mov_b32 s59, s91
	s_cbranch_execz .LBB29_237
; %bb.227:                              ;   in Loop: Header=BB29_16 Depth=1
	v_mov_b32_e32 v7, v15
	v_mov_b32_e32 v12, v1
	;; [unrolled: 1-line block ×4, first 2 shown]
                                        ; implicit-def: $sgpr2_sgpr3
	s_branch .LBB29_230
.LBB29_228:                             ;   in Loop: Header=BB29_230 Depth=2
	s_or_b64 exec, exec, s[90:91]
	s_waitcnt lgkmcnt(0)
	s_barrier
	ds_read_b128 v[3:6], v18 offset:3072
	s_mov_b64 s[90:91], -1
	s_mov_b64 s[34:35], -1
	s_waitcnt lgkmcnt(0)
	s_barrier
	v_cmp_ne_u64_e32 vcc, 0, v[3:4]
	s_cbranch_vccz .LBB29_233
.LBB29_229:                             ;   in Loop: Header=BB29_230 Depth=2
	s_and_b64 s[90:91], exec, s[90:91]
	s_or_b64 s[24:25], s[90:91], s[24:25]
	s_andn2_b64 s[2:3], s[2:3], exec
	s_and_b64 s[34:35], s[34:35], exec
	s_or_b64 s[2:3], s[2:3], s[34:35]
	s_andn2_b64 exec, exec, s[24:25]
	s_cbranch_execz .LBB29_236
.LBB29_230:                             ;   Parent Loop BB29_16 Depth=1
                                        ; =>  This Inner Loop Header: Depth=2
	v_cmp_gt_i64_e32 vcc, s[20:21], v[11:12]
	s_and_saveexec_b64 s[90:91], vcc
	s_cbranch_execz .LBB29_228
; %bb.231:                              ;   in Loop: Header=BB29_230 Depth=2
	global_load_dwordx2 v[4:5], v[7:8], off
	s_waitcnt vmcnt(0)
	v_xor_b32_e32 v3, 0x80000000, v5
	v_and_b32_e32 v14, v3, v32
	v_and_b32_e32 v13, v4, v31
	v_cmp_eq_u64_e32 vcc, v[13:14], v[29:30]
	s_and_b64 exec, exec, vcc
	s_cbranch_execz .LBB29_228
; %bb.232:                              ;   in Loop: Header=BB29_230 Depth=2
	v_mov_b32_e32 v3, v18
	ds_write_b128 v18, v[2:5] offset:3072
	s_branch .LBB29_228
.LBB29_233:                             ;   in Loop: Header=BB29_230 Depth=2
	v_add_co_u32_e32 v11, vcc, s33, v11
	v_addc_co_u32_e32 v12, vcc, 0, v12, vcc
	v_mov_b32_e32 v3, s53
	v_add_co_u32_e32 v7, vcc, s52, v7
	v_addc_co_u32_e32 v8, vcc, v8, v3, vcc
	v_cmp_le_i64_e32 vcc, s[66:67], v[11:12]
	s_mov_b64 s[34:35], 0
	s_orn2_b64 s[90:91], vcc, exec
	s_branch .LBB29_229
.LBB29_234:                             ;   in Loop: Header=BB29_16 Depth=1
                                        ; implicit-def: $sgpr2_sgpr3
	s_branch .LBB29_180
.LBB29_235:                             ;   in Loop: Header=BB29_16 Depth=1
                                        ; implicit-def: $sgpr2_sgpr3
	s_branch .LBB29_196
.LBB29_236:                             ;   in Loop: Header=BB29_16 Depth=1
	s_or_b64 exec, exec, s[24:25]
	s_and_b64 s[24:25], s[2:3], exec
.LBB29_237:                             ;   in Loop: Header=BB29_16 Depth=1
	s_or_b64 exec, exec, s[64:65]
	v_readlane_b32 s66, v62, 38
	s_mov_b64 s[34:35], s[68:69]
	v_readlane_b32 s67, v62, 39
.LBB29_238:                             ;   in Loop: Header=BB29_16 Depth=1
	s_and_b64 vcc, exec, s[40:41]
	s_cbranch_vccz .LBB29_252
; %bb.239:                              ;   in Loop: Header=BB29_16 Depth=1
	s_add_u32 s40, s42, s59
	v_readlane_b32 s2, v62, 30
	s_addc_u32 s11, s43, s2
	s_mov_b32 s10, s51
	s_mov_b32 s91, s59
	s_cmp_lg_u64 s[10:11], 0
	s_cbranch_scc0 .LBB29_273
; %bb.240:                              ;   in Loop: Header=BB29_16 Depth=1
	s_add_u32 s2, s33, 0
	s_addc_u32 s3, 0, 0
	s_xor_b64 s[44:45], s[2:3], 0
	v_cvt_f32_u32_e32 v3, s44
	v_cvt_f32_u32_e32 v4, s45
	s_sub_u32 s10, 0, s44
	s_subb_u32 s34, 0, s45
	s_mov_b64 vcc, s[66:67]
	v_mac_f32_e32 v3, 0x4f800000, v4
	v_rcp_f32_e32 v3, v3
	v_mul_f32_e32 v3, 0x5f7ffffc, v3
	v_mul_f32_e32 v4, 0x2f800000, v3
	v_trunc_f32_e32 v4, v4
	v_mac_f32_e32 v3, 0xcf800000, v4
	v_cvt_u32_f32_e32 v4, v4
	v_cvt_u32_f32_e32 v3, v3
	v_readfirstlane_b32 s35, v4
	v_readfirstlane_b32 s2, v3
	s_mul_i32 s3, s10, s35
	s_mul_hi_u32 s50, s10, s2
	s_mul_i32 s41, s34, s2
	s_add_i32 s3, s50, s3
	s_mul_i32 s59, s10, s2
	s_add_i32 s3, s3, s41
	s_mul_i32 s50, s2, s3
	s_mul_hi_u32 s60, s2, s59
	s_mul_hi_u32 s41, s2, s3
	s_add_u32 s50, s60, s50
	s_addc_u32 s41, 0, s41
	s_mul_hi_u32 s64, s35, s59
	s_mul_i32 s59, s35, s59
	s_add_u32 s50, s50, s59
	s_mul_hi_u32 s60, s35, s3
	s_addc_u32 s41, s41, s64
	s_addc_u32 s50, s60, 0
	s_mul_i32 s3, s35, s3
	s_add_u32 s3, s41, s3
	s_addc_u32 s41, 0, s50
	s_add_u32 s50, s2, s3
	s_cselect_b64 s[2:3], -1, 0
	s_cmp_lg_u64 s[2:3], 0
	s_addc_u32 s35, s35, s41
	s_mul_i32 s2, s10, s35
	s_mul_hi_u32 s3, s10, s50
	s_add_i32 s2, s3, s2
	s_mul_i32 s34, s34, s50
	s_add_i32 s2, s2, s34
	s_mul_i32 s10, s10, s50
	s_mul_hi_u32 s34, s35, s10
	s_mul_i32 s41, s35, s10
	s_mul_i32 s60, s50, s2
	s_mul_hi_u32 s10, s50, s10
	s_mul_hi_u32 s59, s50, s2
	s_add_u32 s10, s10, s60
	s_addc_u32 s59, 0, s59
	s_add_u32 s10, s10, s41
	s_mul_hi_u32 s3, s35, s2
	s_addc_u32 s10, s59, s34
	s_addc_u32 s3, s3, 0
	s_mul_i32 s2, s35, s2
	s_add_u32 s2, s10, s2
	s_addc_u32 s10, 0, s3
	s_add_u32 s41, s50, s2
	s_cselect_b64 s[2:3], -1, 0
	s_cmp_lg_u64 s[2:3], 0
	s_addc_u32 s10, s35, s10
	s_ashr_i32 s34, s11, 31
	s_add_u32 s2, s40, s34
	s_mov_b32 s35, s34
	s_addc_u32 s3, s11, s34
	s_xor_b64 s[2:3], s[2:3], s[34:35]
	s_mul_i32 s59, s2, s10
	s_mul_hi_u32 s60, s2, s41
	s_mul_hi_u32 s50, s2, s10
	s_add_u32 s59, s60, s59
	s_addc_u32 s50, 0, s50
	s_mul_hi_u32 s64, s3, s41
	s_mul_i32 s41, s3, s41
	s_add_u32 s41, s59, s41
	s_mul_hi_u32 s60, s3, s10
	s_addc_u32 s41, s50, s64
	s_addc_u32 s50, s60, 0
	s_mul_i32 s10, s3, s10
	s_add_u32 s10, s41, s10
	s_addc_u32 s41, 0, s50
	s_mul_i32 s41, s44, s41
	s_mul_hi_u32 s50, s44, s10
	s_add_i32 s41, s50, s41
	s_mul_i32 s50, s45, s10
	s_add_i32 s41, s41, s50
	s_sub_i32 s50, s3, s41
	s_mul_i32 s10, s44, s10
	s_sub_u32 s2, s2, s10
	s_cselect_b64 s[64:65], -1, 0
	s_cmp_lg_u64 s[64:65], 0
	s_subb_u32 s10, s50, s45
	s_sub_u32 s50, s2, s44
	s_cselect_b64 s[66:67], -1, 0
	s_cmp_lg_u64 s[66:67], 0
	s_subb_u32 s59, s10, 0
	s_cmp_ge_u32 s59, s45
	s_cselect_b32 s60, -1, 0
	s_cmp_ge_u32 s50, s44
	s_cselect_b32 s90, -1, 0
	s_cmp_eq_u32 s59, s45
	s_cselect_b32 s60, s90, s60
	s_cmp_lg_u64 s[66:67], 0
	s_subb_u32 s10, s10, s45
	s_sub_u32 s90, s50, s44
	s_cselect_b64 s[66:67], -1, 0
	s_cmp_lg_u64 s[66:67], 0
	s_subb_u32 s10, s10, 0
	s_cmp_lg_u32 s60, 0
	s_cselect_b32 s50, s90, s50
	s_cselect_b32 s10, s10, s59
	s_cmp_lg_u64 s[64:65], 0
	s_subb_u32 s3, s3, s41
	s_cmp_ge_u32 s3, s45
	s_cselect_b32 s41, -1, 0
	s_cmp_ge_u32 s2, s44
	s_cselect_b32 s44, -1, 0
	s_cmp_eq_u32 s3, s45
	s_cselect_b32 s41, s44, s41
	s_cmp_lg_u32 s41, 0
	s_cselect_b32 s3, s10, s3
	s_cselect_b32 s2, s50, s2
	s_xor_b64 s[2:3], s[2:3], s[34:35]
	s_sub_u32 s2, s2, s34
	s_mov_b64 s[66:67], vcc
	s_subb_u32 s3, s3, s34
	s_cbranch_execnz .LBB29_242
.LBB29_241:                             ;   in Loop: Header=BB29_16 Depth=1
	v_cvt_f32_u32_e32 v3, s33
	s_sub_i32 s2, 0, s33
	v_rcp_iflag_f32_e32 v3, v3
	v_mul_f32_e32 v3, 0x4f7ffffe, v3
	v_cvt_u32_f32_e32 v3, v3
	v_readfirstlane_b32 s3, v3
	s_mul_i32 s2, s2, s3
	s_mul_hi_u32 s2, s3, s2
	s_add_i32 s3, s3, s2
	s_mul_hi_u32 s2, s40, s3
	s_mul_i32 s2, s2, s33
	s_sub_i32 s2, s40, s2
	s_sub_i32 s3, s2, s33
	s_cmp_ge_u32 s2, s33
	s_cselect_b32 s2, s3, s2
	s_sub_i32 s3, s2, s33
	s_cmp_ge_u32 s2, s33
	s_cselect_b32 s50, s3, s2
	s_mov_b64 s[2:3], s[50:51]
.LBB29_242:                             ;   in Loop: Header=BB29_16 Depth=1
	s_sub_u32 s40, s40, s2
	s_subb_u32 s41, s11, s3
	v_cmp_gt_i64_e32 vcc, s[40:41], v[0:1]
                                        ; implicit-def: $vgpr5_vgpr6
	s_and_saveexec_b64 s[10:11], vcc
	s_mov_b32 s59, s91
	s_cbranch_execz .LBB29_251
; %bb.243:                              ;   in Loop: Header=BB29_16 Depth=1
	v_mov_b32_e32 v8, v1
	s_mov_b64 s[2:3], 0
	v_mov_b32_e32 v11, v52
	v_mov_b32_e32 v7, v0
                                        ; implicit-def: $sgpr44_sgpr45
	s_branch .LBB29_246
.LBB29_244:                             ;   in Loop: Header=BB29_246 Depth=2
	s_or_b64 exec, exec, s[64:65]
	s_waitcnt lgkmcnt(0)
	s_barrier
	ds_read_b128 v[3:6], v18 offset:3072
	s_mov_b64 s[34:35], -1
	s_mov_b64 s[64:65], -1
	s_waitcnt lgkmcnt(0)
	s_barrier
	v_cmp_eq_u64_e32 vcc, 0, v[3:4]
	s_cbranch_vccnz .LBB29_249
.LBB29_245:                             ;   in Loop: Header=BB29_246 Depth=2
	s_and_b64 s[34:35], exec, s[34:35]
	s_or_b64 s[2:3], s[34:35], s[2:3]
	s_andn2_b64 s[34:35], s[44:45], exec
	s_and_b64 s[44:45], s[64:65], exec
	s_or_b64 s[44:45], s[34:35], s[44:45]
	s_andn2_b64 exec, exec, s[2:3]
	s_cbranch_execz .LBB29_250
.LBB29_246:                             ;   Parent Loop BB29_16 Depth=1
                                        ; =>  This Inner Loop Header: Depth=2
	v_cmp_gt_u64_e32 vcc, s[42:43], v[7:8]
	s_and_saveexec_b64 s[64:65], vcc
	s_cbranch_execz .LBB29_244
; %bb.247:                              ;   in Loop: Header=BB29_246 Depth=2
	ds_read_b64 v[4:5], v11
	s_waitcnt lgkmcnt(0)
	v_xor_b32_e32 v3, 0x80000000, v5
	v_and_b32_e32 v13, v3, v32
	v_and_b32_e32 v12, v4, v31
	v_cmp_eq_u64_e32 vcc, v[12:13], v[29:30]
	s_and_b64 exec, exec, vcc
	s_cbranch_execz .LBB29_244
; %bb.248:                              ;   in Loop: Header=BB29_246 Depth=2
	v_mov_b32_e32 v3, v18
	ds_write_b128 v18, v[2:5] offset:3072
	s_branch .LBB29_244
.LBB29_249:                             ;   in Loop: Header=BB29_246 Depth=2
	v_add_co_u32_e32 v7, vcc, s33, v7
	v_addc_co_u32_e32 v8, vcc, 0, v8, vcc
	v_cmp_le_i64_e32 vcc, s[40:41], v[7:8]
	v_add_u32_e32 v11, s8, v11
	s_mov_b64 s[64:65], 0
	s_orn2_b64 s[34:35], vcc, exec
	s_branch .LBB29_245
.LBB29_250:                             ;   in Loop: Header=BB29_16 Depth=1
	s_or_b64 exec, exec, s[2:3]
	s_andn2_b64 s[2:3], s[24:25], exec
	s_and_b64 s[24:25], s[44:45], exec
	s_or_b64 s[24:25], s[2:3], s[24:25]
.LBB29_251:                             ;   in Loop: Header=BB29_16 Depth=1
	s_or_b64 exec, exec, s[10:11]
	s_mov_b64 s[44:45], 0
	s_mov_b64 s[10:11], -1
	s_mov_b64 s[34:35], s[68:69]
.LBB29_252:                             ;   in Loop: Header=BB29_16 Depth=1
	s_orn2_b64 s[2:3], s[24:25], exec
.LBB29_253:                             ;   in Loop: Header=BB29_16 Depth=1
	s_or_b64 exec, exec, s[92:93]
	s_mov_b64 s[40:41], 0
	s_and_saveexec_b64 s[24:25], s[2:3]
	s_cbranch_execz .LBB29_264
; %bb.254:                              ;   in Loop: Header=BB29_16 Depth=1
	v_mov_b32_e32 v3, 1
	s_xor_b64 s[2:3], s[66:67], -1
	v_mov_b32_e32 v4, 0
	v_mov_b32_e32 v35, 1
	s_and_saveexec_b64 s[40:41], s[2:3]
	s_cbranch_execz .LBB29_263
; %bb.255:                              ;   in Loop: Header=BB29_16 Depth=1
	v_cmp_ge_i64_e32 vcc, s[12:13], v[9:10]
	s_and_saveexec_b64 s[2:3], vcc
	s_xor_b64 s[2:3], exec, s[2:3]
	s_cbranch_execz .LBB29_260
; %bb.256:                              ;   in Loop: Header=BB29_16 Depth=1
	ds_read_b64 v[3:4], v18 offset:5120
	v_or_b32_e32 v30, s15, v30
	v_or_b32_e32 v29, s14, v29
	;; [unrolled: 1-line block ×4, first 2 shown]
	s_waitcnt lgkmcnt(0)
	v_cmp_ne_u64_e32 vcc, 0, v[3:4]
	s_cbranch_vccnz .LBB29_260
; %bb.257:                              ;   in Loop: Header=BB29_16 Depth=1
	s_mov_b64 s[14:15], exec
	v_readlane_b32 s34, v62, 10
	v_readlane_b32 s35, v62, 11
	s_and_b64 s[34:35], s[14:15], s[34:35]
	s_mov_b64 exec, s[34:35]
; %bb.258:                              ;   in Loop: Header=BB29_16 Depth=1
	v_mov_b32_e32 v3, s12
	v_mov_b32_e32 v4, s13
	ds_write_b64 v18, v[3:4] offset:5128
; %bb.259:                              ;   in Loop: Header=BB29_16 Depth=1
	s_or_b64 exec, exec, s[14:15]
	s_waitcnt lgkmcnt(0)
	s_barrier
.LBB29_260:                             ;   in Loop: Header=BB29_16 Depth=1
	s_andn2_saveexec_b64 s[2:3], s[2:3]
; %bb.261:                              ;   in Loop: Header=BB29_16 Depth=1
	v_mov_b32_e32 v3, s13
	v_subrev_co_u32_e32 v9, vcc, s12, v9
	v_subb_co_u32_e32 v10, vcc, v10, v3, vcc
; %bb.262:                              ;   in Loop: Header=BB29_16 Depth=1
	s_or_b64 exec, exec, s[2:3]
	v_mov_b32_e32 v3, v9
	v_mov_b32_e32 v35, 8
	;; [unrolled: 1-line block ×3, first 2 shown]
	s_mov_b64 s[34:35], s[68:69]
.LBB29_263:                             ;   in Loop: Header=BB29_16 Depth=1
	s_or_b64 exec, exec, s[40:41]
	v_mov_b32_e32 v10, v4
	s_mov_b64 s[40:41], exec
	v_mov_b32_e32 v9, v3
.LBB29_264:                             ;   in Loop: Header=BB29_16 Depth=1
	s_or_b64 exec, exec, s[24:25]
	s_orn2_b64 s[2:3], s[40:41], exec
.LBB29_265:                             ;   in Loop: Header=BB29_16 Depth=1
	s_or_b64 exec, exec, s[38:39]
	s_andn2_b64 s[12:13], s[30:31], exec
	s_and_b64 s[10:11], s[10:11], exec
	s_or_b64 s[30:31], s[12:13], s[10:11]
	s_andn2_b64 s[10:11], s[28:29], exec
	s_and_b64 s[12:13], s[44:45], exec
	v_mov_b32_e32 v7, v9
	s_or_b64 s[28:29], s[10:11], s[12:13]
	s_and_b64 s[10:11], s[2:3], exec
	v_mov_b32_e32 v8, v10
.LBB29_266:                             ;   in Loop: Header=BB29_16 Depth=1
	s_or_b64 exec, exec, s[36:37]
	s_orn2_b64 s[2:3], s[10:11], exec
.LBB29_267:                             ;   in Loop: Header=BB29_16 Depth=1
	s_or_b64 exec, exec, s[48:49]
	s_andn2_b64 s[10:11], s[94:95], exec
	s_and_b64 s[12:13], s[30:31], exec
	s_or_b64 s[94:95], s[10:11], s[12:13]
	s_andn2_b64 s[6:7], s[6:7], exec
	s_and_b64 s[10:11], s[28:29], exec
	v_mov_b32_e32 v12, v8
	s_or_b64 s[6:7], s[6:7], s[10:11]
	s_and_b64 s[10:11], s[2:3], exec
	v_mov_b32_e32 v11, v7
.LBB29_268:                             ;   in Loop: Header=BB29_16 Depth=1
	s_or_b64 exec, exec, s[46:47]
	s_orn2_b64 s[2:3], s[10:11], exec
.LBB29_269:                             ;   in Loop: Header=BB29_16 Depth=1
	s_or_b64 exec, exec, s[88:89]
	s_mov_b64 s[10:11], 0
	s_and_saveexec_b64 s[12:13], s[2:3]
	s_xor_b64 s[2:3], exec, s[12:13]
	s_cbranch_execz .LBB29_14
; %bb.270:                              ;   in Loop: Header=BB29_16 Depth=1
	v_and_b32_e32 v3, 7, v35
	v_cmp_eq_u32_e32 vcc, 0, v3
	s_mov_b64 s[12:13], -1
	s_mov_b64 s[10:11], -1
	s_and_saveexec_b64 s[14:15], vcc
	s_cbranch_execz .LBB29_13
; %bb.271:                              ;   in Loop: Header=BB29_16 Depth=1
	s_xor_b32 s58, s58, 1
	s_add_i32 s22, s9, -2
	s_cmp_eq_u32 s9, 0
	s_cselect_b64 s[12:13], -1, 0
	s_xor_b64 s[10:11], exec, -1
	s_orn2_b64 s[12:13], s[12:13], exec
	s_mov_b32 s9, s22
	s_branch .LBB29_13
.LBB29_272:                             ;   in Loop: Header=BB29_16 Depth=1
                                        ; implicit-def: $sgpr2_sgpr3
	s_branch .LBB29_225
.LBB29_273:                             ;   in Loop: Header=BB29_16 Depth=1
                                        ; implicit-def: $sgpr2_sgpr3
	s_branch .LBB29_241
.LBB29_274:
	s_or_b64 exec, exec, s[74:75]
	s_xor_b64 s[6:7], s[80:81], -1
	s_xor_b64 s[0:1], s[76:77], -1
	s_xor_b64 s[8:9], s[78:79], -1
	s_mov_b64 s[2:3], 0
	s_and_saveexec_b64 s[4:5], s[0:1]
	s_xor_b64 s[4:5], exec, s[4:5]
	s_cbranch_execnz .LBB29_279
; %bb.275:
	s_andn2_saveexec_b64 s[0:1], s[4:5]
	s_cbranch_execnz .LBB29_304
.LBB29_276:
	s_or_b64 exec, exec, s[0:1]
	s_and_saveexec_b64 s[0:1], s[2:3]
.LBB29_277:
	; divergent unreachable
.LBB29_278:
	s_endpgm
.LBB29_279:
	s_and_saveexec_b64 s[0:1], s[6:7]
	s_xor_b64 s[6:7], exec, s[0:1]
	s_cbranch_execz .LBB29_302
; %bb.280:
	s_and_saveexec_b64 s[0:1], s[8:9]
	s_xor_b64 s[2:3], exec, s[0:1]
; %bb.281:
	v_xor_b32_e32 v30, 0x80000000, v30
	v_mov_b32_e32 v5, v29
	v_mov_b32_e32 v6, v30
; %bb.282:
	s_or_b64 exec, exec, s[2:3]
	s_mov_b64 s[2:3], exec
	v_readlane_b32 s0, v62, 10
	v_readlane_b32 s1, v62, 11
	s_and_b64 s[0:1], s[2:3], s[0:1]
	v_readlane_b32 s26, v62, 20
	v_readlane_b32 s27, v62, 21
	s_mov_b64 exec, s[0:1]
; %bb.283:
	v_mov_b32_e32 v2, 0
	v_mov_b32_e32 v3, s20
	ds_write_b32 v2, v3 offset:5140
; %bb.284:
	s_or_b64 exec, exec, s[2:3]
	s_waitcnt lgkmcnt(0)
	s_barrier
	s_mov_b64 s[8:9], exec
	v_readlane_b32 s0, v62, 26
	v_readlane_b32 s1, v62, 27
	s_and_b64 s[0:1], s[8:9], s[0:1]
	s_mov_b64 exec, s[0:1]
	s_cbranch_execz .LBB29_299
; %bb.285:
	v_mov_b32_e32 v2, 0
	ds_read_b32 v7, v2 offset:5140
	s_mov_b64 s[10:11], 0
                                        ; implicit-def: $sgpr12_sgpr13
                                        ; implicit-def: $sgpr14_sgpr15
                                        ; implicit-def: $sgpr16_sgpr17
	s_waitcnt lgkmcnt(0)
	v_ashrrev_i32_e32 v8, 31, v7
	s_branch .LBB29_288
.LBB29_286:                             ;   in Loop: Header=BB29_288 Depth=1
	s_or_b64 exec, exec, s[24:25]
	s_andn2_b64 s[0:1], s[16:17], exec
	s_and_b64 s[16:17], s[22:23], exec
	s_or_b64 s[16:17], s[0:1], s[16:17]
	s_andn2_b64 s[0:1], s[14:15], exec
	s_and_b64 s[2:3], s[2:3], exec
	s_or_b64 s[14:15], s[0:1], s[2:3]
.LBB29_287:                             ;   in Loop: Header=BB29_288 Depth=1
	s_or_b64 exec, exec, s[18:19]
	s_and_b64 s[0:1], exec, s[14:15]
	s_or_b64 s[10:11], s[0:1], s[10:11]
	s_andn2_b64 s[0:1], s[12:13], exec
	s_and_b64 s[2:3], s[16:17], exec
	s_or_b64 s[12:13], s[0:1], s[2:3]
	s_andn2_b64 exec, exec, s[10:11]
	s_cbranch_execz .LBB29_294
.LBB29_288:                             ; =>This Inner Loop Header: Depth=1
	v_mov_b32_e32 v3, v1
	v_mov_b32_e32 v2, v0
	v_cmp_lt_i64_e32 vcc, v[2:3], v[7:8]
	s_or_b64 s[16:17], s[16:17], exec
	s_or_b64 s[14:15], s[14:15], exec
                                        ; implicit-def: $vgpr0_vgpr1
	s_and_saveexec_b64 s[18:19], vcc
	s_cbranch_execz .LBB29_287
; %bb.289:                              ;   in Loop: Header=BB29_288 Depth=1
	global_load_dwordx2 v[0:1], v[15:16], off
	s_mov_b64 s[2:3], -1
	s_mov_b64 s[22:23], 0
	s_waitcnt vmcnt(0)
	v_cmp_ne_u64_e32 vcc, v[0:1], v[5:6]
                                        ; implicit-def: $vgpr0_vgpr1
	s_and_saveexec_b64 s[24:25], vcc
	s_cbranch_execz .LBB29_286
; %bb.290:                              ;   in Loop: Header=BB29_288 Depth=1
	v_add_co_u32_e32 v0, vcc, s33, v2
	v_addc_co_u32_e32 v1, vcc, 0, v3, vcc
	v_mov_b32_e32 v3, s53
	v_cmp_le_i64_e32 vcc, s[20:21], v[0:1]
	v_add_co_u32_e64 v15, s[2:3], s52, v15
	v_addc_co_u32_e64 v16, s[2:3], v16, v3, s[2:3]
	s_mov_b64 s[22:23], exec
	s_orn2_b64 s[2:3], vcc, exec
	s_branch .LBB29_286
.LBB29_291:
                                        ; implicit-def: $sgpr16_sgpr17
	s_branch .LBB29_3
.LBB29_292:
                                        ; implicit-def: $sgpr0_sgpr1
                                        ; kill: killed $sgpr0_sgpr1
	s_branch .LBB29_6
.LBB29_293:
                                        ; implicit-def: $sgpr8_sgpr9
                                        ; kill: killed $sgpr8_sgpr9
	s_load_dwordx2 s[24:25], s[4:5], 0x0
	s_branch .LBB29_9
.LBB29_294:
	s_or_b64 exec, exec, s[10:11]
	s_xor_b64 s[0:1], s[12:13], -1
	s_and_saveexec_b64 s[2:3], s[0:1]
	s_xor_b64 s[2:3], exec, s[2:3]
	s_cbranch_execz .LBB29_299
; %bb.295:
	s_mov_b64 s[2:3], exec
	s_brev_b32 s0, -2
.LBB29_296:                             ; =>This Inner Loop Header: Depth=1
	s_ff1_i32_b64 s1, s[2:3]
	v_readlane_b32 s12, v2, s1
	s_lshl_b64 s[10:11], 1, s1
	s_min_i32 s0, s0, s12
	s_andn2_b64 s[2:3], s[2:3], s[10:11]
	s_cmp_lg_u64 s[2:3], 0
	s_cbranch_scc1 .LBB29_296
; %bb.297:
	v_mbcnt_lo_u32_b32 v0, exec_lo, 0
	v_mbcnt_hi_u32_b32 v0, exec_hi, v0
	v_cmp_eq_u32_e32 vcc, 0, v0
	s_and_saveexec_b64 s[2:3], vcc
	s_xor_b64 s[2:3], exec, s[2:3]
; %bb.298:
	v_mov_b32_e32 v0, 0
	v_mov_b32_e32 v1, s0
	ds_min_i32 v0, v1 offset:5140
.LBB29_299:
	s_or_b64 exec, exec, s[8:9]
	s_waitcnt lgkmcnt(0)
	s_barrier
	s_mov_b64 s[2:3], exec
	v_readlane_b32 s0, v62, 10
	v_readlane_b32 s1, v62, 11
	s_and_b64 s[0:1], s[2:3], s[0:1]
	s_mov_b64 exec, s[0:1]
	s_cbranch_execz .LBB29_301
; %bb.300:
	v_readlane_b32 s10, v62, 2
	v_readlane_b32 s11, v62, 3
	s_mul_i32 s0, s10, s35
	s_mul_hi_u32 s1, s10, s34
	s_add_i32 s0, s1, s0
	s_mul_i32 s1, s11, s34
	s_add_i32 s0, s0, s1
	s_mul_i32 s1, s10, s34
	v_readlane_b32 s12, v62, 16
	s_sub_u32 s8, s26, s1
	v_readlane_b32 s14, v62, 18
	v_readlane_b32 s15, v62, 19
	s_subb_u32 s0, 0, s0
	s_mul_i32 s1, s8, s15
	s_mul_hi_u32 s9, s8, s14
	v_readlane_b32 s13, v62, 17
	s_add_i32 s1, s9, s1
	s_mul_i32 s0, s0, s14
	s_add_i32 s1, s1, s0
	s_mul_i32 s0, s8, s14
	s_mul_i32 s8, s10, s13
	s_mul_hi_u32 s9, s10, s12
	s_add_i32 s8, s9, s8
	s_mul_i32 s9, s11, s12
	s_add_i32 s9, s8, s9
	s_mul_i32 s8, s10, s12
	v_readlane_b32 s12, v62, 0
	v_readlane_b32 s13, v62, 1
	;; [unrolled: 1-line block ×4, first 2 shown]
	s_mul_i32 s10, s14, s13
	s_mul_hi_u32 s11, s14, s12
	s_add_i32 s10, s11, s10
	s_mul_i32 s11, s15, s12
	s_add_i32 s10, s10, s11
	s_mul_i32 s11, s14, s12
	v_readlane_b32 s16, v62, 12
	s_sub_u32 s12, s26, s11
	v_readlane_b32 s18, v62, 14
	v_readlane_b32 s19, v62, 15
	s_subb_u32 s10, 0, s10
	s_mul_i32 s11, s12, s19
	s_mul_hi_u32 s13, s12, s18
	v_readlane_b32 s17, v62, 13
	s_add_i32 s11, s13, s11
	s_mul_i32 s10, s10, s18
	s_add_i32 s11, s11, s10
	s_mul_i32 s10, s12, s18
	s_mul_i32 s12, s14, s17
	s_mul_hi_u32 s13, s14, s16
	s_add_i32 s12, s13, s12
	s_mul_i32 s13, s15, s16
	s_add_i32 s13, s12, s13
	s_mul_i32 s12, s14, s16
	s_lshl_b64 s[8:9], s[8:9], 3
	v_readlane_b32 s14, v62, 8
	v_readlane_b32 s15, v62, 9
	s_add_u32 s8, s14, s8
	s_addc_u32 s9, s15, s9
	s_lshl_b64 s[0:1], s[0:1], 3
	v_mov_b32_e32 v2, 0
	s_add_u32 s0, s8, s0
	ds_read_b32 v0, v2 offset:5140
	s_addc_u32 s1, s9, s1
	s_lshl_b64 s[8:9], s[12:13], 3
	v_readlane_b32 s12, v62, 6
	v_readlane_b32 s13, v62, 7
	s_add_u32 s12, s12, s8
	s_addc_u32 s13, s13, s9
	s_lshl_b64 s[8:9], s[10:11], 3
	s_add_u32 s8, s12, s8
	s_addc_u32 s9, s13, s9
	s_waitcnt lgkmcnt(0)
	v_ashrrev_i32_e32 v1, 31, v0
	global_store_dwordx2 v2, v[0:1], s[8:9]
	global_store_dwordx2 v2, v[5:6], s[0:1]
.LBB29_301:
	s_or_b64 exec, exec, s[2:3]
.LBB29_302:
	s_or_saveexec_b64 s[0:1], s[6:7]
	s_mov_b64 s[2:3], 0
	s_xor_b64 exec, exec, s[0:1]
	s_cbranch_execnz .LBB29_305
.LBB29_303:
	s_or_b64 exec, exec, s[0:1]
	s_and_b64 s[2:3], s[2:3], exec
	s_andn2_saveexec_b64 s[0:1], s[4:5]
	s_cbranch_execz .LBB29_276
.LBB29_304:
	s_or_b64 s[2:3], s[2:3], exec
	s_trap 2
	s_or_b64 exec, exec, s[0:1]
	s_and_saveexec_b64 s[0:1], s[2:3]
	s_cbranch_execnz .LBB29_277
	s_branch .LBB29_278
.LBB29_305:
	s_mov_b64 s[2:3], exec
	s_trap 2
	s_branch .LBB29_303
	.section	.rodata,"a",@progbits
	.p2align	6, 0x0
	.amdhsa_kernel _ZN2at6native12_GLOBAL__N_114gatherKthValueIllLi2EEEvNS_4cuda6detail10TensorInfoIKT_T0_EES8_S8_S8_S8_NS5_IS6_S8_EENS5_IlS8_EE
		.amdhsa_group_segment_fixed_size 5144
		.amdhsa_private_segment_fixed_size 0
		.amdhsa_kernarg_size 1536
		.amdhsa_user_sgpr_count 6
		.amdhsa_user_sgpr_private_segment_buffer 1
		.amdhsa_user_sgpr_dispatch_ptr 0
		.amdhsa_user_sgpr_queue_ptr 0
		.amdhsa_user_sgpr_kernarg_segment_ptr 1
		.amdhsa_user_sgpr_dispatch_id 0
		.amdhsa_user_sgpr_flat_scratch_init 0
		.amdhsa_user_sgpr_private_segment_size 0
		.amdhsa_uses_dynamic_stack 0
		.amdhsa_system_sgpr_private_segment_wavefront_offset 0
		.amdhsa_system_sgpr_workgroup_id_x 1
		.amdhsa_system_sgpr_workgroup_id_y 1
		.amdhsa_system_sgpr_workgroup_id_z 1
		.amdhsa_system_sgpr_workgroup_info 0
		.amdhsa_system_vgpr_workitem_id 0
		.amdhsa_next_free_vgpr 63
		.amdhsa_next_free_sgpr 96
		.amdhsa_reserve_vcc 1
		.amdhsa_reserve_flat_scratch 0
		.amdhsa_float_round_mode_32 0
		.amdhsa_float_round_mode_16_64 0
		.amdhsa_float_denorm_mode_32 3
		.amdhsa_float_denorm_mode_16_64 3
		.amdhsa_dx10_clamp 1
		.amdhsa_ieee_mode 1
		.amdhsa_fp16_overflow 0
		.amdhsa_exception_fp_ieee_invalid_op 0
		.amdhsa_exception_fp_denorm_src 0
		.amdhsa_exception_fp_ieee_div_zero 0
		.amdhsa_exception_fp_ieee_overflow 0
		.amdhsa_exception_fp_ieee_underflow 0
		.amdhsa_exception_fp_ieee_inexact 0
		.amdhsa_exception_int_div_zero 0
	.end_amdhsa_kernel
	.section	.text._ZN2at6native12_GLOBAL__N_114gatherKthValueIllLi2EEEvNS_4cuda6detail10TensorInfoIKT_T0_EES8_S8_S8_S8_NS5_IS6_S8_EENS5_IlS8_EE,"axG",@progbits,_ZN2at6native12_GLOBAL__N_114gatherKthValueIllLi2EEEvNS_4cuda6detail10TensorInfoIKT_T0_EES8_S8_S8_S8_NS5_IS6_S8_EENS5_IlS8_EE,comdat
.Lfunc_end29:
	.size	_ZN2at6native12_GLOBAL__N_114gatherKthValueIllLi2EEEvNS_4cuda6detail10TensorInfoIKT_T0_EES8_S8_S8_S8_NS5_IS6_S8_EENS5_IlS8_EE, .Lfunc_end29-_ZN2at6native12_GLOBAL__N_114gatherKthValueIllLi2EEEvNS_4cuda6detail10TensorInfoIKT_T0_EES8_S8_S8_S8_NS5_IS6_S8_EENS5_IlS8_EE
                                        ; -- End function
	.set _ZN2at6native12_GLOBAL__N_114gatherKthValueIllLi2EEEvNS_4cuda6detail10TensorInfoIKT_T0_EES8_S8_S8_S8_NS5_IS6_S8_EENS5_IlS8_EE.num_vgpr, 63
	.set _ZN2at6native12_GLOBAL__N_114gatherKthValueIllLi2EEEvNS_4cuda6detail10TensorInfoIKT_T0_EES8_S8_S8_S8_NS5_IS6_S8_EENS5_IlS8_EE.num_agpr, 0
	.set _ZN2at6native12_GLOBAL__N_114gatherKthValueIllLi2EEEvNS_4cuda6detail10TensorInfoIKT_T0_EES8_S8_S8_S8_NS5_IS6_S8_EENS5_IlS8_EE.numbered_sgpr, 96
	.set _ZN2at6native12_GLOBAL__N_114gatherKthValueIllLi2EEEvNS_4cuda6detail10TensorInfoIKT_T0_EES8_S8_S8_S8_NS5_IS6_S8_EENS5_IlS8_EE.num_named_barrier, 0
	.set _ZN2at6native12_GLOBAL__N_114gatherKthValueIllLi2EEEvNS_4cuda6detail10TensorInfoIKT_T0_EES8_S8_S8_S8_NS5_IS6_S8_EENS5_IlS8_EE.private_seg_size, 0
	.set _ZN2at6native12_GLOBAL__N_114gatherKthValueIllLi2EEEvNS_4cuda6detail10TensorInfoIKT_T0_EES8_S8_S8_S8_NS5_IS6_S8_EENS5_IlS8_EE.uses_vcc, 1
	.set _ZN2at6native12_GLOBAL__N_114gatherKthValueIllLi2EEEvNS_4cuda6detail10TensorInfoIKT_T0_EES8_S8_S8_S8_NS5_IS6_S8_EENS5_IlS8_EE.uses_flat_scratch, 0
	.set _ZN2at6native12_GLOBAL__N_114gatherKthValueIllLi2EEEvNS_4cuda6detail10TensorInfoIKT_T0_EES8_S8_S8_S8_NS5_IS6_S8_EENS5_IlS8_EE.has_dyn_sized_stack, 0
	.set _ZN2at6native12_GLOBAL__N_114gatherKthValueIllLi2EEEvNS_4cuda6detail10TensorInfoIKT_T0_EES8_S8_S8_S8_NS5_IS6_S8_EENS5_IlS8_EE.has_recursion, 0
	.set _ZN2at6native12_GLOBAL__N_114gatherKthValueIllLi2EEEvNS_4cuda6detail10TensorInfoIKT_T0_EES8_S8_S8_S8_NS5_IS6_S8_EENS5_IlS8_EE.has_indirect_call, 0
	.section	.AMDGPU.csdata,"",@progbits
; Kernel info:
; codeLenInByte = 18148
; TotalNumSgprs: 100
; NumVgprs: 63
; ScratchSize: 0
; MemoryBound: 0
; FloatMode: 240
; IeeeMode: 1
; LDSByteSize: 5144 bytes/workgroup (compile time only)
; SGPRBlocks: 12
; VGPRBlocks: 15
; NumSGPRsForWavesPerEU: 100
; NumVGPRsForWavesPerEU: 63
; Occupancy: 4
; WaveLimiterHint : 1
; COMPUTE_PGM_RSRC2:SCRATCH_EN: 0
; COMPUTE_PGM_RSRC2:USER_SGPR: 6
; COMPUTE_PGM_RSRC2:TRAP_HANDLER: 0
; COMPUTE_PGM_RSRC2:TGID_X_EN: 1
; COMPUTE_PGM_RSRC2:TGID_Y_EN: 1
; COMPUTE_PGM_RSRC2:TGID_Z_EN: 1
; COMPUTE_PGM_RSRC2:TIDIG_COMP_CNT: 0
	.section	.text._ZN2at6native12_GLOBAL__N_114gatherKthValueIllLi3EEEvNS_4cuda6detail10TensorInfoIKT_T0_EES8_S8_S8_S8_NS5_IS6_S8_EENS5_IlS8_EE,"axG",@progbits,_ZN2at6native12_GLOBAL__N_114gatherKthValueIllLi3EEEvNS_4cuda6detail10TensorInfoIKT_T0_EES8_S8_S8_S8_NS5_IS6_S8_EENS5_IlS8_EE,comdat
	.globl	_ZN2at6native12_GLOBAL__N_114gatherKthValueIllLi3EEEvNS_4cuda6detail10TensorInfoIKT_T0_EES8_S8_S8_S8_NS5_IS6_S8_EENS5_IlS8_EE ; -- Begin function _ZN2at6native12_GLOBAL__N_114gatherKthValueIllLi3EEEvNS_4cuda6detail10TensorInfoIKT_T0_EES8_S8_S8_S8_NS5_IS6_S8_EENS5_IlS8_EE
	.p2align	8
	.type	_ZN2at6native12_GLOBAL__N_114gatherKthValueIllLi3EEEvNS_4cuda6detail10TensorInfoIKT_T0_EES8_S8_S8_S8_NS5_IS6_S8_EENS5_IlS8_EE,@function
_ZN2at6native12_GLOBAL__N_114gatherKthValueIllLi3EEEvNS_4cuda6detail10TensorInfoIKT_T0_EES8_S8_S8_S8_NS5_IS6_S8_EENS5_IlS8_EE: ; @_ZN2at6native12_GLOBAL__N_114gatherKthValueIllLi3EEEvNS_4cuda6detail10TensorInfoIKT_T0_EES8_S8_S8_S8_NS5_IS6_S8_EENS5_IlS8_EE
; %bb.0:
	s_load_dwordx2 s[40:41], s[4:5], 0x500
	s_load_dwordx8 s[20:27], s[4:5], 0x1a0
	s_add_u32 s16, s4, 0x500
	s_addc_u32 s17, s5, 0
	s_mov_b32 s49, 0
	s_waitcnt lgkmcnt(0)
	s_mul_i32 s0, s41, s8
	s_add_i32 s0, s0, s7
	s_mul_i32 s0, s0, s40
	s_add_i32 s48, s0, s6
	v_mov_b32_e32 v1, s48
	v_mov_b32_e32 v2, s49
	v_cmp_le_i64_e32 vcc, s[24:25], v[1:2]
	s_cbranch_vccnz .LBB30_296
; %bb.1:
	s_load_dwordx4 s[8:11], s[4:5], 0x10
	s_mov_b32 s0, s49
	s_waitcnt lgkmcnt(0)
	s_mov_b32 s1, s11
	s_cmp_lg_u64 s[0:1], 0
	s_cbranch_scc0 .LBB30_6
; %bb.2:
	s_ashr_i32 s0, s11, 31
	s_add_u32 s2, s10, s0
	s_mov_b32 s1, s0
	s_addc_u32 s3, s11, s0
	s_xor_b64 s[2:3], s[2:3], s[0:1]
	v_cvt_f32_u32_e32 v1, s2
	v_cvt_f32_u32_e32 v2, s3
	s_sub_u32 s7, 0, s2
	s_subb_u32 s18, 0, s3
	v_madmk_f32 v1, v2, 0x4f800000, v1
	v_rcp_f32_e32 v1, v1
	v_mul_f32_e32 v1, 0x5f7ffffc, v1
	v_mul_f32_e32 v2, 0x2f800000, v1
	v_trunc_f32_e32 v2, v2
	v_madmk_f32 v1, v2, 0xcf800000, v1
	v_cvt_u32_f32_e32 v2, v2
	v_cvt_u32_f32_e32 v1, v1
	v_readfirstlane_b32 s19, v2
	v_readfirstlane_b32 s14, v1
	s_mul_i32 s15, s7, s19
	s_mul_hi_u32 s25, s7, s14
	s_mul_i32 s24, s18, s14
	s_add_i32 s15, s25, s15
	s_add_i32 s15, s15, s24
	s_mul_i32 s28, s7, s14
	s_mul_i32 s25, s14, s15
	s_mul_hi_u32 s29, s14, s28
	s_mul_hi_u32 s24, s14, s15
	s_add_u32 s25, s29, s25
	s_addc_u32 s24, 0, s24
	s_mul_hi_u32 s30, s19, s28
	s_mul_i32 s28, s19, s28
	s_add_u32 s25, s25, s28
	s_mul_hi_u32 s29, s19, s15
	s_addc_u32 s24, s24, s30
	s_addc_u32 s25, s29, 0
	s_mul_i32 s15, s19, s15
	s_add_u32 s15, s24, s15
	s_addc_u32 s24, 0, s25
	s_add_u32 s25, s14, s15
	s_cselect_b64 s[14:15], -1, 0
	s_cmp_lg_u64 s[14:15], 0
	s_addc_u32 s19, s19, s24
	s_mul_i32 s14, s7, s19
	s_mul_hi_u32 s15, s7, s25
	s_add_i32 s14, s15, s14
	s_mul_i32 s18, s18, s25
	s_add_i32 s14, s14, s18
	s_mul_i32 s7, s7, s25
	s_mul_hi_u32 s18, s19, s7
	s_mul_i32 s24, s19, s7
	s_mul_i32 s29, s25, s14
	s_mul_hi_u32 s7, s25, s7
	s_mul_hi_u32 s28, s25, s14
	s_add_u32 s7, s7, s29
	s_addc_u32 s28, 0, s28
	s_add_u32 s7, s7, s24
	s_mul_hi_u32 s15, s19, s14
	s_addc_u32 s7, s28, s18
	s_addc_u32 s15, s15, 0
	s_mul_i32 s14, s19, s14
	s_add_u32 s7, s7, s14
	s_addc_u32 s18, 0, s15
	s_add_u32 s7, s25, s7
	s_cselect_b64 s[14:15], -1, 0
	s_cmp_lg_u64 s[14:15], 0
	s_addc_u32 s18, s19, s18
	s_add_u32 s14, s48, 0
	s_addc_u32 s15, 0, 0
	s_xor_b64 s[14:15], s[14:15], 0
	s_mul_i32 s24, s14, s18
	s_mul_hi_u32 s25, s14, s7
	s_mul_hi_u32 s19, s14, s18
	s_add_u32 s24, s25, s24
	s_addc_u32 s19, 0, s19
	s_mul_hi_u32 s28, s15, s7
	s_mul_i32 s7, s15, s7
	s_add_u32 s7, s24, s7
	s_mul_hi_u32 s25, s15, s18
	s_addc_u32 s7, s19, s28
	s_addc_u32 s19, s25, 0
	s_mul_i32 s18, s15, s18
	s_add_u32 s7, s7, s18
	s_addc_u32 s28, 0, s19
	s_mul_i32 s18, s2, s28
	s_mul_hi_u32 s19, s2, s7
	s_add_i32 s18, s19, s18
	s_mul_i32 s19, s3, s7
	s_add_i32 s29, s18, s19
	s_sub_i32 s24, s15, s29
	s_mul_i32 s18, s2, s7
	s_sub_u32 s14, s14, s18
	s_cselect_b64 s[18:19], -1, 0
	s_cmp_lg_u64 s[18:19], 0
	s_subb_u32 s30, s24, s3
	s_sub_u32 s31, s14, s2
	s_cselect_b64 s[24:25], -1, 0
	s_cmp_lg_u64 s[24:25], 0
	s_subb_u32 s24, s30, 0
	s_cmp_ge_u32 s24, s3
	s_cselect_b32 s25, -1, 0
	s_cmp_ge_u32 s31, s2
	s_cselect_b32 s30, -1, 0
	s_cmp_eq_u32 s24, s3
	s_cselect_b32 s24, s30, s25
	s_add_u32 s25, s7, 1
	s_addc_u32 s30, s28, 0
	s_add_u32 s31, s7, 2
	s_addc_u32 s33, s28, 0
	s_cmp_lg_u32 s24, 0
	s_cselect_b32 s24, s31, s25
	s_cselect_b32 s25, s33, s30
	s_cmp_lg_u64 s[18:19], 0
	s_subb_u32 s15, s15, s29
	s_cmp_ge_u32 s15, s3
	s_cselect_b32 s18, -1, 0
	s_cmp_ge_u32 s14, s2
	s_cselect_b32 s2, -1, 0
	s_cmp_eq_u32 s15, s3
	s_cselect_b32 s2, s2, s18
	s_cmp_lg_u32 s2, 0
	s_cselect_b32 s3, s25, s28
	s_cselect_b32 s2, s24, s7
	s_xor_b64 s[0:1], 0, s[0:1]
	s_xor_b64 s[2:3], s[2:3], s[0:1]
	s_sub_u32 s2, s2, s0
	s_subb_u32 s3, s3, s1
	s_cbranch_execnz .LBB30_4
.LBB30_3:
	v_cvt_f32_u32_e32 v1, s10
	s_sub_i32 s0, 0, s10
	s_mov_b32 s3, 0
	v_rcp_iflag_f32_e32 v1, v1
	v_mul_f32_e32 v1, 0x4f7ffffe, v1
	v_cvt_u32_f32_e32 v1, v1
	v_readfirstlane_b32 s1, v1
	s_mul_i32 s0, s0, s1
	s_mul_hi_u32 s0, s1, s0
	s_add_i32 s1, s1, s0
	s_mul_hi_u32 s0, s48, s1
	s_mul_i32 s2, s0, s10
	s_sub_i32 s2, s48, s2
	s_add_i32 s1, s0, 1
	s_sub_i32 s7, s2, s10
	s_cmp_ge_u32 s2, s10
	s_cselect_b32 s0, s1, s0
	s_cselect_b32 s2, s7, s2
	s_add_i32 s1, s0, 1
	s_cmp_ge_u32 s2, s10
	s_cselect_b32 s2, s1, s0
.LBB30_4:
	s_or_b64 s[0:1], s[2:3], s[8:9]
	s_mov_b32 s0, 0
	s_cmp_lg_u64 s[0:1], 0
	s_cbranch_scc0 .LBB30_7
; %bb.5:
	s_ashr_i32 s12, s9, 31
	s_add_u32 s0, s8, s12
	s_mov_b32 s13, s12
	s_addc_u32 s1, s9, s12
	s_xor_b64 s[14:15], s[0:1], s[12:13]
	v_cvt_f32_u32_e32 v1, s14
	v_cvt_f32_u32_e32 v2, s15
	s_sub_u32 s7, 0, s14
	s_subb_u32 s24, 0, s15
	s_mov_b64 s[0:1], 0
	v_madmk_f32 v1, v2, 0x4f800000, v1
	v_rcp_f32_e32 v1, v1
	v_mul_f32_e32 v1, 0x5f7ffffc, v1
	v_mul_f32_e32 v2, 0x2f800000, v1
	v_trunc_f32_e32 v2, v2
	v_madmk_f32 v1, v2, 0xcf800000, v1
	v_cvt_u32_f32_e32 v2, v2
	v_cvt_u32_f32_e32 v1, v1
	v_readfirstlane_b32 s25, v2
	v_readfirstlane_b32 s18, v1
	s_mul_i32 s19, s7, s25
	s_mul_hi_u32 s29, s7, s18
	s_mul_i32 s28, s24, s18
	s_add_i32 s19, s29, s19
	s_add_i32 s19, s19, s28
	s_mul_i32 s30, s7, s18
	s_mul_i32 s29, s18, s19
	s_mul_hi_u32 s31, s18, s30
	s_mul_hi_u32 s28, s18, s19
	s_add_u32 s29, s31, s29
	s_addc_u32 s28, 0, s28
	s_mul_hi_u32 s33, s25, s30
	s_mul_i32 s30, s25, s30
	s_add_u32 s29, s29, s30
	s_mul_hi_u32 s31, s25, s19
	s_addc_u32 s28, s28, s33
	s_addc_u32 s29, s31, 0
	s_mul_i32 s19, s25, s19
	s_add_u32 s19, s28, s19
	s_addc_u32 s28, 0, s29
	s_add_u32 s29, s18, s19
	s_cselect_b64 s[18:19], -1, 0
	s_cmp_lg_u64 s[18:19], 0
	s_addc_u32 s25, s25, s28
	s_mul_i32 s18, s7, s25
	s_mul_hi_u32 s19, s7, s29
	s_add_i32 s18, s19, s18
	s_mul_i32 s24, s24, s29
	s_add_i32 s18, s18, s24
	s_mul_i32 s7, s7, s29
	s_mul_hi_u32 s24, s25, s7
	s_mul_i32 s28, s25, s7
	s_mul_i32 s31, s29, s18
	s_mul_hi_u32 s7, s29, s7
	s_mul_hi_u32 s30, s29, s18
	s_add_u32 s7, s7, s31
	s_addc_u32 s30, 0, s30
	s_add_u32 s7, s7, s28
	s_mul_hi_u32 s19, s25, s18
	s_addc_u32 s7, s30, s24
	s_addc_u32 s19, s19, 0
	s_mul_i32 s18, s25, s18
	s_add_u32 s7, s7, s18
	s_addc_u32 s24, 0, s19
	s_add_u32 s7, s29, s7
	s_cselect_b64 s[18:19], -1, 0
	s_cmp_lg_u64 s[18:19], 0
	s_addc_u32 s28, s25, s24
	s_ashr_i32 s18, s3, 31
	s_add_u32 s24, s2, s18
	s_mov_b32 s19, s18
	s_addc_u32 s25, s3, s18
	s_xor_b64 s[24:25], s[24:25], s[18:19]
	s_mul_i32 s30, s24, s28
	s_mul_hi_u32 s31, s24, s7
	s_mul_hi_u32 s29, s24, s28
	s_add_u32 s30, s31, s30
	s_addc_u32 s29, 0, s29
	s_mul_hi_u32 s33, s25, s7
	s_mul_i32 s7, s25, s7
	s_add_u32 s7, s30, s7
	s_mul_hi_u32 s31, s25, s28
	s_addc_u32 s7, s29, s33
	s_addc_u32 s29, s31, 0
	s_mul_i32 s28, s25, s28
	s_add_u32 s7, s7, s28
	s_addc_u32 s33, 0, s29
	s_mul_i32 s28, s14, s33
	s_mul_hi_u32 s29, s14, s7
	s_add_i32 s28, s29, s28
	s_mul_i32 s29, s15, s7
	s_add_i32 s34, s28, s29
	s_sub_i32 s30, s25, s34
	s_mul_i32 s28, s14, s7
	s_sub_u32 s24, s24, s28
	s_cselect_b64 s[28:29], -1, 0
	s_cmp_lg_u64 s[28:29], 0
	s_subb_u32 s35, s30, s15
	s_sub_u32 s36, s24, s14
	s_cselect_b64 s[30:31], -1, 0
	s_cmp_lg_u64 s[30:31], 0
	s_subb_u32 s30, s35, 0
	s_cmp_ge_u32 s30, s15
	s_cselect_b32 s31, -1, 0
	s_cmp_ge_u32 s36, s14
	s_cselect_b32 s35, -1, 0
	s_cmp_eq_u32 s30, s15
	s_cselect_b32 s30, s35, s31
	s_add_u32 s31, s7, 1
	s_addc_u32 s35, s33, 0
	s_add_u32 s36, s7, 2
	s_addc_u32 s37, s33, 0
	s_cmp_lg_u32 s30, 0
	s_cselect_b32 s30, s36, s31
	s_cselect_b32 s31, s37, s35
	s_cmp_lg_u64 s[28:29], 0
	s_subb_u32 s25, s25, s34
	s_cmp_ge_u32 s25, s15
	s_cselect_b32 s28, -1, 0
	s_cmp_ge_u32 s24, s14
	s_cselect_b32 s14, -1, 0
	s_cmp_eq_u32 s25, s15
	s_cselect_b32 s14, s14, s28
	s_cmp_lg_u32 s14, 0
	s_cselect_b32 s15, s31, s33
	s_cselect_b32 s14, s30, s7
	s_xor_b64 s[12:13], s[18:19], s[12:13]
	s_xor_b64 s[14:15], s[14:15], s[12:13]
	s_sub_u32 s18, s14, s12
	s_subb_u32 s19, s15, s13
	s_branch .LBB30_8
.LBB30_6:
                                        ; implicit-def: $sgpr2_sgpr3
	s_branch .LBB30_3
.LBB30_7:
	s_mov_b64 s[0:1], -1
                                        ; implicit-def: $sgpr18_sgpr19
.LBB30_8:
	s_load_dwordx4 s[12:15], s[4:5], 0x1d0
                                        ; implicit-def: $vgpr56 : SGPR spill to VGPR lane
	s_andn2_b64 vcc, exec, s[0:1]
	s_waitcnt lgkmcnt(0)
	v_writelane_b32 v56, s12, 0
	v_writelane_b32 v56, s13, 1
	;; [unrolled: 1-line block ×4, first 2 shown]
	s_cbranch_vccnz .LBB30_10
; %bb.9:
	v_cvt_f32_u32_e32 v1, s8
	s_sub_i32 s0, 0, s8
	s_mov_b32 s19, 0
	v_rcp_iflag_f32_e32 v1, v1
	v_mul_f32_e32 v1, 0x4f7ffffe, v1
	v_cvt_u32_f32_e32 v1, v1
	v_readfirstlane_b32 s1, v1
	s_mul_i32 s0, s0, s1
	s_mul_hi_u32 s0, s1, s0
	s_add_i32 s1, s1, s0
	s_mul_hi_u32 s0, s2, s1
	s_mul_i32 s7, s0, s8
	s_sub_i32 s7, s2, s7
	s_add_i32 s1, s0, 1
	s_sub_i32 s12, s7, s8
	s_cmp_ge_u32 s7, s8
	s_cselect_b32 s0, s1, s0
	s_cselect_b32 s7, s12, s7
	s_add_i32 s1, s0, 1
	s_cmp_ge_u32 s7, s8
	s_cselect_b32 s18, s1, s0
.LBB30_10:
	s_load_dwordx4 s[12:15], s[4:5], 0x1d0
	s_mov_b32 s0, 0
	s_waitcnt lgkmcnt(0)
	s_mov_b32 s1, s15
	s_cmp_lg_u64 s[0:1], 0
	s_cbranch_scc0 .LBB30_15
; %bb.11:
	s_ashr_i32 s0, s15, 31
	s_add_u32 s12, s14, s0
	s_mov_b32 s1, s0
	s_addc_u32 s13, s15, s0
	s_xor_b64 s[14:15], s[12:13], s[0:1]
	v_cvt_f32_u32_e32 v1, s14
	v_cvt_f32_u32_e32 v2, s15
	s_sub_u32 s7, 0, s14
	s_subb_u32 s28, 0, s15
	v_madmk_f32 v1, v2, 0x4f800000, v1
	v_rcp_f32_e32 v1, v1
	v_mul_f32_e32 v1, 0x5f7ffffc, v1
	v_mul_f32_e32 v2, 0x2f800000, v1
	v_trunc_f32_e32 v2, v2
	v_madmk_f32 v1, v2, 0xcf800000, v1
	v_cvt_u32_f32_e32 v2, v2
	v_cvt_u32_f32_e32 v1, v1
	v_readfirstlane_b32 s29, v2
	v_readfirstlane_b32 s24, v1
	s_mul_i32 s25, s7, s29
	s_mul_hi_u32 s31, s7, s24
	s_mul_i32 s30, s28, s24
	s_add_i32 s25, s31, s25
	s_add_i32 s25, s25, s30
	s_mul_i32 s33, s7, s24
	s_mul_i32 s31, s24, s25
	s_mul_hi_u32 s34, s24, s33
	s_mul_hi_u32 s30, s24, s25
	s_add_u32 s31, s34, s31
	s_addc_u32 s30, 0, s30
	s_mul_hi_u32 s35, s29, s33
	s_mul_i32 s33, s29, s33
	s_add_u32 s31, s31, s33
	s_mul_hi_u32 s34, s29, s25
	s_addc_u32 s30, s30, s35
	s_addc_u32 s31, s34, 0
	s_mul_i32 s25, s29, s25
	s_add_u32 s25, s30, s25
	s_addc_u32 s30, 0, s31
	s_add_u32 s31, s24, s25
	s_cselect_b64 s[24:25], -1, 0
	s_cmp_lg_u64 s[24:25], 0
	s_addc_u32 s29, s29, s30
	s_mul_i32 s24, s7, s29
	s_mul_hi_u32 s25, s7, s31
	s_add_i32 s24, s25, s24
	s_mul_i32 s28, s28, s31
	s_add_i32 s24, s24, s28
	s_mul_i32 s7, s7, s31
	s_mul_hi_u32 s28, s29, s7
	s_mul_i32 s30, s29, s7
	s_mul_i32 s34, s31, s24
	s_mul_hi_u32 s7, s31, s7
	s_mul_hi_u32 s33, s31, s24
	s_add_u32 s7, s7, s34
	s_addc_u32 s33, 0, s33
	s_add_u32 s7, s7, s30
	s_mul_hi_u32 s25, s29, s24
	s_addc_u32 s7, s33, s28
	s_addc_u32 s25, s25, 0
	s_mul_i32 s24, s29, s24
	s_add_u32 s7, s7, s24
	s_addc_u32 s28, 0, s25
	s_add_u32 s7, s31, s7
	s_cselect_b64 s[24:25], -1, 0
	s_cmp_lg_u64 s[24:25], 0
	s_addc_u32 s28, s29, s28
	s_add_u32 s24, s48, 0
	s_addc_u32 s25, 0, 0
	s_xor_b64 s[24:25], s[24:25], 0
	s_mul_i32 s30, s24, s28
	s_mul_hi_u32 s31, s24, s7
	s_mul_hi_u32 s29, s24, s28
	s_add_u32 s30, s31, s30
	s_addc_u32 s29, 0, s29
	s_mul_hi_u32 s33, s25, s7
	s_mul_i32 s7, s25, s7
	s_add_u32 s7, s30, s7
	s_mul_hi_u32 s31, s25, s28
	s_addc_u32 s7, s29, s33
	s_addc_u32 s29, s31, 0
	s_mul_i32 s28, s25, s28
	s_add_u32 s7, s7, s28
	s_addc_u32 s33, 0, s29
	s_mul_i32 s28, s14, s33
	s_mul_hi_u32 s29, s14, s7
	s_add_i32 s28, s29, s28
	s_mul_i32 s29, s15, s7
	s_add_i32 s34, s28, s29
	s_sub_i32 s30, s25, s34
	s_mul_i32 s28, s14, s7
	s_sub_u32 s24, s24, s28
	s_cselect_b64 s[28:29], -1, 0
	s_cmp_lg_u64 s[28:29], 0
	s_subb_u32 s35, s30, s15
	s_sub_u32 s36, s24, s14
	s_cselect_b64 s[30:31], -1, 0
	s_cmp_lg_u64 s[30:31], 0
	s_subb_u32 s30, s35, 0
	s_cmp_ge_u32 s30, s15
	s_cselect_b32 s31, -1, 0
	s_cmp_ge_u32 s36, s14
	s_cselect_b32 s35, -1, 0
	s_cmp_eq_u32 s30, s15
	s_cselect_b32 s30, s35, s31
	s_add_u32 s31, s7, 1
	s_addc_u32 s35, s33, 0
	s_add_u32 s36, s7, 2
	s_addc_u32 s37, s33, 0
	s_cmp_lg_u32 s30, 0
	s_cselect_b32 s30, s36, s31
	s_cselect_b32 s31, s37, s35
	s_cmp_lg_u64 s[28:29], 0
	s_subb_u32 s25, s25, s34
	s_cmp_ge_u32 s25, s15
	s_cselect_b32 s28, -1, 0
	s_cmp_ge_u32 s24, s14
	s_cselect_b32 s14, -1, 0
	s_cmp_eq_u32 s25, s15
	s_cselect_b32 s14, s14, s28
	s_cmp_lg_u32 s14, 0
	s_cselect_b32 s15, s31, s33
	s_cselect_b32 s14, s30, s7
	s_xor_b64 s[0:1], 0, s[0:1]
	s_xor_b64 s[14:15], s[14:15], s[0:1]
	s_sub_u32 s50, s14, s0
	s_subb_u32 s51, s15, s1
	s_cbranch_execnz .LBB30_13
.LBB30_12:
	s_load_dwordx4 s[12:15], s[4:5], 0x1d0
	s_mov_b32 s51, 0
	s_waitcnt lgkmcnt(0)
	v_cvt_f32_u32_e32 v1, s14
	s_sub_i32 s0, 0, s14
	v_rcp_iflag_f32_e32 v1, v1
	v_mul_f32_e32 v1, 0x4f7ffffe, v1
	v_cvt_u32_f32_e32 v1, v1
	v_readfirstlane_b32 s1, v1
	s_mul_i32 s0, s0, s1
	s_mul_hi_u32 s0, s1, s0
	s_add_i32 s1, s1, s0
	s_mul_hi_u32 s0, s48, s1
	s_mul_i32 s7, s0, s14
	s_sub_i32 s7, s48, s7
	s_add_i32 s1, s0, 1
	s_sub_i32 s12, s7, s14
	s_cmp_ge_u32 s7, s14
	s_cselect_b32 s0, s1, s0
	s_cselect_b32 s7, s12, s7
	s_add_i32 s1, s0, 1
	s_cmp_ge_u32 s7, s14
	s_cselect_b32 s50, s1, s0
.LBB30_13:
	s_load_dwordx4 s[28:31], s[4:5], 0x1d0
	s_waitcnt lgkmcnt(0)
	s_or_b64 s[0:1], s[50:51], s[28:29]
	s_mov_b32 s0, 0
	s_cmp_lg_u64 s[0:1], 0
	s_cbranch_scc0 .LBB30_16
; %bb.14:
	s_ashr_i32 s12, s29, 31
	s_add_u32 s0, s28, s12
	s_mov_b32 s13, s12
	s_addc_u32 s1, s29, s12
	s_xor_b64 s[14:15], s[0:1], s[12:13]
	v_cvt_f32_u32_e32 v1, s14
	v_cvt_f32_u32_e32 v2, s15
	s_sub_u32 s7, 0, s14
	s_subb_u32 s28, 0, s15
	s_mov_b64 s[0:1], 0
	v_madmk_f32 v1, v2, 0x4f800000, v1
	v_rcp_f32_e32 v1, v1
	v_mul_f32_e32 v1, 0x5f7ffffc, v1
	v_mul_f32_e32 v2, 0x2f800000, v1
	v_trunc_f32_e32 v2, v2
	v_madmk_f32 v1, v2, 0xcf800000, v1
	v_cvt_u32_f32_e32 v2, v2
	v_cvt_u32_f32_e32 v1, v1
	v_readfirstlane_b32 s29, v2
	v_readfirstlane_b32 s24, v1
	s_mul_i32 s25, s7, s29
	s_mul_hi_u32 s31, s7, s24
	s_mul_i32 s30, s28, s24
	s_add_i32 s25, s31, s25
	s_add_i32 s25, s25, s30
	s_mul_i32 s33, s7, s24
	s_mul_i32 s31, s24, s25
	s_mul_hi_u32 s34, s24, s33
	s_mul_hi_u32 s30, s24, s25
	s_add_u32 s31, s34, s31
	s_addc_u32 s30, 0, s30
	s_mul_hi_u32 s35, s29, s33
	s_mul_i32 s33, s29, s33
	s_add_u32 s31, s31, s33
	s_mul_hi_u32 s34, s29, s25
	s_addc_u32 s30, s30, s35
	s_addc_u32 s31, s34, 0
	s_mul_i32 s25, s29, s25
	s_add_u32 s25, s30, s25
	s_addc_u32 s30, 0, s31
	s_add_u32 s31, s24, s25
	s_cselect_b64 s[24:25], -1, 0
	s_cmp_lg_u64 s[24:25], 0
	s_addc_u32 s29, s29, s30
	s_mul_i32 s24, s7, s29
	s_mul_hi_u32 s25, s7, s31
	s_add_i32 s24, s25, s24
	s_mul_i32 s28, s28, s31
	s_add_i32 s24, s24, s28
	s_mul_i32 s7, s7, s31
	s_mul_hi_u32 s28, s29, s7
	s_mul_i32 s30, s29, s7
	s_mul_i32 s34, s31, s24
	s_mul_hi_u32 s7, s31, s7
	s_mul_hi_u32 s33, s31, s24
	s_add_u32 s7, s7, s34
	s_addc_u32 s33, 0, s33
	s_add_u32 s7, s7, s30
	s_mul_hi_u32 s25, s29, s24
	s_addc_u32 s7, s33, s28
	s_addc_u32 s25, s25, 0
	s_mul_i32 s24, s29, s24
	s_add_u32 s7, s7, s24
	s_addc_u32 s28, 0, s25
	s_add_u32 s7, s31, s7
	s_cselect_b64 s[24:25], -1, 0
	s_cmp_lg_u64 s[24:25], 0
	s_addc_u32 s30, s29, s28
	s_ashr_i32 s24, s51, 31
	s_add_u32 s28, s50, s24
	s_mov_b32 s25, s24
	s_addc_u32 s29, s51, s24
	s_xor_b64 s[28:29], s[28:29], s[24:25]
	s_mul_i32 s33, s28, s30
	s_mul_hi_u32 s34, s28, s7
	s_mul_hi_u32 s31, s28, s30
	s_add_u32 s33, s34, s33
	s_addc_u32 s31, 0, s31
	s_mul_hi_u32 s35, s29, s7
	s_mul_i32 s7, s29, s7
	s_add_u32 s7, s33, s7
	s_mul_hi_u32 s34, s29, s30
	s_addc_u32 s7, s31, s35
	s_addc_u32 s31, s34, 0
	s_mul_i32 s30, s29, s30
	s_add_u32 s7, s7, s30
	s_addc_u32 s33, 0, s31
	s_mul_i32 s30, s14, s33
	s_mul_hi_u32 s31, s14, s7
	s_add_i32 s30, s31, s30
	s_mul_i32 s31, s15, s7
	s_add_i32 s36, s30, s31
	s_sub_i32 s34, s29, s36
	s_mul_i32 s30, s14, s7
	s_sub_u32 s28, s28, s30
	s_cselect_b64 s[30:31], -1, 0
	s_cmp_lg_u64 s[30:31], 0
	s_subb_u32 s37, s34, s15
	s_sub_u32 s38, s28, s14
	s_cselect_b64 s[34:35], -1, 0
	s_cmp_lg_u64 s[34:35], 0
	s_subb_u32 s34, s37, 0
	s_cmp_ge_u32 s34, s15
	s_cselect_b32 s35, -1, 0
	s_cmp_ge_u32 s38, s14
	s_cselect_b32 s37, -1, 0
	s_cmp_eq_u32 s34, s15
	s_cselect_b32 s34, s37, s35
	s_add_u32 s35, s7, 1
	s_addc_u32 s37, s33, 0
	s_add_u32 s38, s7, 2
	s_addc_u32 s39, s33, 0
	s_cmp_lg_u32 s34, 0
	s_cselect_b32 s34, s38, s35
	s_cselect_b32 s35, s39, s37
	s_cmp_lg_u64 s[30:31], 0
	s_subb_u32 s29, s29, s36
	s_cmp_ge_u32 s29, s15
	s_cselect_b32 s30, -1, 0
	s_cmp_ge_u32 s28, s14
	s_cselect_b32 s14, -1, 0
	s_cmp_eq_u32 s29, s15
	s_cselect_b32 s14, s14, s30
	s_cmp_lg_u32 s14, 0
	s_cselect_b32 s15, s35, s33
	s_cselect_b32 s14, s34, s7
	s_xor_b64 s[12:13], s[24:25], s[12:13]
	s_xor_b64 s[14:15], s[14:15], s[12:13]
	s_sub_u32 s12, s14, s12
	s_subb_u32 s13, s15, s13
	v_writelane_b32 v56, s12, 8
	v_writelane_b32 v56, s13, 9
	s_branch .LBB30_17
.LBB30_15:
                                        ; implicit-def: $sgpr50_sgpr51
	s_branch .LBB30_12
.LBB30_16:
	s_mov_b64 s[0:1], -1
                                        ; implicit-def: $sgpr12_sgpr13
                                        ; kill: killed $sgpr12_sgpr13
.LBB30_17:
	s_load_dwordx4 s[12:15], s[4:5], 0x370
	s_andn2_b64 vcc, exec, s[0:1]
	s_waitcnt lgkmcnt(0)
	v_writelane_b32 v56, s12, 4
	v_writelane_b32 v56, s13, 5
	;; [unrolled: 1-line block ×4, first 2 shown]
	s_cbranch_vccnz .LBB30_19
; %bb.18:
	s_load_dwordx4 s[12:15], s[4:5], 0x1d0
	s_waitcnt lgkmcnt(0)
	s_mov_b64 s[30:31], s[14:15]
	s_mov_b64 s[28:29], s[12:13]
	v_cvt_f32_u32_e32 v1, s28
	s_sub_i32 s0, 0, s28
	s_mov_b32 s13, 0
	v_rcp_iflag_f32_e32 v1, v1
	v_mul_f32_e32 v1, 0x4f7ffffe, v1
	v_cvt_u32_f32_e32 v1, v1
	v_readfirstlane_b32 s1, v1
	s_mul_i32 s0, s0, s1
	s_mul_hi_u32 s0, s1, s0
	s_add_i32 s1, s1, s0
	s_mul_hi_u32 s0, s50, s1
	s_mul_i32 s7, s0, s28
	s_sub_i32 s7, s50, s7
	s_add_i32 s1, s0, 1
	s_sub_i32 s12, s7, s28
	s_cmp_ge_u32 s7, s28
	s_cselect_b32 s0, s1, s0
	s_cselect_b32 s7, s12, s7
	s_add_i32 s1, s0, 1
	s_cmp_ge_u32 s7, s28
	s_cselect_b32 s12, s1, s0
	v_writelane_b32 v56, s12, 8
	v_writelane_b32 v56, s13, 9
.LBB30_19:
	s_load_dwordx4 s[12:15], s[4:5], 0x370
	s_mov_b32 s0, 0
	s_waitcnt lgkmcnt(0)
	s_mov_b32 s1, s15
	s_cmp_lg_u64 s[0:1], 0
	s_cbranch_scc0 .LBB30_24
; %bb.20:
	s_ashr_i32 s0, s15, 31
	s_add_u32 s12, s14, s0
	s_mov_b32 s1, s0
	s_addc_u32 s13, s15, s0
	s_xor_b64 s[14:15], s[12:13], s[0:1]
	v_cvt_f32_u32_e32 v1, s14
	v_cvt_f32_u32_e32 v2, s15
	s_sub_u32 s7, 0, s14
	s_subb_u32 s28, 0, s15
	v_madmk_f32 v1, v2, 0x4f800000, v1
	v_rcp_f32_e32 v1, v1
	v_mul_f32_e32 v1, 0x5f7ffffc, v1
	v_mul_f32_e32 v2, 0x2f800000, v1
	v_trunc_f32_e32 v2, v2
	v_madmk_f32 v1, v2, 0xcf800000, v1
	v_cvt_u32_f32_e32 v2, v2
	v_cvt_u32_f32_e32 v1, v1
	v_readfirstlane_b32 s29, v2
	v_readfirstlane_b32 s24, v1
	s_mul_i32 s25, s7, s29
	s_mul_hi_u32 s31, s7, s24
	s_mul_i32 s30, s28, s24
	s_add_i32 s25, s31, s25
	s_add_i32 s25, s25, s30
	s_mul_i32 s33, s7, s24
	s_mul_i32 s31, s24, s25
	s_mul_hi_u32 s34, s24, s33
	s_mul_hi_u32 s30, s24, s25
	s_add_u32 s31, s34, s31
	s_addc_u32 s30, 0, s30
	s_mul_hi_u32 s35, s29, s33
	s_mul_i32 s33, s29, s33
	s_add_u32 s31, s31, s33
	s_mul_hi_u32 s34, s29, s25
	s_addc_u32 s30, s30, s35
	s_addc_u32 s31, s34, 0
	s_mul_i32 s25, s29, s25
	s_add_u32 s25, s30, s25
	s_addc_u32 s30, 0, s31
	s_add_u32 s31, s24, s25
	s_cselect_b64 s[24:25], -1, 0
	s_cmp_lg_u64 s[24:25], 0
	s_addc_u32 s29, s29, s30
	s_mul_i32 s24, s7, s29
	s_mul_hi_u32 s25, s7, s31
	s_add_i32 s24, s25, s24
	s_mul_i32 s28, s28, s31
	s_add_i32 s24, s24, s28
	s_mul_i32 s7, s7, s31
	s_mul_hi_u32 s28, s29, s7
	s_mul_i32 s30, s29, s7
	s_mul_i32 s34, s31, s24
	s_mul_hi_u32 s7, s31, s7
	s_mul_hi_u32 s33, s31, s24
	s_add_u32 s7, s7, s34
	s_addc_u32 s33, 0, s33
	s_add_u32 s7, s7, s30
	s_mul_hi_u32 s25, s29, s24
	s_addc_u32 s7, s33, s28
	s_addc_u32 s25, s25, 0
	s_mul_i32 s24, s29, s24
	s_add_u32 s7, s7, s24
	s_addc_u32 s28, 0, s25
	s_add_u32 s7, s31, s7
	s_cselect_b64 s[24:25], -1, 0
	s_cmp_lg_u64 s[24:25], 0
	s_addc_u32 s28, s29, s28
	s_add_u32 s24, s48, 0
	s_addc_u32 s25, 0, 0
	s_xor_b64 s[24:25], s[24:25], 0
	s_mul_i32 s30, s24, s28
	s_mul_hi_u32 s31, s24, s7
	s_mul_hi_u32 s29, s24, s28
	s_add_u32 s30, s31, s30
	s_addc_u32 s29, 0, s29
	s_mul_hi_u32 s33, s25, s7
	s_mul_i32 s7, s25, s7
	s_add_u32 s7, s30, s7
	s_mul_hi_u32 s31, s25, s28
	s_addc_u32 s7, s29, s33
	s_addc_u32 s29, s31, 0
	s_mul_i32 s28, s25, s28
	s_add_u32 s7, s7, s28
	s_addc_u32 s33, 0, s29
	s_mul_i32 s28, s14, s33
	s_mul_hi_u32 s29, s14, s7
	s_add_i32 s28, s29, s28
	s_mul_i32 s29, s15, s7
	s_add_i32 s34, s28, s29
	s_sub_i32 s30, s25, s34
	s_mul_i32 s28, s14, s7
	s_sub_u32 s24, s24, s28
	s_cselect_b64 s[28:29], -1, 0
	s_cmp_lg_u64 s[28:29], 0
	s_subb_u32 s35, s30, s15
	s_sub_u32 s36, s24, s14
	s_cselect_b64 s[30:31], -1, 0
	s_cmp_lg_u64 s[30:31], 0
	s_subb_u32 s30, s35, 0
	s_cmp_ge_u32 s30, s15
	s_cselect_b32 s31, -1, 0
	s_cmp_ge_u32 s36, s14
	s_cselect_b32 s35, -1, 0
	s_cmp_eq_u32 s30, s15
	s_cselect_b32 s30, s35, s31
	s_add_u32 s31, s7, 1
	s_addc_u32 s35, s33, 0
	s_add_u32 s36, s7, 2
	s_addc_u32 s37, s33, 0
	s_cmp_lg_u32 s30, 0
	s_cselect_b32 s30, s36, s31
	s_cselect_b32 s31, s37, s35
	s_cmp_lg_u64 s[28:29], 0
	s_subb_u32 s25, s25, s34
	s_cmp_ge_u32 s25, s15
	s_cselect_b32 s28, -1, 0
	s_cmp_ge_u32 s24, s14
	s_cselect_b32 s14, -1, 0
	s_cmp_eq_u32 s25, s15
	s_cselect_b32 s14, s14, s28
	s_cmp_lg_u32 s14, 0
	s_cselect_b32 s15, s31, s33
	s_cselect_b32 s14, s30, s7
	s_xor_b64 s[0:1], 0, s[0:1]
	s_xor_b64 s[14:15], s[14:15], s[0:1]
	s_sub_u32 s38, s14, s0
	s_subb_u32 s39, s15, s1
	s_cbranch_execnz .LBB30_22
.LBB30_21:
	s_load_dwordx4 s[12:15], s[4:5], 0x370
	s_mov_b32 s39, 0
	s_waitcnt lgkmcnt(0)
	v_cvt_f32_u32_e32 v1, s14
	s_sub_i32 s0, 0, s14
	v_rcp_iflag_f32_e32 v1, v1
	v_mul_f32_e32 v1, 0x4f7ffffe, v1
	v_cvt_u32_f32_e32 v1, v1
	v_readfirstlane_b32 s1, v1
	s_mul_i32 s0, s0, s1
	s_mul_hi_u32 s0, s1, s0
	s_add_i32 s1, s1, s0
	s_mul_hi_u32 s0, s48, s1
	s_mul_i32 s7, s0, s14
	s_sub_i32 s7, s48, s7
	s_add_i32 s1, s0, 1
	s_sub_i32 s12, s7, s14
	s_cmp_ge_u32 s7, s14
	s_cselect_b32 s0, s1, s0
	s_cselect_b32 s7, s12, s7
	s_add_i32 s1, s0, 1
	s_cmp_ge_u32 s7, s14
	s_cselect_b32 s38, s1, s0
.LBB30_22:
	s_load_dwordx2 s[24:25], s[4:5], 0xe0
	s_load_dwordx4 s[12:15], s[4:5], 0xd0
	s_load_dwordx4 s[28:31], s[4:5], 0x370
	s_waitcnt lgkmcnt(0)
	s_or_b64 s[0:1], s[38:39], s[28:29]
	s_mov_b32 s0, 0
	s_cmp_lg_u64 s[0:1], 0
	v_writelane_b32 v56, s38, 10
	v_writelane_b32 v56, s39, 11
	s_cbranch_scc0 .LBB30_25
; %bb.23:
	s_ashr_i32 s42, s29, 31
	s_add_u32 s0, s28, s42
	s_mov_b32 s43, s42
	s_addc_u32 s1, s29, s42
	s_xor_b64 s[44:45], s[0:1], s[42:43]
	v_cvt_f32_u32_e32 v1, s44
	v_cvt_f32_u32_e32 v2, s45
	s_sub_u32 s7, 0, s44
	s_subb_u32 s30, 0, s45
	s_mov_b64 s[0:1], 0
	v_madmk_f32 v1, v2, 0x4f800000, v1
	v_rcp_f32_e32 v1, v1
	v_mul_f32_e32 v1, 0x5f7ffffc, v1
	v_mul_f32_e32 v2, 0x2f800000, v1
	v_trunc_f32_e32 v2, v2
	v_madmk_f32 v1, v2, 0xcf800000, v1
	v_cvt_u32_f32_e32 v2, v2
	v_cvt_u32_f32_e32 v1, v1
	v_readfirstlane_b32 s31, v2
	v_readfirstlane_b32 s28, v1
	s_mul_i32 s29, s7, s31
	s_mul_hi_u32 s34, s7, s28
	s_mul_i32 s33, s30, s28
	s_add_i32 s29, s34, s29
	s_add_i32 s29, s29, s33
	s_mul_i32 s35, s7, s28
	s_mul_i32 s34, s28, s29
	s_mul_hi_u32 s36, s28, s35
	s_mul_hi_u32 s33, s28, s29
	s_add_u32 s34, s36, s34
	s_addc_u32 s33, 0, s33
	s_mul_hi_u32 s37, s31, s35
	s_mul_i32 s35, s31, s35
	s_add_u32 s34, s34, s35
	s_mul_hi_u32 s36, s31, s29
	s_addc_u32 s33, s33, s37
	s_addc_u32 s34, s36, 0
	s_mul_i32 s29, s31, s29
	s_add_u32 s29, s33, s29
	s_addc_u32 s33, 0, s34
	s_add_u32 s34, s28, s29
	s_cselect_b64 s[28:29], -1, 0
	s_cmp_lg_u64 s[28:29], 0
	s_addc_u32 s31, s31, s33
	s_mul_i32 s28, s7, s31
	s_mul_hi_u32 s29, s7, s34
	s_add_i32 s28, s29, s28
	s_mul_i32 s30, s30, s34
	s_add_i32 s28, s28, s30
	s_mul_i32 s7, s7, s34
	s_mul_hi_u32 s30, s31, s7
	s_mul_i32 s33, s31, s7
	s_mul_i32 s36, s34, s28
	s_mul_hi_u32 s7, s34, s7
	s_mul_hi_u32 s35, s34, s28
	s_add_u32 s7, s7, s36
	s_addc_u32 s35, 0, s35
	s_add_u32 s7, s7, s33
	s_mul_hi_u32 s29, s31, s28
	s_addc_u32 s7, s35, s30
	s_addc_u32 s29, s29, 0
	s_mul_i32 s28, s31, s28
	s_add_u32 s7, s7, s28
	s_addc_u32 s30, 0, s29
	s_add_u32 s7, s34, s7
	s_cselect_b64 s[28:29], -1, 0
	s_cmp_lg_u64 s[28:29], 0
	s_addc_u32 s33, s31, s30
	s_ashr_i32 s28, s39, 31
	s_add_u32 s30, s38, s28
	s_mov_b32 s29, s28
	s_addc_u32 s31, s39, s28
	s_xor_b64 s[30:31], s[30:31], s[28:29]
	s_mul_i32 s35, s30, s33
	s_mul_hi_u32 s36, s30, s7
	s_mul_hi_u32 s34, s30, s33
	s_add_u32 s35, s36, s35
	s_addc_u32 s34, 0, s34
	s_mul_hi_u32 s37, s31, s7
	s_mul_i32 s7, s31, s7
	s_add_u32 s7, s35, s7
	s_mul_hi_u32 s36, s31, s33
	s_addc_u32 s7, s34, s37
	s_addc_u32 s34, s36, 0
	s_mul_i32 s33, s31, s33
	s_add_u32 s7, s7, s33
	s_addc_u32 s33, 0, s34
	s_mul_i32 s34, s44, s33
	s_mul_hi_u32 s35, s44, s7
	s_add_i32 s34, s35, s34
	s_mul_i32 s35, s45, s7
	s_add_i32 s38, s34, s35
	s_sub_i32 s36, s31, s38
	s_mul_i32 s34, s44, s7
	s_sub_u32 s30, s30, s34
	s_cselect_b64 s[34:35], -1, 0
	s_cmp_lg_u64 s[34:35], 0
	s_subb_u32 s39, s36, s45
	s_sub_u32 s41, s30, s44
	s_cselect_b64 s[36:37], -1, 0
	s_cmp_lg_u64 s[36:37], 0
	s_subb_u32 s36, s39, 0
	s_cmp_ge_u32 s36, s45
	s_cselect_b32 s37, -1, 0
	s_cmp_ge_u32 s41, s44
	s_cselect_b32 s39, -1, 0
	s_cmp_eq_u32 s36, s45
	s_cselect_b32 s36, s39, s37
	s_add_u32 s37, s7, 1
	s_addc_u32 s39, s33, 0
	s_add_u32 s41, s7, 2
	s_addc_u32 s46, s33, 0
	s_cmp_lg_u32 s36, 0
	s_cselect_b32 s36, s41, s37
	s_cselect_b32 s37, s46, s39
	s_cmp_lg_u64 s[34:35], 0
	s_subb_u32 s31, s31, s38
	s_cmp_ge_u32 s31, s45
	s_cselect_b32 s34, -1, 0
	s_cmp_ge_u32 s30, s44
	s_cselect_b32 s30, -1, 0
	s_cmp_eq_u32 s31, s45
	s_cselect_b32 s30, s30, s34
	s_cmp_lg_u32 s30, 0
	s_cselect_b32 s31, s37, s33
	s_cselect_b32 s30, s36, s7
	s_xor_b64 s[28:29], s[28:29], s[42:43]
	s_xor_b64 s[30:31], s[30:31], s[28:29]
	s_sub_u32 s28, s30, s28
	s_subb_u32 s29, s31, s29
	v_writelane_b32 v56, s28, 24
	v_writelane_b32 v56, s29, 25
	s_branch .LBB30_26
.LBB30_24:
                                        ; implicit-def: $sgpr38_sgpr39
	s_branch .LBB30_21
.LBB30_25:
	s_mov_b64 s[0:1], -1
                                        ; implicit-def: $sgpr28_sgpr29
                                        ; kill: killed $sgpr28_sgpr29
.LBB30_26:
	s_load_dwordx2 s[28:29], s[4:5], 0x440
	s_andn2_b64 vcc, exec, s[0:1]
	s_load_dwordx2 s[42:43], s[4:5], 0x0
	s_waitcnt lgkmcnt(0)
	v_writelane_b32 v56, s28, 12
	v_writelane_b32 v56, s29, 13
	s_load_dwordx4 s[28:31], s[4:5], 0x430
	s_waitcnt lgkmcnt(0)
	v_writelane_b32 v56, s28, 14
	v_writelane_b32 v56, s29, 15
	;; [unrolled: 1-line block ×4, first 2 shown]
	s_load_dwordx2 s[28:29], s[4:5], 0x2a0
	s_waitcnt lgkmcnt(0)
	v_writelane_b32 v56, s28, 18
	v_writelane_b32 v56, s29, 19
	s_load_dwordx4 s[28:31], s[4:5], 0x290
	s_waitcnt lgkmcnt(0)
	v_writelane_b32 v56, s28, 20
	v_writelane_b32 v56, s29, 21
	v_writelane_b32 v56, s30, 22
	v_writelane_b32 v56, s31, 23
	s_cbranch_vccnz .LBB30_28
; %bb.27:
	s_load_dwordx4 s[28:31], s[4:5], 0x370
	s_waitcnt lgkmcnt(0)
	s_mov_b64 s[38:39], s[30:31]
	s_mov_b64 s[36:37], s[28:29]
	v_cvt_f32_u32_e32 v1, s36
	s_sub_i32 s0, 0, s36
	v_readlane_b32 s28, v56, 10
	s_mov_b32 s31, 0
	v_rcp_iflag_f32_e32 v1, v1
	v_readlane_b32 s29, v56, 11
	v_mul_f32_e32 v1, 0x4f7ffffe, v1
	v_cvt_u32_f32_e32 v1, v1
	v_readfirstlane_b32 s1, v1
	s_mul_i32 s0, s0, s1
	s_mul_hi_u32 s0, s1, s0
	s_add_i32 s1, s1, s0
	s_mul_hi_u32 s0, s28, s1
	s_mul_i32 s7, s0, s36
	s_sub_i32 s7, s28, s7
	s_add_i32 s1, s0, 1
	s_sub_i32 s28, s7, s36
	s_cmp_ge_u32 s7, s36
	s_cselect_b32 s0, s1, s0
	s_cselect_b32 s7, s28, s7
	s_add_i32 s1, s0, 1
	s_cmp_ge_u32 s7, s36
	s_cselect_b32 s30, s1, s0
	v_writelane_b32 v56, s30, 24
	v_writelane_b32 v56, s31, 25
.LBB30_28:
	s_load_dwordx2 s[0:1], s[4:5], 0x360
	s_mov_b32 s63, 0
	s_waitcnt lgkmcnt(0)
	v_writelane_b32 v56, s0, 26
	v_writelane_b32 v56, s1, 27
	s_load_dwordx2 s[0:1], s[4:5], 0x1c0
	s_waitcnt lgkmcnt(0)
	v_writelane_b32 v56, s0, 28
	v_writelane_b32 v56, s1, 29
	v_cmp_eq_u32_e64 s[0:1], 0, v0
	s_mov_b64 s[4:5], exec
	v_writelane_b32 v56, s0, 30
	v_writelane_b32 v56, s1, 31
	s_and_b64 s[0:1], s[4:5], s[0:1]
	s_mov_b64 exec, s[0:1]
	s_cbranch_execz .LBB30_30
; %bb.29:
	v_mov_b32_e32 v1, 0
	v_mov_b32_e32 v3, s20
	;; [unrolled: 1-line block ×4, first 2 shown]
	ds_write_b32 v1, v1 offset:5136
	ds_write_b128 v1, v[1:4] offset:5120
.LBB30_30:
	s_or_b64 exec, exec, s[4:5]
	s_mul_i32 s0, s18, s9
	s_mul_hi_u32 s1, s18, s8
	s_add_i32 s0, s1, s0
	s_mul_i32 s1, s19, s8
	s_add_i32 s0, s0, s1
	s_mul_i32 s1, s18, s8
	s_sub_u32 s4, s2, s1
	s_subb_u32 s0, s3, s0
	s_mul_i32 s1, s4, s15
	s_mul_hi_u32 s5, s4, s14
	s_add_i32 s1, s5, s1
	s_mul_i32 s0, s0, s14
	s_add_i32 s1, s1, s0
	s_mul_i32 s0, s4, s14
	s_mul_i32 s4, s18, s13
	s_mul_hi_u32 s5, s18, s12
	s_mul_i32 s7, s2, s11
	s_mul_hi_u32 s8, s2, s10
	s_add_i32 s4, s5, s4
	s_mul_i32 s5, s19, s12
	s_add_i32 s7, s8, s7
	s_mul_i32 s3, s3, s10
	s_add_i32 s5, s4, s5
	s_add_i32 s7, s7, s3
	s_mul_i32 s2, s2, s10
	s_mov_b32 s8, s48
	v_writelane_b32 v56, s8, 32
	s_sub_u32 s2, s48, s2
	v_writelane_b32 v56, s9, 33
	s_subb_u32 s3, 0, s7
	s_mul_i32 s7, s2, s25
	s_mul_hi_u32 s8, s2, s24
	s_mul_i32 s4, s18, s12
	s_add_i32 s7, s8, s7
	s_mul_i32 s3, s3, s24
	s_add_i32 s3, s7, s3
	s_lshl_b64 s[8:9], s[4:5], 3
	s_add_u32 s4, s42, s8
	s_addc_u32 s5, s43, s9
	s_lshl_b64 s[10:11], s[0:1], 3
	s_mul_i32 s2, s2, s24
	s_add_u32 s0, s4, s10
	s_addc_u32 s1, s5, s11
	s_lshl_b64 s[12:13], s[2:3], 3
	s_add_u32 s66, s0, s12
	s_addc_u32 s67, s1, s13
	v_mad_u64_u32 v[2:3], s[0:1], s26, v0, 0
	v_mbcnt_lo_u32_b32 v1, -1, 0
	v_mbcnt_hi_u32_b32 v41, -1, v1
	v_mov_b32_e32 v4, 0x180
	v_mov_b32_e32 v1, v3
	;; [unrolled: 1-line block ×3, first 2 shown]
	v_mad_u64_u32 v[6:7], s[0:1], s27, v0, v[1:2]
	v_cmp_gt_i64_e64 s[0:1], s[20:21], v[4:5]
	v_mov_b32_e32 v18, 0
	v_mov_b32_e32 v1, v18
	v_writelane_b32 v56, s0, 34
	v_writelane_b32 v56, s1, 35
	v_cmp_gt_u64_e64 s[0:1], s[20:21], v[0:1]
	s_waitcnt lgkmcnt(0)
	v_writelane_b32 v56, s0, 36
	v_writelane_b32 v56, s1, 37
	v_cmp_gt_i64_e64 s[0:1], s[20:21], v[0:1]
	s_barrier
	v_writelane_b32 v56, s0, 38
	v_writelane_b32 v56, s1, 39
	s_load_dword s0, s[16:17], 0xc
	v_cmp_gt_u32_e32 vcc, 64, v0
	v_cmp_gt_i32_e64 s[2:3], 4, v41
	s_and_b64 s[68:69], vcc, s[2:3]
	v_mov_b32_e32 v3, v6
	s_waitcnt lgkmcnt(0)
	s_and_b32 s33, s0, 0xffff
	s_bfe_u32 s1, s0, 0xa0006
	s_cmp_gt_u32 s33, 63
	s_cselect_b64 s[2:3], -1, 0
	s_add_u32 s71, s33, -1
	s_addc_u32 s81, 0, -1
	s_add_u32 s0, s71, s20
	s_addc_u32 s73, s81, s21
	v_writelane_b32 v56, s2, 40
	s_cmp_lt_u32 s6, s40
	v_writelane_b32 v56, s3, 41
	s_cselect_b32 s2, 12, 18
	s_add_u32 s74, s16, s2
	s_addc_u32 s75, s17, 0
	s_add_i32 s2, s1, -1
	s_bfe_u32 s80, s33, 0x30006
	s_and_b32 s2, s2, 0xffff
	s_cmp_gt_u32 s2, 6
	s_cselect_b64 s[2:3], -1, 0
	s_and_b32 s1, s1, 0x3f8
	v_writelane_b32 v56, s2, 42
	s_cmp_lg_u32 s80, 0
	v_writelane_b32 v56, s3, 43
	s_cselect_b64 s[2:3], -1, 0
	v_lshlrev_b64 v[4:5], 3, v[2:3]
	v_writelane_b32 v56, s2, 44
	v_writelane_b32 v56, s3, 45
	s_add_u32 s2, s8, s12
	v_mov_b32_e32 v6, s67
	v_add_co_u32_e32 v19, vcc, s66, v4
	s_addc_u32 s3, s9, s13
	v_addc_co_u32_e32 v20, vcc, v6, v5, vcc
	v_lshlrev_b64 v[6:7], v41, -1
	s_add_u32 s2, s2, s10
	s_addc_u32 s3, s3, s11
	v_lshlrev_b32_e32 v44, 5, v0
	v_not_b32_e32 v42, v7
	s_add_u32 s6, s42, s2
	v_or_b32_e32 v7, 24, v44
	s_addc_u32 s7, s43, s3
	v_mad_u64_u32 v[23:24], s[2:3], s26, v7, 0
	v_or_b32_e32 v8, 16, v44
	v_mad_u64_u32 v[25:26], s[2:3], s26, v8, 0
	v_not_b32_e32 v43, v6
	v_mov_b32_e32 v6, v24
	v_mad_u64_u32 v[6:7], s[2:3], s27, v7, v[6:7]
	v_mov_b32_e32 v7, v26
	v_mad_u64_u32 v[7:8], s[2:3], s27, v8, v[7:8]
	v_mov_b32_e32 v8, s7
	v_writelane_b32 v56, s6, 46
	v_add_co_u32_e32 v15, vcc, s6, v4
	v_addc_co_u32_e32 v16, vcc, v8, v5, vcc
	v_or_b32_e32 v5, 8, v44
	v_mad_u64_u32 v[26:27], s[2:3], s26, v5, 0
	v_add_co_u32_e32 v49, vcc, s20, v0
	v_mov_b32_e32 v4, v27
	v_mad_u64_u32 v[4:5], s[2:3], s27, v5, v[4:5]
	v_lshrrev_b32_e32 v5, 1, v0
	v_and_b32_e32 v5, 0x1e0, v5
	v_lshlrev_b64 v[27:28], 5, v[2:3]
	v_mov_b32_e32 v2, s21
	s_mul_i32 s2, s27, s33
	s_mul_hi_u32 s3, s26, s33
	v_lshlrev_b32_e32 v9, 2, v41
	v_writelane_b32 v56, s7, 47
	v_mov_b32_e32 v45, v6
	v_or_b32_e32 v47, 0xc00, v5
	v_addc_co_u32_e32 v50, vcc, 0, v2, vcc
	v_mov_b32_e32 v2, 0xc00
	s_add_i32 s3, s3, s2
	s_mul_i32 s2, s26, s33
	v_lshlrev_b32_e32 v52, 3, v0
	v_mov_b32_e32 v34, s23
	v_mov_b32_e32 v29, 0
	;; [unrolled: 1-line block ×4, first 2 shown]
	v_cmp_eq_u32_e64 s[4:5], 0, v41
	v_cmp_gt_u32_e64 s[18:19], 2, v0
	v_lshlrev_b32_e32 v21, 2, v0
	v_mov_b32_e32 v22, v18
	v_and_b32_e32 v24, 0x100, v9
	v_mov_b32_e32 v46, v7
	s_lshl_b64 s[82:83], s[26:27], 3
	s_lshl_b64 s[84:85], s[26:27], 5
	v_mov_b32_e32 v48, v4
	v_lshl_or_b32 v51, v41, 3, v2
	s_lshl_b64 s[64:65], s[2:3], 3
	s_lshl_b32 s8, s33, 3
	s_mov_b32 s9, 62
	s_mov_b64 s[86:87], 0
	s_mov_b32 s70, 0
	v_add_u32_e32 v53, 0xc00, v52
	v_mov_b32_e32 v33, s22
	v_mov_b32_e32 v30, 0
	;; [unrolled: 1-line block ×5, first 2 shown]
	v_writelane_b32 v56, s50, 48
                                        ; implicit-def: $sgpr88_sgpr89
                                        ; implicit-def: $sgpr92_sgpr93
                                        ; implicit-def: $sgpr90_sgpr91
                                        ; implicit-def: $sgpr56_sgpr57
                                        ; implicit-def: $sgpr58_sgpr59
                                        ; implicit-def: $sgpr94_sgpr95
	v_writelane_b32 v56, s51, 49
	s_branch .LBB30_34
.LBB30_31:                              ;   in Loop: Header=BB30_34 Depth=1
	s_or_b64 exec, exec, s[14:15]
	s_and_b64 s[10:11], s[10:11], exec
	s_andn2_b64 s[42:43], s[42:43], exec
	s_andn2_b64 s[6:7], s[6:7], exec
	s_orn2_b64 s[22:23], s[12:13], exec
.LBB30_32:                              ;   in Loop: Header=BB30_34 Depth=1
	s_or_b64 exec, exec, s[2:3]
	s_andn2_b64 s[2:3], s[94:95], exec
	s_and_b64 s[10:11], s[10:11], exec
	s_or_b64 s[94:95], s[2:3], s[10:11]
	s_andn2_b64 s[2:3], s[58:59], exec
	s_and_b64 s[10:11], s[42:43], exec
	s_or_b64 s[58:59], s[2:3], s[10:11]
	;; [unrolled: 3-line block ×3, first 2 shown]
	s_orn2_b64 s[6:7], s[22:23], exec
.LBB30_33:                              ;   in Loop: Header=BB30_34 Depth=1
	s_or_b64 exec, exec, s[16:17]
	s_and_b64 s[2:3], exec, s[6:7]
	s_or_b64 s[86:87], s[2:3], s[86:87]
	s_andn2_b64 s[2:3], s[90:91], exec
	s_and_b64 s[6:7], s[94:95], exec
	s_or_b64 s[90:91], s[2:3], s[6:7]
	s_andn2_b64 s[2:3], s[92:93], exec
	s_and_b64 s[6:7], s[58:59], exec
	;; [unrolled: 3-line block ×3, first 2 shown]
	v_mov_b32_e32 v34, v12
	s_or_b64 s[88:89], s[2:3], s[6:7]
	v_mov_b32_e32 v33, v11
	s_andn2_b64 exec, exec, s[86:87]
	s_cbranch_execz .LBB30_292
.LBB30_34:                              ; =>This Loop Header: Depth=1
                                        ;     Child Loop BB30_40 Depth 2
                                        ;     Child Loop BB30_53 Depth 2
                                        ;     Child Loop BB30_87 Depth 2
                                        ;     Child Loop BB30_91 Depth 2
                                        ;     Child Loop BB30_76 Depth 2
                                        ;     Child Loop BB30_81 Depth 2
                                        ;     Child Loop BB30_69 Depth 2
                                        ;     Child Loop BB30_101 Depth 2
                                        ;     Child Loop BB30_114 Depth 2
                                        ;     Child Loop BB30_128 Depth 2
                                        ;     Child Loop BB30_157 Depth 2
                                        ;     Child Loop BB30_173 Depth 2
                                        ;     Child Loop BB30_203 Depth 2
                                        ;     Child Loop BB30_219 Depth 2
                                        ;     Child Loop BB30_248 Depth 2
                                        ;     Child Loop BB30_264 Depth 2
	ds_read_b128 v[7:10], v18 offset:5120
	s_waitcnt lgkmcnt(0)
	v_readfirstlane_b32 s23, v8
	v_readfirstlane_b32 s22, v7
	v_cmp_gt_i64_e64 s[2:3], s[22:23], 0
	s_and_b64 vcc, exec, s[2:3]
	s_cbranch_vccnz .LBB30_61
; %bb.35:                               ;   in Loop: Header=BB30_34 Depth=1
	v_readlane_b32 s2, v56, 34
	v_readlane_b32 s3, v56, 35
	s_and_b64 vcc, exec, s[2:3]
	s_cbranch_vccz .LBB30_48
; %bb.36:                               ;   in Loop: Header=BB30_34 Depth=1
	s_mov_b64 s[2:3], 0x181
	v_cmp_gt_i64_e32 vcc, s[2:3], v[9:10]
	s_mov_b64 s[2:3], 0
	s_mov_b64 s[6:7], 0
	s_cbranch_vccz .LBB30_49
; %bb.37:                               ;   in Loop: Header=BB30_34 Depth=1
	s_mov_b64 s[10:11], exec
	v_readlane_b32 s6, v56, 36
	v_readlane_b32 s7, v56, 37
	s_and_b64 s[6:7], s[10:11], s[6:7]
	s_mov_b64 exec, s[6:7]
	s_cbranch_execz .LBB30_95
; %bb.38:                               ;   in Loop: Header=BB30_34 Depth=1
	global_load_ushort v13, v18, s[74:75]
	global_load_dwordx2 v[7:8], v[19:20], off
	v_readlane_b32 s6, v56, 46
	v_readlane_b32 s7, v56, 47
	v_mov_b32_e32 v3, s6
	v_mov_b32_e32 v4, s7
	s_mov_b64 s[14:15], 0
	s_waitcnt vmcnt(1)
	v_readfirstlane_b32 s6, v13
	s_and_b32 s12, 0xffff, s6
	v_add_u32_e32 v9, s12, v0
	v_mad_u64_u32 v[3:4], s[6:7], s82, v9, v[3:4]
	s_mul_i32 s13, s83, s12
	s_mul_i32 s23, s82, s12
	v_mad_u64_u32 v[9:10], s[6:7], s83, v9, v[4:5]
	s_mul_hi_u32 s6, s82, s12
	s_add_i32 s30, s6, s13
	v_mov_b32_e32 v4, v9
	v_mov_b32_e32 v10, v1
	;; [unrolled: 1-line block ×3, first 2 shown]
	s_branch .LBB30_40
.LBB30_39:                              ;   in Loop: Header=BB30_40 Depth=2
	s_or_b64 exec, exec, s[6:7]
	v_mov_b32_e32 v7, s30
	v_add_co_u32_e32 v3, vcc, s23, v3
	v_addc_co_u32_e32 v4, vcc, v4, v7, vcc
	v_mov_b32_e32 v7, v11
	v_mov_b32_e32 v8, v12
	s_andn2_b64 exec, exec, s[14:15]
	s_cbranch_execz .LBB30_95
.LBB30_40:                              ;   Parent Loop BB30_34 Depth=1
                                        ; =>  This Inner Loop Header: Depth=2
	v_add_co_u32_sdwa v9, vcc, v9, v13 dst_sel:DWORD dst_unused:UNUSED_PAD src0_sel:DWORD src1_sel:WORD_0
	v_addc_co_u32_e32 v10, vcc, 0, v10, vcc
	v_cmp_gt_i64_e64 s[6:7], s[20:21], v[9:10]
	v_cmp_le_i64_e32 vcc, s[20:21], v[9:10]
	v_mov_b32_e32 v11, 0
	v_mov_b32_e32 v12, 0
	s_and_saveexec_b64 s[12:13], s[6:7]
	s_cbranch_execz .LBB30_42
; %bb.41:                               ;   in Loop: Header=BB30_40 Depth=2
	global_load_dwordx2 v[11:12], v[3:4], off
.LBB30_42:                              ;   in Loop: Header=BB30_40 Depth=2
	s_or_b64 exec, exec, s[12:13]
	s_waitcnt vmcnt(0) lgkmcnt(0)
	v_xor_b32_e32 v14, 0x80000000, v8
	v_and_b32_e32 v36, v14, v32
	v_and_b32_e32 v35, v7, v31
	v_cmp_eq_u64_e64 s[12:13], v[35:36], v[29:30]
	v_mov_b32_e32 v14, 0
	s_cmp_lg_u64 s[12:13], 0
	s_cselect_b64 s[6:7], -1, 0
	s_and_b64 s[6:7], s[4:5], s[6:7]
	s_and_saveexec_b64 s[16:17], s[6:7]
	s_cbranch_execz .LBB30_46
; %bb.43:                               ;   in Loop: Header=BB30_40 Depth=2
	s_mov_b64 s[28:29], exec
	v_mbcnt_lo_u32_b32 v14, s28, 0
	v_mbcnt_hi_u32_b32 v14, s29, v14
	s_bcnt1_i32_b64 s31, s[12:13]
	v_cmp_eq_u32_e64 s[6:7], 0, v14
                                        ; implicit-def: $vgpr17
	s_and_saveexec_b64 s[24:25], s[6:7]
; %bb.44:                               ;   in Loop: Header=BB30_40 Depth=2
	s_bcnt1_i32_b64 s6, s[28:29]
	s_mul_i32 s6, s31, s6
	v_mov_b32_e32 v17, s6
	ds_add_rtn_u32 v17, v18, v17 offset:5136
; %bb.45:                               ;   in Loop: Header=BB30_40 Depth=2
	s_or_b64 exec, exec, s[24:25]
	s_waitcnt lgkmcnt(0)
	v_readfirstlane_b32 s6, v17
	v_mov_b32_e32 v17, s6
	v_mad_u32_u24 v14, s31, v14, v17
.LBB30_46:                              ;   in Loop: Header=BB30_40 Depth=2
	s_or_b64 exec, exec, s[16:17]
	ds_bpermute_b32 v14, v24, v14
	s_and_b64 s[6:7], exec, vcc
	s_or_b64 s[14:15], s[6:7], s[14:15]
	s_and_saveexec_b64 s[6:7], s[12:13]
	s_cbranch_execz .LBB30_39
; %bb.47:                               ;   in Loop: Header=BB30_40 Depth=2
	v_and_b32_e32 v35, s12, v43
	v_and_b32_e32 v17, s13, v42
	v_bcnt_u32_b32 v35, v35, 0
	v_bcnt_u32_b32 v17, v17, v35
	v_lshlrev_b32_e32 v17, 3, v17
	s_waitcnt lgkmcnt(0)
	v_lshl_add_u32 v14, v14, 3, v17
	ds_write_b64 v14, v[7:8]
	s_branch .LBB30_39
.LBB30_48:                              ;   in Loop: Header=BB30_34 Depth=1
	s_mov_b64 s[2:3], -1
	s_mov_b64 s[6:7], 0
.LBB30_49:                              ;   in Loop: Header=BB30_34 Depth=1
	s_and_b64 vcc, exec, s[2:3]
	s_cbranch_vccz .LBB30_59
.LBB30_50:                              ;   in Loop: Header=BB30_34 Depth=1
	s_mov_b64 s[2:3], exec
	v_readlane_b32 s6, v56, 38
	v_readlane_b32 s7, v56, 39
	s_and_b64 s[6:7], s[2:3], s[6:7]
	s_mov_b64 exec, s[6:7]
	s_cbranch_execz .LBB30_56
; %bb.51:                               ;   in Loop: Header=BB30_34 Depth=1
	global_load_ushort v7, v18, s[74:75]
	global_load_dwordx2 v[3:4], v[19:20], off
	s_waitcnt vmcnt(1)
	v_add_u32_sdwa v17, v7, v0 dst_sel:DWORD dst_unused:UNUSED_PAD src0_sel:WORD_0 src1_sel:DWORD
	v_cmp_gt_i64_e32 vcc, s[20:21], v[17:18]
	v_readfirstlane_b32 s10, v7
	v_mov_b32_e32 v7, v0
	s_and_saveexec_b64 s[6:7], vcc
	s_cbranch_execz .LBB30_55
; %bb.52:                               ;   in Loop: Header=BB30_34 Depth=1
	v_readlane_b32 s12, v56, 46
	v_readlane_b32 s13, v56, 47
	v_mov_b32_e32 v7, s12
	v_mov_b32_e32 v8, s13
	v_mad_u64_u32 v[7:8], s[12:13], s82, v17, v[7:8]
	s_and_b32 s12, s10, 0xffff
	v_mov_b32_e32 v11, v17
	v_mad_u64_u32 v[8:9], s[10:11], s83, v17, v[8:9]
	s_mul_i32 s10, s83, s12
	s_mul_hi_u32 s11, s82, s12
	v_mov_b32_e32 v14, v1
	s_add_i32 s13, s11, s10
	s_mov_b64 s[10:11], 0
	v_mov_b32_e32 v12, v18
	v_mov_b32_e32 v13, v0
.LBB30_53:                              ;   Parent Loop BB30_34 Depth=1
                                        ; =>  This Inner Loop Header: Depth=2
	global_load_dwordx2 v[9:10], v[7:8], off
	v_mov_b32_e32 v36, v12
	s_mul_i32 s14, s82, s12
	v_mov_b32_e32 v35, v11
	v_mov_b32_e32 v12, s13
	v_add_co_u32_e32 v7, vcc, s14, v7
	v_lshlrev_b32_e32 v11, 3, v13
	v_addc_co_u32_e32 v8, vcc, v8, v12, vcc
	s_waitcnt vmcnt(1)
	ds_write_b64 v11, v[3:4]
	v_add_co_u32_e32 v11, vcc, s12, v35
	v_addc_co_u32_e32 v12, vcc, 0, v36, vcc
	v_cmp_le_i64_e32 vcc, s[20:21], v[11:12]
	v_mov_b32_e32 v13, v35
	s_or_b64 s[10:11], vcc, s[10:11]
	v_mov_b32_e32 v14, v36
	s_waitcnt vmcnt(0)
	v_mov_b32_e32 v3, v9
	v_mov_b32_e32 v4, v10
	s_andn2_b64 exec, exec, s[10:11]
	s_cbranch_execnz .LBB30_53
; %bb.54:                               ;   in Loop: Header=BB30_34 Depth=1
	s_or_b64 exec, exec, s[10:11]
	v_mov_b32_e32 v3, v9
	v_subrev_u32_e32 v7, s12, v11
	v_mov_b32_e32 v4, v10
.LBB30_55:                              ;   in Loop: Header=BB30_34 Depth=1
	s_or_b64 exec, exec, s[6:7]
	v_lshlrev_b32_e32 v7, 3, v7
	s_waitcnt vmcnt(0)
	ds_write_b64 v7, v[3:4]
.LBB30_56:                              ;   in Loop: Header=BB30_34 Depth=1
	s_or_b64 exec, exec, s[2:3]
	s_waitcnt lgkmcnt(0)
	s_barrier
	s_mov_b64 s[2:3], exec
	v_readlane_b32 s6, v56, 30
	v_readlane_b32 s7, v56, 31
	s_and_b64 s[6:7], s[2:3], s[6:7]
	s_mov_b64 exec, s[6:7]
; %bb.57:                               ;   in Loop: Header=BB30_34 Depth=1
	v_mov_b32_e32 v3, s20
	v_mov_b32_e32 v4, s21
	ds_write_b64 v18, v[3:4] offset:5120
; %bb.58:                               ;   in Loop: Header=BB30_34 Depth=1
	s_or_b64 exec, exec, s[2:3]
	s_mov_b64 s[6:7], -1
	s_waitcnt lgkmcnt(0)
	s_barrier
.LBB30_59:                              ;   in Loop: Header=BB30_34 Depth=1
	s_and_b64 vcc, exec, s[6:7]
	s_cbranch_vccz .LBB30_61
; %bb.60:                               ;   in Loop: Header=BB30_34 Depth=1
	ds_read_b64 v[3:4], v18 offset:5120
	s_waitcnt lgkmcnt(0)
	v_readfirstlane_b32 s22, v3
.LBB30_61:                              ;   in Loop: Header=BB30_34 Depth=1
	s_cmp_lt_i32 s22, 1
	s_mov_b64 s[2:3], -1
                                        ; implicit-def: $vgpr13_vgpr14
                                        ; implicit-def: $vgpr9_vgpr10
	s_cbranch_scc1 .LBB30_71
; %bb.62:                               ;   in Loop: Header=BB30_34 Depth=1
	s_and_b64 vcc, exec, s[2:3]
	s_cbranch_vccnz .LBB30_85
.LBB30_63:                              ;   in Loop: Header=BB30_34 Depth=1
	s_lshl_b32 s6, s70, 6
	s_and_saveexec_b64 s[2:3], s[4:5]
	s_cbranch_execz .LBB30_65
.LBB30_64:                              ;   in Loop: Header=BB30_34 Depth=1
	v_lshl_add_u32 v3, s6, 3, v47
	ds_write_b128 v3, v[7:10]
	ds_write_b128 v3, v[11:14] offset:16
.LBB30_65:                              ;   in Loop: Header=BB30_34 Depth=1
	s_or_b64 exec, exec, s[2:3]
	s_waitcnt lgkmcnt(0)
	s_barrier
	s_and_saveexec_b64 s[2:3], s[68:69]
	s_cbranch_execz .LBB30_103
; %bb.66:                               ;   in Loop: Header=BB30_34 Depth=1
	v_readlane_b32 s10, v56, 40
	v_mov_b32_e32 v3, 0
	v_readlane_b32 s11, v56, 41
	v_mov_b32_e32 v4, 0
	s_andn2_b64 vcc, exec, s[10:11]
	s_cbranch_vccnz .LBB30_102
; %bb.67:                               ;   in Loop: Header=BB30_34 Depth=1
	v_readlane_b32 s10, v56, 42
	v_readlane_b32 s11, v56, 43
	s_andn2_b64 vcc, exec, s[10:11]
	s_cbranch_vccnz .LBB30_98
; %bb.68:                               ;   in Loop: Header=BB30_34 Depth=1
	v_mov_b32_e32 v3, 0
	v_lshl_add_u32 v7, s70, 9, v51
	v_mov_b32_e32 v4, 0
	s_mov_b32 s7, 0
.LBB30_69:                              ;   Parent Loop BB30_34 Depth=1
                                        ; =>  This Inner Loop Header: Depth=2
	ds_read2_b64 v[8:11], v7 offset1:4
	s_add_i32 s7, s7, 8
	s_cmp_eq_u32 s1, s7
	s_waitcnt lgkmcnt(0)
	v_add_co_u32_e32 v3, vcc, v8, v3
	v_addc_co_u32_e32 v4, vcc, v9, v4, vcc
	v_add_co_u32_e32 v3, vcc, v10, v3
	v_addc_co_u32_e32 v4, vcc, v11, v4, vcc
	ds_read2_b64 v[8:11], v7 offset0:8 offset1:12
	s_waitcnt lgkmcnt(0)
	v_add_co_u32_e32 v3, vcc, v8, v3
	v_addc_co_u32_e32 v4, vcc, v9, v4, vcc
	v_add_co_u32_e32 v3, vcc, v10, v3
	v_addc_co_u32_e32 v4, vcc, v11, v4, vcc
	ds_read2_b64 v[8:11], v7 offset0:16 offset1:20
	;; [unrolled: 6-line block ×3, first 2 shown]
	v_add_u32_e32 v7, 0x100, v7
	s_waitcnt lgkmcnt(0)
	v_add_co_u32_e32 v3, vcc, v8, v3
	v_addc_co_u32_e32 v4, vcc, v9, v4, vcc
	v_add_co_u32_e32 v3, vcc, v10, v3
	v_addc_co_u32_e32 v4, vcc, v11, v4, vcc
	s_cbranch_scc0 .LBB30_69
; %bb.70:                               ;   in Loop: Header=BB30_34 Depth=1
	s_mov_b32 s7, s1
	s_branch .LBB30_99
.LBB30_71:                              ;   in Loop: Header=BB30_34 Depth=1
	global_load_ushort v3, v18, s[74:75]
	s_mov_b32 s2, s63
	s_waitcnt vmcnt(0)
	v_readfirstlane_b32 s3, v3
	s_and_b32 s23, s3, 0xffff
	s_lshl_b32 s24, s23, 2
	s_mov_b32 s3, s21
	s_cmp_lg_u64 s[2:3], 0
	s_cbranch_scc0 .LBB30_94
; %bb.72:                               ;   in Loop: Header=BB30_34 Depth=1
	s_add_u32 s2, s24, 0
	s_addc_u32 s3, 0, 0
	s_xor_b64 s[2:3], s[2:3], 0
	v_cvt_f32_u32_e32 v3, s2
	v_cvt_f32_u32_e32 v4, s3
	s_sub_u32 s10, 0, s2
	s_subb_u32 s11, 0, s3
	v_mac_f32_e32 v3, 0x4f800000, v4
	v_rcp_f32_e32 v3, v3
	v_mul_f32_e32 v3, 0x5f7ffffc, v3
	v_mul_f32_e32 v4, 0x2f800000, v3
	v_trunc_f32_e32 v4, v4
	v_mac_f32_e32 v3, 0xcf800000, v4
	v_cvt_u32_f32_e32 v4, v4
	v_cvt_u32_f32_e32 v3, v3
	v_readfirstlane_b32 s12, v4
	v_readfirstlane_b32 s6, v3
	s_mul_i32 s7, s10, s12
	s_mul_hi_u32 s14, s10, s6
	s_mul_i32 s13, s11, s6
	s_add_i32 s7, s14, s7
	s_mul_i32 s15, s10, s6
	s_add_i32 s7, s7, s13
	s_mul_i32 s14, s6, s7
	s_mul_hi_u32 s16, s6, s15
	s_mul_hi_u32 s13, s6, s7
	s_add_u32 s14, s16, s14
	s_addc_u32 s13, 0, s13
	s_mul_hi_u32 s17, s12, s15
	s_mul_i32 s15, s12, s15
	s_add_u32 s14, s14, s15
	s_mul_hi_u32 s16, s12, s7
	s_addc_u32 s13, s13, s17
	s_addc_u32 s14, s16, 0
	s_mul_i32 s7, s12, s7
	s_add_u32 s7, s13, s7
	s_addc_u32 s13, 0, s14
	s_add_u32 s14, s6, s7
	s_cselect_b64 s[6:7], -1, 0
	s_cmp_lg_u64 s[6:7], 0
	s_addc_u32 s12, s12, s13
	s_mul_i32 s6, s10, s12
	s_mul_hi_u32 s7, s10, s14
	s_add_i32 s6, s7, s6
	s_mul_i32 s11, s11, s14
	s_add_i32 s6, s6, s11
	s_mul_i32 s10, s10, s14
	s_mul_hi_u32 s11, s12, s10
	s_mul_i32 s13, s12, s10
	s_mul_i32 s16, s14, s6
	s_mul_hi_u32 s10, s14, s10
	s_mul_hi_u32 s15, s14, s6
	s_add_u32 s10, s10, s16
	s_addc_u32 s15, 0, s15
	s_add_u32 s10, s10, s13
	s_mul_hi_u32 s7, s12, s6
	s_addc_u32 s10, s15, s11
	s_addc_u32 s7, s7, 0
	s_mul_i32 s6, s12, s6
	s_add_u32 s6, s10, s6
	s_addc_u32 s10, 0, s7
	s_add_u32 s13, s14, s6
	s_cselect_b64 s[6:7], -1, 0
	s_cmp_lg_u64 s[6:7], 0
	s_addc_u32 s12, s12, s10
	s_ashr_i32 s6, s21, 31
	s_add_u32 s10, s20, s6
	s_mov_b32 s7, s6
	s_addc_u32 s11, s21, s6
	s_xor_b64 s[10:11], s[10:11], s[6:7]
	s_mul_i32 s15, s10, s12
	s_mul_hi_u32 s16, s10, s13
	s_mul_hi_u32 s14, s10, s12
	s_add_u32 s15, s16, s15
	s_addc_u32 s14, 0, s14
	s_mul_hi_u32 s17, s11, s13
	s_mul_i32 s13, s11, s13
	s_add_u32 s13, s15, s13
	s_mul_hi_u32 s16, s11, s12
	s_addc_u32 s13, s14, s17
	s_addc_u32 s14, s16, 0
	s_mul_i32 s12, s11, s12
	s_add_u32 s12, s13, s12
	s_addc_u32 s13, 0, s14
	s_mul_i32 s13, s2, s13
	s_mul_hi_u32 s14, s2, s12
	s_add_i32 s13, s14, s13
	s_mul_i32 s14, s3, s12
	s_add_i32 s16, s13, s14
	s_sub_i32 s14, s11, s16
	s_mul_i32 s12, s2, s12
	s_sub_u32 s10, s10, s12
	s_cselect_b64 s[12:13], -1, 0
	s_cmp_lg_u64 s[12:13], 0
	s_subb_u32 s17, s14, s3
	s_sub_u32 s25, s10, s2
	s_cselect_b64 s[14:15], -1, 0
	s_cmp_lg_u64 s[14:15], 0
	s_subb_u32 s28, s17, 0
	s_cmp_ge_u32 s28, s3
	s_cselect_b32 s29, -1, 0
	s_cmp_ge_u32 s25, s2
	s_cselect_b32 s30, -1, 0
	s_cmp_eq_u32 s28, s3
	s_cselect_b32 s29, s30, s29
	s_cmp_lg_u64 s[14:15], 0
	s_subb_u32 s17, s17, s3
	s_sub_u32 s30, s25, s2
	s_cselect_b64 s[14:15], -1, 0
	s_cmp_lg_u64 s[14:15], 0
	s_subb_u32 s14, s17, 0
	s_cmp_lg_u32 s29, 0
	s_cselect_b32 s15, s30, s25
	s_cselect_b32 s14, s14, s28
	s_cmp_lg_u64 s[12:13], 0
	s_subb_u32 s11, s11, s16
	s_cmp_ge_u32 s11, s3
	s_cselect_b32 s12, -1, 0
	s_cmp_ge_u32 s10, s2
	s_cselect_b32 s2, -1, 0
	s_cmp_eq_u32 s11, s3
	s_cselect_b32 s2, s2, s12
	s_cmp_lg_u32 s2, 0
	s_cselect_b32 s3, s14, s11
	s_cselect_b32 s2, s15, s10
	s_xor_b64 s[2:3], s[2:3], s[6:7]
	s_sub_u32 s40, s2, s6
	s_subb_u32 s41, s3, s6
	s_cbranch_execnz .LBB30_74
.LBB30_73:                              ;   in Loop: Header=BB30_34 Depth=1
	v_cvt_f32_u32_e32 v3, s24
	s_sub_i32 s2, 0, s24
	v_rcp_iflag_f32_e32 v3, v3
	v_mul_f32_e32 v3, 0x4f7ffffe, v3
	v_cvt_u32_f32_e32 v3, v3
	v_readfirstlane_b32 s3, v3
	s_mul_i32 s2, s2, s3
	s_mul_hi_u32 s2, s3, s2
	s_add_i32 s3, s3, s2
	s_mul_hi_u32 s2, s20, s3
	s_mul_i32 s2, s2, s24
	s_sub_i32 s2, s20, s2
	s_sub_i32 s3, s2, s24
	s_cmp_ge_u32 s2, s24
	s_cselect_b32 s2, s3, s2
	s_sub_i32 s3, s2, s24
	s_cmp_ge_u32 s2, s24
	s_cselect_b32 s62, s3, s2
	s_mov_b64 s[40:41], s[62:63]
.LBB30_74:                              ;   in Loop: Header=BB30_34 Depth=1
	s_sub_u32 s42, s20, s40
	s_subb_u32 s43, s21, s41
	v_cmp_gt_i64_e32 vcc, s[42:43], v[21:22]
	v_mov_b32_e32 v7, 0
	v_mov_b32_e32 v9, 0
	;; [unrolled: 1-line block ×8, first 2 shown]
	s_and_saveexec_b64 s[44:45], vcc
	s_cbranch_execz .LBB30_78
; %bb.75:                               ;   in Loop: Header=BB30_34 Depth=1
	s_mul_i32 s2, s85, s23
	s_mul_hi_u32 s3, s84, s23
	v_mov_b32_e32 v3, v21
	s_add_i32 s2, s3, s2
	s_mov_b64 s[46:47], 0
	s_mov_b64 s[48:49], s[66:67]
	;; [unrolled: 1-line block ×6, first 2 shown]
	v_mov_b32_e32 v4, v22
.LBB30_76:                              ;   Parent Loop BB30_34 Depth=1
                                        ; =>  This Inner Loop Header: Depth=2
	v_add_co_u32_e32 v7, vcc, s48, v27
	v_mov_b32_e32 v12, s49
	v_addc_co_u32_e32 v8, vcc, v12, v28, vcc
	global_load_dwordx2 v[7:8], v[7:8], off
	v_add_co_u32_e32 v9, vcc, s48, v26
	v_addc_co_u32_e32 v10, vcc, v12, v48, vcc
	global_load_dwordx2 v[13:14], v[9:10], off
	v_add_co_u32_e32 v9, vcc, s48, v25
	;; [unrolled: 3-line block ×3, first 2 shown]
	v_addc_co_u32_e32 v12, vcc, v12, v45, vcc
	global_load_dwordx2 v[11:12], v[11:12], off
	s_waitcnt vmcnt(3)
	v_xor_b32_e32 v8, 0x80000000, v8
	v_and_b32_e32 v36, v8, v32
	v_and_b32_e32 v35, v7, v31
	v_lshrrev_b64 v[7:8], s9, v[7:8]
	v_cmp_eq_u64_e32 vcc, v[35:36], v[29:30]
	s_waitcnt vmcnt(2)
	v_xor_b32_e32 v14, 0x80000000, v14
	v_and_b32_e32 v17, 3, v7
	v_lshrrev_b64 v[7:8], s9, v[13:14]
	v_and_b32_e32 v36, v14, v32
	v_and_b32_e32 v35, v13, v31
	s_waitcnt vmcnt(1)
	v_xor_b32_e32 v10, 0x80000000, v10
	v_cmp_eq_u64_e64 s[6:7], 0, v[17:18]
	v_cmp_eq_u64_e64 s[12:13], v[35:36], v[29:30]
	v_and_b32_e32 v36, v10, v32
	v_and_b32_e32 v35, v9, v31
	;; [unrolled: 1-line block ×3, first 2 shown]
	v_mov_b32_e32 v8, v18
	v_lshrrev_b64 v[9:10], s9, v[9:10]
	s_waitcnt vmcnt(0)
	v_xor_b32_e32 v12, 0x80000000, v12
	s_and_b64 s[28:29], vcc, s[6:7]
	v_cmp_eq_u64_e64 s[6:7], 0, v[7:8]
	v_cmp_eq_u64_e64 s[14:15], v[35:36], v[29:30]
	v_and_b32_e32 v36, v12, v32
	v_and_b32_e32 v35, v11, v31
	;; [unrolled: 1-line block ×3, first 2 shown]
	v_mov_b32_e32 v10, v18
	v_lshrrev_b64 v[11:12], s9, v[11:12]
	s_and_b64 s[30:31], s[12:13], s[6:7]
	v_cmp_eq_u64_e64 s[6:7], 0, v[9:10]
	v_and_b32_e32 v11, 3, v11
	v_mov_b32_e32 v12, v18
	v_cmp_eq_u64_e64 s[16:17], v[35:36], v[29:30]
	s_and_b64 s[34:35], s[14:15], s[6:7]
	v_cmp_eq_u64_e64 s[6:7], 0, v[11:12]
	v_cndmask_b32_e64 v13, 0, 1, s[28:29]
	s_and_b64 s[36:37], s[16:17], s[6:7]
	v_cmp_ne_u32_e64 s[6:7], 0, v13
	v_cndmask_b32_e64 v13, 0, 1, s[30:31]
	s_bcnt1_i32_b64 s3, s[6:7]
	v_cmp_ne_u32_e64 s[6:7], 0, v13
	v_cndmask_b32_e64 v13, 0, 1, s[34:35]
	s_bcnt1_i32_b64 s25, s[6:7]
	;; [unrolled: 3-line block ×3, first 2 shown]
	v_cmp_ne_u32_e64 s[6:7], 0, v13
	s_bcnt1_i32_b64 s6, s[6:7]
	s_add_u32 s3, s3, s10
	s_addc_u32 s7, 0, s11
	s_add_u32 s3, s3, s25
	s_addc_u32 s7, s7, 0
	;; [unrolled: 2-line block ×4, first 2 shown]
	v_cmp_eq_u64_e64 s[6:7], 1, v[17:18]
	s_and_b64 s[28:29], vcc, s[6:7]
	v_cmp_eq_u64_e64 s[6:7], 1, v[7:8]
	v_cndmask_b32_e64 v13, 0, 1, s[28:29]
	s_and_b64 s[30:31], s[12:13], s[6:7]
	v_cmp_eq_u64_e64 s[6:7], 1, v[9:10]
	s_and_b64 s[34:35], s[14:15], s[6:7]
	v_cmp_eq_u64_e64 s[6:7], 1, v[11:12]
	s_and_b64 s[36:37], s[16:17], s[6:7]
	v_cmp_ne_u32_e64 s[6:7], 0, v13
	v_cndmask_b32_e64 v13, 0, 1, s[30:31]
	s_bcnt1_i32_b64 s3, s[6:7]
	v_cmp_ne_u32_e64 s[6:7], 0, v13
	v_cndmask_b32_e64 v13, 0, 1, s[34:35]
	s_bcnt1_i32_b64 s25, s[6:7]
	;; [unrolled: 3-line block ×3, first 2 shown]
	v_cmp_ne_u32_e64 s[6:7], 0, v13
	s_bcnt1_i32_b64 s6, s[6:7]
	s_add_u32 s3, s3, s60
	s_addc_u32 s7, 0, s61
	s_add_u32 s3, s3, s25
	s_addc_u32 s7, s7, 0
	;; [unrolled: 2-line block ×4, first 2 shown]
	v_cmp_eq_u64_e64 s[6:7], 2, v[17:18]
	s_and_b64 s[28:29], vcc, s[6:7]
	v_cmp_eq_u64_e64 s[6:7], 2, v[7:8]
	v_cndmask_b32_e64 v13, 0, 1, s[28:29]
	s_and_b64 s[30:31], s[12:13], s[6:7]
	v_cmp_eq_u64_e64 s[6:7], 2, v[9:10]
	s_and_b64 s[34:35], s[14:15], s[6:7]
	v_cmp_eq_u64_e64 s[6:7], 2, v[11:12]
	s_and_b64 s[36:37], s[16:17], s[6:7]
	v_cmp_ne_u32_e64 s[6:7], 0, v13
	v_cndmask_b32_e64 v13, 0, 1, s[30:31]
	s_bcnt1_i32_b64 s3, s[6:7]
	v_cmp_ne_u32_e64 s[6:7], 0, v13
	v_cndmask_b32_e64 v13, 0, 1, s[34:35]
	s_bcnt1_i32_b64 s25, s[6:7]
	;; [unrolled: 3-line block ×3, first 2 shown]
	v_cmp_ne_u32_e64 s[6:7], 0, v13
	s_bcnt1_i32_b64 s6, s[6:7]
	s_add_u32 s3, s3, s54
	s_addc_u32 s7, 0, s55
	s_add_u32 s3, s3, s25
	s_addc_u32 s7, s7, 0
	;; [unrolled: 2-line block ×4, first 2 shown]
	v_cmp_eq_u64_e64 s[6:7], 3, v[17:18]
	s_and_b64 s[6:7], vcc, s[6:7]
	v_cmp_eq_u64_e32 vcc, 3, v[7:8]
	v_cndmask_b32_e64 v7, 0, 1, s[6:7]
	s_and_b64 s[12:13], s[12:13], vcc
	v_cmp_eq_u64_e32 vcc, 3, v[9:10]
	v_mov_b32_e32 v9, s60
	s_and_b64 s[14:15], s[14:15], vcc
	v_cmp_eq_u64_e32 vcc, 3, v[11:12]
	v_mov_b32_e32 v11, s54
	s_and_b64 s[16:17], s[16:17], vcc
	v_cmp_ne_u32_e32 vcc, 0, v7
	v_cndmask_b32_e64 v7, 0, 1, s[12:13]
	s_bcnt1_i32_b64 s3, vcc
	v_cmp_ne_u32_e32 vcc, 0, v7
	v_cndmask_b32_e64 v7, 0, 1, s[14:15]
	s_bcnt1_i32_b64 s6, vcc
	;; [unrolled: 3-line block ×3, first 2 shown]
	v_cmp_ne_u32_e32 vcc, 0, v7
	s_bcnt1_i32_b64 s12, vcc
	s_add_u32 s3, s3, s52
	s_addc_u32 s13, 0, s53
	s_add_u32 s3, s3, s6
	s_addc_u32 s6, s13, 0
	;; [unrolled: 2-line block ×3, first 2 shown]
	s_add_u32 s52, s3, s12
	v_add_co_u32_e32 v3, vcc, s24, v3
	s_addc_u32 s53, s6, 0
	v_addc_co_u32_e32 v4, vcc, 0, v4, vcc
	s_mul_i32 s3, s84, s23
	s_add_u32 s48, s48, s3
	v_cmp_le_i64_e32 vcc, s[42:43], v[3:4]
	s_addc_u32 s49, s49, s2
	v_mov_b32_e32 v7, s10
	v_mov_b32_e32 v13, s52
	s_or_b64 s[46:47], vcc, s[46:47]
	v_mov_b32_e32 v8, s11
	v_mov_b32_e32 v10, s61
	;; [unrolled: 1-line block ×4, first 2 shown]
	s_andn2_b64 exec, exec, s[46:47]
	s_cbranch_execnz .LBB30_76
; %bb.77:                               ;   in Loop: Header=BB30_34 Depth=1
	s_or_b64 exec, exec, s[46:47]
.LBB30_78:                              ;   in Loop: Header=BB30_34 Depth=1
	s_or_b64 exec, exec, s[44:45]
	v_mov_b32_e32 v4, s43
	v_add_co_u32_e32 v3, vcc, s42, v0
	v_addc_co_u32_e32 v4, vcc, 0, v4, vcc
	v_cmp_gt_i64_e32 vcc, s[20:21], v[3:4]
	s_and_saveexec_b64 s[2:3], vcc
	s_cbranch_execz .LBB30_84
; %bb.79:                               ;   in Loop: Header=BB30_34 Depth=1
	v_mul_lo_u32 v17, v4, s26
	v_mul_lo_u32 v37, v3, s27
	v_mad_u64_u32 v[35:36], s[6:7], v3, s26, 0
	v_readlane_b32 s6, v56, 46
	v_readlane_b32 s7, v56, 47
	v_add3_u32 v36, v36, v37, v17
	v_lshlrev_b64 v[35:36], 3, v[35:36]
	v_mov_b32_e32 v17, s67
	v_add_co_u32_e32 v35, vcc, s66, v35
	v_addc_co_u32_e32 v36, vcc, v17, v36, vcc
	global_load_dwordx2 v[39:40], v[35:36], off
	v_add_co_u32_e32 v17, vcc, s23, v49
	v_addc_co_u32_e32 v35, vcc, 0, v50, vcc
	v_mov_b32_e32 v36, s41
	v_subrev_co_u32_e32 v17, vcc, s40, v17
	v_subb_co_u32_e32 v35, vcc, v35, v36, vcc
	v_mul_lo_u32 v37, s82, v35
	v_mov_b32_e32 v36, s7
	v_mov_b32_e32 v35, s6
	v_mul_lo_u32 v38, s83, v17
	v_mad_u64_u32 v[35:36], s[6:7], s82, v17, v[35:36]
	s_mul_i32 s6, s83, s23
	s_mul_hi_u32 s7, s82, s23
	v_add3_u32 v36, v38, v36, v37
	s_add_i32 s14, s7, s6
	s_mov_b64 s[10:11], 0
	s_branch .LBB30_81
.LBB30_80:                              ;   in Loop: Header=BB30_81 Depth=2
	s_or_b64 exec, exec, s[12:13]
	s_waitcnt vmcnt(0)
	v_xor_b32_e32 v40, 0x80000000, v40
	v_and_b32_e32 v55, v40, v32
	v_and_b32_e32 v54, v39, v31
	v_lshrrev_b64 v[39:40], s9, v[39:40]
	s_and_b64 s[6:7], exec, vcc
	v_and_b32_e32 v17, 3, v39
	s_or_b64 s[10:11], s[6:7], s[10:11]
	v_cmp_eq_u64_e32 vcc, v[54:55], v[29:30]
	v_cmp_eq_u64_e64 s[6:7], 0, v[17:18]
	s_and_b64 s[6:7], vcc, s[6:7]
	v_cndmask_b32_e64 v39, 0, 1, s[6:7]
	v_cmp_ne_u32_e64 s[6:7], 0, v39
	s_bcnt1_i32_b64 s6, s[6:7]
	v_add_co_u32_e64 v7, s[6:7], s6, v7
	v_addc_co_u32_e64 v8, s[6:7], 0, v8, s[6:7]
	v_cmp_eq_u64_e64 s[6:7], 1, v[17:18]
	s_and_b64 s[6:7], vcc, s[6:7]
	v_cndmask_b32_e64 v39, 0, 1, s[6:7]
	v_cmp_ne_u32_e64 s[6:7], 0, v39
	s_bcnt1_i32_b64 s6, s[6:7]
	v_add_co_u32_e64 v9, s[6:7], s6, v9
	v_addc_co_u32_e64 v10, s[6:7], 0, v10, s[6:7]
	;; [unrolled: 7-line block ×3, first 2 shown]
	v_cmp_eq_u64_e64 s[6:7], 3, v[17:18]
	v_mov_b32_e32 v40, v38
	s_and_b64 s[6:7], vcc, s[6:7]
	v_cndmask_b32_e64 v17, 0, 1, s[6:7]
	v_cmp_ne_u32_e32 vcc, 0, v17
	s_bcnt1_i32_b64 s6, vcc
	v_add_co_u32_e32 v13, vcc, s6, v13
	v_addc_co_u32_e32 v14, vcc, 0, v14, vcc
	s_mul_i32 s6, s82, s23
	v_add_co_u32_e32 v35, vcc, s6, v35
	v_mov_b32_e32 v17, s14
	v_addc_co_u32_e32 v36, vcc, v36, v17, vcc
	v_mov_b32_e32 v39, v37
	s_andn2_b64 exec, exec, s[10:11]
	s_cbranch_execz .LBB30_83
.LBB30_81:                              ;   Parent Loop BB30_34 Depth=1
                                        ; =>  This Inner Loop Header: Depth=2
	v_add_co_u32_e32 v3, vcc, s23, v3
	v_addc_co_u32_e32 v4, vcc, 0, v4, vcc
	v_cmp_gt_i64_e64 s[6:7], s[20:21], v[3:4]
	v_cmp_le_i64_e32 vcc, s[20:21], v[3:4]
	v_mov_b32_e32 v37, 0
	v_mov_b32_e32 v38, 0
	s_and_saveexec_b64 s[12:13], s[6:7]
	s_cbranch_execz .LBB30_80
; %bb.82:                               ;   in Loop: Header=BB30_81 Depth=2
	global_load_dwordx2 v[37:38], v[35:36], off
	s_branch .LBB30_80
.LBB30_83:                              ;   in Loop: Header=BB30_34 Depth=1
	s_or_b64 exec, exec, s[10:11]
.LBB30_84:                              ;   in Loop: Header=BB30_34 Depth=1
	s_or_b64 exec, exec, s[2:3]
	s_branch .LBB30_63
.LBB30_85:                              ;   in Loop: Header=BB30_34 Depth=1
	global_load_ushort v35, v18, s[74:75]
	v_mov_b32_e32 v7, 0
	v_mov_b32_e32 v9, 0
	;; [unrolled: 1-line block ×8, first 2 shown]
	s_waitcnt vmcnt(0)
	v_readfirstlane_b32 s2, v35
	s_and_b32 s2, 0xffff, s2
	s_lshl_b32 s3, s2, 2
	v_cvt_f32_u32_e32 v3, s3
	s_sub_i32 s6, 0, s3
	v_rcp_iflag_f32_e32 v3, v3
	v_mul_f32_e32 v3, 0x4f7ffffe, v3
	v_cvt_u32_f32_e32 v3, v3
	v_readfirstlane_b32 s7, v3
	s_mul_i32 s6, s6, s7
	s_mul_hi_u32 s6, s7, s6
	s_add_i32 s7, s7, s6
	s_mul_hi_u32 s6, s22, s7
	s_mul_i32 s7, s6, s3
	s_sub_i32 s7, s22, s7
	s_add_i32 s10, s6, 1
	s_sub_i32 s11, s7, s3
	s_cmp_ge_u32 s7, s3
	s_cselect_b32 s6, s10, s6
	s_cselect_b32 s7, s11, s7
	s_add_i32 s10, s6, 1
	s_cmp_ge_u32 s7, s3
	s_cselect_b32 s6, s10, s6
	s_mul_hi_u32 s11, s2, s6
	s_mul_i32 s10, s2, s6
	s_lshl_b64 s[40:41], s[10:11], 2
	v_cmp_gt_u64_e32 vcc, s[40:41], v[21:22]
	s_and_saveexec_b64 s[42:43], vcc
	s_cbranch_execz .LBB30_89
; %bb.86:                               ;   in Loop: Header=BB30_34 Depth=1
	v_mov_b32_e32 v3, v21
	s_lshl_b32 s11, s2, 5
	s_mov_b64 s[44:45], 0
	v_mov_b32_e32 v36, v44
	s_mov_b64 s[46:47], 0
	s_mov_b64 s[48:49], 0
	;; [unrolled: 1-line block ×4, first 2 shown]
	v_mov_b32_e32 v4, v22
.LBB30_87:                              ;   Parent Loop BB30_34 Depth=1
                                        ; =>  This Inner Loop Header: Depth=2
	ds_read_b128 v[11:14], v36
	ds_read_b128 v[7:10], v36 offset:16
	v_add_u32_e32 v36, s11, v36
	s_waitcnt lgkmcnt(1)
	v_xor_b32_e32 v12, 0x80000000, v12
	v_and_b32_e32 v38, v12, v32
	v_and_b32_e32 v37, v11, v31
	v_lshrrev_b64 v[11:12], s9, v[11:12]
	v_xor_b32_e32 v14, 0x80000000, v14
	v_and_b32_e32 v17, 3, v11
	v_lshrrev_b64 v[11:12], s9, v[13:14]
	s_waitcnt lgkmcnt(0)
	v_xor_b32_e32 v8, 0x80000000, v8
	v_cmp_eq_u64_e32 vcc, v[37:38], v[29:30]
	v_and_b32_e32 v38, v14, v32
	v_and_b32_e32 v37, v13, v31
	v_cmp_eq_u64_e64 s[6:7], 0, v[17:18]
	v_cmp_eq_u64_e64 s[12:13], v[37:38], v[29:30]
	v_and_b32_e32 v38, v8, v32
	v_and_b32_e32 v37, v7, v31
	;; [unrolled: 1-line block ×3, first 2 shown]
	v_mov_b32_e32 v12, v18
	v_lshrrev_b64 v[7:8], s9, v[7:8]
	v_xor_b32_e32 v10, 0x80000000, v10
	s_and_b64 s[24:25], vcc, s[6:7]
	v_cmp_eq_u64_e64 s[6:7], 0, v[11:12]
	v_cmp_eq_u64_e64 s[14:15], v[37:38], v[29:30]
	v_and_b32_e32 v38, v10, v32
	v_and_b32_e32 v37, v9, v31
	;; [unrolled: 1-line block ×3, first 2 shown]
	v_mov_b32_e32 v8, v18
	v_lshrrev_b64 v[9:10], s9, v[9:10]
	s_and_b64 s[28:29], s[12:13], s[6:7]
	v_cmp_eq_u64_e64 s[6:7], 0, v[7:8]
	v_and_b32_e32 v9, 3, v9
	v_mov_b32_e32 v10, v18
	v_cmp_eq_u64_e64 s[16:17], v[37:38], v[29:30]
	s_and_b64 s[30:31], s[14:15], s[6:7]
	v_cmp_eq_u64_e64 s[6:7], 0, v[9:10]
	v_cndmask_b32_e64 v13, 0, 1, s[24:25]
	s_and_b64 s[34:35], s[16:17], s[6:7]
	v_cmp_ne_u32_e64 s[6:7], 0, v13
	v_cndmask_b32_e64 v13, 0, 1, s[28:29]
	s_bcnt1_i32_b64 s23, s[6:7]
	v_cmp_ne_u32_e64 s[6:7], 0, v13
	v_cndmask_b32_e64 v13, 0, 1, s[30:31]
	s_bcnt1_i32_b64 s24, s[6:7]
	;; [unrolled: 3-line block ×3, first 2 shown]
	v_cmp_ne_u32_e64 s[6:7], 0, v13
	s_bcnt1_i32_b64 s6, s[6:7]
	s_add_u32 s7, s23, s54
	s_addc_u32 s23, 0, s55
	s_add_u32 s7, s7, s24
	s_addc_u32 s23, s23, 0
	;; [unrolled: 2-line block ×3, first 2 shown]
	s_add_u32 s54, s7, s6
	v_cmp_eq_u64_e64 s[6:7], 1, v[17:18]
	s_addc_u32 s55, s23, 0
	s_and_b64 s[24:25], vcc, s[6:7]
	v_cmp_eq_u64_e64 s[6:7], 1, v[11:12]
	v_cndmask_b32_e64 v13, 0, 1, s[24:25]
	s_and_b64 s[28:29], s[12:13], s[6:7]
	v_cmp_eq_u64_e64 s[6:7], 1, v[7:8]
	s_and_b64 s[30:31], s[14:15], s[6:7]
	v_cmp_eq_u64_e64 s[6:7], 1, v[9:10]
	s_and_b64 s[34:35], s[16:17], s[6:7]
	v_cmp_ne_u32_e64 s[6:7], 0, v13
	v_cndmask_b32_e64 v13, 0, 1, s[28:29]
	s_bcnt1_i32_b64 s23, s[6:7]
	v_cmp_ne_u32_e64 s[6:7], 0, v13
	v_cndmask_b32_e64 v13, 0, 1, s[30:31]
	s_bcnt1_i32_b64 s24, s[6:7]
	;; [unrolled: 3-line block ×3, first 2 shown]
	v_cmp_ne_u32_e64 s[6:7], 0, v13
	s_bcnt1_i32_b64 s6, s[6:7]
	s_add_u32 s7, s23, s52
	s_addc_u32 s23, 0, s53
	s_add_u32 s7, s7, s24
	s_addc_u32 s23, s23, 0
	;; [unrolled: 2-line block ×3, first 2 shown]
	s_add_u32 s52, s7, s6
	v_cmp_eq_u64_e64 s[6:7], 2, v[17:18]
	s_addc_u32 s53, s23, 0
	s_and_b64 s[24:25], vcc, s[6:7]
	v_cmp_eq_u64_e64 s[6:7], 2, v[11:12]
	v_cndmask_b32_e64 v13, 0, 1, s[24:25]
	s_and_b64 s[28:29], s[12:13], s[6:7]
	v_cmp_eq_u64_e64 s[6:7], 2, v[7:8]
	s_and_b64 s[30:31], s[14:15], s[6:7]
	v_cmp_eq_u64_e64 s[6:7], 2, v[9:10]
	s_and_b64 s[34:35], s[16:17], s[6:7]
	v_cmp_ne_u32_e64 s[6:7], 0, v13
	v_cndmask_b32_e64 v13, 0, 1, s[28:29]
	s_bcnt1_i32_b64 s23, s[6:7]
	v_cmp_ne_u32_e64 s[6:7], 0, v13
	v_cndmask_b32_e64 v13, 0, 1, s[30:31]
	s_bcnt1_i32_b64 s24, s[6:7]
	;; [unrolled: 3-line block ×3, first 2 shown]
	v_cmp_ne_u32_e64 s[6:7], 0, v13
	s_bcnt1_i32_b64 s6, s[6:7]
	s_add_u32 s7, s23, s48
	s_addc_u32 s23, 0, s49
	s_add_u32 s7, s7, s24
	s_addc_u32 s23, s23, 0
	;; [unrolled: 2-line block ×3, first 2 shown]
	s_add_u32 s48, s7, s6
	v_cmp_eq_u64_e64 s[6:7], 3, v[17:18]
	s_addc_u32 s49, s23, 0
	s_and_b64 s[6:7], vcc, s[6:7]
	v_cmp_eq_u64_e32 vcc, 3, v[11:12]
	v_mov_b32_e32 v11, s48
	s_and_b64 s[12:13], s[12:13], vcc
	v_cmp_eq_u64_e32 vcc, 3, v[7:8]
	v_cndmask_b32_e64 v7, 0, 1, s[6:7]
	s_and_b64 s[14:15], s[14:15], vcc
	v_cmp_eq_u64_e32 vcc, 3, v[9:10]
	v_mov_b32_e32 v9, s52
	s_and_b64 s[16:17], s[16:17], vcc
	v_cmp_ne_u32_e32 vcc, 0, v7
	v_cndmask_b32_e64 v7, 0, 1, s[12:13]
	s_bcnt1_i32_b64 s6, vcc
	v_cmp_ne_u32_e32 vcc, 0, v7
	v_cndmask_b32_e64 v7, 0, 1, s[14:15]
	s_bcnt1_i32_b64 s7, vcc
	;; [unrolled: 3-line block ×3, first 2 shown]
	v_cmp_ne_u32_e32 vcc, 0, v7
	s_bcnt1_i32_b64 s13, vcc
	s_add_u32 s6, s6, s46
	s_addc_u32 s14, 0, s47
	s_add_u32 s6, s6, s7
	s_addc_u32 s7, s14, 0
	s_add_u32 s6, s6, s12
	v_add_co_u32_e32 v3, vcc, s3, v3
	s_addc_u32 s7, s7, 0
	v_addc_co_u32_e32 v4, vcc, 0, v4, vcc
	s_add_u32 s46, s6, s13
	v_cmp_le_u64_e32 vcc, s[40:41], v[3:4]
	s_addc_u32 s47, s7, 0
	v_mov_b32_e32 v7, s54
	v_mov_b32_e32 v13, s46
	s_or_b64 s[44:45], vcc, s[44:45]
	v_mov_b32_e32 v8, s55
	v_mov_b32_e32 v10, s53
	;; [unrolled: 1-line block ×4, first 2 shown]
	s_andn2_b64 exec, exec, s[44:45]
	s_cbranch_execnz .LBB30_87
; %bb.88:                               ;   in Loop: Header=BB30_34 Depth=1
	s_or_b64 exec, exec, s[44:45]
.LBB30_89:                              ;   in Loop: Header=BB30_34 Depth=1
	s_or_b64 exec, exec, s[42:43]
	v_mov_b32_e32 v4, s41
	v_add_co_u32_e32 v3, vcc, s40, v0
	s_and_b32 s62, s22, 0x7fffffff
	v_addc_co_u32_e32 v4, vcc, 0, v4, vcc
	v_cmp_gt_u64_e32 vcc, s[62:63], v[3:4]
	s_and_saveexec_b64 s[12:13], vcc
	s_cbranch_execz .LBB30_93
; %bb.90:                               ;   in Loop: Header=BB30_34 Depth=1
	v_lshl_add_u32 v36, s10, 5, v52
	s_lshl_b32 s10, s2, 3
	s_mov_b64 s[2:3], 0
.LBB30_91:                              ;   Parent Loop BB30_34 Depth=1
                                        ; =>  This Inner Loop Header: Depth=2
	ds_read_b64 v[37:38], v36
	v_add_u32_e32 v36, s10, v36
	s_waitcnt lgkmcnt(0)
	v_xor_b32_e32 v38, 0x80000000, v38
	v_and_b32_e32 v40, v38, v32
	v_and_b32_e32 v39, v37, v31
	v_lshrrev_b64 v[37:38], s9, v[37:38]
	v_cmp_eq_u64_e32 vcc, v[39:40], v[29:30]
	v_and_b32_e32 v17, 3, v37
	v_cmp_eq_u64_e64 s[6:7], 0, v[17:18]
	s_and_b64 s[6:7], vcc, s[6:7]
	v_cndmask_b32_e64 v37, 0, 1, s[6:7]
	v_cmp_ne_u32_e64 s[6:7], 0, v37
	s_bcnt1_i32_b64 s6, s[6:7]
	v_add_co_u32_e64 v7, s[6:7], s6, v7
	v_addc_co_u32_e64 v8, s[6:7], 0, v8, s[6:7]
	v_cmp_eq_u64_e64 s[6:7], 1, v[17:18]
	s_and_b64 s[6:7], vcc, s[6:7]
	v_cndmask_b32_e64 v37, 0, 1, s[6:7]
	v_cmp_ne_u32_e64 s[6:7], 0, v37
	s_bcnt1_i32_b64 s6, s[6:7]
	v_add_co_u32_e64 v9, s[6:7], s6, v9
	v_addc_co_u32_e64 v10, s[6:7], 0, v10, s[6:7]
	;; [unrolled: 7-line block ×3, first 2 shown]
	v_cmp_eq_u64_e64 s[6:7], 3, v[17:18]
	s_and_b64 s[6:7], vcc, s[6:7]
	v_cndmask_b32_e64 v17, 0, 1, s[6:7]
	v_cmp_ne_u32_e32 vcc, 0, v17
	s_bcnt1_i32_b64 s6, vcc
	v_add_co_u32_e32 v13, vcc, s6, v13
	v_addc_co_u32_e32 v14, vcc, 0, v14, vcc
	v_add_co_u32_sdwa v3, vcc, v3, v35 dst_sel:DWORD dst_unused:UNUSED_PAD src0_sel:DWORD src1_sel:WORD_0
	v_addc_co_u32_e32 v4, vcc, 0, v4, vcc
	v_cmp_le_u64_e32 vcc, s[62:63], v[3:4]
	s_or_b64 s[2:3], vcc, s[2:3]
	s_andn2_b64 exec, exec, s[2:3]
	s_cbranch_execnz .LBB30_91
; %bb.92:                               ;   in Loop: Header=BB30_34 Depth=1
	s_or_b64 exec, exec, s[2:3]
.LBB30_93:                              ;   in Loop: Header=BB30_34 Depth=1
	s_or_b64 exec, exec, s[12:13]
	s_lshl_b32 s6, s70, 6
	s_and_saveexec_b64 s[2:3], s[4:5]
	s_cbranch_execnz .LBB30_64
	s_branch .LBB30_65
.LBB30_94:                              ;   in Loop: Header=BB30_34 Depth=1
                                        ; implicit-def: $sgpr40_sgpr41
	s_branch .LBB30_73
.LBB30_95:                              ;   in Loop: Header=BB30_34 Depth=1
	s_or_b64 exec, exec, s[10:11]
	s_waitcnt lgkmcnt(0)
	s_barrier
	s_mov_b64 s[6:7], exec
	v_readlane_b32 s10, v56, 30
	v_readlane_b32 s11, v56, 31
	s_and_b64 s[10:11], s[6:7], s[10:11]
	s_mov_b64 exec, s[10:11]
	s_cbranch_execz .LBB30_97
; %bb.96:                               ;   in Loop: Header=BB30_34 Depth=1
	ds_read_b32 v3, v18 offset:5136
	s_waitcnt lgkmcnt(0)
	v_ashrrev_i32_e32 v4, 31, v3
	ds_write_b64 v18, v[3:4] offset:5120
.LBB30_97:                              ;   in Loop: Header=BB30_34 Depth=1
	s_or_b64 exec, exec, s[6:7]
	s_waitcnt lgkmcnt(0)
	s_barrier
	s_mov_b64 s[6:7], -1
	s_and_b64 vcc, exec, s[2:3]
	s_cbranch_vccnz .LBB30_50
	s_branch .LBB30_59
.LBB30_98:                              ;   in Loop: Header=BB30_34 Depth=1
	v_mov_b32_e32 v3, 0
	v_mov_b32_e32 v4, 0
	s_mov_b32 s7, 0
.LBB30_99:                              ;   in Loop: Header=BB30_34 Depth=1
	v_readlane_b32 s10, v56, 44
	v_readlane_b32 s11, v56, 45
	s_andn2_b64 vcc, exec, s[10:11]
	s_cbranch_vccnz .LBB30_102
; %bb.100:                              ;   in Loop: Header=BB30_34 Depth=1
	s_lshl_b32 s10, s70, 9
	s_lshl_b32 s7, s7, 5
	s_add_i32 s10, s10, s7
	v_add_u32_e32 v7, s10, v51
	s_mov_b32 s7, s80
.LBB30_101:                             ;   Parent Loop BB30_34 Depth=1
                                        ; =>  This Inner Loop Header: Depth=2
	ds_read_b64 v[8:9], v7
	s_add_i32 s7, s7, -1
	v_add_u32_e32 v7, 32, v7
	s_cmp_lg_u32 s7, 0
	s_waitcnt lgkmcnt(0)
	v_add_co_u32_e32 v3, vcc, v8, v3
	v_addc_co_u32_e32 v4, vcc, v9, v4, vcc
	s_cbranch_scc1 .LBB30_101
.LBB30_102:                             ;   in Loop: Header=BB30_34 Depth=1
	v_add_lshl_u32 v7, s6, v41, 3
	ds_write_b64 v7, v[3:4] offset:3072
.LBB30_103:                             ;   in Loop: Header=BB30_34 Depth=1
	s_or_b64 exec, exec, s[2:3]
	s_lshl_b32 s2, s6, 3
	v_mov_b32_e32 v3, s2
	s_waitcnt lgkmcnt(0)
	s_barrier
	ds_read_b128 v[11:14], v3 offset:3088
	ds_read_b128 v[7:10], v3 offset:3072
	v_cmp_eq_u64_e64 s[6:7], 1, v[33:34]
	s_lshl_b64 s[14:15], 3, s9
	s_not_b64 s[40:41], s[14:15]
	s_waitcnt lgkmcnt(1)
	v_readfirstlane_b32 s60, v11
	s_waitcnt lgkmcnt(0)
	v_cmp_eq_u64_e32 vcc, 1, v[7:8]
	v_readfirstlane_b32 s61, v12
	v_readfirstlane_b32 s12, v13
	;; [unrolled: 1-line block ×3, first 2 shown]
	s_and_b64 s[10:11], vcc, s[6:7]
	s_mov_b64 s[6:7], -1
	s_mov_b64 s[2:3], -1
                                        ; implicit-def: $sgpr42_sgpr43
                                        ; implicit-def: $sgpr24_sgpr25
	s_and_saveexec_b64 s[16:17], s[10:11]
	s_cbranch_execz .LBB30_135
; %bb.104:                              ;   in Loop: Header=BB30_34 Depth=1
	ds_read_b64 v[3:4], v18 offset:5120
	s_waitcnt lgkmcnt(0)
	s_barrier
	v_readfirstlane_b32 s22, v3
	v_readfirstlane_b32 s23, v4
	s_and_saveexec_b64 s[2:3], s[18:19]
; %bb.105:                              ;   in Loop: Header=BB30_34 Depth=1
	v_mov_b32_e32 v17, v18
	ds_write_b64 v53, v[17:18]
; %bb.106:                              ;   in Loop: Header=BB30_34 Depth=1
	s_or_b64 exec, exec, s[2:3]
	v_cmp_lt_i64_e64 s[2:3], s[22:23], 1
	v_and_b32_e32 v30, s41, v30
	v_and_b32_e32 v29, s40, v29
	v_or_b32_e32 v32, s15, v32
	v_or_b32_e32 v31, s14, v31
	s_mov_b64 s[24:25], -1
	s_mov_b64 s[42:43], 0
	s_and_b64 vcc, exec, s[2:3]
	s_mov_b64 s[2:3], 0
	s_mov_b64 s[28:29], -1
	s_waitcnt lgkmcnt(0)
	s_barrier
                                        ; implicit-def: $vgpr5_vgpr6
	s_cbranch_vccz .LBB30_120
; %bb.107:                              ;   in Loop: Header=BB30_34 Depth=1
	s_mov_b32 s72, s63
	s_cmp_lg_u64 s[72:73], 0
	s_cbranch_scc0 .LBB30_161
; %bb.108:                              ;   in Loop: Header=BB30_34 Depth=1
	s_add_u32 s2, s33, 0
	s_addc_u32 s3, 0, 0
	s_xor_b64 s[2:3], s[2:3], 0
	v_cvt_f32_u32_e32 v3, s2
	v_cvt_f32_u32_e32 v4, s3
	s_sub_u32 s30, 0, s2
	s_subb_u32 s31, 0, s3
	v_mac_f32_e32 v3, 0x4f800000, v4
	v_rcp_f32_e32 v3, v3
	v_mul_f32_e32 v3, 0x5f7ffffc, v3
	v_mul_f32_e32 v4, 0x2f800000, v3
	v_trunc_f32_e32 v4, v4
	v_mac_f32_e32 v3, 0xcf800000, v4
	v_cvt_u32_f32_e32 v4, v4
	v_cvt_u32_f32_e32 v3, v3
	v_readfirstlane_b32 s34, v4
	v_readfirstlane_b32 s28, v3
	s_mul_i32 s29, s30, s34
	s_mul_hi_u32 s36, s30, s28
	s_mul_i32 s35, s31, s28
	s_add_i32 s29, s36, s29
	s_mul_i32 s37, s30, s28
	s_add_i32 s29, s29, s35
	s_mul_i32 s36, s28, s29
	s_mul_hi_u32 s38, s28, s37
	s_mul_hi_u32 s35, s28, s29
	s_add_u32 s36, s38, s36
	s_addc_u32 s35, 0, s35
	s_mul_hi_u32 s39, s34, s37
	s_mul_i32 s37, s34, s37
	s_add_u32 s36, s36, s37
	s_mul_hi_u32 s38, s34, s29
	s_addc_u32 s35, s35, s39
	s_addc_u32 s36, s38, 0
	s_mul_i32 s29, s34, s29
	s_add_u32 s29, s35, s29
	s_addc_u32 s35, 0, s36
	s_add_u32 s36, s28, s29
	s_cselect_b64 s[28:29], -1, 0
	s_cmp_lg_u64 s[28:29], 0
	s_addc_u32 s34, s34, s35
	s_mul_i32 s28, s30, s34
	s_mul_hi_u32 s29, s30, s36
	s_add_i32 s28, s29, s28
	s_mul_i32 s31, s31, s36
	s_add_i32 s28, s28, s31
	s_mul_i32 s30, s30, s36
	s_mul_hi_u32 s31, s34, s30
	s_mul_i32 s35, s34, s30
	s_mul_i32 s38, s36, s28
	s_mul_hi_u32 s30, s36, s30
	s_mul_hi_u32 s37, s36, s28
	s_add_u32 s30, s30, s38
	s_addc_u32 s37, 0, s37
	s_add_u32 s30, s30, s35
	s_mul_hi_u32 s29, s34, s28
	s_addc_u32 s30, s37, s31
	s_addc_u32 s29, s29, 0
	s_mul_i32 s28, s34, s28
	s_add_u32 s28, s30, s28
	s_addc_u32 s30, 0, s29
	s_add_u32 s35, s36, s28
	s_cselect_b64 s[28:29], -1, 0
	s_cmp_lg_u64 s[28:29], 0
	s_addc_u32 s34, s34, s30
	s_ashr_i32 s28, s73, 31
	s_add_u32 s30, s0, s28
	s_mov_b32 s29, s28
	s_addc_u32 s31, s73, s28
	s_xor_b64 s[30:31], s[30:31], s[28:29]
	s_mul_i32 s37, s30, s34
	s_mul_hi_u32 s38, s30, s35
	s_mul_hi_u32 s36, s30, s34
	s_add_u32 s37, s38, s37
	s_addc_u32 s36, 0, s36
	s_mul_hi_u32 s39, s31, s35
	s_mul_i32 s35, s31, s35
	s_add_u32 s35, s37, s35
	s_mul_hi_u32 s38, s31, s34
	s_addc_u32 s35, s36, s39
	s_addc_u32 s36, s38, 0
	s_mul_i32 s34, s31, s34
	s_add_u32 s34, s35, s34
	s_addc_u32 s35, 0, s36
	s_mul_i32 s35, s2, s35
	s_mul_hi_u32 s36, s2, s34
	s_add_i32 s35, s36, s35
	s_mul_i32 s36, s3, s34
	s_add_i32 s38, s35, s36
	s_sub_i32 s36, s31, s38
	s_mul_i32 s34, s2, s34
	s_sub_u32 s30, s30, s34
	s_cselect_b64 s[34:35], -1, 0
	s_cmp_lg_u64 s[34:35], 0
	s_subb_u32 s39, s36, s3
	s_sub_u32 s44, s30, s2
	s_cselect_b64 s[36:37], -1, 0
	s_cmp_lg_u64 s[36:37], 0
	s_subb_u32 s45, s39, 0
	s_cmp_ge_u32 s45, s3
	s_cselect_b32 s46, -1, 0
	s_cmp_ge_u32 s44, s2
	s_cselect_b32 s47, -1, 0
	s_cmp_eq_u32 s45, s3
	s_cselect_b32 s46, s47, s46
	s_cmp_lg_u64 s[36:37], 0
	s_subb_u32 s39, s39, s3
	s_sub_u32 s47, s44, s2
	s_cselect_b64 s[36:37], -1, 0
	s_cmp_lg_u64 s[36:37], 0
	s_subb_u32 s36, s39, 0
	s_cmp_lg_u32 s46, 0
	s_cselect_b32 s37, s47, s44
	s_cselect_b32 s36, s36, s45
	s_cmp_lg_u64 s[34:35], 0
	s_subb_u32 s31, s31, s38
	s_cmp_ge_u32 s31, s3
	s_cselect_b32 s34, -1, 0
	s_cmp_ge_u32 s30, s2
	s_cselect_b32 s2, -1, 0
	s_cmp_eq_u32 s31, s3
	s_cselect_b32 s2, s2, s34
	s_cmp_lg_u32 s2, 0
	s_cselect_b32 s3, s36, s31
	s_cselect_b32 s2, s37, s30
	s_xor_b64 s[2:3], s[2:3], s[28:29]
	s_sub_u32 s2, s2, s28
	s_subb_u32 s3, s3, s28
	s_cbranch_execnz .LBB30_110
.LBB30_109:                             ;   in Loop: Header=BB30_34 Depth=1
	v_cvt_f32_u32_e32 v3, s33
	s_sub_i32 s2, 0, s33
	v_rcp_iflag_f32_e32 v3, v3
	v_mul_f32_e32 v3, 0x4f7ffffe, v3
	v_cvt_u32_f32_e32 v3, v3
	v_readfirstlane_b32 s3, v3
	s_mul_i32 s2, s2, s3
	s_mul_hi_u32 s2, s3, s2
	s_add_i32 s3, s3, s2
	s_mul_hi_u32 s2, s0, s3
	s_mul_i32 s2, s2, s33
	s_sub_i32 s2, s0, s2
	s_sub_i32 s3, s2, s33
	s_cmp_ge_u32 s2, s33
	s_cselect_b32 s2, s3, s2
	s_sub_i32 s3, s2, s33
	s_cmp_ge_u32 s2, s33
	s_cselect_b32 s62, s3, s2
	s_mov_b64 s[2:3], s[62:63]
.LBB30_110:                             ;   in Loop: Header=BB30_34 Depth=1
	s_sub_u32 s36, s0, s2
	s_subb_u32 s37, s73, s3
	v_cmp_gt_i64_e32 vcc, s[36:37], v[0:1]
	s_mov_b64 s[28:29], 0
	s_mov_b64 s[2:3], 0
                                        ; implicit-def: $vgpr5_vgpr6
	s_and_saveexec_b64 s[30:31], vcc
	s_cbranch_execz .LBB30_119
; %bb.111:                              ;   in Loop: Header=BB30_34 Depth=1
	v_mov_b32_e32 v11, v15
	v_mov_b32_e32 v14, v1
	;; [unrolled: 1-line block ×4, first 2 shown]
                                        ; implicit-def: $sgpr38_sgpr39
	s_branch .LBB30_114
.LBB30_112:                             ;   in Loop: Header=BB30_114 Depth=2
	s_or_b64 exec, exec, s[34:35]
	s_waitcnt lgkmcnt(0)
	s_barrier
	ds_read_b128 v[3:6], v18 offset:3072
	s_mov_b64 s[34:35], -1
	s_mov_b64 s[44:45], -1
	s_waitcnt lgkmcnt(0)
	s_barrier
	v_cmp_ne_u64_e32 vcc, 0, v[3:4]
	s_cbranch_vccz .LBB30_117
.LBB30_113:                             ;   in Loop: Header=BB30_114 Depth=2
	s_and_b64 s[34:35], exec, s[34:35]
	s_or_b64 s[2:3], s[34:35], s[2:3]
	s_andn2_b64 s[34:35], s[38:39], exec
	s_and_b64 s[38:39], s[44:45], exec
	s_or_b64 s[38:39], s[34:35], s[38:39]
	s_andn2_b64 exec, exec, s[2:3]
	s_cbranch_execz .LBB30_118
.LBB30_114:                             ;   Parent Loop BB30_34 Depth=1
                                        ; =>  This Inner Loop Header: Depth=2
	v_cmp_gt_i64_e32 vcc, s[20:21], v[13:14]
	s_and_saveexec_b64 s[34:35], vcc
	s_cbranch_execz .LBB30_112
; %bb.115:                              ;   in Loop: Header=BB30_114 Depth=2
	global_load_dwordx2 v[4:5], v[11:12], off
	s_waitcnt vmcnt(0)
	v_xor_b32_e32 v3, 0x80000000, v5
	v_and_b32_e32 v36, v3, v32
	v_and_b32_e32 v35, v4, v31
	v_cmp_eq_u64_e32 vcc, v[35:36], v[29:30]
	s_and_b64 exec, exec, vcc
	s_cbranch_execz .LBB30_112
; %bb.116:                              ;   in Loop: Header=BB30_114 Depth=2
	v_mov_b32_e32 v3, v18
	ds_write_b128 v18, v[2:5] offset:3072
	s_branch .LBB30_112
.LBB30_117:                             ;   in Loop: Header=BB30_114 Depth=2
	v_add_co_u32_e32 v13, vcc, s33, v13
	v_addc_co_u32_e32 v14, vcc, 0, v14, vcc
	v_mov_b32_e32 v3, s65
	v_add_co_u32_e32 v11, vcc, s64, v11
	v_addc_co_u32_e32 v12, vcc, v12, v3, vcc
	v_cmp_le_i64_e32 vcc, s[36:37], v[13:14]
	s_mov_b64 s[44:45], 0
	s_orn2_b64 s[34:35], vcc, exec
	s_branch .LBB30_113
.LBB30_118:                             ;   in Loop: Header=BB30_34 Depth=1
	s_or_b64 exec, exec, s[2:3]
	s_and_b64 s[2:3], s[38:39], exec
.LBB30_119:                             ;   in Loop: Header=BB30_34 Depth=1
	s_or_b64 exec, exec, s[30:31]
.LBB30_120:                             ;   in Loop: Header=BB30_34 Depth=1
	s_and_b64 vcc, exec, s[28:29]
	s_cbranch_vccz .LBB30_134
; %bb.121:                              ;   in Loop: Header=BB30_34 Depth=1
	s_add_u32 s34, s22, s71
	s_addc_u32 s25, s23, s81
	s_mov_b32 s24, s63
	s_cmp_lg_u64 s[24:25], 0
	s_cbranch_scc0 .LBB30_162
; %bb.122:                              ;   in Loop: Header=BB30_34 Depth=1
	s_add_u32 s28, s33, 0
	s_addc_u32 s29, 0, 0
	s_xor_b64 s[42:43], s[28:29], 0
	v_cvt_f32_u32_e32 v3, s42
	v_cvt_f32_u32_e32 v4, s43
	s_sub_u32 s24, 0, s42
	s_subb_u32 s30, 0, s43
	v_mac_f32_e32 v3, 0x4f800000, v4
	v_rcp_f32_e32 v3, v3
	v_mul_f32_e32 v3, 0x5f7ffffc, v3
	v_mul_f32_e32 v4, 0x2f800000, v3
	v_trunc_f32_e32 v4, v4
	v_mac_f32_e32 v3, 0xcf800000, v4
	v_cvt_u32_f32_e32 v4, v4
	v_cvt_u32_f32_e32 v3, v3
	v_readfirstlane_b32 s31, v4
	v_readfirstlane_b32 s28, v3
	s_mul_i32 s29, s24, s31
	s_mul_hi_u32 s36, s24, s28
	s_mul_i32 s35, s30, s28
	s_add_i32 s29, s36, s29
	s_mul_i32 s37, s24, s28
	s_add_i32 s29, s29, s35
	s_mul_i32 s36, s28, s29
	s_mul_hi_u32 s38, s28, s37
	s_mul_hi_u32 s35, s28, s29
	s_add_u32 s36, s38, s36
	s_addc_u32 s35, 0, s35
	s_mul_hi_u32 s39, s31, s37
	s_mul_i32 s37, s31, s37
	s_add_u32 s36, s36, s37
	s_mul_hi_u32 s38, s31, s29
	s_addc_u32 s35, s35, s39
	s_addc_u32 s36, s38, 0
	s_mul_i32 s29, s31, s29
	s_add_u32 s29, s35, s29
	s_addc_u32 s35, 0, s36
	s_add_u32 s36, s28, s29
	s_cselect_b64 s[28:29], -1, 0
	s_cmp_lg_u64 s[28:29], 0
	s_addc_u32 s31, s31, s35
	s_mul_i32 s28, s24, s31
	s_mul_hi_u32 s29, s24, s36
	s_add_i32 s28, s29, s28
	s_mul_i32 s30, s30, s36
	s_add_i32 s28, s28, s30
	s_mul_i32 s24, s24, s36
	s_mul_hi_u32 s30, s31, s24
	s_mul_i32 s35, s31, s24
	s_mul_i32 s38, s36, s28
	s_mul_hi_u32 s24, s36, s24
	s_mul_hi_u32 s37, s36, s28
	s_add_u32 s24, s24, s38
	s_addc_u32 s37, 0, s37
	s_add_u32 s24, s24, s35
	s_mul_hi_u32 s29, s31, s28
	s_addc_u32 s24, s37, s30
	s_addc_u32 s29, s29, 0
	s_mul_i32 s28, s31, s28
	s_add_u32 s24, s24, s28
	s_addc_u32 s30, 0, s29
	s_add_u32 s24, s36, s24
	s_cselect_b64 s[28:29], -1, 0
	s_cmp_lg_u64 s[28:29], 0
	s_addc_u32 s35, s31, s30
	s_ashr_i32 s30, s25, 31
	s_add_u32 s28, s34, s30
	s_mov_b32 s31, s30
	s_addc_u32 s29, s25, s30
	s_xor_b64 s[28:29], s[28:29], s[30:31]
	s_mul_i32 s37, s28, s35
	s_mul_hi_u32 s38, s28, s24
	s_mul_hi_u32 s36, s28, s35
	s_add_u32 s37, s38, s37
	s_addc_u32 s36, 0, s36
	s_mul_hi_u32 s39, s29, s24
	s_mul_i32 s24, s29, s24
	s_add_u32 s24, s37, s24
	s_mul_hi_u32 s38, s29, s35
	s_addc_u32 s24, s36, s39
	s_addc_u32 s36, s38, 0
	s_mul_i32 s35, s29, s35
	s_add_u32 s24, s24, s35
	s_addc_u32 s35, 0, s36
	s_mul_i32 s35, s42, s35
	s_mul_hi_u32 s36, s42, s24
	s_add_i32 s35, s36, s35
	s_mul_i32 s36, s43, s24
	s_add_i32 s35, s35, s36
	s_sub_i32 s38, s29, s35
	s_mul_i32 s24, s42, s24
	s_sub_u32 s24, s28, s24
	s_cselect_b64 s[36:37], -1, 0
	s_cmp_lg_u64 s[36:37], 0
	s_subb_u32 s28, s38, s43
	s_sub_u32 s44, s24, s42
	s_cselect_b64 s[38:39], -1, 0
	s_cmp_lg_u64 s[38:39], 0
	s_subb_u32 s45, s28, 0
	s_cmp_ge_u32 s45, s43
	s_cselect_b32 s46, -1, 0
	s_cmp_ge_u32 s44, s42
	s_cselect_b32 s47, -1, 0
	s_cmp_eq_u32 s45, s43
	s_cselect_b32 s46, s47, s46
	s_cmp_lg_u64 s[38:39], 0
	s_subb_u32 s28, s28, s43
	s_sub_u32 s47, s44, s42
	s_cselect_b64 s[38:39], -1, 0
	s_cmp_lg_u64 s[38:39], 0
	s_subb_u32 s28, s28, 0
	s_cmp_lg_u32 s46, 0
	s_cselect_b32 s38, s47, s44
	s_cselect_b32 s28, s28, s45
	s_cmp_lg_u64 s[36:37], 0
	s_subb_u32 s29, s29, s35
	s_cmp_ge_u32 s29, s43
	s_cselect_b32 s35, -1, 0
	s_cmp_ge_u32 s24, s42
	s_cselect_b32 s36, -1, 0
	s_cmp_eq_u32 s29, s43
	s_cselect_b32 s35, s36, s35
	s_cmp_lg_u32 s35, 0
	s_cselect_b32 s29, s28, s29
	s_cselect_b32 s28, s38, s24
	s_xor_b64 s[28:29], s[28:29], s[30:31]
	s_sub_u32 s28, s28, s30
	s_subb_u32 s29, s29, s30
	s_cbranch_execnz .LBB30_124
.LBB30_123:                             ;   in Loop: Header=BB30_34 Depth=1
	v_cvt_f32_u32_e32 v3, s33
	s_sub_i32 s24, 0, s33
	v_rcp_iflag_f32_e32 v3, v3
	v_mul_f32_e32 v3, 0x4f7ffffe, v3
	v_cvt_u32_f32_e32 v3, v3
	v_readfirstlane_b32 s28, v3
	s_mul_i32 s24, s24, s28
	s_mul_hi_u32 s24, s28, s24
	s_add_i32 s28, s28, s24
	s_mul_hi_u32 s24, s34, s28
	s_mul_i32 s24, s24, s33
	s_sub_i32 s24, s34, s24
	s_sub_i32 s28, s24, s33
	s_cmp_ge_u32 s24, s33
	s_cselect_b32 s24, s28, s24
	s_sub_i32 s28, s24, s33
	s_cmp_ge_u32 s24, s33
	s_cselect_b32 s62, s28, s24
	s_mov_b64 s[28:29], s[62:63]
.LBB30_124:                             ;   in Loop: Header=BB30_34 Depth=1
	s_sub_u32 s28, s34, s28
	s_subb_u32 s29, s25, s29
	v_cmp_gt_i64_e32 vcc, s[28:29], v[0:1]
                                        ; implicit-def: $vgpr5_vgpr6
	s_and_saveexec_b64 s[24:25], vcc
	s_cbranch_execz .LBB30_133
; %bb.125:                              ;   in Loop: Header=BB30_34 Depth=1
	v_mov_b32_e32 v12, v1
	s_mov_b64 s[36:37], 0
	v_mov_b32_e32 v13, v52
	v_mov_b32_e32 v11, v0
                                        ; implicit-def: $sgpr30_sgpr31
	s_branch .LBB30_128
.LBB30_126:                             ;   in Loop: Header=BB30_128 Depth=2
	s_or_b64 exec, exec, s[34:35]
	s_waitcnt lgkmcnt(0)
	s_barrier
	ds_read_b128 v[3:6], v18 offset:3072
	s_mov_b64 s[34:35], -1
	s_mov_b64 s[38:39], -1
	s_waitcnt lgkmcnt(0)
	s_barrier
	v_cmp_ne_u64_e32 vcc, 0, v[3:4]
	s_cbranch_vccz .LBB30_131
.LBB30_127:                             ;   in Loop: Header=BB30_128 Depth=2
	s_and_b64 s[34:35], exec, s[34:35]
	s_or_b64 s[36:37], s[34:35], s[36:37]
	s_andn2_b64 s[30:31], s[30:31], exec
	s_and_b64 s[34:35], s[38:39], exec
	s_or_b64 s[30:31], s[30:31], s[34:35]
	s_andn2_b64 exec, exec, s[36:37]
	s_cbranch_execz .LBB30_132
.LBB30_128:                             ;   Parent Loop BB30_34 Depth=1
                                        ; =>  This Inner Loop Header: Depth=2
	v_cmp_gt_u64_e32 vcc, s[22:23], v[11:12]
	s_and_saveexec_b64 s[34:35], vcc
	s_cbranch_execz .LBB30_126
; %bb.129:                              ;   in Loop: Header=BB30_128 Depth=2
	ds_read_b64 v[4:5], v13
	s_waitcnt lgkmcnt(0)
	v_xor_b32_e32 v3, 0x80000000, v5
	v_and_b32_e32 v36, v3, v32
	v_and_b32_e32 v35, v4, v31
	v_cmp_eq_u64_e32 vcc, v[35:36], v[29:30]
	s_and_b64 exec, exec, vcc
	s_cbranch_execz .LBB30_126
; %bb.130:                              ;   in Loop: Header=BB30_128 Depth=2
	v_mov_b32_e32 v3, v18
	ds_write_b128 v18, v[2:5] offset:3072
	s_branch .LBB30_126
.LBB30_131:                             ;   in Loop: Header=BB30_128 Depth=2
	v_add_co_u32_e32 v11, vcc, s33, v11
	v_addc_co_u32_e32 v12, vcc, 0, v12, vcc
	v_cmp_le_i64_e32 vcc, s[28:29], v[11:12]
	v_add_u32_e32 v13, s8, v13
	s_mov_b64 s[38:39], 0
	s_orn2_b64 s[34:35], vcc, exec
	s_branch .LBB30_127
.LBB30_132:                             ;   in Loop: Header=BB30_34 Depth=1
	s_or_b64 exec, exec, s[36:37]
	s_andn2_b64 s[2:3], s[2:3], exec
	s_and_b64 s[22:23], s[30:31], exec
	s_or_b64 s[2:3], s[2:3], s[22:23]
.LBB30_133:                             ;   in Loop: Header=BB30_34 Depth=1
	s_or_b64 exec, exec, s[24:25]
	s_mov_b64 s[24:25], 0
	s_mov_b64 s[42:43], -1
.LBB30_134:                             ;   in Loop: Header=BB30_34 Depth=1
	s_orn2_b64 s[2:3], s[2:3], exec
.LBB30_135:                             ;   in Loop: Header=BB30_34 Depth=1
	s_or_b64 exec, exec, s[16:17]
	s_andn2_b64 s[16:17], s[58:59], exec
	s_and_b64 s[22:23], s[42:43], exec
	s_or_b64 s[58:59], s[16:17], s[22:23]
	s_andn2_b64 s[16:17], s[56:57], exec
	s_and_b64 s[22:23], s[24:25], exec
	s_andn2_b64 s[94:95], s[94:95], exec
	s_or_b64 s[56:57], s[16:17], s[22:23]
                                        ; implicit-def: $vgpr11_vgpr12
	s_and_saveexec_b64 s[16:17], s[2:3]
	s_cbranch_execz .LBB30_33
; %bb.136:                              ;   in Loop: Header=BB30_34 Depth=1
	v_mov_b32_e32 v11, 1
	s_xor_b64 s[6:7], s[10:11], -1
	v_mov_b32_e32 v35, 1
	v_mov_b32_e32 v12, 0
	s_mov_b64 s[10:11], 0
	s_and_saveexec_b64 s[2:3], s[6:7]
	s_cbranch_execz .LBB30_145
; %bb.137:                              ;   in Loop: Header=BB30_34 Depth=1
	v_cmp_le_i64_e32 vcc, v[33:34], v[7:8]
	s_and_saveexec_b64 s[6:7], vcc
	s_xor_b64 s[6:7], exec, s[6:7]
	s_cbranch_execz .LBB30_142
; %bb.138:                              ;   in Loop: Header=BB30_34 Depth=1
	ds_read_b64 v[3:4], v18 offset:5120
	v_and_b32_e32 v30, s41, v30
	v_and_b32_e32 v29, s40, v29
	v_or_b32_e32 v32, s15, v32
	v_or_b32_e32 v31, s14, v31
	s_waitcnt lgkmcnt(0)
	v_cmp_ne_u64_e32 vcc, 0, v[3:4]
	s_cbranch_vccnz .LBB30_142
; %bb.139:                              ;   in Loop: Header=BB30_34 Depth=1
	s_mov_b64 s[10:11], exec
	v_readlane_b32 s22, v56, 30
	v_readlane_b32 s23, v56, 31
	s_and_b64 s[22:23], s[10:11], s[22:23]
	s_mov_b64 exec, s[22:23]
; %bb.140:                              ;   in Loop: Header=BB30_34 Depth=1
	ds_write_b64 v18, v[7:8] offset:5128
; %bb.141:                              ;   in Loop: Header=BB30_34 Depth=1
	s_or_b64 exec, exec, s[10:11]
	s_waitcnt lgkmcnt(0)
	s_barrier
.LBB30_142:                             ;   in Loop: Header=BB30_34 Depth=1
	s_or_saveexec_b64 s[6:7], s[6:7]
	s_mov_b64 s[10:11], 0
	v_mov_b32_e32 v35, 8
	s_xor_b64 exec, exec, s[6:7]
; %bb.143:                              ;   in Loop: Header=BB30_34 Depth=1
	v_sub_co_u32_e32 v33, vcc, v33, v7
	v_subb_co_u32_e32 v34, vcc, v34, v8, vcc
	v_mov_b32_e32 v35, 0
	s_mov_b64 s[10:11], exec
; %bb.144:                              ;   in Loop: Header=BB30_34 Depth=1
	s_or_b64 exec, exec, s[6:7]
	v_mov_b32_e32 v11, v33
	s_and_b64 s[10:11], s[10:11], exec
	v_mov_b32_e32 v12, v34
.LBB30_145:                             ;   in Loop: Header=BB30_34 Depth=1
	s_or_b64 exec, exec, s[2:3]
	s_mov_b64 s[22:23], -1
	s_mov_b64 s[2:3], -1
                                        ; implicit-def: $sgpr6_sgpr7
                                        ; implicit-def: $sgpr42_sgpr43
	s_and_saveexec_b64 s[24:25], s[10:11]
	s_xor_b64 s[54:55], exec, s[24:25]
	s_cbranch_execz .LBB30_287
; %bb.146:                              ;   in Loop: Header=BB30_34 Depth=1
	v_cmp_eq_u64_e32 vcc, 1, v[9:10]
	v_cmp_eq_u64_e64 s[6:7], 1, v[11:12]
                                        ; implicit-def: $sgpr42_sgpr43
	s_and_b64 s[10:11], vcc, s[6:7]
                                        ; implicit-def: $sgpr6_sgpr7
	s_and_saveexec_b64 s[24:25], s[10:11]
	s_cbranch_execz .LBB30_180
; %bb.147:                              ;   in Loop: Header=BB30_34 Depth=1
	ds_read_b64 v[3:4], v18 offset:5120
	s_waitcnt lgkmcnt(0)
	s_barrier
	v_readfirstlane_b32 s44, v3
	v_readfirstlane_b32 s45, v4
	s_and_saveexec_b64 s[2:3], s[18:19]
; %bb.148:                              ;   in Loop: Header=BB30_34 Depth=1
	v_mov_b32_e32 v17, v18
	ds_write_b64 v53, v[17:18]
; %bb.149:                              ;   in Loop: Header=BB30_34 Depth=1
	s_or_b64 exec, exec, s[2:3]
	s_lshl_b64 s[2:3], 1, s9
	v_and_b32_e32 v3, s41, v30
	v_and_b32_e32 v4, s40, v29
	v_or_b32_e32 v30, s3, v3
	v_or_b32_e32 v29, s2, v4
	v_cmp_gt_i64_e64 s[2:3], s[44:45], 0
	v_or_b32_e32 v32, s15, v32
	v_or_b32_e32 v31, s14, v31
	s_mov_b64 s[6:7], -1
	s_mov_b64 s[42:43], 0
	s_and_b64 vcc, exec, s[2:3]
	s_mov_b64 s[46:47], 0
	s_mov_b64 s[2:3], -1
	s_waitcnt lgkmcnt(0)
	s_barrier
                                        ; implicit-def: $vgpr5_vgpr6
	s_cbranch_vccnz .LBB30_165
; %bb.150:                              ;   in Loop: Header=BB30_34 Depth=1
	s_mov_b32 s72, s63
	s_cmp_lg_u64 s[72:73], 0
	s_cbranch_scc0 .LBB30_207
; %bb.151:                              ;   in Loop: Header=BB30_34 Depth=1
	s_add_u32 s2, s33, 0
	s_addc_u32 s3, 0, 0
	s_xor_b64 s[2:3], s[2:3], 0
	v_cvt_f32_u32_e32 v3, s2
	v_cvt_f32_u32_e32 v4, s3
	s_sub_u32 s30, 0, s2
	s_subb_u32 s31, 0, s3
	v_mac_f32_e32 v3, 0x4f800000, v4
	v_rcp_f32_e32 v3, v3
	v_mul_f32_e32 v3, 0x5f7ffffc, v3
	v_mul_f32_e32 v4, 0x2f800000, v3
	v_trunc_f32_e32 v4, v4
	v_mac_f32_e32 v3, 0xcf800000, v4
	v_cvt_u32_f32_e32 v4, v4
	v_cvt_u32_f32_e32 v3, v3
	v_readfirstlane_b32 s34, v4
	v_readfirstlane_b32 s28, v3
	s_mul_i32 s29, s30, s34
	s_mul_hi_u32 s36, s30, s28
	s_mul_i32 s35, s31, s28
	s_add_i32 s29, s36, s29
	s_mul_i32 s37, s30, s28
	s_add_i32 s29, s29, s35
	s_mul_i32 s36, s28, s29
	s_mul_hi_u32 s38, s28, s37
	s_mul_hi_u32 s35, s28, s29
	s_add_u32 s36, s38, s36
	s_addc_u32 s35, 0, s35
	s_mul_hi_u32 s39, s34, s37
	s_mul_i32 s37, s34, s37
	s_add_u32 s36, s36, s37
	s_mul_hi_u32 s38, s34, s29
	s_addc_u32 s35, s35, s39
	s_addc_u32 s36, s38, 0
	s_mul_i32 s29, s34, s29
	s_add_u32 s29, s35, s29
	s_addc_u32 s35, 0, s36
	s_add_u32 s36, s28, s29
	s_cselect_b64 s[28:29], -1, 0
	s_cmp_lg_u64 s[28:29], 0
	s_addc_u32 s34, s34, s35
	s_mul_i32 s28, s30, s34
	s_mul_hi_u32 s29, s30, s36
	s_add_i32 s28, s29, s28
	s_mul_i32 s31, s31, s36
	s_add_i32 s28, s28, s31
	s_mul_i32 s30, s30, s36
	s_mul_hi_u32 s31, s34, s30
	s_mul_i32 s35, s34, s30
	s_mul_i32 s38, s36, s28
	s_mul_hi_u32 s30, s36, s30
	s_mul_hi_u32 s37, s36, s28
	s_add_u32 s30, s30, s38
	s_addc_u32 s37, 0, s37
	s_add_u32 s30, s30, s35
	s_mul_hi_u32 s29, s34, s28
	s_addc_u32 s30, s37, s31
	s_addc_u32 s29, s29, 0
	s_mul_i32 s28, s34, s28
	s_add_u32 s28, s30, s28
	s_addc_u32 s30, 0, s29
	s_add_u32 s35, s36, s28
	s_cselect_b64 s[28:29], -1, 0
	s_cmp_lg_u64 s[28:29], 0
	s_addc_u32 s34, s34, s30
	s_ashr_i32 s28, s73, 31
	s_add_u32 s30, s0, s28
	s_mov_b32 s29, s28
	s_addc_u32 s31, s73, s28
	s_xor_b64 s[30:31], s[30:31], s[28:29]
	s_mul_i32 s37, s30, s34
	s_mul_hi_u32 s38, s30, s35
	s_mul_hi_u32 s36, s30, s34
	s_add_u32 s37, s38, s37
	s_addc_u32 s36, 0, s36
	s_mul_hi_u32 s39, s31, s35
	s_mul_i32 s35, s31, s35
	s_add_u32 s35, s37, s35
	s_mul_hi_u32 s38, s31, s34
	s_addc_u32 s35, s36, s39
	s_addc_u32 s36, s38, 0
	s_mul_i32 s34, s31, s34
	s_add_u32 s34, s35, s34
	s_addc_u32 s35, 0, s36
	s_mul_i32 s35, s2, s35
	s_mul_hi_u32 s36, s2, s34
	s_add_i32 s35, s36, s35
	s_mul_i32 s36, s3, s34
	s_add_i32 s38, s35, s36
	s_sub_i32 s36, s31, s38
	s_mul_i32 s34, s2, s34
	s_sub_u32 s30, s30, s34
	s_cselect_b64 s[34:35], -1, 0
	s_cmp_lg_u64 s[34:35], 0
	s_subb_u32 s39, s36, s3
	s_sub_u32 s46, s30, s2
	s_cselect_b64 s[36:37], -1, 0
	s_cmp_lg_u64 s[36:37], 0
	s_subb_u32 s47, s39, 0
	s_cmp_ge_u32 s47, s3
	s_cselect_b32 s48, -1, 0
	s_cmp_ge_u32 s46, s2
	s_cselect_b32 s49, -1, 0
	s_cmp_eq_u32 s47, s3
	s_cselect_b32 s48, s49, s48
	s_cmp_lg_u64 s[36:37], 0
	s_subb_u32 s39, s39, s3
	s_sub_u32 s49, s46, s2
	s_cselect_b64 s[36:37], -1, 0
	s_cmp_lg_u64 s[36:37], 0
	s_subb_u32 s36, s39, 0
	s_cmp_lg_u32 s48, 0
	s_cselect_b32 s37, s49, s46
	s_cselect_b32 s36, s36, s47
	s_cmp_lg_u64 s[34:35], 0
	s_subb_u32 s31, s31, s38
	s_cmp_ge_u32 s31, s3
	s_cselect_b32 s34, -1, 0
	s_cmp_ge_u32 s30, s2
	s_cselect_b32 s2, -1, 0
	s_cmp_eq_u32 s31, s3
	s_cselect_b32 s2, s2, s34
	s_cmp_lg_u32 s2, 0
	s_cselect_b32 s3, s36, s31
	s_cselect_b32 s2, s37, s30
	s_xor_b64 s[2:3], s[2:3], s[28:29]
	s_sub_u32 s2, s2, s28
	s_subb_u32 s3, s3, s28
	s_cbranch_execnz .LBB30_153
.LBB30_152:                             ;   in Loop: Header=BB30_34 Depth=1
	v_cvt_f32_u32_e32 v3, s33
	s_sub_i32 s2, 0, s33
	v_rcp_iflag_f32_e32 v3, v3
	v_mul_f32_e32 v3, 0x4f7ffffe, v3
	v_cvt_u32_f32_e32 v3, v3
	v_readfirstlane_b32 s3, v3
	s_mul_i32 s2, s2, s3
	s_mul_hi_u32 s2, s3, s2
	s_add_i32 s3, s3, s2
	s_mul_hi_u32 s2, s0, s3
	s_mul_i32 s2, s2, s33
	s_sub_i32 s2, s0, s2
	s_sub_i32 s3, s2, s33
	s_cmp_ge_u32 s2, s33
	s_cselect_b32 s2, s3, s2
	s_sub_i32 s3, s2, s33
	s_cmp_ge_u32 s2, s33
	s_cselect_b32 s62, s3, s2
	s_mov_b64 s[2:3], s[62:63]
.LBB30_153:                             ;   in Loop: Header=BB30_34 Depth=1
	s_sub_u32 s30, s0, s2
	s_subb_u32 s31, s73, s3
	v_cmp_gt_i64_e32 vcc, s[30:31], v[0:1]
	s_mov_b64 s[2:3], 0
	s_mov_b64 s[46:47], 0
                                        ; implicit-def: $vgpr5_vgpr6
	s_and_saveexec_b64 s[28:29], vcc
	s_cbranch_execz .LBB30_164
; %bb.154:                              ;   in Loop: Header=BB30_34 Depth=1
	v_mov_b32_e32 v7, v15
	v_mov_b32_e32 v14, v1
	s_mov_b64 s[36:37], 0
	v_mov_b32_e32 v8, v16
	v_mov_b32_e32 v13, v0
                                        ; implicit-def: $sgpr38_sgpr39
	s_branch .LBB30_157
.LBB30_155:                             ;   in Loop: Header=BB30_157 Depth=2
	s_or_b64 exec, exec, s[46:47]
	s_waitcnt lgkmcnt(0)
	s_barrier
	ds_read_b128 v[3:6], v18 offset:3072
	s_mov_b64 s[34:35], -1
	s_mov_b64 s[46:47], -1
	s_waitcnt lgkmcnt(0)
	s_barrier
	v_cmp_ne_u64_e32 vcc, 0, v[3:4]
	s_cbranch_vccz .LBB30_160
.LBB30_156:                             ;   in Loop: Header=BB30_157 Depth=2
	s_and_b64 s[34:35], exec, s[34:35]
	s_or_b64 s[36:37], s[34:35], s[36:37]
	s_andn2_b64 s[34:35], s[38:39], exec
	s_and_b64 s[38:39], s[46:47], exec
	s_or_b64 s[38:39], s[34:35], s[38:39]
	s_andn2_b64 exec, exec, s[36:37]
	s_cbranch_execz .LBB30_163
.LBB30_157:                             ;   Parent Loop BB30_34 Depth=1
                                        ; =>  This Inner Loop Header: Depth=2
	v_cmp_gt_i64_e32 vcc, s[20:21], v[13:14]
	s_and_saveexec_b64 s[46:47], vcc
	s_cbranch_execz .LBB30_155
; %bb.158:                              ;   in Loop: Header=BB30_157 Depth=2
	global_load_dwordx2 v[4:5], v[7:8], off
	s_waitcnt vmcnt(0)
	v_xor_b32_e32 v3, 0x80000000, v5
	v_and_b32_e32 v34, v3, v32
	v_and_b32_e32 v33, v4, v31
	v_cmp_eq_u64_e32 vcc, v[33:34], v[29:30]
	s_and_b64 exec, exec, vcc
	s_cbranch_execz .LBB30_155
; %bb.159:                              ;   in Loop: Header=BB30_157 Depth=2
	v_mov_b32_e32 v3, v18
	ds_write_b128 v18, v[2:5] offset:3072
	s_branch .LBB30_155
.LBB30_160:                             ;   in Loop: Header=BB30_157 Depth=2
	v_add_co_u32_e32 v13, vcc, s33, v13
	v_addc_co_u32_e32 v14, vcc, 0, v14, vcc
	v_mov_b32_e32 v3, s65
	v_add_co_u32_e32 v7, vcc, s64, v7
	v_addc_co_u32_e32 v8, vcc, v8, v3, vcc
	v_cmp_le_i64_e32 vcc, s[30:31], v[13:14]
	s_mov_b64 s[46:47], 0
	s_orn2_b64 s[34:35], vcc, exec
	s_branch .LBB30_156
.LBB30_161:                             ;   in Loop: Header=BB30_34 Depth=1
                                        ; implicit-def: $sgpr2_sgpr3
	s_andn2_b64 vcc, exec, s[28:29]
	s_cbranch_vccz .LBB30_109
	s_branch .LBB30_110
.LBB30_162:                             ;   in Loop: Header=BB30_34 Depth=1
                                        ; implicit-def: $sgpr28_sgpr29
	s_branch .LBB30_123
.LBB30_163:                             ;   in Loop: Header=BB30_34 Depth=1
	s_or_b64 exec, exec, s[36:37]
	s_and_b64 s[46:47], s[38:39], exec
.LBB30_164:                             ;   in Loop: Header=BB30_34 Depth=1
	s_or_b64 exec, exec, s[28:29]
.LBB30_165:                             ;   in Loop: Header=BB30_34 Depth=1
	s_and_b64 vcc, exec, s[2:3]
	s_cbranch_vccz .LBB30_179
; %bb.166:                              ;   in Loop: Header=BB30_34 Depth=1
	s_add_u32 s30, s44, s71
	s_addc_u32 s3, s45, s81
	s_mov_b32 s2, s63
	s_cmp_lg_u64 s[2:3], 0
	s_cbranch_scc0 .LBB30_208
; %bb.167:                              ;   in Loop: Header=BB30_34 Depth=1
	s_add_u32 s6, s33, 0
	s_addc_u32 s7, 0, 0
	s_xor_b64 s[6:7], s[6:7], 0
	v_cvt_f32_u32_e32 v3, s6
	v_cvt_f32_u32_e32 v4, s7
	s_sub_u32 s2, 0, s6
	s_subb_u32 s31, 0, s7
	v_mac_f32_e32 v3, 0x4f800000, v4
	v_rcp_f32_e32 v3, v3
	v_mul_f32_e32 v3, 0x5f7ffffc, v3
	v_mul_f32_e32 v4, 0x2f800000, v3
	v_trunc_f32_e32 v4, v4
	v_mac_f32_e32 v3, 0xcf800000, v4
	v_cvt_u32_f32_e32 v4, v4
	v_cvt_u32_f32_e32 v3, v3
	v_readfirstlane_b32 s34, v4
	v_readfirstlane_b32 s28, v3
	s_mul_i32 s29, s2, s34
	s_mul_hi_u32 s36, s2, s28
	s_mul_i32 s35, s31, s28
	s_add_i32 s29, s36, s29
	s_mul_i32 s37, s2, s28
	s_add_i32 s29, s29, s35
	s_mul_i32 s36, s28, s29
	s_mul_hi_u32 s38, s28, s37
	s_mul_hi_u32 s35, s28, s29
	s_add_u32 s36, s38, s36
	s_addc_u32 s35, 0, s35
	s_mul_hi_u32 s39, s34, s37
	s_mul_i32 s37, s34, s37
	s_add_u32 s36, s36, s37
	s_mul_hi_u32 s38, s34, s29
	s_addc_u32 s35, s35, s39
	s_addc_u32 s36, s38, 0
	s_mul_i32 s29, s34, s29
	s_add_u32 s29, s35, s29
	s_addc_u32 s35, 0, s36
	s_add_u32 s36, s28, s29
	s_cselect_b64 s[28:29], -1, 0
	s_cmp_lg_u64 s[28:29], 0
	s_addc_u32 s34, s34, s35
	s_mul_i32 s28, s2, s34
	s_mul_hi_u32 s29, s2, s36
	s_add_i32 s28, s29, s28
	s_mul_i32 s31, s31, s36
	s_add_i32 s28, s28, s31
	s_mul_i32 s2, s2, s36
	s_mul_hi_u32 s31, s34, s2
	s_mul_i32 s35, s34, s2
	s_mul_i32 s38, s36, s28
	s_mul_hi_u32 s2, s36, s2
	s_mul_hi_u32 s37, s36, s28
	s_add_u32 s2, s2, s38
	s_addc_u32 s37, 0, s37
	s_add_u32 s2, s2, s35
	s_mul_hi_u32 s29, s34, s28
	s_addc_u32 s2, s37, s31
	s_addc_u32 s29, s29, 0
	s_mul_i32 s28, s34, s28
	s_add_u32 s2, s2, s28
	s_addc_u32 s31, 0, s29
	s_add_u32 s2, s36, s2
	s_cselect_b64 s[28:29], -1, 0
	s_cmp_lg_u64 s[28:29], 0
	s_addc_u32 s31, s34, s31
	s_ashr_i32 s28, s3, 31
	s_add_u32 s34, s30, s28
	s_mov_b32 s29, s28
	s_addc_u32 s35, s3, s28
	s_xor_b64 s[34:35], s[34:35], s[28:29]
	s_mul_i32 s37, s34, s31
	s_mul_hi_u32 s38, s34, s2
	s_mul_hi_u32 s36, s34, s31
	s_add_u32 s37, s38, s37
	s_addc_u32 s36, 0, s36
	s_mul_hi_u32 s39, s35, s2
	s_mul_i32 s2, s35, s2
	s_add_u32 s2, s37, s2
	s_mul_hi_u32 s38, s35, s31
	s_addc_u32 s2, s36, s39
	s_addc_u32 s36, s38, 0
	s_mul_i32 s31, s35, s31
	s_add_u32 s2, s2, s31
	s_addc_u32 s31, 0, s36
	s_mul_i32 s31, s6, s31
	s_mul_hi_u32 s36, s6, s2
	s_add_i32 s31, s36, s31
	s_mul_i32 s36, s7, s2
	s_add_i32 s31, s31, s36
	s_sub_i32 s38, s35, s31
	s_mul_i32 s2, s6, s2
	s_sub_u32 s2, s34, s2
	s_cselect_b64 s[36:37], -1, 0
	s_cmp_lg_u64 s[36:37], 0
	s_subb_u32 s34, s38, s7
	s_sub_u32 s42, s2, s6
	s_cselect_b64 s[38:39], -1, 0
	s_cmp_lg_u64 s[38:39], 0
	s_subb_u32 s43, s34, 0
	s_cmp_ge_u32 s43, s7
	s_cselect_b32 s48, -1, 0
	s_cmp_ge_u32 s42, s6
	s_cselect_b32 s49, -1, 0
	s_cmp_eq_u32 s43, s7
	s_cselect_b32 s48, s49, s48
	s_cmp_lg_u64 s[38:39], 0
	s_subb_u32 s34, s34, s7
	s_sub_u32 s49, s42, s6
	s_cselect_b64 s[38:39], -1, 0
	s_cmp_lg_u64 s[38:39], 0
	s_subb_u32 s34, s34, 0
	s_cmp_lg_u32 s48, 0
	s_cselect_b32 s38, s49, s42
	s_cselect_b32 s34, s34, s43
	s_cmp_lg_u64 s[36:37], 0
	s_subb_u32 s31, s35, s31
	s_cmp_ge_u32 s31, s7
	s_cselect_b32 s35, -1, 0
	s_cmp_ge_u32 s2, s6
	s_cselect_b32 s6, -1, 0
	s_cmp_eq_u32 s31, s7
	s_cselect_b32 s6, s6, s35
	s_cmp_lg_u32 s6, 0
	s_cselect_b32 s7, s34, s31
	s_cselect_b32 s6, s38, s2
	s_xor_b64 s[6:7], s[6:7], s[28:29]
	s_sub_u32 s6, s6, s28
	s_subb_u32 s7, s7, s28
	s_cbranch_execnz .LBB30_169
.LBB30_168:                             ;   in Loop: Header=BB30_34 Depth=1
	v_cvt_f32_u32_e32 v3, s33
	s_sub_i32 s2, 0, s33
	v_rcp_iflag_f32_e32 v3, v3
	v_mul_f32_e32 v3, 0x4f7ffffe, v3
	v_cvt_u32_f32_e32 v3, v3
	v_readfirstlane_b32 s6, v3
	s_mul_i32 s2, s2, s6
	s_mul_hi_u32 s2, s6, s2
	s_add_i32 s6, s6, s2
	s_mul_hi_u32 s2, s30, s6
	s_mul_i32 s2, s2, s33
	s_sub_i32 s2, s30, s2
	s_sub_i32 s6, s2, s33
	s_cmp_ge_u32 s2, s33
	s_cselect_b32 s2, s6, s2
	s_sub_i32 s6, s2, s33
	s_cmp_ge_u32 s2, s33
	s_cselect_b32 s62, s6, s2
	s_mov_b64 s[6:7], s[62:63]
.LBB30_169:                             ;   in Loop: Header=BB30_34 Depth=1
	s_sub_u32 s6, s30, s6
	s_subb_u32 s7, s3, s7
	v_cmp_gt_i64_e32 vcc, s[6:7], v[0:1]
                                        ; implicit-def: $vgpr5_vgpr6
	s_and_saveexec_b64 s[2:3], vcc
	s_cbranch_execz .LBB30_178
; %bb.170:                              ;   in Loop: Header=BB30_34 Depth=1
	v_mov_b32_e32 v8, v1
	s_mov_b64 s[28:29], 0
	v_mov_b32_e32 v13, v52
	v_mov_b32_e32 v7, v0
                                        ; implicit-def: $sgpr30_sgpr31
	s_branch .LBB30_173
.LBB30_171:                             ;   in Loop: Header=BB30_173 Depth=2
	s_or_b64 exec, exec, s[36:37]
	s_waitcnt lgkmcnt(0)
	s_barrier
	ds_read_b128 v[3:6], v18 offset:3072
	s_mov_b64 s[34:35], -1
	s_mov_b64 s[36:37], -1
	s_waitcnt lgkmcnt(0)
	s_barrier
	v_cmp_eq_u64_e32 vcc, 0, v[3:4]
	s_cbranch_vccnz .LBB30_176
.LBB30_172:                             ;   in Loop: Header=BB30_173 Depth=2
	s_and_b64 s[34:35], exec, s[34:35]
	s_or_b64 s[28:29], s[34:35], s[28:29]
	s_andn2_b64 s[30:31], s[30:31], exec
	s_and_b64 s[34:35], s[36:37], exec
	s_or_b64 s[30:31], s[30:31], s[34:35]
	s_andn2_b64 exec, exec, s[28:29]
	s_cbranch_execz .LBB30_177
.LBB30_173:                             ;   Parent Loop BB30_34 Depth=1
                                        ; =>  This Inner Loop Header: Depth=2
	v_cmp_gt_u64_e32 vcc, s[44:45], v[7:8]
	s_and_saveexec_b64 s[36:37], vcc
	s_cbranch_execz .LBB30_171
; %bb.174:                              ;   in Loop: Header=BB30_173 Depth=2
	ds_read_b64 v[4:5], v13
	s_waitcnt lgkmcnt(0)
	v_xor_b32_e32 v3, 0x80000000, v5
	v_and_b32_e32 v34, v3, v32
	v_and_b32_e32 v33, v4, v31
	v_cmp_eq_u64_e32 vcc, v[33:34], v[29:30]
	s_and_b64 exec, exec, vcc
	s_cbranch_execz .LBB30_171
; %bb.175:                              ;   in Loop: Header=BB30_173 Depth=2
	v_mov_b32_e32 v3, v18
	ds_write_b128 v18, v[2:5] offset:3072
	s_branch .LBB30_171
.LBB30_176:                             ;   in Loop: Header=BB30_173 Depth=2
	v_add_co_u32_e32 v7, vcc, s33, v7
	v_addc_co_u32_e32 v8, vcc, 0, v8, vcc
	v_cmp_le_i64_e32 vcc, s[6:7], v[7:8]
	v_add_u32_e32 v13, s8, v13
	s_mov_b64 s[36:37], 0
	s_orn2_b64 s[34:35], vcc, exec
	s_branch .LBB30_172
.LBB30_177:                             ;   in Loop: Header=BB30_34 Depth=1
	s_or_b64 exec, exec, s[28:29]
	s_andn2_b64 s[6:7], s[46:47], exec
	s_and_b64 s[28:29], s[30:31], exec
	s_or_b64 s[46:47], s[6:7], s[28:29]
.LBB30_178:                             ;   in Loop: Header=BB30_34 Depth=1
	s_or_b64 exec, exec, s[2:3]
	s_mov_b64 s[6:7], 0
	s_mov_b64 s[42:43], -1
.LBB30_179:                             ;   in Loop: Header=BB30_34 Depth=1
	s_orn2_b64 s[2:3], s[46:47], exec
.LBB30_180:                             ;   in Loop: Header=BB30_34 Depth=1
	s_or_b64 exec, exec, s[24:25]
	s_mov_b64 s[24:25], 0
	s_and_saveexec_b64 s[44:45], s[2:3]
	s_cbranch_execz .LBB30_286
; %bb.181:                              ;   in Loop: Header=BB30_34 Depth=1
	v_mov_b32_e32 v7, 1
	s_xor_b64 s[24:25], s[10:11], -1
	v_mov_b32_e32 v35, 1
	v_mov_b32_e32 v8, 0
	s_mov_b64 s[10:11], 0
	s_and_saveexec_b64 s[2:3], s[24:25]
	s_cbranch_execz .LBB30_191
; %bb.182:                              ;   in Loop: Header=BB30_34 Depth=1
	v_cmp_le_i64_e32 vcc, v[11:12], v[9:10]
	s_and_saveexec_b64 s[10:11], vcc
	s_xor_b64 s[10:11], exec, s[10:11]
	s_cbranch_execz .LBB30_188
; %bb.183:                              ;   in Loop: Header=BB30_34 Depth=1
	s_lshl_b64 s[24:25], 1, s9
	v_and_b32_e32 v3, s41, v30
	v_and_b32_e32 v4, s40, v29
	v_or_b32_e32 v30, s25, v3
	v_or_b32_e32 v29, s24, v4
	ds_read_b64 v[3:4], v18 offset:5120
	v_or_b32_e32 v32, s15, v32
	v_or_b32_e32 v31, s14, v31
	s_waitcnt lgkmcnt(0)
	v_cmp_ne_u64_e32 vcc, 0, v[3:4]
	s_cbranch_vccnz .LBB30_187
; %bb.184:                              ;   in Loop: Header=BB30_34 Depth=1
	s_mov_b64 s[24:25], exec
	v_readlane_b32 s28, v56, 30
	v_readlane_b32 s29, v56, 31
	s_and_b64 s[28:29], s[24:25], s[28:29]
	s_mov_b64 exec, s[28:29]
; %bb.185:                              ;   in Loop: Header=BB30_34 Depth=1
	ds_write_b64 v18, v[9:10] offset:5128
; %bb.186:                              ;   in Loop: Header=BB30_34 Depth=1
	s_or_b64 exec, exec, s[24:25]
	s_waitcnt lgkmcnt(0)
	s_barrier
.LBB30_187:                             ;   in Loop: Header=BB30_34 Depth=1
                                        ; implicit-def: $vgpr7_vgpr8_vgpr9_vgpr10
.LBB30_188:                             ;   in Loop: Header=BB30_34 Depth=1
	s_or_saveexec_b64 s[10:11], s[10:11]
	s_mov_b64 s[24:25], 0
	v_mov_b32_e32 v35, 8
	s_xor_b64 exec, exec, s[10:11]
; %bb.189:                              ;   in Loop: Header=BB30_34 Depth=1
	v_sub_co_u32_e32 v11, vcc, v11, v9
	v_subb_co_u32_e32 v12, vcc, v12, v10, vcc
	v_mov_b32_e32 v35, 0
	s_mov_b64 s[24:25], exec
; %bb.190:                              ;   in Loop: Header=BB30_34 Depth=1
	s_or_b64 exec, exec, s[10:11]
	v_mov_b32_e32 v7, v11
	s_and_b64 s[10:11], s[24:25], exec
	v_mov_b32_e32 v8, v12
.LBB30_191:                             ;   in Loop: Header=BB30_34 Depth=1
	s_or_b64 exec, exec, s[2:3]
	s_mov_b64 s[2:3], -1
                                        ; implicit-def: $sgpr48_sgpr49
                                        ; implicit-def: $sgpr52_sgpr53
	s_and_saveexec_b64 s[46:47], s[10:11]
	s_cbranch_execz .LBB30_285
; %bb.192:                              ;   in Loop: Header=BB30_34 Depth=1
	s_cmp_eq_u64 s[60:61], 1
	v_cmp_eq_u64_e32 vcc, 1, v[7:8]
	s_cselect_b64 s[2:3], -1, 0
	s_and_b64 s[24:25], s[2:3], vcc
	s_mov_b64 s[2:3], -1
                                        ; implicit-def: $sgpr52_sgpr53
                                        ; implicit-def: $sgpr48_sgpr49
	s_and_saveexec_b64 s[10:11], s[24:25]
	s_cbranch_execz .LBB30_226
; %bb.193:                              ;   in Loop: Header=BB30_34 Depth=1
	ds_read_b64 v[3:4], v18 offset:5120
	s_waitcnt lgkmcnt(0)
	s_barrier
	v_readfirstlane_b32 s50, v3
	v_readfirstlane_b32 s51, v4
	s_and_saveexec_b64 s[2:3], s[18:19]
; %bb.194:                              ;   in Loop: Header=BB30_34 Depth=1
	v_mov_b32_e32 v17, v18
	ds_write_b64 v53, v[17:18]
; %bb.195:                              ;   in Loop: Header=BB30_34 Depth=1
	s_or_b64 exec, exec, s[2:3]
	s_lshl_b64 s[2:3], 2, s9
	v_and_b32_e32 v3, s41, v30
	v_and_b32_e32 v4, s40, v29
	v_or_b32_e32 v30, s3, v3
	v_or_b32_e32 v29, s2, v4
	v_cmp_gt_i64_e64 s[2:3], s[50:51], 0
	v_or_b32_e32 v32, s15, v32
	v_or_b32_e32 v31, s14, v31
	s_mov_b64 s[48:49], -1
	s_mov_b64 s[52:53], 0
	s_and_b64 vcc, exec, s[2:3]
	s_mov_b64 s[76:77], 0
	s_mov_b64 s[2:3], -1
	s_waitcnt lgkmcnt(0)
	s_barrier
                                        ; implicit-def: $vgpr5_vgpr6
	s_cbranch_vccnz .LBB30_211
; %bb.196:                              ;   in Loop: Header=BB30_34 Depth=1
	s_mov_b32 s72, s63
	s_mov_b64 s[78:79], s[18:19]
	s_mov_b32 s18, s81
	s_mov_b32 s81, s80
	;; [unrolled: 1-line block ×3, first 2 shown]
	s_cmp_lg_u64 s[72:73], 0
	s_cbranch_scc0 .LBB30_252
; %bb.197:                              ;   in Loop: Header=BB30_34 Depth=1
	s_add_u32 s2, s33, 0
	s_addc_u32 s3, 0, 0
	s_xor_b64 s[2:3], s[2:3], 0
	v_cvt_f32_u32_e32 v3, s2
	v_cvt_f32_u32_e32 v4, s3
	s_sub_u32 s30, 0, s2
	s_subb_u32 s31, 0, s3
	v_mac_f32_e32 v3, 0x4f800000, v4
	v_rcp_f32_e32 v3, v3
	v_mul_f32_e32 v3, 0x5f7ffffc, v3
	v_mul_f32_e32 v4, 0x2f800000, v3
	v_trunc_f32_e32 v4, v4
	v_mac_f32_e32 v3, 0xcf800000, v4
	v_cvt_u32_f32_e32 v4, v4
	v_cvt_u32_f32_e32 v3, v3
	v_readfirstlane_b32 s34, v4
	v_readfirstlane_b32 s28, v3
	s_mul_i32 s29, s30, s34
	s_mul_hi_u32 s36, s30, s28
	s_mul_i32 s35, s31, s28
	s_add_i32 s29, s36, s29
	s_mul_i32 s37, s30, s28
	s_add_i32 s29, s29, s35
	s_mul_i32 s36, s28, s29
	s_mul_hi_u32 s38, s28, s37
	s_mul_hi_u32 s35, s28, s29
	s_add_u32 s36, s38, s36
	s_addc_u32 s35, 0, s35
	s_mul_hi_u32 s39, s34, s37
	s_mul_i32 s37, s34, s37
	s_add_u32 s36, s36, s37
	s_mul_hi_u32 s38, s34, s29
	s_addc_u32 s35, s35, s39
	s_addc_u32 s36, s38, 0
	s_mul_i32 s29, s34, s29
	s_add_u32 s29, s35, s29
	s_addc_u32 s35, 0, s36
	s_add_u32 s36, s28, s29
	s_cselect_b64 s[28:29], -1, 0
	s_cmp_lg_u64 s[28:29], 0
	s_addc_u32 s34, s34, s35
	s_mul_i32 s28, s30, s34
	s_mul_hi_u32 s29, s30, s36
	s_add_i32 s28, s29, s28
	s_mul_i32 s31, s31, s36
	s_add_i32 s28, s28, s31
	s_mul_i32 s30, s30, s36
	s_mul_hi_u32 s31, s34, s30
	s_mul_i32 s35, s34, s30
	s_mul_i32 s38, s36, s28
	s_mul_hi_u32 s30, s36, s30
	s_mul_hi_u32 s37, s36, s28
	s_add_u32 s30, s30, s38
	s_addc_u32 s37, 0, s37
	s_add_u32 s30, s30, s35
	s_mul_hi_u32 s29, s34, s28
	s_addc_u32 s30, s37, s31
	s_addc_u32 s29, s29, 0
	s_mul_i32 s28, s34, s28
	s_add_u32 s28, s30, s28
	s_addc_u32 s30, 0, s29
	s_add_u32 s35, s36, s28
	s_cselect_b64 s[28:29], -1, 0
	s_cmp_lg_u64 s[28:29], 0
	s_addc_u32 s34, s34, s30
	s_ashr_i32 s28, s73, 31
	s_add_u32 s30, s0, s28
	s_mov_b32 s29, s28
	s_addc_u32 s31, s73, s28
	s_xor_b64 s[30:31], s[30:31], s[28:29]
	s_mul_i32 s37, s30, s34
	s_mul_hi_u32 s38, s30, s35
	s_mul_hi_u32 s36, s30, s34
	s_add_u32 s37, s38, s37
	s_addc_u32 s36, 0, s36
	s_mul_hi_u32 s39, s31, s35
	s_mul_i32 s35, s31, s35
	s_add_u32 s35, s37, s35
	s_mul_hi_u32 s38, s31, s34
	s_addc_u32 s35, s36, s39
	s_addc_u32 s36, s38, 0
	s_mul_i32 s34, s31, s34
	s_add_u32 s34, s35, s34
	s_addc_u32 s35, 0, s36
	s_mul_i32 s35, s2, s35
	s_mul_hi_u32 s36, s2, s34
	s_add_i32 s35, s36, s35
	s_mul_i32 s36, s3, s34
	s_add_i32 s38, s35, s36
	s_sub_i32 s36, s31, s38
	s_mul_i32 s34, s2, s34
	s_sub_u32 s30, s30, s34
	s_cselect_b64 s[34:35], -1, 0
	s_cmp_lg_u64 s[34:35], 0
	s_subb_u32 s39, s36, s3
	s_sub_u32 s62, s30, s2
	s_cselect_b64 s[36:37], -1, 0
	s_cmp_lg_u64 s[36:37], 0
	s_subb_u32 s71, s39, 0
	s_cmp_ge_u32 s71, s3
	s_cselect_b32 s72, -1, 0
	s_cmp_ge_u32 s62, s2
	s_cselect_b32 s76, -1, 0
	s_cmp_eq_u32 s71, s3
	s_cselect_b32 s72, s76, s72
	s_cmp_lg_u64 s[36:37], 0
	s_subb_u32 s39, s39, s3
	s_sub_u32 s76, s62, s2
	s_cselect_b64 s[36:37], -1, 0
	s_cmp_lg_u64 s[36:37], 0
	s_subb_u32 s36, s39, 0
	s_cmp_lg_u32 s72, 0
	s_cselect_b32 s37, s76, s62
	s_cselect_b32 s36, s36, s71
	s_cmp_lg_u64 s[34:35], 0
	s_subb_u32 s31, s31, s38
	s_cmp_ge_u32 s31, s3
	s_cselect_b32 s34, -1, 0
	s_cmp_ge_u32 s30, s2
	s_cselect_b32 s2, -1, 0
	s_cmp_eq_u32 s31, s3
	s_cselect_b32 s2, s2, s34
	s_cmp_lg_u32 s2, 0
	s_cselect_b32 s3, s36, s31
	s_cselect_b32 s2, s37, s30
	s_xor_b64 s[2:3], s[2:3], s[28:29]
	s_sub_u32 s2, s2, s28
	s_subb_u32 s3, s3, s28
	s_cbranch_execnz .LBB30_199
.LBB30_198:                             ;   in Loop: Header=BB30_34 Depth=1
	v_cvt_f32_u32_e32 v3, s33
	s_sub_i32 s2, 0, s33
	v_rcp_iflag_f32_e32 v3, v3
	v_mul_f32_e32 v3, 0x4f7ffffe, v3
	v_cvt_u32_f32_e32 v3, v3
	v_readfirstlane_b32 s3, v3
	s_mul_i32 s2, s2, s3
	s_mul_hi_u32 s2, s3, s2
	s_add_i32 s3, s3, s2
	s_mul_hi_u32 s2, s0, s3
	s_mul_i32 s2, s2, s33
	s_sub_i32 s2, s0, s2
	s_sub_i32 s3, s2, s33
	s_cmp_ge_u32 s2, s33
	s_cselect_b32 s2, s3, s2
	s_sub_i32 s3, s2, s33
	s_cmp_ge_u32 s2, s33
	s_cselect_b32 s62, s3, s2
	s_mov_b64 s[2:3], s[62:63]
.LBB30_199:                             ;   in Loop: Header=BB30_34 Depth=1
	s_sub_u32 s30, s0, s2
	s_subb_u32 s31, s73, s3
	v_cmp_gt_i64_e32 vcc, s[30:31], v[0:1]
	s_mov_b64 s[2:3], 0
	s_mov_b64 s[76:77], 0
                                        ; implicit-def: $vgpr5_vgpr6
	s_and_saveexec_b64 s[28:29], vcc
	s_mov_b32 s71, s80
	s_mov_b32 s80, s81
	;; [unrolled: 1-line block ×3, first 2 shown]
	s_mov_b64 s[18:19], s[78:79]
	s_cbranch_execz .LBB30_210
; %bb.200:                              ;   in Loop: Header=BB30_34 Depth=1
	v_mov_b32_e32 v9, v15
	v_mov_b32_e32 v12, v1
	s_mov_b64 s[36:37], 0
	v_mov_b32_e32 v10, v16
	v_mov_b32_e32 v11, v0
                                        ; implicit-def: $sgpr38_sgpr39
	s_branch .LBB30_203
.LBB30_201:                             ;   in Loop: Header=BB30_203 Depth=2
	s_or_b64 exec, exec, s[76:77]
	s_waitcnt lgkmcnt(0)
	s_barrier
	ds_read_b128 v[3:6], v18 offset:3072
	s_mov_b64 s[34:35], -1
	s_mov_b64 s[76:77], -1
	s_waitcnt lgkmcnt(0)
	s_barrier
	v_cmp_ne_u64_e32 vcc, 0, v[3:4]
	s_cbranch_vccz .LBB30_206
.LBB30_202:                             ;   in Loop: Header=BB30_203 Depth=2
	s_and_b64 s[34:35], exec, s[34:35]
	s_or_b64 s[36:37], s[34:35], s[36:37]
	s_andn2_b64 s[34:35], s[38:39], exec
	s_and_b64 s[38:39], s[76:77], exec
	s_or_b64 s[38:39], s[34:35], s[38:39]
	s_andn2_b64 exec, exec, s[36:37]
	s_cbranch_execz .LBB30_209
.LBB30_203:                             ;   Parent Loop BB30_34 Depth=1
                                        ; =>  This Inner Loop Header: Depth=2
	v_cmp_gt_i64_e32 vcc, s[20:21], v[11:12]
	s_and_saveexec_b64 s[76:77], vcc
	s_cbranch_execz .LBB30_201
; %bb.204:                              ;   in Loop: Header=BB30_203 Depth=2
	global_load_dwordx2 v[4:5], v[9:10], off
	s_waitcnt vmcnt(0)
	v_xor_b32_e32 v3, 0x80000000, v5
	v_and_b32_e32 v14, v3, v32
	v_and_b32_e32 v13, v4, v31
	v_cmp_eq_u64_e32 vcc, v[13:14], v[29:30]
	s_and_b64 exec, exec, vcc
	s_cbranch_execz .LBB30_201
; %bb.205:                              ;   in Loop: Header=BB30_203 Depth=2
	v_mov_b32_e32 v3, v18
	ds_write_b128 v18, v[2:5] offset:3072
	s_branch .LBB30_201
.LBB30_206:                             ;   in Loop: Header=BB30_203 Depth=2
	v_add_co_u32_e32 v11, vcc, s33, v11
	v_addc_co_u32_e32 v12, vcc, 0, v12, vcc
	v_mov_b32_e32 v3, s65
	v_add_co_u32_e32 v9, vcc, s64, v9
	v_addc_co_u32_e32 v10, vcc, v10, v3, vcc
	v_cmp_le_i64_e32 vcc, s[30:31], v[11:12]
	s_mov_b64 s[76:77], 0
	s_orn2_b64 s[34:35], vcc, exec
	s_branch .LBB30_202
.LBB30_207:                             ;   in Loop: Header=BB30_34 Depth=1
                                        ; implicit-def: $sgpr2_sgpr3
	s_branch .LBB30_152
.LBB30_208:                             ;   in Loop: Header=BB30_34 Depth=1
                                        ; implicit-def: $sgpr6_sgpr7
	s_branch .LBB30_168
.LBB30_209:                             ;   in Loop: Header=BB30_34 Depth=1
	s_or_b64 exec, exec, s[36:37]
	s_and_b64 s[76:77], s[38:39], exec
.LBB30_210:                             ;   in Loop: Header=BB30_34 Depth=1
	s_or_b64 exec, exec, s[28:29]
.LBB30_211:                             ;   in Loop: Header=BB30_34 Depth=1
	s_and_b64 vcc, exec, s[2:3]
	s_cbranch_vccz .LBB30_225
; %bb.212:                              ;   in Loop: Header=BB30_34 Depth=1
	s_add_u32 s34, s50, s71
	s_addc_u32 s3, s51, s81
	s_mov_b32 s2, s63
	s_mov_b32 s72, s71
	s_cmp_lg_u64 s[2:3], 0
	s_cbranch_scc0 .LBB30_253
; %bb.213:                              ;   in Loop: Header=BB30_34 Depth=1
	s_add_u32 s28, s33, 0
	s_addc_u32 s29, 0, 0
	s_xor_b64 s[48:49], s[28:29], 0
	v_cvt_f32_u32_e32 v3, s48
	v_cvt_f32_u32_e32 v4, s49
	s_sub_u32 s2, 0, s48
	s_subb_u32 s30, 0, s49
	v_mac_f32_e32 v3, 0x4f800000, v4
	v_rcp_f32_e32 v3, v3
	v_mul_f32_e32 v3, 0x5f7ffffc, v3
	v_mul_f32_e32 v4, 0x2f800000, v3
	v_trunc_f32_e32 v4, v4
	v_mac_f32_e32 v3, 0xcf800000, v4
	v_cvt_u32_f32_e32 v4, v4
	v_cvt_u32_f32_e32 v3, v3
	v_readfirstlane_b32 s31, v4
	v_readfirstlane_b32 s28, v3
	s_mul_i32 s29, s2, s31
	s_mul_hi_u32 s36, s2, s28
	s_mul_i32 s35, s30, s28
	s_add_i32 s29, s36, s29
	s_mul_i32 s37, s2, s28
	s_add_i32 s29, s29, s35
	s_mul_i32 s36, s28, s29
	s_mul_hi_u32 s38, s28, s37
	s_mul_hi_u32 s35, s28, s29
	s_add_u32 s36, s38, s36
	s_addc_u32 s35, 0, s35
	s_mul_hi_u32 s39, s31, s37
	s_mul_i32 s37, s31, s37
	s_add_u32 s36, s36, s37
	s_mul_hi_u32 s38, s31, s29
	s_addc_u32 s35, s35, s39
	s_addc_u32 s36, s38, 0
	s_mul_i32 s29, s31, s29
	s_add_u32 s29, s35, s29
	s_addc_u32 s35, 0, s36
	s_add_u32 s36, s28, s29
	s_cselect_b64 s[28:29], -1, 0
	s_cmp_lg_u64 s[28:29], 0
	s_addc_u32 s31, s31, s35
	s_mul_i32 s28, s2, s31
	s_mul_hi_u32 s29, s2, s36
	s_add_i32 s28, s29, s28
	s_mul_i32 s30, s30, s36
	s_add_i32 s28, s28, s30
	s_mul_i32 s2, s2, s36
	s_mul_hi_u32 s30, s31, s2
	s_mul_i32 s35, s31, s2
	s_mul_i32 s38, s36, s28
	s_mul_hi_u32 s2, s36, s2
	s_mul_hi_u32 s37, s36, s28
	s_add_u32 s2, s2, s38
	s_addc_u32 s37, 0, s37
	s_add_u32 s2, s2, s35
	s_mul_hi_u32 s29, s31, s28
	s_addc_u32 s2, s37, s30
	s_addc_u32 s29, s29, 0
	s_mul_i32 s28, s31, s28
	s_add_u32 s2, s2, s28
	s_addc_u32 s30, 0, s29
	s_add_u32 s2, s36, s2
	s_cselect_b64 s[28:29], -1, 0
	s_cmp_lg_u64 s[28:29], 0
	s_addc_u32 s35, s31, s30
	s_ashr_i32 s30, s3, 31
	s_add_u32 s28, s34, s30
	s_mov_b32 s31, s30
	s_addc_u32 s29, s3, s30
	s_xor_b64 s[28:29], s[28:29], s[30:31]
	s_mul_i32 s37, s28, s35
	s_mul_hi_u32 s38, s28, s2
	s_mul_hi_u32 s36, s28, s35
	s_add_u32 s37, s38, s37
	s_addc_u32 s36, 0, s36
	s_mul_hi_u32 s39, s29, s2
	s_mul_i32 s2, s29, s2
	s_add_u32 s2, s37, s2
	s_mul_hi_u32 s38, s29, s35
	s_addc_u32 s2, s36, s39
	s_addc_u32 s36, s38, 0
	s_mul_i32 s35, s29, s35
	s_add_u32 s2, s2, s35
	s_addc_u32 s35, 0, s36
	s_mul_i32 s35, s48, s35
	s_mul_hi_u32 s36, s48, s2
	s_add_i32 s35, s36, s35
	s_mul_i32 s36, s49, s2
	s_add_i32 s35, s35, s36
	s_sub_i32 s38, s29, s35
	s_mul_i32 s2, s48, s2
	s_sub_u32 s2, s28, s2
	s_cselect_b64 s[36:37], -1, 0
	s_cmp_lg_u64 s[36:37], 0
	s_subb_u32 s28, s38, s49
	s_sub_u32 s52, s2, s48
	s_cselect_b64 s[38:39], -1, 0
	s_cmp_lg_u64 s[38:39], 0
	s_subb_u32 s53, s28, 0
	s_cmp_ge_u32 s53, s49
	s_cselect_b32 s62, -1, 0
	s_cmp_ge_u32 s52, s48
	s_cselect_b32 s71, -1, 0
	s_cmp_eq_u32 s53, s49
	s_cselect_b32 s62, s71, s62
	s_cmp_lg_u64 s[38:39], 0
	s_subb_u32 s28, s28, s49
	s_sub_u32 s71, s52, s48
	s_cselect_b64 s[38:39], -1, 0
	s_cmp_lg_u64 s[38:39], 0
	s_subb_u32 s28, s28, 0
	s_cmp_lg_u32 s62, 0
	s_cselect_b32 s38, s71, s52
	s_cselect_b32 s28, s28, s53
	s_cmp_lg_u64 s[36:37], 0
	s_subb_u32 s29, s29, s35
	s_cmp_ge_u32 s29, s49
	s_cselect_b32 s35, -1, 0
	s_cmp_ge_u32 s2, s48
	s_cselect_b32 s36, -1, 0
	s_cmp_eq_u32 s29, s49
	s_cselect_b32 s35, s36, s35
	s_cmp_lg_u32 s35, 0
	s_cselect_b32 s29, s28, s29
	s_cselect_b32 s28, s38, s2
	s_xor_b64 s[28:29], s[28:29], s[30:31]
	s_sub_u32 s28, s28, s30
	s_subb_u32 s29, s29, s30
	s_cbranch_execnz .LBB30_215
.LBB30_214:                             ;   in Loop: Header=BB30_34 Depth=1
	v_cvt_f32_u32_e32 v3, s33
	s_sub_i32 s2, 0, s33
	v_rcp_iflag_f32_e32 v3, v3
	v_mul_f32_e32 v3, 0x4f7ffffe, v3
	v_cvt_u32_f32_e32 v3, v3
	v_readfirstlane_b32 s28, v3
	s_mul_i32 s2, s2, s28
	s_mul_hi_u32 s2, s28, s2
	s_add_i32 s28, s28, s2
	s_mul_hi_u32 s2, s34, s28
	s_mul_i32 s2, s2, s33
	s_sub_i32 s2, s34, s2
	s_sub_i32 s28, s2, s33
	s_cmp_ge_u32 s2, s33
	s_cselect_b32 s2, s28, s2
	s_sub_i32 s28, s2, s33
	s_cmp_ge_u32 s2, s33
	s_cselect_b32 s62, s28, s2
	s_mov_b64 s[28:29], s[62:63]
.LBB30_215:                             ;   in Loop: Header=BB30_34 Depth=1
	s_sub_u32 s28, s34, s28
	s_subb_u32 s29, s3, s29
	v_cmp_gt_i64_e32 vcc, s[28:29], v[0:1]
                                        ; implicit-def: $vgpr5_vgpr6
	s_and_saveexec_b64 s[2:3], vcc
	s_mov_b32 s71, s72
	s_cbranch_execz .LBB30_224
; %bb.216:                              ;   in Loop: Header=BB30_34 Depth=1
	v_mov_b32_e32 v10, v1
	s_mov_b64 s[30:31], 0
	v_mov_b32_e32 v11, v52
	v_mov_b32_e32 v9, v0
                                        ; implicit-def: $sgpr36_sgpr37
	s_branch .LBB30_219
.LBB30_217:                             ;   in Loop: Header=BB30_219 Depth=2
	s_or_b64 exec, exec, s[38:39]
	s_waitcnt lgkmcnt(0)
	s_barrier
	ds_read_b128 v[3:6], v18 offset:3072
	s_mov_b64 s[34:35], -1
	s_mov_b64 s[38:39], -1
	s_waitcnt lgkmcnt(0)
	s_barrier
	v_cmp_eq_u64_e32 vcc, 0, v[3:4]
	s_cbranch_vccnz .LBB30_222
.LBB30_218:                             ;   in Loop: Header=BB30_219 Depth=2
	s_and_b64 s[34:35], exec, s[34:35]
	s_or_b64 s[30:31], s[34:35], s[30:31]
	s_andn2_b64 s[34:35], s[36:37], exec
	s_and_b64 s[36:37], s[38:39], exec
	s_or_b64 s[36:37], s[34:35], s[36:37]
	s_andn2_b64 exec, exec, s[30:31]
	s_cbranch_execz .LBB30_223
.LBB30_219:                             ;   Parent Loop BB30_34 Depth=1
                                        ; =>  This Inner Loop Header: Depth=2
	v_cmp_gt_u64_e32 vcc, s[50:51], v[9:10]
	s_and_saveexec_b64 s[38:39], vcc
	s_cbranch_execz .LBB30_217
; %bb.220:                              ;   in Loop: Header=BB30_219 Depth=2
	ds_read_b64 v[4:5], v11
	s_waitcnt lgkmcnt(0)
	v_xor_b32_e32 v3, 0x80000000, v5
	v_and_b32_e32 v13, v3, v32
	v_and_b32_e32 v12, v4, v31
	v_cmp_eq_u64_e32 vcc, v[12:13], v[29:30]
	s_and_b64 exec, exec, vcc
	s_cbranch_execz .LBB30_217
; %bb.221:                              ;   in Loop: Header=BB30_219 Depth=2
	v_mov_b32_e32 v3, v18
	ds_write_b128 v18, v[2:5] offset:3072
	s_branch .LBB30_217
.LBB30_222:                             ;   in Loop: Header=BB30_219 Depth=2
	v_add_co_u32_e32 v9, vcc, s33, v9
	v_addc_co_u32_e32 v10, vcc, 0, v10, vcc
	v_cmp_le_i64_e32 vcc, s[28:29], v[9:10]
	v_add_u32_e32 v11, s8, v11
	s_mov_b64 s[38:39], 0
	s_orn2_b64 s[34:35], vcc, exec
	s_branch .LBB30_218
.LBB30_223:                             ;   in Loop: Header=BB30_34 Depth=1
	s_or_b64 exec, exec, s[30:31]
	s_andn2_b64 s[28:29], s[76:77], exec
	s_and_b64 s[30:31], s[36:37], exec
	s_or_b64 s[76:77], s[28:29], s[30:31]
.LBB30_224:                             ;   in Loop: Header=BB30_34 Depth=1
	s_or_b64 exec, exec, s[2:3]
	s_mov_b64 s[48:49], 0
	s_mov_b64 s[52:53], -1
.LBB30_225:                             ;   in Loop: Header=BB30_34 Depth=1
	v_readlane_b32 s50, v56, 48
	s_orn2_b64 s[2:3], s[76:77], exec
	v_readlane_b32 s51, v56, 49
.LBB30_226:                             ;   in Loop: Header=BB30_34 Depth=1
	s_or_b64 exec, exec, s[10:11]
	s_mov_b64 s[28:29], 0
	s_and_saveexec_b64 s[10:11], s[2:3]
	s_cbranch_execz .LBB30_284
; %bb.227:                              ;   in Loop: Header=BB30_34 Depth=1
	v_mov_b32_e32 v9, 1
	s_xor_b64 s[28:29], s[24:25], -1
	v_mov_b32_e32 v35, 1
	v_mov_b32_e32 v10, 0
	s_mov_b64 s[24:25], 0
	s_and_saveexec_b64 s[2:3], s[28:29]
	s_cbranch_execz .LBB30_236
; %bb.228:                              ;   in Loop: Header=BB30_34 Depth=1
	v_cmp_ge_i64_e32 vcc, s[60:61], v[7:8]
	s_and_saveexec_b64 s[24:25], vcc
	s_xor_b64 s[24:25], exec, s[24:25]
	s_cbranch_execz .LBB30_233
; %bb.229:                              ;   in Loop: Header=BB30_34 Depth=1
	s_lshl_b64 s[28:29], 2, s9
	v_and_b32_e32 v3, s41, v30
	v_and_b32_e32 v4, s40, v29
	v_or_b32_e32 v30, s29, v3
	v_or_b32_e32 v29, s28, v4
	ds_read_b64 v[3:4], v18 offset:5120
	v_or_b32_e32 v32, s15, v32
	v_or_b32_e32 v31, s14, v31
	s_waitcnt lgkmcnt(0)
	v_cmp_ne_u64_e32 vcc, 0, v[3:4]
	s_cbranch_vccnz .LBB30_233
; %bb.230:                              ;   in Loop: Header=BB30_34 Depth=1
	s_mov_b64 s[28:29], exec
	v_readlane_b32 s30, v56, 30
	v_readlane_b32 s31, v56, 31
	s_and_b64 s[30:31], s[28:29], s[30:31]
	s_mov_b64 exec, s[30:31]
; %bb.231:                              ;   in Loop: Header=BB30_34 Depth=1
	v_mov_b32_e32 v3, s60
	v_mov_b32_e32 v4, s61
	ds_write_b64 v18, v[3:4] offset:5128
; %bb.232:                              ;   in Loop: Header=BB30_34 Depth=1
	s_or_b64 exec, exec, s[28:29]
	s_waitcnt lgkmcnt(0)
	s_barrier
.LBB30_233:                             ;   in Loop: Header=BB30_34 Depth=1
	s_or_saveexec_b64 s[24:25], s[24:25]
	s_mov_b64 s[28:29], 0
	v_mov_b32_e32 v35, 8
	s_xor_b64 exec, exec, s[24:25]
; %bb.234:                              ;   in Loop: Header=BB30_34 Depth=1
	v_subrev_co_u32_e32 v7, vcc, s60, v7
	v_mov_b32_e32 v3, s61
	v_subb_co_u32_e32 v8, vcc, v8, v3, vcc
	v_mov_b32_e32 v35, 0
	s_mov_b64 s[28:29], exec
; %bb.235:                              ;   in Loop: Header=BB30_34 Depth=1
	s_or_b64 exec, exec, s[24:25]
	v_mov_b32_e32 v10, v8
	s_and_b64 s[24:25], s[28:29], exec
	v_mov_b32_e32 v9, v7
.LBB30_236:                             ;   in Loop: Header=BB30_34 Depth=1
	s_or_b64 exec, exec, s[2:3]
	s_mov_b64 s[2:3], -1
                                        ; implicit-def: $sgpr78_sgpr79
                                        ; implicit-def: $sgpr76_sgpr77
	s_and_saveexec_b64 s[40:41], s[24:25]
	s_cbranch_execz .LBB30_283
; %bb.237:                              ;   in Loop: Header=BB30_34 Depth=1
	s_cmp_eq_u64 s[12:13], 1
	v_cmp_eq_u64_e32 vcc, 1, v[9:10]
	s_cselect_b64 s[2:3], -1, 0
	s_and_b64 s[34:35], s[2:3], vcc
	s_mov_b64 s[28:29], -1
                                        ; implicit-def: $sgpr78_sgpr79
                                        ; implicit-def: $sgpr76_sgpr77
	s_and_saveexec_b64 s[60:61], s[34:35]
	s_cbranch_execz .LBB30_271
; %bb.238:                              ;   in Loop: Header=BB30_34 Depth=1
	ds_read_b64 v[3:4], v18 offset:5120
	s_waitcnt lgkmcnt(0)
	s_barrier
	v_readfirstlane_b32 s50, v3
	v_readfirstlane_b32 s51, v4
	s_and_saveexec_b64 s[2:3], s[18:19]
; %bb.239:                              ;   in Loop: Header=BB30_34 Depth=1
	v_mov_b32_e32 v17, v18
	ds_write_b64 v53, v[17:18]
; %bb.240:                              ;   in Loop: Header=BB30_34 Depth=1
	s_or_b64 exec, exec, s[2:3]
	v_cmp_gt_i64_e64 s[2:3], s[50:51], 0
	v_or_b32_e32 v30, s15, v30
	v_or_b32_e32 v29, s14, v29
	;; [unrolled: 1-line block ×4, first 2 shown]
	s_mov_b64 s[76:77], -1
	s_mov_b64 s[78:79], 0
	s_and_b64 vcc, exec, s[2:3]
	s_mov_b64 s[2:3], 0
	s_waitcnt lgkmcnt(0)
	s_barrier
                                        ; implicit-def: $vgpr5_vgpr6
	s_cbranch_vccnz .LBB30_256
; %bb.241:                              ;   in Loop: Header=BB30_34 Depth=1
	v_writelane_b32 v56, s34, 50
	v_writelane_b32 v56, s35, 51
	;; [unrolled: 1-line block ×3, first 2 shown]
	s_mov_b32 s72, s63
	v_writelane_b32 v56, s19, 53
	s_mov_b32 s18, s81
	s_mov_b32 s81, s80
	;; [unrolled: 1-line block ×3, first 2 shown]
	s_cmp_lg_u64 s[72:73], 0
	s_cbranch_scc0 .LBB30_290
; %bb.242:                              ;   in Loop: Header=BB30_34 Depth=1
	s_add_u32 s2, s33, 0
	s_addc_u32 s3, 0, 0
	s_xor_b64 s[2:3], s[2:3], 0
	v_cvt_f32_u32_e32 v3, s2
	v_cvt_f32_u32_e32 v4, s3
	s_sub_u32 s28, 0, s2
	s_subb_u32 s29, 0, s3
	v_mac_f32_e32 v3, 0x4f800000, v4
	v_rcp_f32_e32 v3, v3
	v_mul_f32_e32 v3, 0x5f7ffffc, v3
	v_mul_f32_e32 v4, 0x2f800000, v3
	v_trunc_f32_e32 v4, v4
	v_mac_f32_e32 v3, 0xcf800000, v4
	v_cvt_u32_f32_e32 v4, v4
	v_cvt_u32_f32_e32 v3, v3
	v_readfirstlane_b32 s30, v4
	v_readfirstlane_b32 s24, v3
	s_mul_i32 s25, s28, s30
	s_mul_hi_u32 s34, s28, s24
	s_mul_i32 s31, s29, s24
	s_add_i32 s25, s34, s25
	s_mul_i32 s35, s28, s24
	s_add_i32 s25, s25, s31
	s_mul_i32 s34, s24, s25
	s_mul_hi_u32 s36, s24, s35
	s_mul_hi_u32 s31, s24, s25
	s_add_u32 s34, s36, s34
	s_addc_u32 s31, 0, s31
	s_mul_hi_u32 s37, s30, s35
	s_mul_i32 s35, s30, s35
	s_add_u32 s34, s34, s35
	s_mul_hi_u32 s36, s30, s25
	s_addc_u32 s31, s31, s37
	s_addc_u32 s34, s36, 0
	s_mul_i32 s25, s30, s25
	s_add_u32 s25, s31, s25
	s_addc_u32 s31, 0, s34
	s_add_u32 s34, s24, s25
	s_cselect_b64 s[24:25], -1, 0
	s_cmp_lg_u64 s[24:25], 0
	s_addc_u32 s30, s30, s31
	s_mul_i32 s24, s28, s30
	s_mul_hi_u32 s25, s28, s34
	s_add_i32 s24, s25, s24
	s_mul_i32 s29, s29, s34
	s_add_i32 s24, s24, s29
	s_mul_i32 s28, s28, s34
	s_mul_hi_u32 s29, s30, s28
	s_mul_i32 s31, s30, s28
	s_mul_i32 s36, s34, s24
	s_mul_hi_u32 s28, s34, s28
	s_mul_hi_u32 s35, s34, s24
	s_add_u32 s28, s28, s36
	s_addc_u32 s35, 0, s35
	s_add_u32 s28, s28, s31
	s_mul_hi_u32 s25, s30, s24
	s_addc_u32 s28, s35, s29
	s_addc_u32 s25, s25, 0
	s_mul_i32 s24, s30, s24
	s_add_u32 s24, s28, s24
	s_addc_u32 s28, 0, s25
	s_add_u32 s31, s34, s24
	s_cselect_b64 s[24:25], -1, 0
	s_cmp_lg_u64 s[24:25], 0
	s_addc_u32 s30, s30, s28
	s_ashr_i32 s24, s73, 31
	s_add_u32 s28, s0, s24
	s_mov_b32 s25, s24
	s_addc_u32 s29, s73, s24
	s_xor_b64 s[28:29], s[28:29], s[24:25]
	s_mul_i32 s35, s28, s30
	s_mul_hi_u32 s36, s28, s31
	s_mul_hi_u32 s34, s28, s30
	s_add_u32 s35, s36, s35
	s_addc_u32 s34, 0, s34
	s_mul_hi_u32 s37, s29, s31
	s_mul_i32 s31, s29, s31
	s_add_u32 s31, s35, s31
	s_mul_hi_u32 s36, s29, s30
	s_addc_u32 s31, s34, s37
	s_addc_u32 s34, s36, 0
	s_mul_i32 s30, s29, s30
	s_add_u32 s30, s31, s30
	s_addc_u32 s31, 0, s34
	s_mul_i32 s31, s2, s31
	s_mul_hi_u32 s34, s2, s30
	s_add_i32 s31, s34, s31
	s_mul_i32 s34, s3, s30
	s_add_i32 s36, s31, s34
	s_sub_i32 s34, s29, s36
	s_mul_i32 s30, s2, s30
	s_sub_u32 s28, s28, s30
	s_cselect_b64 s[30:31], -1, 0
	s_cmp_lg_u64 s[30:31], 0
	s_subb_u32 s37, s34, s3
	s_sub_u32 s38, s28, s2
	s_cselect_b64 s[34:35], -1, 0
	s_cmp_lg_u64 s[34:35], 0
	s_subb_u32 s39, s37, 0
	s_cmp_ge_u32 s39, s3
	s_cselect_b32 s62, -1, 0
	s_cmp_ge_u32 s38, s2
	s_cselect_b32 s71, -1, 0
	s_cmp_eq_u32 s39, s3
	s_cselect_b32 s62, s71, s62
	s_cmp_lg_u64 s[34:35], 0
	s_subb_u32 s37, s37, s3
	s_sub_u32 s71, s38, s2
	s_cselect_b64 s[34:35], -1, 0
	s_cmp_lg_u64 s[34:35], 0
	s_subb_u32 s34, s37, 0
	s_cmp_lg_u32 s62, 0
	s_cselect_b32 s35, s71, s38
	s_cselect_b32 s34, s34, s39
	s_cmp_lg_u64 s[30:31], 0
	s_subb_u32 s29, s29, s36
	s_cmp_ge_u32 s29, s3
	s_cselect_b32 s30, -1, 0
	s_cmp_ge_u32 s28, s2
	s_cselect_b32 s2, -1, 0
	s_cmp_eq_u32 s29, s3
	s_cselect_b32 s2, s2, s30
	s_cmp_lg_u32 s2, 0
	s_cselect_b32 s3, s34, s29
	s_cselect_b32 s2, s35, s28
	s_xor_b64 s[2:3], s[2:3], s[24:25]
	s_sub_u32 s2, s2, s24
	s_subb_u32 s3, s3, s24
	s_cbranch_execnz .LBB30_244
.LBB30_243:                             ;   in Loop: Header=BB30_34 Depth=1
	v_cvt_f32_u32_e32 v3, s33
	s_sub_i32 s2, 0, s33
	v_rcp_iflag_f32_e32 v3, v3
	v_mul_f32_e32 v3, 0x4f7ffffe, v3
	v_cvt_u32_f32_e32 v3, v3
	v_readfirstlane_b32 s3, v3
	s_mul_i32 s2, s2, s3
	s_mul_hi_u32 s2, s3, s2
	s_add_i32 s3, s3, s2
	s_mul_hi_u32 s2, s0, s3
	s_mul_i32 s2, s2, s33
	s_sub_i32 s2, s0, s2
	s_sub_i32 s3, s2, s33
	s_cmp_ge_u32 s2, s33
	s_cselect_b32 s2, s3, s2
	s_sub_i32 s3, s2, s33
	s_cmp_ge_u32 s2, s33
	s_cselect_b32 s62, s3, s2
	s_mov_b64 s[2:3], s[62:63]
.LBB30_244:                             ;   in Loop: Header=BB30_34 Depth=1
	s_sub_u32 s36, s0, s2
	s_subb_u32 s37, s73, s3
	v_cmp_gt_i64_e32 vcc, s[36:37], v[0:1]
	s_mov_b64 s[28:29], 0
	s_mov_b64 s[2:3], 0
                                        ; implicit-def: $vgpr5_vgpr6
	s_and_saveexec_b64 s[30:31], vcc
	s_mov_b32 s71, s80
	s_mov_b32 s80, s81
	;; [unrolled: 1-line block ×3, first 2 shown]
	v_readlane_b32 s18, v56, 52
	v_readlane_b32 s19, v56, 53
	s_cbranch_execz .LBB30_255
; %bb.245:                              ;   in Loop: Header=BB30_34 Depth=1
	v_mov_b32_e32 v7, v15
	v_mov_b32_e32 v12, v1
	;; [unrolled: 1-line block ×4, first 2 shown]
                                        ; implicit-def: $sgpr38_sgpr39
	s_branch .LBB30_248
.LBB30_246:                             ;   in Loop: Header=BB30_248 Depth=2
	s_or_b64 exec, exec, s[34:35]
	s_waitcnt lgkmcnt(0)
	s_barrier
	ds_read_b128 v[3:6], v18 offset:3072
	s_mov_b64 s[34:35], -1
	s_mov_b64 s[24:25], -1
	s_waitcnt lgkmcnt(0)
	s_barrier
	v_cmp_ne_u64_e32 vcc, 0, v[3:4]
	s_cbranch_vccz .LBB30_251
.LBB30_247:                             ;   in Loop: Header=BB30_248 Depth=2
	s_and_b64 s[34:35], exec, s[34:35]
	s_or_b64 s[2:3], s[34:35], s[2:3]
	s_andn2_b64 s[34:35], s[38:39], exec
	s_and_b64 s[24:25], s[24:25], exec
	s_or_b64 s[38:39], s[34:35], s[24:25]
	s_andn2_b64 exec, exec, s[2:3]
	s_cbranch_execz .LBB30_254
.LBB30_248:                             ;   Parent Loop BB30_34 Depth=1
                                        ; =>  This Inner Loop Header: Depth=2
	v_cmp_gt_i64_e32 vcc, s[20:21], v[11:12]
	s_and_saveexec_b64 s[34:35], vcc
	s_cbranch_execz .LBB30_246
; %bb.249:                              ;   in Loop: Header=BB30_248 Depth=2
	global_load_dwordx2 v[4:5], v[7:8], off
	s_waitcnt vmcnt(0)
	v_xor_b32_e32 v3, 0x80000000, v5
	v_and_b32_e32 v14, v3, v32
	v_and_b32_e32 v13, v4, v31
	v_cmp_eq_u64_e32 vcc, v[13:14], v[29:30]
	s_and_b64 exec, exec, vcc
	s_cbranch_execz .LBB30_246
; %bb.250:                              ;   in Loop: Header=BB30_248 Depth=2
	v_mov_b32_e32 v3, v18
	ds_write_b128 v18, v[2:5] offset:3072
	s_branch .LBB30_246
.LBB30_251:                             ;   in Loop: Header=BB30_248 Depth=2
	v_add_co_u32_e32 v11, vcc, s33, v11
	v_addc_co_u32_e32 v12, vcc, 0, v12, vcc
	v_mov_b32_e32 v3, s65
	v_add_co_u32_e32 v7, vcc, s64, v7
	v_addc_co_u32_e32 v8, vcc, v8, v3, vcc
	v_cmp_le_i64_e32 vcc, s[36:37], v[11:12]
	s_mov_b64 s[24:25], 0
	s_orn2_b64 s[34:35], vcc, exec
	s_branch .LBB30_247
.LBB30_252:                             ;   in Loop: Header=BB30_34 Depth=1
                                        ; implicit-def: $sgpr2_sgpr3
	s_branch .LBB30_198
.LBB30_253:                             ;   in Loop: Header=BB30_34 Depth=1
                                        ; implicit-def: $sgpr28_sgpr29
	s_branch .LBB30_214
.LBB30_254:                             ;   in Loop: Header=BB30_34 Depth=1
	s_or_b64 exec, exec, s[2:3]
	s_and_b64 s[2:3], s[38:39], exec
.LBB30_255:                             ;   in Loop: Header=BB30_34 Depth=1
	s_or_b64 exec, exec, s[30:31]
	v_readlane_b32 s34, v56, 50
	v_readlane_b32 s35, v56, 51
.LBB30_256:                             ;   in Loop: Header=BB30_34 Depth=1
	s_and_b64 vcc, exec, s[28:29]
	s_cbranch_vccz .LBB30_270
; %bb.257:                              ;   in Loop: Header=BB30_34 Depth=1
	s_add_u32 s30, s50, s71
	s_addc_u32 s77, s51, s81
	s_mov_b32 s76, s63
	s_cmp_lg_u64 s[76:77], 0
	v_writelane_b32 v56, s71, 52
	s_cbranch_scc0 .LBB30_291
; %bb.258:                              ;   in Loop: Header=BB30_34 Depth=1
	s_add_u32 s24, s33, 0
	s_addc_u32 s25, 0, 0
	s_xor_b64 s[78:79], s[24:25], 0
	v_cvt_f32_u32_e32 v3, s78
	v_cvt_f32_u32_e32 v4, s79
	s_sub_u32 s28, 0, s78
	s_subb_u32 s29, 0, s79
	s_mov_b64 vcc, s[34:35]
	v_mac_f32_e32 v3, 0x4f800000, v4
	v_rcp_f32_e32 v3, v3
	v_mul_f32_e32 v3, 0x5f7ffffc, v3
	v_mul_f32_e32 v4, 0x2f800000, v3
	v_trunc_f32_e32 v4, v4
	v_mac_f32_e32 v3, 0xcf800000, v4
	v_cvt_u32_f32_e32 v4, v4
	v_cvt_u32_f32_e32 v3, v3
	v_readfirstlane_b32 s31, v4
	v_readfirstlane_b32 s24, v3
	s_mul_i32 s25, s28, s31
	s_mul_hi_u32 s35, s28, s24
	s_mul_i32 s34, s29, s24
	s_add_i32 s25, s35, s25
	s_mul_i32 s36, s28, s24
	s_add_i32 s25, s25, s34
	s_mul_i32 s35, s24, s25
	s_mul_hi_u32 s37, s24, s36
	s_mul_hi_u32 s34, s24, s25
	s_add_u32 s35, s37, s35
	s_addc_u32 s34, 0, s34
	s_mul_hi_u32 s38, s31, s36
	s_mul_i32 s36, s31, s36
	s_add_u32 s35, s35, s36
	s_mul_hi_u32 s37, s31, s25
	s_addc_u32 s34, s34, s38
	s_addc_u32 s35, s37, 0
	s_mul_i32 s25, s31, s25
	s_add_u32 s25, s34, s25
	s_addc_u32 s34, 0, s35
	s_add_u32 s35, s24, s25
	s_cselect_b64 s[24:25], -1, 0
	s_cmp_lg_u64 s[24:25], 0
	s_addc_u32 s31, s31, s34
	s_mul_i32 s24, s28, s31
	s_mul_hi_u32 s25, s28, s35
	s_add_i32 s24, s25, s24
	s_mul_i32 s29, s29, s35
	s_add_i32 s24, s24, s29
	s_mul_i32 s28, s28, s35
	s_mul_hi_u32 s29, s31, s28
	s_mul_i32 s34, s31, s28
	s_mul_i32 s37, s35, s24
	s_mul_hi_u32 s28, s35, s28
	s_mul_hi_u32 s36, s35, s24
	s_add_u32 s28, s28, s37
	s_addc_u32 s36, 0, s36
	s_add_u32 s28, s28, s34
	s_mul_hi_u32 s25, s31, s24
	s_addc_u32 s28, s36, s29
	s_addc_u32 s25, s25, 0
	s_mul_i32 s24, s31, s24
	s_add_u32 s24, s28, s24
	s_addc_u32 s28, 0, s25
	s_add_u32 s34, s35, s24
	s_cselect_b64 s[24:25], -1, 0
	s_cmp_lg_u64 s[24:25], 0
	s_addc_u32 s31, s31, s28
	s_ashr_i32 s24, s77, 31
	s_add_u32 s28, s30, s24
	s_mov_b32 s25, s24
	s_addc_u32 s29, s77, s24
	s_xor_b64 s[28:29], s[28:29], s[24:25]
	s_mul_i32 s36, s28, s31
	s_mul_hi_u32 s37, s28, s34
	s_mul_hi_u32 s35, s28, s31
	s_add_u32 s36, s37, s36
	s_addc_u32 s35, 0, s35
	s_mul_hi_u32 s38, s29, s34
	s_mul_i32 s34, s29, s34
	s_add_u32 s34, s36, s34
	s_mul_hi_u32 s37, s29, s31
	s_addc_u32 s34, s35, s38
	s_addc_u32 s35, s37, 0
	s_mul_i32 s31, s29, s31
	s_add_u32 s31, s34, s31
	s_addc_u32 s34, 0, s35
	s_mul_i32 s34, s78, s34
	s_mul_hi_u32 s35, s78, s31
	s_add_i32 s34, s35, s34
	s_mul_i32 s35, s79, s31
	s_add_i32 s38, s34, s35
	s_sub_i32 s36, s29, s38
	s_mul_i32 s31, s78, s31
	s_sub_u32 s28, s28, s31
	s_cselect_b64 s[34:35], -1, 0
	s_cmp_lg_u64 s[34:35], 0
	s_subb_u32 s31, s36, s79
	s_sub_u32 s39, s28, s78
	s_cselect_b64 s[36:37], -1, 0
	s_cmp_lg_u64 s[36:37], 0
	s_subb_u32 s62, s31, 0
	s_cmp_ge_u32 s62, s79
	s_cselect_b32 s71, -1, 0
	s_cmp_ge_u32 s39, s78
	s_cselect_b32 s72, -1, 0
	s_cmp_eq_u32 s62, s79
	s_cselect_b32 s71, s72, s71
	s_cmp_lg_u64 s[36:37], 0
	s_subb_u32 s31, s31, s79
	s_sub_u32 s72, s39, s78
	s_cselect_b64 s[36:37], -1, 0
	s_cmp_lg_u64 s[36:37], 0
	s_subb_u32 s31, s31, 0
	s_cmp_lg_u32 s71, 0
	s_cselect_b32 s36, s72, s39
	s_cselect_b32 s31, s31, s62
	s_cmp_lg_u64 s[34:35], 0
	s_subb_u32 s29, s29, s38
	s_cmp_ge_u32 s29, s79
	s_cselect_b32 s34, -1, 0
	s_cmp_ge_u32 s28, s78
	s_cselect_b32 s35, -1, 0
	s_cmp_eq_u32 s29, s79
	s_cselect_b32 s34, s35, s34
	s_cmp_lg_u32 s34, 0
	s_cselect_b32 s29, s31, s29
	s_cselect_b32 s28, s36, s28
	s_xor_b64 s[28:29], s[28:29], s[24:25]
	s_sub_u32 s28, s28, s24
	s_mov_b64 s[34:35], vcc
	s_subb_u32 s29, s29, s24
	s_cbranch_execnz .LBB30_260
.LBB30_259:                             ;   in Loop: Header=BB30_34 Depth=1
	v_cvt_f32_u32_e32 v3, s33
	s_sub_i32 s24, 0, s33
	v_rcp_iflag_f32_e32 v3, v3
	v_mul_f32_e32 v3, 0x4f7ffffe, v3
	v_cvt_u32_f32_e32 v3, v3
	v_readfirstlane_b32 s25, v3
	s_mul_i32 s24, s24, s25
	s_mul_hi_u32 s24, s25, s24
	s_add_i32 s25, s25, s24
	s_mul_hi_u32 s24, s30, s25
	s_mul_i32 s24, s24, s33
	s_sub_i32 s24, s30, s24
	s_sub_i32 s25, s24, s33
	s_cmp_ge_u32 s24, s33
	s_cselect_b32 s24, s25, s24
	s_sub_i32 s25, s24, s33
	s_cmp_ge_u32 s24, s33
	s_cselect_b32 s62, s25, s24
	s_mov_b64 s[28:29], s[62:63]
.LBB30_260:                             ;   in Loop: Header=BB30_34 Depth=1
	s_sub_u32 s30, s30, s28
	s_subb_u32 s31, s77, s29
	v_cmp_gt_i64_e32 vcc, s[30:31], v[0:1]
                                        ; implicit-def: $vgpr5_vgpr6
	s_and_saveexec_b64 s[28:29], vcc
	v_readlane_b32 s71, v56, 52
	s_cbranch_execz .LBB30_269
; %bb.261:                              ;   in Loop: Header=BB30_34 Depth=1
	v_mov_b32_e32 v8, v1
	s_mov_b64 s[76:77], s[34:35]
	s_mov_b64 s[36:37], 0
	v_mov_b32_e32 v11, v52
	v_mov_b32_e32 v7, v0
                                        ; implicit-def: $sgpr38_sgpr39
	s_branch .LBB30_264
.LBB30_262:                             ;   in Loop: Header=BB30_264 Depth=2
	s_or_b64 exec, exec, s[34:35]
	s_waitcnt lgkmcnt(0)
	s_barrier
	ds_read_b128 v[3:6], v18 offset:3072
	s_mov_b64 s[24:25], -1
	s_mov_b64 s[34:35], -1
	s_waitcnt lgkmcnt(0)
	s_barrier
	v_cmp_eq_u64_e32 vcc, 0, v[3:4]
	s_cbranch_vccnz .LBB30_267
.LBB30_263:                             ;   in Loop: Header=BB30_264 Depth=2
	s_and_b64 s[24:25], exec, s[24:25]
	s_or_b64 s[36:37], s[24:25], s[36:37]
	s_andn2_b64 s[24:25], s[38:39], exec
	s_and_b64 s[34:35], s[34:35], exec
	s_or_b64 s[38:39], s[24:25], s[34:35]
	s_andn2_b64 exec, exec, s[36:37]
	s_cbranch_execz .LBB30_268
.LBB30_264:                             ;   Parent Loop BB30_34 Depth=1
                                        ; =>  This Inner Loop Header: Depth=2
	v_cmp_gt_u64_e32 vcc, s[50:51], v[7:8]
	s_and_saveexec_b64 s[34:35], vcc
	s_cbranch_execz .LBB30_262
; %bb.265:                              ;   in Loop: Header=BB30_264 Depth=2
	ds_read_b64 v[4:5], v11
	s_waitcnt lgkmcnt(0)
	v_xor_b32_e32 v3, 0x80000000, v5
	v_and_b32_e32 v13, v3, v32
	v_and_b32_e32 v12, v4, v31
	v_cmp_eq_u64_e32 vcc, v[12:13], v[29:30]
	s_and_b64 exec, exec, vcc
	s_cbranch_execz .LBB30_262
; %bb.266:                              ;   in Loop: Header=BB30_264 Depth=2
	v_mov_b32_e32 v3, v18
	ds_write_b128 v18, v[2:5] offset:3072
	s_branch .LBB30_262
.LBB30_267:                             ;   in Loop: Header=BB30_264 Depth=2
	v_add_co_u32_e32 v7, vcc, s33, v7
	v_addc_co_u32_e32 v8, vcc, 0, v8, vcc
	v_cmp_le_i64_e32 vcc, s[30:31], v[7:8]
	v_add_u32_e32 v11, s8, v11
	s_mov_b64 s[34:35], 0
	s_orn2_b64 s[24:25], vcc, exec
	s_branch .LBB30_263
.LBB30_268:                             ;   in Loop: Header=BB30_34 Depth=1
	s_or_b64 exec, exec, s[36:37]
	s_andn2_b64 s[2:3], s[2:3], exec
	s_and_b64 s[24:25], s[38:39], exec
	s_or_b64 s[2:3], s[2:3], s[24:25]
	s_mov_b64 s[34:35], s[76:77]
.LBB30_269:                             ;   in Loop: Header=BB30_34 Depth=1
	s_or_b64 exec, exec, s[28:29]
	s_mov_b64 s[76:77], 0
	s_mov_b64 s[78:79], -1
.LBB30_270:                             ;   in Loop: Header=BB30_34 Depth=1
	v_readlane_b32 s50, v56, 48
	s_orn2_b64 s[28:29], s[2:3], exec
	v_readlane_b32 s51, v56, 49
.LBB30_271:                             ;   in Loop: Header=BB30_34 Depth=1
	s_or_b64 exec, exec, s[60:61]
	s_mov_b64 s[30:31], 0
	s_and_saveexec_b64 s[2:3], s[28:29]
	s_cbranch_execz .LBB30_282
; %bb.272:                              ;   in Loop: Header=BB30_34 Depth=1
	v_mov_b32_e32 v3, 1
	s_xor_b64 s[28:29], s[34:35], -1
	v_mov_b32_e32 v4, 0
	v_mov_b32_e32 v35, 1
	s_and_saveexec_b64 s[24:25], s[28:29]
	s_cbranch_execz .LBB30_281
; %bb.273:                              ;   in Loop: Header=BB30_34 Depth=1
	v_cmp_ge_i64_e32 vcc, s[12:13], v[9:10]
	s_and_saveexec_b64 s[28:29], vcc
	s_xor_b64 s[28:29], exec, s[28:29]
	s_cbranch_execz .LBB30_278
; %bb.274:                              ;   in Loop: Header=BB30_34 Depth=1
	ds_read_b64 v[3:4], v18 offset:5120
	v_or_b32_e32 v30, s15, v30
	v_or_b32_e32 v29, s14, v29
	;; [unrolled: 1-line block ×4, first 2 shown]
	s_waitcnt lgkmcnt(0)
	v_cmp_ne_u64_e32 vcc, 0, v[3:4]
	s_cbranch_vccnz .LBB30_278
; %bb.275:                              ;   in Loop: Header=BB30_34 Depth=1
	s_mov_b64 s[14:15], exec
	v_readlane_b32 s30, v56, 30
	v_readlane_b32 s31, v56, 31
	s_and_b64 s[30:31], s[14:15], s[30:31]
	s_mov_b64 exec, s[30:31]
; %bb.276:                              ;   in Loop: Header=BB30_34 Depth=1
	v_mov_b32_e32 v3, s12
	v_mov_b32_e32 v4, s13
	ds_write_b64 v18, v[3:4] offset:5128
; %bb.277:                              ;   in Loop: Header=BB30_34 Depth=1
	s_or_b64 exec, exec, s[14:15]
	s_waitcnt lgkmcnt(0)
	s_barrier
.LBB30_278:                             ;   in Loop: Header=BB30_34 Depth=1
	s_andn2_saveexec_b64 s[14:15], s[28:29]
; %bb.279:                              ;   in Loop: Header=BB30_34 Depth=1
	v_mov_b32_e32 v3, s13
	v_subrev_co_u32_e32 v9, vcc, s12, v9
	v_subb_co_u32_e32 v10, vcc, v10, v3, vcc
; %bb.280:                              ;   in Loop: Header=BB30_34 Depth=1
	s_or_b64 exec, exec, s[14:15]
	v_mov_b32_e32 v3, v9
	v_mov_b32_e32 v35, 8
	v_mov_b32_e32 v4, v10
.LBB30_281:                             ;   in Loop: Header=BB30_34 Depth=1
	s_or_b64 exec, exec, s[24:25]
	v_mov_b32_e32 v10, v4
	s_mov_b64 s[30:31], exec
	v_mov_b32_e32 v9, v3
.LBB30_282:                             ;   in Loop: Header=BB30_34 Depth=1
	s_or_b64 exec, exec, s[2:3]
	s_orn2_b64 s[2:3], s[30:31], exec
.LBB30_283:                             ;   in Loop: Header=BB30_34 Depth=1
	s_or_b64 exec, exec, s[40:41]
	s_andn2_b64 s[12:13], s[52:53], exec
	s_and_b64 s[14:15], s[78:79], exec
	s_or_b64 s[52:53], s[12:13], s[14:15]
	s_andn2_b64 s[12:13], s[48:49], exec
	s_and_b64 s[14:15], s[76:77], exec
	v_mov_b32_e32 v7, v9
	s_or_b64 s[48:49], s[12:13], s[14:15]
	s_and_b64 s[28:29], s[2:3], exec
	v_mov_b32_e32 v8, v10
.LBB30_284:                             ;   in Loop: Header=BB30_34 Depth=1
	s_or_b64 exec, exec, s[10:11]
	s_orn2_b64 s[2:3], s[28:29], exec
.LBB30_285:                             ;   in Loop: Header=BB30_34 Depth=1
	s_or_b64 exec, exec, s[46:47]
	s_andn2_b64 s[10:11], s[42:43], exec
	s_and_b64 s[12:13], s[52:53], exec
	s_or_b64 s[42:43], s[10:11], s[12:13]
	s_andn2_b64 s[6:7], s[6:7], exec
	s_and_b64 s[10:11], s[48:49], exec
	v_mov_b32_e32 v12, v8
	s_or_b64 s[6:7], s[6:7], s[10:11]
	s_and_b64 s[24:25], s[2:3], exec
	v_mov_b32_e32 v11, v7
.LBB30_286:                             ;   in Loop: Header=BB30_34 Depth=1
	s_or_b64 exec, exec, s[44:45]
	s_orn2_b64 s[2:3], s[24:25], exec
.LBB30_287:                             ;   in Loop: Header=BB30_34 Depth=1
	s_or_b64 exec, exec, s[54:55]
	s_mov_b64 s[10:11], 0
	s_and_saveexec_b64 s[12:13], s[2:3]
	s_xor_b64 s[2:3], exec, s[12:13]
	s_cbranch_execz .LBB30_32
; %bb.288:                              ;   in Loop: Header=BB30_34 Depth=1
	v_and_b32_e32 v3, 7, v35
	v_cmp_eq_u32_e32 vcc, 0, v3
	s_mov_b64 s[12:13], -1
	s_mov_b64 s[10:11], -1
	s_and_saveexec_b64 s[14:15], vcc
	s_cbranch_execz .LBB30_31
; %bb.289:                              ;   in Loop: Header=BB30_34 Depth=1
	s_xor_b32 s70, s70, 1
	s_add_i32 s22, s9, -2
	s_cmp_eq_u32 s9, 0
	s_cselect_b64 s[12:13], -1, 0
	s_xor_b64 s[10:11], exec, -1
	s_orn2_b64 s[12:13], s[12:13], exec
	s_mov_b32 s9, s22
	s_branch .LBB30_31
.LBB30_290:                             ;   in Loop: Header=BB30_34 Depth=1
                                        ; implicit-def: $sgpr2_sgpr3
	s_branch .LBB30_243
.LBB30_291:                             ;   in Loop: Header=BB30_34 Depth=1
                                        ; implicit-def: $sgpr28_sgpr29
	s_branch .LBB30_259
.LBB30_292:
	s_or_b64 exec, exec, s[86:87]
	s_xor_b64 s[6:7], s[92:93], -1
	s_xor_b64 s[0:1], s[88:89], -1
	s_xor_b64 s[8:9], s[90:91], -1
	s_mov_b64 s[2:3], 0
	s_and_saveexec_b64 s[4:5], s[0:1]
	s_xor_b64 s[4:5], exec, s[4:5]
	s_cbranch_execnz .LBB30_297
; %bb.293:
	s_andn2_saveexec_b64 s[0:1], s[4:5]
	s_cbranch_execnz .LBB30_319
.LBB30_294:
	s_or_b64 exec, exec, s[0:1]
	s_and_saveexec_b64 s[0:1], s[2:3]
.LBB30_295:
	; divergent unreachable
.LBB30_296:
	s_endpgm
.LBB30_297:
	s_and_saveexec_b64 s[0:1], s[6:7]
	s_xor_b64 s[6:7], exec, s[0:1]
	s_cbranch_execz .LBB30_317
; %bb.298:
	s_and_saveexec_b64 s[0:1], s[8:9]
	s_xor_b64 s[2:3], exec, s[0:1]
; %bb.299:
	v_xor_b32_e32 v30, 0x80000000, v30
	v_mov_b32_e32 v5, v29
	v_mov_b32_e32 v6, v30
; %bb.300:
	s_or_b64 exec, exec, s[2:3]
	s_mov_b64 s[2:3], exec
	v_readlane_b32 s0, v56, 30
	v_readlane_b32 s1, v56, 31
	s_and_b64 s[0:1], s[2:3], s[0:1]
	v_readlane_b32 s26, v56, 32
	v_readlane_b32 s27, v56, 33
	s_mov_b64 exec, s[0:1]
; %bb.301:
	v_mov_b32_e32 v2, 0
	v_mov_b32_e32 v3, s20
	ds_write_b32 v2, v3 offset:5140
; %bb.302:
	s_or_b64 exec, exec, s[2:3]
	s_waitcnt lgkmcnt(0)
	s_barrier
	s_mov_b64 s[8:9], exec
	v_readlane_b32 s0, v56, 38
	v_readlane_b32 s1, v56, 39
	s_and_b64 s[0:1], s[8:9], s[0:1]
	s_mov_b64 exec, s[0:1]
	s_cbranch_execz .LBB30_314
; %bb.303:
	v_mov_b32_e32 v2, 0
	ds_read_b32 v7, v2 offset:5140
	s_mov_b64 s[10:11], 0
                                        ; implicit-def: $sgpr12_sgpr13
                                        ; implicit-def: $sgpr14_sgpr15
                                        ; implicit-def: $sgpr16_sgpr17
	s_waitcnt lgkmcnt(0)
	v_ashrrev_i32_e32 v8, 31, v7
	s_branch .LBB30_306
.LBB30_304:                             ;   in Loop: Header=BB30_306 Depth=1
	s_or_b64 exec, exec, s[24:25]
	s_andn2_b64 s[0:1], s[16:17], exec
	s_and_b64 s[16:17], s[22:23], exec
	s_or_b64 s[16:17], s[0:1], s[16:17]
	s_andn2_b64 s[0:1], s[14:15], exec
	s_and_b64 s[2:3], s[2:3], exec
	s_or_b64 s[14:15], s[0:1], s[2:3]
.LBB30_305:                             ;   in Loop: Header=BB30_306 Depth=1
	s_or_b64 exec, exec, s[18:19]
	s_and_b64 s[0:1], exec, s[14:15]
	s_or_b64 s[10:11], s[0:1], s[10:11]
	s_andn2_b64 s[0:1], s[12:13], exec
	s_and_b64 s[2:3], s[16:17], exec
	s_or_b64 s[12:13], s[0:1], s[2:3]
	s_andn2_b64 exec, exec, s[10:11]
	s_cbranch_execz .LBB30_309
.LBB30_306:                             ; =>This Inner Loop Header: Depth=1
	v_mov_b32_e32 v3, v1
	v_mov_b32_e32 v2, v0
	v_cmp_lt_i64_e32 vcc, v[2:3], v[7:8]
	s_or_b64 s[16:17], s[16:17], exec
	s_or_b64 s[14:15], s[14:15], exec
                                        ; implicit-def: $vgpr0_vgpr1
	s_and_saveexec_b64 s[18:19], vcc
	s_cbranch_execz .LBB30_305
; %bb.307:                              ;   in Loop: Header=BB30_306 Depth=1
	global_load_dwordx2 v[0:1], v[15:16], off
	s_mov_b64 s[2:3], -1
	s_mov_b64 s[22:23], 0
	s_waitcnt vmcnt(0)
	v_cmp_ne_u64_e32 vcc, v[0:1], v[5:6]
                                        ; implicit-def: $vgpr0_vgpr1
	s_and_saveexec_b64 s[24:25], vcc
	s_cbranch_execz .LBB30_304
; %bb.308:                              ;   in Loop: Header=BB30_306 Depth=1
	v_add_co_u32_e32 v0, vcc, s33, v2
	v_addc_co_u32_e32 v1, vcc, 0, v3, vcc
	v_mov_b32_e32 v3, s65
	v_cmp_le_i64_e32 vcc, s[20:21], v[0:1]
	v_add_co_u32_e64 v15, s[2:3], s64, v15
	v_addc_co_u32_e64 v16, s[2:3], v16, v3, s[2:3]
	s_mov_b64 s[22:23], exec
	s_orn2_b64 s[2:3], vcc, exec
	s_branch .LBB30_304
.LBB30_309:
	s_or_b64 exec, exec, s[10:11]
	s_xor_b64 s[0:1], s[12:13], -1
	s_and_saveexec_b64 s[2:3], s[0:1]
	s_xor_b64 s[2:3], exec, s[2:3]
	s_cbranch_execz .LBB30_314
; %bb.310:
	s_mov_b64 s[2:3], exec
	s_brev_b32 s0, -2
.LBB30_311:                             ; =>This Inner Loop Header: Depth=1
	s_ff1_i32_b64 s1, s[2:3]
	v_readlane_b32 s12, v2, s1
	s_lshl_b64 s[10:11], 1, s1
	s_min_i32 s0, s0, s12
	s_andn2_b64 s[2:3], s[2:3], s[10:11]
	s_cmp_lg_u64 s[2:3], 0
	s_cbranch_scc1 .LBB30_311
; %bb.312:
	v_mbcnt_lo_u32_b32 v0, exec_lo, 0
	v_mbcnt_hi_u32_b32 v0, exec_hi, v0
	v_cmp_eq_u32_e32 vcc, 0, v0
	s_and_saveexec_b64 s[2:3], vcc
	s_xor_b64 s[2:3], exec, s[2:3]
; %bb.313:
	v_mov_b32_e32 v0, 0
	v_mov_b32_e32 v1, s0
	ds_min_i32 v0, v1 offset:5140
.LBB30_314:
	s_or_b64 exec, exec, s[8:9]
	s_waitcnt lgkmcnt(0)
	s_barrier
	s_mov_b64 s[2:3], exec
	v_readlane_b32 s0, v56, 30
	v_readlane_b32 s1, v56, 31
	s_and_b64 s[0:1], s[2:3], s[0:1]
	s_mov_b64 exec, s[0:1]
	s_cbranch_execz .LBB30_316
; %bb.315:
	v_readlane_b32 s16, v56, 4
	v_readlane_b32 s18, v56, 6
	v_readlane_b32 s19, v56, 7
	v_readlane_b32 s20, v56, 10
	v_readlane_b32 s21, v56, 11
	s_mul_i32 s0, s20, s19
	s_mul_hi_u32 s1, s20, s18
	s_add_i32 s0, s1, s0
	s_mul_i32 s1, s21, s18
	s_add_i32 s0, s0, s1
	s_mul_i32 s1, s20, s18
	v_readlane_b32 s10, v56, 12
	s_sub_u32 s8, s26, s1
	v_readlane_b32 s11, v56, 13
	s_subb_u32 s0, 0, s0
	s_mul_i32 s1, s8, s11
	s_mul_hi_u32 s9, s8, s10
	v_readlane_b32 s12, v56, 0
	s_add_i32 s1, s9, s1
	s_mul_i32 s0, s0, s10
	v_readlane_b32 s13, v56, 1
	v_readlane_b32 s18, v56, 8
	s_add_i32 s1, s1, s0
	s_mul_i32 s0, s8, s10
	v_readlane_b32 s19, v56, 9
	s_mul_i32 s8, s18, s13
	s_mul_hi_u32 s9, s18, s12
	s_add_i32 s8, s9, s8
	s_mul_i32 s9, s19, s12
	s_add_i32 s8, s8, s9
	s_mul_i32 s9, s18, s12
	v_readlane_b32 s28, v56, 20
	s_sub_u32 s10, s50, s9
	v_readlane_b32 s30, v56, 22
	v_readlane_b32 s31, v56, 23
	s_subb_u32 s8, s51, s8
	s_mul_i32 s9, s10, s31
	s_mul_hi_u32 s11, s10, s30
	v_readlane_b32 s14, v56, 2
	v_readlane_b32 s15, v56, 3
	;; [unrolled: 1-line block ×3, first 2 shown]
	s_add_i32 s9, s11, s9
	s_mul_i32 s8, s8, s30
	s_add_i32 s9, s9, s8
	s_mul_i32 s8, s10, s30
	s_mul_i32 s10, s18, s29
	s_mul_hi_u32 s11, s18, s28
	s_mul_i32 s12, s50, s15
	s_mul_hi_u32 s13, s50, s14
	s_add_i32 s10, s11, s10
	s_mul_i32 s11, s19, s28
	s_add_i32 s12, s13, s12
	s_mul_i32 s13, s51, s14
	;; [unrolled: 2-line block ×4, first 2 shown]
	v_readlane_b32 s18, v56, 18
	s_sub_u32 s14, s26, s13
	v_readlane_b32 s19, v56, 19
	s_subb_u32 s12, 0, s12
	s_mul_i32 s13, s14, s19
	s_mul_hi_u32 s15, s14, s18
	s_add_i32 s13, s15, s13
	s_mul_i32 s12, s12, s18
	v_readlane_b32 s17, v56, 5
	s_add_i32 s13, s13, s12
	s_mul_i32 s12, s14, s18
	v_readlane_b32 s18, v56, 24
	v_readlane_b32 s19, v56, 25
	s_mul_i32 s14, s18, s17
	s_mul_hi_u32 s15, s18, s16
	s_add_i32 s14, s15, s14
	s_mul_i32 s15, s19, s16
	s_add_i32 s14, s14, s15
	s_mul_i32 s15, s18, s16
	s_sub_u32 s16, s20, s15
	s_subb_u32 s14, s21, s14
	v_readlane_b32 s20, v56, 14
	v_readlane_b32 s22, v56, 16
	;; [unrolled: 1-line block ×3, first 2 shown]
	s_mul_i32 s15, s16, s23
	s_mul_hi_u32 s17, s16, s22
	v_readlane_b32 s21, v56, 15
	s_add_i32 s15, s17, s15
	s_mul_i32 s14, s14, s22
	s_add_i32 s15, s15, s14
	s_mul_i32 s14, s16, s22
	s_mul_i32 s16, s18, s21
	s_mul_hi_u32 s17, s18, s20
	s_add_i32 s16, s17, s16
	s_mul_i32 s17, s19, s20
	s_add_i32 s17, s16, s17
	s_mul_i32 s16, s18, s20
	s_lshl_b64 s[10:11], s[10:11], 3
	v_readlane_b32 s18, v56, 28
	v_readlane_b32 s19, v56, 29
	s_add_u32 s10, s18, s10
	s_addc_u32 s11, s19, s11
	s_lshl_b64 s[8:9], s[8:9], 3
	s_add_u32 s10, s10, s8
	s_addc_u32 s11, s11, s9
	s_lshl_b64 s[8:9], s[12:13], 3
	;; [unrolled: 3-line block ×3, first 2 shown]
	v_readlane_b32 s12, v56, 26
	v_mov_b32_e32 v2, 0
	v_readlane_b32 s13, v56, 27
	s_add_u32 s12, s12, s10
	ds_read_b32 v0, v2 offset:5140
	s_addc_u32 s13, s13, s11
	s_lshl_b64 s[10:11], s[14:15], 3
	s_add_u32 s10, s12, s10
	s_addc_u32 s11, s13, s11
	s_lshl_b64 s[0:1], s[0:1], 3
	s_add_u32 s0, s10, s0
	s_addc_u32 s1, s11, s1
	s_waitcnt lgkmcnt(0)
	v_ashrrev_i32_e32 v1, 31, v0
	global_store_dwordx2 v2, v[0:1], s[0:1]
	global_store_dwordx2 v2, v[5:6], s[8:9]
.LBB30_316:
	s_or_b64 exec, exec, s[2:3]
.LBB30_317:
	s_or_saveexec_b64 s[0:1], s[6:7]
	s_mov_b64 s[2:3], 0
	s_xor_b64 exec, exec, s[0:1]
	s_cbranch_execnz .LBB30_320
.LBB30_318:
	s_or_b64 exec, exec, s[0:1]
	s_and_b64 s[2:3], s[2:3], exec
	s_andn2_saveexec_b64 s[0:1], s[4:5]
	s_cbranch_execz .LBB30_294
.LBB30_319:
	s_or_b64 s[2:3], s[2:3], exec
	s_trap 2
	s_or_b64 exec, exec, s[0:1]
	s_and_saveexec_b64 s[0:1], s[2:3]
	s_cbranch_execnz .LBB30_295
	s_branch .LBB30_296
.LBB30_320:
	s_mov_b64 s[2:3], exec
	s_trap 2
	s_branch .LBB30_318
	.section	.rodata,"a",@progbits
	.p2align	6, 0x0
	.amdhsa_kernel _ZN2at6native12_GLOBAL__N_114gatherKthValueIllLi3EEEvNS_4cuda6detail10TensorInfoIKT_T0_EES8_S8_S8_S8_NS5_IS6_S8_EENS5_IlS8_EE
		.amdhsa_group_segment_fixed_size 5144
		.amdhsa_private_segment_fixed_size 0
		.amdhsa_kernarg_size 1536
		.amdhsa_user_sgpr_count 6
		.amdhsa_user_sgpr_private_segment_buffer 1
		.amdhsa_user_sgpr_dispatch_ptr 0
		.amdhsa_user_sgpr_queue_ptr 0
		.amdhsa_user_sgpr_kernarg_segment_ptr 1
		.amdhsa_user_sgpr_dispatch_id 0
		.amdhsa_user_sgpr_flat_scratch_init 0
		.amdhsa_user_sgpr_private_segment_size 0
		.amdhsa_uses_dynamic_stack 0
		.amdhsa_system_sgpr_private_segment_wavefront_offset 0
		.amdhsa_system_sgpr_workgroup_id_x 1
		.amdhsa_system_sgpr_workgroup_id_y 1
		.amdhsa_system_sgpr_workgroup_id_z 1
		.amdhsa_system_sgpr_workgroup_info 0
		.amdhsa_system_vgpr_workitem_id 0
		.amdhsa_next_free_vgpr 57
		.amdhsa_next_free_sgpr 96
		.amdhsa_reserve_vcc 1
		.amdhsa_reserve_flat_scratch 0
		.amdhsa_float_round_mode_32 0
		.amdhsa_float_round_mode_16_64 0
		.amdhsa_float_denorm_mode_32 3
		.amdhsa_float_denorm_mode_16_64 3
		.amdhsa_dx10_clamp 1
		.amdhsa_ieee_mode 1
		.amdhsa_fp16_overflow 0
		.amdhsa_exception_fp_ieee_invalid_op 0
		.amdhsa_exception_fp_denorm_src 0
		.amdhsa_exception_fp_ieee_div_zero 0
		.amdhsa_exception_fp_ieee_overflow 0
		.amdhsa_exception_fp_ieee_underflow 0
		.amdhsa_exception_fp_ieee_inexact 0
		.amdhsa_exception_int_div_zero 0
	.end_amdhsa_kernel
	.section	.text._ZN2at6native12_GLOBAL__N_114gatherKthValueIllLi3EEEvNS_4cuda6detail10TensorInfoIKT_T0_EES8_S8_S8_S8_NS5_IS6_S8_EENS5_IlS8_EE,"axG",@progbits,_ZN2at6native12_GLOBAL__N_114gatherKthValueIllLi3EEEvNS_4cuda6detail10TensorInfoIKT_T0_EES8_S8_S8_S8_NS5_IS6_S8_EENS5_IlS8_EE,comdat
.Lfunc_end30:
	.size	_ZN2at6native12_GLOBAL__N_114gatherKthValueIllLi3EEEvNS_4cuda6detail10TensorInfoIKT_T0_EES8_S8_S8_S8_NS5_IS6_S8_EENS5_IlS8_EE, .Lfunc_end30-_ZN2at6native12_GLOBAL__N_114gatherKthValueIllLi3EEEvNS_4cuda6detail10TensorInfoIKT_T0_EES8_S8_S8_S8_NS5_IS6_S8_EENS5_IlS8_EE
                                        ; -- End function
	.set _ZN2at6native12_GLOBAL__N_114gatherKthValueIllLi3EEEvNS_4cuda6detail10TensorInfoIKT_T0_EES8_S8_S8_S8_NS5_IS6_S8_EENS5_IlS8_EE.num_vgpr, 57
	.set _ZN2at6native12_GLOBAL__N_114gatherKthValueIllLi3EEEvNS_4cuda6detail10TensorInfoIKT_T0_EES8_S8_S8_S8_NS5_IS6_S8_EENS5_IlS8_EE.num_agpr, 0
	.set _ZN2at6native12_GLOBAL__N_114gatherKthValueIllLi3EEEvNS_4cuda6detail10TensorInfoIKT_T0_EES8_S8_S8_S8_NS5_IS6_S8_EENS5_IlS8_EE.numbered_sgpr, 96
	.set _ZN2at6native12_GLOBAL__N_114gatherKthValueIllLi3EEEvNS_4cuda6detail10TensorInfoIKT_T0_EES8_S8_S8_S8_NS5_IS6_S8_EENS5_IlS8_EE.num_named_barrier, 0
	.set _ZN2at6native12_GLOBAL__N_114gatherKthValueIllLi3EEEvNS_4cuda6detail10TensorInfoIKT_T0_EES8_S8_S8_S8_NS5_IS6_S8_EENS5_IlS8_EE.private_seg_size, 0
	.set _ZN2at6native12_GLOBAL__N_114gatherKthValueIllLi3EEEvNS_4cuda6detail10TensorInfoIKT_T0_EES8_S8_S8_S8_NS5_IS6_S8_EENS5_IlS8_EE.uses_vcc, 1
	.set _ZN2at6native12_GLOBAL__N_114gatherKthValueIllLi3EEEvNS_4cuda6detail10TensorInfoIKT_T0_EES8_S8_S8_S8_NS5_IS6_S8_EENS5_IlS8_EE.uses_flat_scratch, 0
	.set _ZN2at6native12_GLOBAL__N_114gatherKthValueIllLi3EEEvNS_4cuda6detail10TensorInfoIKT_T0_EES8_S8_S8_S8_NS5_IS6_S8_EENS5_IlS8_EE.has_dyn_sized_stack, 0
	.set _ZN2at6native12_GLOBAL__N_114gatherKthValueIllLi3EEEvNS_4cuda6detail10TensorInfoIKT_T0_EES8_S8_S8_S8_NS5_IS6_S8_EENS5_IlS8_EE.has_recursion, 0
	.set _ZN2at6native12_GLOBAL__N_114gatherKthValueIllLi3EEEvNS_4cuda6detail10TensorInfoIKT_T0_EES8_S8_S8_S8_NS5_IS6_S8_EENS5_IlS8_EE.has_indirect_call, 0
	.section	.AMDGPU.csdata,"",@progbits
; Kernel info:
; codeLenInByte = 20704
; TotalNumSgprs: 100
; NumVgprs: 57
; ScratchSize: 0
; MemoryBound: 0
; FloatMode: 240
; IeeeMode: 1
; LDSByteSize: 5144 bytes/workgroup (compile time only)
; SGPRBlocks: 12
; VGPRBlocks: 14
; NumSGPRsForWavesPerEU: 100
; NumVGPRsForWavesPerEU: 57
; Occupancy: 4
; WaveLimiterHint : 1
; COMPUTE_PGM_RSRC2:SCRATCH_EN: 0
; COMPUTE_PGM_RSRC2:USER_SGPR: 6
; COMPUTE_PGM_RSRC2:TRAP_HANDLER: 0
; COMPUTE_PGM_RSRC2:TGID_X_EN: 1
; COMPUTE_PGM_RSRC2:TGID_Y_EN: 1
; COMPUTE_PGM_RSRC2:TGID_Z_EN: 1
; COMPUTE_PGM_RSRC2:TIDIG_COMP_CNT: 0
	.section	.text._ZN2at6native12_GLOBAL__N_114gatherKthValueIllLin1EEEvNS_4cuda6detail10TensorInfoIKT_T0_EES8_S8_S8_S8_NS5_IS6_S8_EENS5_IlS8_EE,"axG",@progbits,_ZN2at6native12_GLOBAL__N_114gatherKthValueIllLin1EEEvNS_4cuda6detail10TensorInfoIKT_T0_EES8_S8_S8_S8_NS5_IS6_S8_EENS5_IlS8_EE,comdat
	.globl	_ZN2at6native12_GLOBAL__N_114gatherKthValueIllLin1EEEvNS_4cuda6detail10TensorInfoIKT_T0_EES8_S8_S8_S8_NS5_IS6_S8_EENS5_IlS8_EE ; -- Begin function _ZN2at6native12_GLOBAL__N_114gatherKthValueIllLin1EEEvNS_4cuda6detail10TensorInfoIKT_T0_EES8_S8_S8_S8_NS5_IS6_S8_EENS5_IlS8_EE
	.p2align	8
	.type	_ZN2at6native12_GLOBAL__N_114gatherKthValueIllLin1EEEvNS_4cuda6detail10TensorInfoIKT_T0_EES8_S8_S8_S8_NS5_IS6_S8_EENS5_IlS8_EE,@function
_ZN2at6native12_GLOBAL__N_114gatherKthValueIllLin1EEEvNS_4cuda6detail10TensorInfoIKT_T0_EES8_S8_S8_S8_NS5_IS6_S8_EENS5_IlS8_EE: ; @_ZN2at6native12_GLOBAL__N_114gatherKthValueIllLin1EEEvNS_4cuda6detail10TensorInfoIKT_T0_EES8_S8_S8_S8_NS5_IS6_S8_EENS5_IlS8_EE
; %bb.0:
	s_load_dwordx2 s[14:15], s[4:5], 0x500
	s_load_dwordx8 s[24:31], s[4:5], 0x1a0
	s_add_u32 s12, s4, 0x500
	s_addc_u32 s13, s5, 0
	s_mov_b32 s1, 0
	s_waitcnt lgkmcnt(0)
	s_mul_i32 s0, s15, s8
	s_add_i32 s0, s0, s7
	s_mul_i32 s0, s0, s14
	s_add_i32 s0, s0, s6
	v_mov_b32_e32 v2, s1
	v_mov_b32_e32 v1, s0
	v_cmp_le_i64_e32 vcc, s[28:29], v[1:2]
	s_cbranch_vccnz .LBB31_294
; %bb.1:
	s_load_dword s10, s[4:5], 0x198
	s_mov_b64 s[2:3], 0
	s_mov_b64 s[8:9], s[0:1]
	s_waitcnt lgkmcnt(0)
	s_cmp_lt_i32 s10, 2
	s_cbranch_scc1 .LBB31_9
; %bb.2:
	s_add_i32 s7, s10, 1
	s_add_i32 s2, s10, -1
	s_mov_b32 s10, 0
	s_mov_b32 s3, s10
	s_lshl_b64 s[2:3], s[2:3], 3
	s_add_u32 s2, s4, s2
	s_addc_u32 s3, s5, s3
	s_add_u32 s16, s2, 8
	s_addc_u32 s17, s3, 0
	s_mov_b64 s[2:3], 0
	s_mov_b64 s[18:19], s[0:1]
.LBB31_3:                               ; =>This Inner Loop Header: Depth=1
	s_load_dwordx2 s[20:21], s[16:17], 0x0
	s_waitcnt lgkmcnt(0)
	s_or_b64 s[8:9], s[18:19], s[20:21]
	s_mov_b32 s11, s9
	s_cmp_lg_u64 s[10:11], 0
	s_cbranch_scc0 .LBB31_8
; %bb.4:                                ;   in Loop: Header=BB31_3 Depth=1
	s_ashr_i32 s8, s21, 31
	s_add_u32 s22, s20, s8
	s_mov_b32 s9, s8
	s_addc_u32 s23, s21, s8
	s_xor_b64 s[22:23], s[22:23], s[8:9]
	v_cvt_f32_u32_e32 v1, s22
	v_cvt_f32_u32_e32 v2, s23
	s_sub_u32 s11, 0, s22
	s_subb_u32 s15, 0, s23
	v_mac_f32_e32 v1, 0x4f800000, v2
	v_rcp_f32_e32 v1, v1
	v_mul_f32_e32 v1, 0x5f7ffffc, v1
	v_mul_f32_e32 v2, 0x2f800000, v1
	v_trunc_f32_e32 v2, v2
	v_mac_f32_e32 v1, 0xcf800000, v2
	v_cvt_u32_f32_e32 v2, v2
	v_cvt_u32_f32_e32 v1, v1
	v_readfirstlane_b32 s33, v2
	v_readfirstlane_b32 s28, v1
	s_mul_i32 s29, s11, s33
	s_mul_hi_u32 s35, s11, s28
	s_mul_i32 s34, s15, s28
	s_add_i32 s29, s35, s29
	s_add_i32 s29, s29, s34
	s_mul_i32 s36, s11, s28
	s_mul_i32 s35, s28, s29
	s_mul_hi_u32 s37, s28, s36
	s_mul_hi_u32 s34, s28, s29
	s_add_u32 s35, s37, s35
	s_addc_u32 s34, 0, s34
	s_mul_hi_u32 s38, s33, s36
	s_mul_i32 s36, s33, s36
	s_add_u32 s35, s35, s36
	s_mul_hi_u32 s37, s33, s29
	s_addc_u32 s34, s34, s38
	s_addc_u32 s35, s37, 0
	s_mul_i32 s29, s33, s29
	s_add_u32 s29, s34, s29
	s_addc_u32 s34, 0, s35
	s_add_u32 s35, s28, s29
	s_cselect_b64 s[28:29], -1, 0
	s_cmp_lg_u64 s[28:29], 0
	s_addc_u32 s33, s33, s34
	s_mul_i32 s28, s11, s33
	s_mul_hi_u32 s29, s11, s35
	s_add_i32 s28, s29, s28
	s_mul_i32 s15, s15, s35
	s_add_i32 s28, s28, s15
	s_mul_i32 s11, s11, s35
	s_mul_hi_u32 s29, s33, s11
	s_mul_i32 s34, s33, s11
	s_mul_i32 s37, s35, s28
	s_mul_hi_u32 s11, s35, s11
	s_mul_hi_u32 s36, s35, s28
	s_add_u32 s11, s11, s37
	s_addc_u32 s36, 0, s36
	s_add_u32 s11, s11, s34
	s_mul_hi_u32 s15, s33, s28
	s_addc_u32 s11, s36, s29
	s_addc_u32 s15, s15, 0
	s_mul_i32 s28, s33, s28
	s_add_u32 s11, s11, s28
	s_addc_u32 s15, 0, s15
	s_add_u32 s11, s35, s11
	s_cselect_b64 s[28:29], -1, 0
	s_cmp_lg_u64 s[28:29], 0
	s_addc_u32 s15, s33, s15
	s_ashr_i32 s28, s19, 31
	s_add_u32 s34, s18, s28
	s_mov_b32 s29, s28
	s_addc_u32 s35, s19, s28
	s_xor_b64 s[34:35], s[34:35], s[28:29]
	s_mul_i32 s36, s34, s15
	s_mul_hi_u32 s37, s34, s11
	s_mul_hi_u32 s33, s34, s15
	s_add_u32 s36, s37, s36
	s_addc_u32 s33, 0, s33
	s_mul_hi_u32 s38, s35, s11
	s_mul_i32 s11, s35, s11
	s_add_u32 s11, s36, s11
	s_mul_hi_u32 s37, s35, s15
	s_addc_u32 s11, s33, s38
	s_addc_u32 s33, s37, 0
	s_mul_i32 s15, s35, s15
	s_add_u32 s11, s11, s15
	s_addc_u32 s15, 0, s33
	s_mul_i32 s33, s22, s15
	s_mul_hi_u32 s36, s22, s11
	s_add_i32 s33, s36, s33
	s_mul_i32 s36, s23, s11
	s_add_i32 s33, s33, s36
	s_sub_i32 s38, s35, s33
	s_mul_i32 s36, s22, s11
	s_sub_u32 s34, s34, s36
	s_cselect_b64 s[36:37], -1, 0
	s_cmp_lg_u64 s[36:37], 0
	s_subb_u32 s40, s38, s23
	s_sub_u32 s41, s34, s22
	s_cselect_b64 s[38:39], -1, 0
	s_cmp_lg_u64 s[38:39], 0
	s_subb_u32 s38, s40, 0
	s_cmp_ge_u32 s38, s23
	s_cselect_b32 s39, -1, 0
	s_cmp_ge_u32 s41, s22
	s_cselect_b32 s40, -1, 0
	s_cmp_eq_u32 s38, s23
	s_cselect_b32 s38, s40, s39
	s_add_u32 s39, s11, 1
	s_addc_u32 s40, s15, 0
	s_add_u32 s41, s11, 2
	s_addc_u32 s42, s15, 0
	s_cmp_lg_u32 s38, 0
	s_cselect_b32 s38, s41, s39
	s_cselect_b32 s39, s42, s40
	s_cmp_lg_u64 s[36:37], 0
	s_subb_u32 s33, s35, s33
	s_cmp_ge_u32 s33, s23
	s_cselect_b32 s35, -1, 0
	s_cmp_ge_u32 s34, s22
	s_cselect_b32 s22, -1, 0
	s_cmp_eq_u32 s33, s23
	s_cselect_b32 s22, s22, s35
	s_cmp_lg_u32 s22, 0
	s_cselect_b32 s23, s39, s15
	s_cselect_b32 s22, s38, s11
	s_xor_b64 s[8:9], s[28:29], s[8:9]
	s_xor_b64 s[22:23], s[22:23], s[8:9]
	s_sub_u32 s8, s22, s8
	s_subb_u32 s9, s23, s9
	s_cbranch_execnz .LBB31_6
.LBB31_5:                               ;   in Loop: Header=BB31_3 Depth=1
	v_cvt_f32_u32_e32 v1, s20
	s_sub_i32 s8, 0, s20
	v_rcp_iflag_f32_e32 v1, v1
	v_mul_f32_e32 v1, 0x4f7ffffe, v1
	v_cvt_u32_f32_e32 v1, v1
	v_readfirstlane_b32 s9, v1
	s_mul_i32 s8, s8, s9
	s_mul_hi_u32 s8, s9, s8
	s_add_i32 s9, s9, s8
	s_mul_hi_u32 s8, s18, s9
	s_mul_i32 s11, s8, s20
	s_sub_i32 s11, s18, s11
	s_add_i32 s9, s8, 1
	s_sub_i32 s15, s11, s20
	s_cmp_ge_u32 s11, s20
	s_cselect_b32 s8, s9, s8
	s_cselect_b32 s11, s15, s11
	s_add_i32 s9, s8, 1
	s_cmp_ge_u32 s11, s20
	s_cselect_b32 s8, s9, s8
	s_mov_b32 s9, s10
.LBB31_6:                               ;   in Loop: Header=BB31_3 Depth=1
	s_mul_i32 s11, s8, s21
	s_mul_hi_u32 s15, s8, s20
	s_load_dwordx2 s[22:23], s[16:17], 0xc8
	s_add_i32 s11, s15, s11
	s_mul_i32 s15, s9, s20
	s_add_i32 s11, s11, s15
	s_mul_i32 s15, s8, s20
	s_sub_u32 s15, s18, s15
	s_subb_u32 s11, s19, s11
	s_waitcnt lgkmcnt(0)
	s_mul_i32 s11, s22, s11
	s_mul_hi_u32 s18, s22, s15
	s_add_i32 s11, s18, s11
	s_mul_i32 s18, s23, s15
	s_add_i32 s11, s11, s18
	s_mul_i32 s15, s22, s15
	s_add_u32 s2, s15, s2
	s_addc_u32 s3, s11, s3
	s_add_i32 s7, s7, -1
	s_add_u32 s16, s16, -8
	s_addc_u32 s17, s17, -1
	s_cmp_gt_u32 s7, 2
	s_cbranch_scc0 .LBB31_9
; %bb.7:                                ;   in Loop: Header=BB31_3 Depth=1
	s_mov_b64 s[18:19], s[8:9]
	s_branch .LBB31_3
.LBB31_8:                               ;   in Loop: Header=BB31_3 Depth=1
                                        ; implicit-def: $sgpr8_sgpr9
	s_branch .LBB31_5
.LBB31_9:
	s_load_dword s15, s[4:5], 0x358
	s_load_dwordx2 s[10:11], s[4:5], 0xd0
	s_add_u32 s16, s4, 0x1c0
	s_addc_u32 s17, s5, 0
	s_mov_b64 s[22:23], 0
	s_waitcnt lgkmcnt(0)
	s_cmp_lt_i32 s15, 2
	s_mov_b64 s[28:29], s[0:1]
	s_cbranch_scc1 .LBB31_17
; %bb.10:
	s_mov_b32 s18, 0
	s_add_i32 s20, s15, -1
	s_mov_b32 s21, s18
	s_add_i32 s7, s15, 1
	s_lshl_b64 s[20:21], s[20:21], 3
	s_add_u32 s15, s16, s20
	s_addc_u32 s19, s17, s21
	s_add_u32 s20, s15, 8
	s_addc_u32 s21, s19, 0
	s_mov_b64 s[34:35], s[0:1]
.LBB31_11:                              ; =>This Inner Loop Header: Depth=1
	s_load_dwordx2 s[36:37], s[20:21], 0x0
	s_waitcnt lgkmcnt(0)
	s_or_b64 s[28:29], s[34:35], s[36:37]
	s_mov_b32 s19, s29
	s_cmp_lg_u64 s[18:19], 0
	s_cbranch_scc0 .LBB31_16
; %bb.12:                               ;   in Loop: Header=BB31_11 Depth=1
	s_ashr_i32 s28, s37, 31
	s_add_u32 s38, s36, s28
	s_mov_b32 s29, s28
	s_addc_u32 s39, s37, s28
	s_xor_b64 s[38:39], s[38:39], s[28:29]
	v_cvt_f32_u32_e32 v1, s38
	v_cvt_f32_u32_e32 v2, s39
	s_sub_u32 s15, 0, s38
	s_subb_u32 s19, 0, s39
	v_mac_f32_e32 v1, 0x4f800000, v2
	v_rcp_f32_e32 v1, v1
	v_mul_f32_e32 v1, 0x5f7ffffc, v1
	v_mul_f32_e32 v2, 0x2f800000, v1
	v_trunc_f32_e32 v2, v2
	v_mac_f32_e32 v1, 0xcf800000, v2
	v_cvt_u32_f32_e32 v2, v2
	v_cvt_u32_f32_e32 v1, v1
	v_readfirstlane_b32 s33, v2
	v_readfirstlane_b32 s40, v1
	s_mul_i32 s41, s15, s33
	s_mul_hi_u32 s43, s15, s40
	s_mul_i32 s42, s19, s40
	s_add_i32 s41, s43, s41
	s_add_i32 s41, s41, s42
	s_mul_i32 s44, s15, s40
	s_mul_i32 s43, s40, s41
	s_mul_hi_u32 s45, s40, s44
	s_mul_hi_u32 s42, s40, s41
	s_add_u32 s43, s45, s43
	s_addc_u32 s42, 0, s42
	s_mul_hi_u32 s46, s33, s44
	s_mul_i32 s44, s33, s44
	s_add_u32 s43, s43, s44
	s_mul_hi_u32 s45, s33, s41
	s_addc_u32 s42, s42, s46
	s_addc_u32 s43, s45, 0
	s_mul_i32 s41, s33, s41
	s_add_u32 s41, s42, s41
	s_addc_u32 s42, 0, s43
	s_add_u32 s43, s40, s41
	s_cselect_b64 s[40:41], -1, 0
	s_cmp_lg_u64 s[40:41], 0
	s_addc_u32 s33, s33, s42
	s_mul_i32 s40, s15, s33
	s_mul_hi_u32 s41, s15, s43
	s_add_i32 s40, s41, s40
	s_mul_i32 s19, s19, s43
	s_add_i32 s40, s40, s19
	s_mul_i32 s15, s15, s43
	s_mul_hi_u32 s41, s33, s15
	s_mul_i32 s42, s33, s15
	s_mul_i32 s45, s43, s40
	s_mul_hi_u32 s15, s43, s15
	s_mul_hi_u32 s44, s43, s40
	s_add_u32 s15, s15, s45
	s_addc_u32 s44, 0, s44
	s_add_u32 s15, s15, s42
	s_mul_hi_u32 s19, s33, s40
	s_addc_u32 s15, s44, s41
	s_addc_u32 s19, s19, 0
	s_mul_i32 s40, s33, s40
	s_add_u32 s15, s15, s40
	s_addc_u32 s19, 0, s19
	s_add_u32 s15, s43, s15
	s_cselect_b64 s[40:41], -1, 0
	s_cmp_lg_u64 s[40:41], 0
	s_addc_u32 s19, s33, s19
	s_ashr_i32 s40, s35, 31
	s_add_u32 s42, s34, s40
	s_mov_b32 s41, s40
	s_addc_u32 s43, s35, s40
	s_xor_b64 s[42:43], s[42:43], s[40:41]
	s_mul_i32 s44, s42, s19
	s_mul_hi_u32 s45, s42, s15
	s_mul_hi_u32 s33, s42, s19
	s_add_u32 s44, s45, s44
	s_addc_u32 s33, 0, s33
	s_mul_hi_u32 s46, s43, s15
	s_mul_i32 s15, s43, s15
	s_add_u32 s15, s44, s15
	s_mul_hi_u32 s45, s43, s19
	s_addc_u32 s15, s33, s46
	s_addc_u32 s33, s45, 0
	s_mul_i32 s19, s43, s19
	s_add_u32 s15, s15, s19
	s_addc_u32 s19, 0, s33
	s_mul_i32 s33, s38, s19
	s_mul_hi_u32 s44, s38, s15
	s_add_i32 s33, s44, s33
	s_mul_i32 s44, s39, s15
	s_add_i32 s33, s33, s44
	s_sub_i32 s46, s43, s33
	s_mul_i32 s44, s38, s15
	s_sub_u32 s42, s42, s44
	s_cselect_b64 s[44:45], -1, 0
	s_cmp_lg_u64 s[44:45], 0
	s_subb_u32 s48, s46, s39
	s_sub_u32 s49, s42, s38
	s_cselect_b64 s[46:47], -1, 0
	s_cmp_lg_u64 s[46:47], 0
	s_subb_u32 s46, s48, 0
	s_cmp_ge_u32 s46, s39
	s_cselect_b32 s47, -1, 0
	s_cmp_ge_u32 s49, s38
	s_cselect_b32 s48, -1, 0
	s_cmp_eq_u32 s46, s39
	s_cselect_b32 s46, s48, s47
	s_add_u32 s47, s15, 1
	s_addc_u32 s48, s19, 0
	s_add_u32 s49, s15, 2
	s_addc_u32 s50, s19, 0
	s_cmp_lg_u32 s46, 0
	s_cselect_b32 s46, s49, s47
	s_cselect_b32 s47, s50, s48
	s_cmp_lg_u64 s[44:45], 0
	s_subb_u32 s33, s43, s33
	s_cmp_ge_u32 s33, s39
	s_cselect_b32 s43, -1, 0
	s_cmp_ge_u32 s42, s38
	s_cselect_b32 s38, -1, 0
	s_cmp_eq_u32 s33, s39
	s_cselect_b32 s33, s38, s43
	s_cmp_lg_u32 s33, 0
	s_cselect_b32 s39, s47, s19
	s_cselect_b32 s38, s46, s15
	s_xor_b64 s[28:29], s[40:41], s[28:29]
	s_xor_b64 s[38:39], s[38:39], s[28:29]
	s_sub_u32 s28, s38, s28
	s_subb_u32 s29, s39, s29
	s_cbranch_execnz .LBB31_14
.LBB31_13:                              ;   in Loop: Header=BB31_11 Depth=1
	v_cvt_f32_u32_e32 v1, s36
	s_sub_i32 s15, 0, s36
	v_rcp_iflag_f32_e32 v1, v1
	v_mul_f32_e32 v1, 0x4f7ffffe, v1
	v_cvt_u32_f32_e32 v1, v1
	v_readfirstlane_b32 s19, v1
	s_mul_i32 s15, s15, s19
	s_mul_hi_u32 s15, s19, s15
	s_add_i32 s19, s19, s15
	s_mul_hi_u32 s15, s34, s19
	s_mul_i32 s28, s15, s36
	s_sub_i32 s28, s34, s28
	s_add_i32 s19, s15, 1
	s_sub_i32 s29, s28, s36
	s_cmp_ge_u32 s28, s36
	s_cselect_b32 s15, s19, s15
	s_cselect_b32 s28, s29, s28
	s_add_i32 s19, s15, 1
	s_cmp_ge_u32 s28, s36
	s_cselect_b32 s28, s19, s15
	s_mov_b32 s29, s18
.LBB31_14:                              ;   in Loop: Header=BB31_11 Depth=1
	s_mul_i32 s15, s28, s37
	s_mul_hi_u32 s19, s28, s36
	s_load_dwordx2 s[38:39], s[20:21], 0xc8
	s_add_i32 s15, s19, s15
	s_mul_i32 s19, s29, s36
	s_add_i32 s15, s15, s19
	s_mul_i32 s19, s28, s36
	s_sub_u32 s19, s34, s19
	s_subb_u32 s15, s35, s15
	s_waitcnt lgkmcnt(0)
	s_mul_i32 s15, s38, s15
	s_mul_hi_u32 s33, s38, s19
	s_add_i32 s15, s33, s15
	s_mul_i32 s33, s39, s19
	s_add_i32 s15, s15, s33
	s_mul_i32 s19, s38, s19
	s_add_u32 s22, s19, s22
	s_addc_u32 s23, s15, s23
	s_add_i32 s7, s7, -1
	s_add_u32 s20, s20, -8
	s_addc_u32 s21, s21, -1
	s_cmp_gt_u32 s7, 2
	s_cbranch_scc0 .LBB31_17
; %bb.15:                               ;   in Loop: Header=BB31_11 Depth=1
	s_mov_b64 s[34:35], s[28:29]
	s_branch .LBB31_11
.LBB31_16:                              ;   in Loop: Header=BB31_11 Depth=1
                                        ; implicit-def: $sgpr28_sgpr29
	s_branch .LBB31_13
.LBB31_17:
	s_load_dword s18, s[4:5], 0x4f8
	s_load_dwordx2 s[20:21], s[16:17], 0xd0
	s_add_u32 s15, s4, 0x360
                                        ; implicit-def: $vgpr60 : SGPR spill to VGPR lane
                                        ; kill: killed $sgpr16 killed $sgpr17
	s_addc_u32 s17, s5, 0
	s_mov_b64 s[34:35], 0
	s_waitcnt lgkmcnt(0)
	s_cmp_lt_i32 s18, 2
	v_writelane_b32 v60, s20, 0
	v_writelane_b32 v60, s21, 1
	s_cbranch_scc1 .LBB31_25
; %bb.18:
	s_mov_b32 s16, 0
	s_add_i32 s7, s18, 1
	s_add_i32 s18, s18, -1
	s_mov_b32 s19, s16
	s_lshl_b64 s[18:19], s[18:19], 3
	s_add_u32 s15, s15, s18
	s_addc_u32 s17, s17, s19
	s_add_u32 s18, s15, 8
	s_addc_u32 s19, s17, 0
.LBB31_19:                              ; =>This Inner Loop Header: Depth=1
	s_load_dwordx2 s[20:21], s[18:19], 0x0
	s_waitcnt lgkmcnt(0)
	s_or_b64 s[36:37], s[0:1], s[20:21]
	s_mov_b32 s17, s37
	s_cmp_lg_u64 s[16:17], 0
	s_cbranch_scc0 .LBB31_24
; %bb.20:                               ;   in Loop: Header=BB31_19 Depth=1
	s_ashr_i32 s36, s21, 31
	s_add_u32 s38, s20, s36
	s_mov_b32 s37, s36
	s_addc_u32 s39, s21, s36
	s_xor_b64 s[38:39], s[38:39], s[36:37]
	v_cvt_f32_u32_e32 v1, s38
	v_cvt_f32_u32_e32 v2, s39
	s_sub_u32 s15, 0, s38
	s_subb_u32 s17, 0, s39
	v_mac_f32_e32 v1, 0x4f800000, v2
	v_rcp_f32_e32 v1, v1
	v_mul_f32_e32 v1, 0x5f7ffffc, v1
	v_mul_f32_e32 v2, 0x2f800000, v1
	v_trunc_f32_e32 v2, v2
	v_mac_f32_e32 v1, 0xcf800000, v2
	v_cvt_u32_f32_e32 v2, v2
	v_cvt_u32_f32_e32 v1, v1
	v_readfirstlane_b32 s33, v2
	v_readfirstlane_b32 s40, v1
	s_mul_i32 s41, s15, s33
	s_mul_hi_u32 s43, s15, s40
	s_mul_i32 s42, s17, s40
	s_add_i32 s41, s43, s41
	s_add_i32 s41, s41, s42
	s_mul_i32 s44, s15, s40
	s_mul_i32 s43, s40, s41
	s_mul_hi_u32 s45, s40, s44
	s_mul_hi_u32 s42, s40, s41
	s_add_u32 s43, s45, s43
	s_addc_u32 s42, 0, s42
	s_mul_hi_u32 s46, s33, s44
	s_mul_i32 s44, s33, s44
	s_add_u32 s43, s43, s44
	s_mul_hi_u32 s45, s33, s41
	s_addc_u32 s42, s42, s46
	s_addc_u32 s43, s45, 0
	s_mul_i32 s41, s33, s41
	s_add_u32 s41, s42, s41
	s_addc_u32 s42, 0, s43
	s_add_u32 s43, s40, s41
	s_cselect_b64 s[40:41], -1, 0
	s_cmp_lg_u64 s[40:41], 0
	s_addc_u32 s33, s33, s42
	s_mul_i32 s40, s15, s33
	s_mul_hi_u32 s41, s15, s43
	s_add_i32 s40, s41, s40
	s_mul_i32 s17, s17, s43
	s_add_i32 s40, s40, s17
	s_mul_i32 s15, s15, s43
	s_mul_hi_u32 s41, s33, s15
	s_mul_i32 s42, s33, s15
	s_mul_i32 s45, s43, s40
	s_mul_hi_u32 s15, s43, s15
	s_mul_hi_u32 s44, s43, s40
	s_add_u32 s15, s15, s45
	s_addc_u32 s44, 0, s44
	s_add_u32 s15, s15, s42
	s_mul_hi_u32 s17, s33, s40
	s_addc_u32 s15, s44, s41
	s_addc_u32 s17, s17, 0
	s_mul_i32 s40, s33, s40
	s_add_u32 s15, s15, s40
	s_addc_u32 s17, 0, s17
	s_add_u32 s15, s43, s15
	s_cselect_b64 s[40:41], -1, 0
	s_cmp_lg_u64 s[40:41], 0
	s_addc_u32 s17, s33, s17
	s_ashr_i32 s40, s1, 31
	s_add_u32 s42, s0, s40
	s_mov_b32 s41, s40
	s_addc_u32 s43, s1, s40
	s_xor_b64 s[42:43], s[42:43], s[40:41]
	s_mul_i32 s44, s42, s17
	s_mul_hi_u32 s45, s42, s15
	s_mul_hi_u32 s33, s42, s17
	s_add_u32 s44, s45, s44
	s_addc_u32 s33, 0, s33
	s_mul_hi_u32 s46, s43, s15
	s_mul_i32 s15, s43, s15
	s_add_u32 s15, s44, s15
	s_mul_hi_u32 s45, s43, s17
	s_addc_u32 s15, s33, s46
	s_addc_u32 s33, s45, 0
	s_mul_i32 s17, s43, s17
	s_add_u32 s15, s15, s17
	s_addc_u32 s17, 0, s33
	s_mul_i32 s33, s38, s17
	s_mul_hi_u32 s44, s38, s15
	s_add_i32 s33, s44, s33
	s_mul_i32 s44, s39, s15
	s_add_i32 s33, s33, s44
	s_sub_i32 s46, s43, s33
	s_mul_i32 s44, s38, s15
	s_sub_u32 s42, s42, s44
	s_cselect_b64 s[44:45], -1, 0
	s_cmp_lg_u64 s[44:45], 0
	s_subb_u32 s48, s46, s39
	s_sub_u32 s49, s42, s38
	s_cselect_b64 s[46:47], -1, 0
	s_cmp_lg_u64 s[46:47], 0
	s_subb_u32 s46, s48, 0
	s_cmp_ge_u32 s46, s39
	s_cselect_b32 s47, -1, 0
	s_cmp_ge_u32 s49, s38
	s_cselect_b32 s48, -1, 0
	s_cmp_eq_u32 s46, s39
	s_cselect_b32 s46, s48, s47
	s_add_u32 s47, s15, 1
	s_addc_u32 s48, s17, 0
	s_add_u32 s49, s15, 2
	s_addc_u32 s50, s17, 0
	s_cmp_lg_u32 s46, 0
	s_cselect_b32 s46, s49, s47
	s_cselect_b32 s47, s50, s48
	s_cmp_lg_u64 s[44:45], 0
	s_subb_u32 s33, s43, s33
	s_cmp_ge_u32 s33, s39
	s_cselect_b32 s43, -1, 0
	s_cmp_ge_u32 s42, s38
	s_cselect_b32 s38, -1, 0
	s_cmp_eq_u32 s33, s39
	s_cselect_b32 s33, s38, s43
	s_cmp_lg_u32 s33, 0
	s_cselect_b32 s39, s47, s17
	s_cselect_b32 s38, s46, s15
	s_xor_b64 s[36:37], s[40:41], s[36:37]
	s_xor_b64 s[38:39], s[38:39], s[36:37]
	s_sub_u32 s38, s38, s36
	s_subb_u32 s39, s39, s37
	s_cbranch_execnz .LBB31_22
.LBB31_21:                              ;   in Loop: Header=BB31_19 Depth=1
	v_cvt_f32_u32_e32 v1, s20
	s_sub_i32 s15, 0, s20
	s_mov_b32 s39, s16
	v_rcp_iflag_f32_e32 v1, v1
	v_mul_f32_e32 v1, 0x4f7ffffe, v1
	v_cvt_u32_f32_e32 v1, v1
	v_readfirstlane_b32 s17, v1
	s_mul_i32 s15, s15, s17
	s_mul_hi_u32 s15, s17, s15
	s_add_i32 s17, s17, s15
	s_mul_hi_u32 s15, s0, s17
	s_mul_i32 s33, s15, s20
	s_sub_i32 s33, s0, s33
	s_add_i32 s17, s15, 1
	s_sub_i32 s36, s33, s20
	s_cmp_ge_u32 s33, s20
	s_cselect_b32 s15, s17, s15
	s_cselect_b32 s33, s36, s33
	s_add_i32 s17, s15, 1
	s_cmp_ge_u32 s33, s20
	s_cselect_b32 s38, s17, s15
.LBB31_22:                              ;   in Loop: Header=BB31_19 Depth=1
	s_mul_i32 s15, s38, s21
	s_mul_hi_u32 s17, s38, s20
	s_load_dwordx2 s[36:37], s[18:19], 0xc8
	s_add_i32 s15, s17, s15
	s_mul_i32 s17, s39, s20
	s_add_i32 s15, s15, s17
	s_mul_i32 s17, s38, s20
	s_sub_u32 s0, s0, s17
	s_subb_u32 s1, s1, s15
	s_waitcnt lgkmcnt(0)
	s_mul_i32 s1, s36, s1
	s_mul_hi_u32 s15, s36, s0
	s_add_i32 s1, s15, s1
	s_mul_i32 s15, s37, s0
	s_add_i32 s1, s1, s15
	s_mul_i32 s0, s36, s0
	s_add_u32 s34, s0, s34
	s_addc_u32 s35, s1, s35
	s_add_i32 s7, s7, -1
	s_add_u32 s18, s18, -8
	s_addc_u32 s19, s19, -1
	s_cmp_gt_u32 s7, 2
	s_cbranch_scc0 .LBB31_26
; %bb.23:                               ;   in Loop: Header=BB31_19 Depth=1
	s_mov_b64 s[0:1], s[38:39]
	s_branch .LBB31_19
.LBB31_24:                              ;   in Loop: Header=BB31_19 Depth=1
                                        ; implicit-def: $sgpr38_sgpr39
	s_branch .LBB31_21
.LBB31_25:
	s_mov_b64 s[38:39], s[0:1]
.LBB31_26:
	s_load_dwordx2 s[0:1], s[4:5], 0x430
	s_mov_b32 s47, 0
                                        ; kill: killed $sgpr4 killed $sgpr5
	s_waitcnt lgkmcnt(0)
	v_writelane_b32 v60, s0, 2
	v_writelane_b32 v60, s1, 3
	s_load_dwordx2 s[16:17], s[4:5], 0x0
	s_load_dwordx2 s[0:1], s[4:5], 0x1c0
	s_waitcnt lgkmcnt(0)
	v_writelane_b32 v60, s0, 4
	v_writelane_b32 v60, s1, 5
	s_load_dwordx2 s[0:1], s[4:5], 0x360
	v_cmp_eq_u32_e64 s[4:5], 0, v0
	s_waitcnt lgkmcnt(0)
	v_writelane_b32 v60, s0, 6
	v_writelane_b32 v60, s1, 7
	s_mov_b64 s[0:1], exec
	v_writelane_b32 v60, s4, 8
	v_writelane_b32 v60, s5, 9
	s_and_b64 s[4:5], s[0:1], s[4:5]
	s_mov_b64 exec, s[4:5]
	s_cbranch_execz .LBB31_28
; %bb.27:
	v_mov_b32_e32 v1, 0
	v_mov_b32_e32 v3, s24
	;; [unrolled: 1-line block ×4, first 2 shown]
	ds_write_b32 v1, v1 offset:5136
	ds_write_b128 v1, v[1:4] offset:5120
.LBB31_28:
	s_or_b64 exec, exec, s[0:1]
	s_mul_i32 s0, s10, s9
	s_mul_hi_u32 s1, s10, s8
	s_add_i32 s0, s1, s0
	s_mul_i32 s1, s11, s8
	s_add_i32 s1, s0, s1
	s_mul_i32 s0, s10, s8
	s_lshl_b64 s[10:11], s[0:1], 3
	v_cmp_gt_u32_e64 s[0:1], 2, v0
	v_writelane_b32 v60, s0, 10
	v_writelane_b32 v60, s1, 11
	v_mad_u64_u32 v[4:5], s[0:1], s30, v0, 0
	v_mov_b32_e32 v2, 0x180
	v_mov_b32_e32 v3, 0
	v_mad_u64_u32 v[5:6], s[0:1], s31, v0, v[5:6]
	v_cmp_gt_i64_e64 s[0:1], s[24:25], v[2:3]
	v_mbcnt_lo_u32_b32 v1, -1, 0
	v_mov_b32_e32 v18, 0
	v_mbcnt_hi_u32_b32 v45, -1, v1
	v_mov_b32_e32 v1, v18
	v_writelane_b32 v60, s0, 12
	s_add_u32 s20, s16, s10
	v_writelane_b32 v60, s1, 13
	v_cmp_gt_u64_e64 s[0:1], s[24:25], v[0:1]
	s_addc_u32 s21, s17, s11
	s_lshl_b64 s[48:49], s[2:3], 3
	s_add_u32 s69, s20, s48
	v_writelane_b32 v60, s0, 14
	s_addc_u32 s7, s21, s49
	v_writelane_b32 v60, s1, 15
	v_cmp_gt_i64_e64 s[0:1], s[24:25], v[0:1]
	v_writelane_b32 v60, s7, 16
	v_writelane_b32 v60, s0, 17
	s_waitcnt lgkmcnt(0)
	s_barrier
	v_writelane_b32 v60, s1, 18
	s_load_dword s0, s[12:13], 0xc
	v_cmp_gt_u32_e32 vcc, 64, v0
	v_cmp_gt_i32_e64 s[2:3], 4, v45
	s_and_b64 s[52:53], vcc, s[2:3]
	v_lshlrev_b64 v[2:3], 3, v[4:5]
	s_waitcnt lgkmcnt(0)
	s_and_b32 s33, s0, 0xffff
	s_bfe_u32 s2, s0, 0xa0006
	s_cmp_gt_u32 s33, 63
	s_cselect_b64 s[0:1], -1, 0
	v_writelane_b32 v60, s0, 19
	v_writelane_b32 v60, s1, 20
	s_add_u32 s0, s33, -1
	s_addc_u32 s1, 0, -1
	v_mov_b32_e32 v6, s7
	v_add_co_u32_e32 v19, vcc, s69, v2
	s_add_u32 s54, s0, s24
	v_addc_co_u32_e32 v20, vcc, v6, v3, vcc
	v_lshlrev_b64 v[6:7], v45, -1
	s_addc_u32 s57, s1, s25
	s_cmp_lt_u32 s6, s14
	v_not_b32_e32 v49, v6
	v_writelane_b32 v60, s0, 21
	v_lshrrev_b32_e32 v6, 1, v0
	s_cselect_b32 s0, 12, 18
	v_and_b32_e32 v6, 0x1e0, v6
	s_add_u32 s58, s12, s0
	v_not_b32_e32 v48, v7
	v_or_b32_e32 v50, 0xc00, v6
	s_addc_u32 s59, s13, 0
	s_add_i32 s0, s2, -1
	v_lshlrev_b32_e32 v51, 5, v0
	v_mov_b32_e32 v6, s20
	s_bfe_u32 s3, s33, 0x30006
	s_and_b32 s0, s0, 0xffff
	v_or_b32_e32 v9, 24, v51
	v_mov_b32_e32 v7, s21
	v_writelane_b32 v60, s1, 22
	s_cmp_gt_u32 s0, 6
	v_mad_u64_u32 v[23:24], s[0:1], s30, v9, v[6:7]
	v_lshlrev_b32_e32 v8, 2, v45
	s_cselect_b64 s[0:1], -1, 0
	v_and_b32_e32 v47, 0x100, v8
	v_writelane_b32 v60, s0, 23
	v_mov_b32_e32 v8, v24
	v_writelane_b32 v60, s1, 24
	v_mad_u64_u32 v[8:9], s[0:1], s31, v9, v[8:9]
	v_or_b32_e32 v9, 16, v51
	v_mad_u64_u32 v[25:26], s[0:1], s30, v9, v[6:7]
	s_and_b32 s55, s2, 0x3f8
	s_cmp_lg_u32 s3, 0
	v_writelane_b32 v60, s3, 25
	s_cselect_b64 s[0:1], -1, 0
	v_writelane_b32 v60, s0, 26
	v_mov_b32_e32 v24, v8
	v_mov_b32_e32 v8, v26
	v_writelane_b32 v60, s1, 27
	v_mad_u64_u32 v[8:9], s[0:1], s31, v9, v[8:9]
	v_or_b32_e32 v9, 8, v51
	v_mad_u64_u32 v[27:28], s[0:1], s30, v9, v[6:7]
	s_add_u32 s2, s10, s48
	s_addc_u32 s3, s11, s49
	s_add_u32 s2, s16, s2
	v_mov_b32_e32 v6, v28
	s_addc_u32 s3, s17, s3
	v_mad_u64_u32 v[6:7], s[0:1], s31, v9, v[6:7]
	v_writelane_b32 v60, s2, 28
	v_writelane_b32 v60, s3, 29
	s_lshl_b64 s[0:1], s[30:31], 5
	s_lshl_b64 s[66:67], s[30:31], 3
	v_writelane_b32 v60, s0, 30
	v_writelane_b32 v60, s1, 31
	v_lshlrev_b64 v[4:5], 5, v[4:5]
	s_add_u32 s0, s16, s48
	s_addc_u32 s1, s17, s49
	v_mov_b32_e32 v28, v6
	v_mov_b32_e32 v6, s21
	v_add_co_u32_e32 v29, vcc, s20, v4
	s_add_u32 s0, s0, s10
	v_addc_co_u32_e32 v30, vcc, v6, v5, vcc
	s_addc_u32 s1, s1, s11
	v_mov_b32_e32 v4, s1
	v_add_co_u32_e32 v15, vcc, s0, v2
	v_addc_co_u32_e32 v16, vcc, v4, v3, vcc
	v_mov_b32_e32 v2, s25
	v_add_co_u32_e32 v52, vcc, s24, v0
	s_mul_i32 s0, s31, s33
	s_mul_hi_u32 s1, s30, s33
	v_lshlrev_b32_e32 v46, 3, v0
	v_addc_co_u32_e32 v53, vcc, 0, v2, vcc
	v_mov_b32_e32 v2, 0xc00
	s_add_i32 s1, s1, s0
	s_mul_i32 s0, s30, s33
	v_mov_b32_e32 v36, s27
	v_mov_b32_e32 v31, 0
	v_mov_b32_e32 v33, 0
	v_mov_b32_e32 v5, 0
	v_cmp_eq_u32_e64 s[4:5], 0, v45
	v_lshlrev_b32_e32 v21, 2, v0
	v_mov_b32_e32 v22, v18
	v_mov_b32_e32 v26, v8
	v_lshl_or_b32 v54, v45, 3, v2
	s_lshl_b64 s[50:51], s[0:1], 3
	s_lshl_b32 s18, s33, 3
	s_mov_b32 s19, 62
	s_mov_b64 s[70:71], 0
	s_mov_b32 s68, 0
	v_add_u32_e32 v55, 0xc00, v46
	v_mov_b32_e32 v35, s26
	v_mov_b32_e32 v32, 0
	v_mov_b32_e32 v34, 0
	v_mov_b32_e32 v6, 0
	v_mov_b32_e32 v2, 1
                                        ; implicit-def: $sgpr72_sgpr73
                                        ; implicit-def: $sgpr76_sgpr77
                                        ; implicit-def: $sgpr74_sgpr75
                                        ; implicit-def: $sgpr80_sgpr81
                                        ; implicit-def: $sgpr82_sgpr83
                                        ; implicit-def: $sgpr78_sgpr79
	s_branch .LBB31_32
.LBB31_29:                              ;   in Loop: Header=BB31_32 Depth=1
	s_or_b64 exec, exec, s[12:13]
	s_and_b64 s[2:3], s[2:3], exec
	s_andn2_b64 s[86:87], s[86:87], exec
	s_andn2_b64 s[6:7], s[6:7], exec
	s_orn2_b64 s[20:21], s[10:11], exec
.LBB31_30:                              ;   in Loop: Header=BB31_32 Depth=1
	s_or_b64 exec, exec, s[0:1]
	s_andn2_b64 s[0:1], s[78:79], exec
	s_and_b64 s[2:3], s[2:3], exec
	s_or_b64 s[78:79], s[0:1], s[2:3]
	s_andn2_b64 s[0:1], s[82:83], exec
	s_and_b64 s[2:3], s[86:87], exec
	s_or_b64 s[82:83], s[0:1], s[2:3]
	;; [unrolled: 3-line block ×3, first 2 shown]
	s_orn2_b64 s[6:7], s[20:21], exec
.LBB31_31:                              ;   in Loop: Header=BB31_32 Depth=1
	s_or_b64 exec, exec, s[16:17]
	s_and_b64 s[0:1], exec, s[6:7]
	s_or_b64 s[70:71], s[0:1], s[70:71]
	s_andn2_b64 s[0:1], s[74:75], exec
	s_and_b64 s[2:3], s[78:79], exec
	s_or_b64 s[74:75], s[0:1], s[2:3]
	s_andn2_b64 s[0:1], s[76:77], exec
	s_and_b64 s[2:3], s[82:83], exec
	;; [unrolled: 3-line block ×3, first 2 shown]
	v_mov_b32_e32 v36, v12
	s_or_b64 s[72:73], s[0:1], s[2:3]
	v_mov_b32_e32 v35, v11
	s_andn2_b64 exec, exec, s[70:71]
	s_cbranch_execz .LBB31_290
.LBB31_32:                              ; =>This Loop Header: Depth=1
                                        ;     Child Loop BB31_38 Depth 2
                                        ;     Child Loop BB31_51 Depth 2
	;; [unrolled: 1-line block ×16, first 2 shown]
	ds_read_b128 v[7:10], v18 offset:5120
	s_waitcnt lgkmcnt(0)
	v_readfirstlane_b32 s21, v8
	v_readfirstlane_b32 s20, v7
	v_cmp_gt_i64_e64 s[0:1], s[20:21], 0
	s_and_b64 vcc, exec, s[0:1]
	s_cbranch_vccnz .LBB31_59
; %bb.33:                               ;   in Loop: Header=BB31_32 Depth=1
	v_readlane_b32 s0, v60, 12
	v_readlane_b32 s1, v60, 13
	s_and_b64 vcc, exec, s[0:1]
	s_cbranch_vccz .LBB31_46
; %bb.34:                               ;   in Loop: Header=BB31_32 Depth=1
	s_mov_b64 s[0:1], 0x181
	v_cmp_gt_i64_e32 vcc, s[0:1], v[9:10]
	s_mov_b64 s[10:11], 0
	s_mov_b64 s[0:1], 0
	s_cbranch_vccz .LBB31_47
; %bb.35:                               ;   in Loop: Header=BB31_32 Depth=1
	s_mov_b64 s[14:15], exec
	v_readlane_b32 s0, v60, 14
	v_readlane_b32 s1, v60, 15
	s_and_b64 s[0:1], s[14:15], s[0:1]
	s_mov_b64 exec, s[0:1]
	s_cbranch_execz .LBB31_93
; %bb.36:                               ;   in Loop: Header=BB31_32 Depth=1
	global_load_ushort v13, v18, s[58:59]
	global_load_dwordx2 v[7:8], v[19:20], off
	v_readlane_b32 s0, v60, 28
	v_readlane_b32 s1, v60, 29
	v_mov_b32_e32 v4, s1
	v_mov_b32_e32 v3, s0
	s_mov_b64 s[2:3], 0
	s_waitcnt vmcnt(1)
	v_readfirstlane_b32 s0, v13
	s_and_b32 s6, 0xffff, s0
	v_add_u32_e32 v9, s6, v0
	v_mad_u64_u32 v[3:4], s[0:1], s66, v9, v[3:4]
	s_mul_i32 s7, s67, s6
	s_mul_i32 s21, s66, s6
	v_mad_u64_u32 v[9:10], s[0:1], s67, v9, v[4:5]
	s_mul_hi_u32 s0, s66, s6
	s_add_i32 s26, s0, s7
	v_mov_b32_e32 v4, v9
	v_mov_b32_e32 v10, v1
	;; [unrolled: 1-line block ×3, first 2 shown]
	s_branch .LBB31_38
.LBB31_37:                              ;   in Loop: Header=BB31_38 Depth=2
	s_or_b64 exec, exec, s[0:1]
	v_mov_b32_e32 v7, s26
	v_add_co_u32_e32 v3, vcc, s21, v3
	v_addc_co_u32_e32 v4, vcc, v4, v7, vcc
	v_mov_b32_e32 v7, v11
	v_mov_b32_e32 v8, v12
	s_andn2_b64 exec, exec, s[2:3]
	s_cbranch_execz .LBB31_93
.LBB31_38:                              ;   Parent Loop BB31_32 Depth=1
                                        ; =>  This Inner Loop Header: Depth=2
	v_add_co_u32_sdwa v9, vcc, v9, v13 dst_sel:DWORD dst_unused:UNUSED_PAD src0_sel:DWORD src1_sel:WORD_0
	v_addc_co_u32_e32 v10, vcc, 0, v10, vcc
	v_cmp_gt_i64_e64 s[6:7], s[24:25], v[9:10]
	v_cmp_le_i64_e32 vcc, s[24:25], v[9:10]
	v_mov_b32_e32 v11, 0
	v_mov_b32_e32 v12, 0
	s_and_saveexec_b64 s[0:1], s[6:7]
	s_cbranch_execz .LBB31_40
; %bb.39:                               ;   in Loop: Header=BB31_38 Depth=2
	global_load_dwordx2 v[11:12], v[3:4], off
.LBB31_40:                              ;   in Loop: Header=BB31_38 Depth=2
	s_or_b64 exec, exec, s[0:1]
	s_waitcnt vmcnt(0) lgkmcnt(0)
	v_xor_b32_e32 v14, 0x80000000, v8
	v_and_b32_e32 v38, v14, v34
	v_and_b32_e32 v37, v7, v33
	v_cmp_eq_u64_e64 s[12:13], v[37:38], v[31:32]
	v_mov_b32_e32 v14, 0
	s_cmp_lg_u64 s[12:13], 0
	s_cselect_b64 s[0:1], -1, 0
	s_and_b64 s[6:7], s[4:5], s[0:1]
	s_and_saveexec_b64 s[0:1], s[6:7]
	s_cbranch_execz .LBB31_44
; %bb.41:                               ;   in Loop: Header=BB31_38 Depth=2
	s_mov_b64 s[16:17], exec
	v_mbcnt_lo_u32_b32 v14, s16, 0
	v_mbcnt_hi_u32_b32 v14, s17, v14
	s_bcnt1_i32_b64 s27, s[12:13]
	v_cmp_eq_u32_e64 s[6:7], 0, v14
                                        ; implicit-def: $vgpr17
	s_and_saveexec_b64 s[8:9], s[6:7]
; %bb.42:                               ;   in Loop: Header=BB31_38 Depth=2
	s_bcnt1_i32_b64 s6, s[16:17]
	s_mul_i32 s6, s27, s6
	v_mov_b32_e32 v17, s6
	ds_add_rtn_u32 v17, v18, v17 offset:5136
; %bb.43:                               ;   in Loop: Header=BB31_38 Depth=2
	s_or_b64 exec, exec, s[8:9]
	s_waitcnt lgkmcnt(0)
	v_readfirstlane_b32 s6, v17
	v_mov_b32_e32 v17, s6
	v_mad_u32_u24 v14, s27, v14, v17
.LBB31_44:                              ;   in Loop: Header=BB31_38 Depth=2
	s_or_b64 exec, exec, s[0:1]
	ds_bpermute_b32 v14, v47, v14
	s_and_b64 s[0:1], exec, vcc
	s_or_b64 s[2:3], s[0:1], s[2:3]
	s_and_saveexec_b64 s[0:1], s[12:13]
	s_cbranch_execz .LBB31_37
; %bb.45:                               ;   in Loop: Header=BB31_38 Depth=2
	v_and_b32_e32 v37, s12, v49
	v_and_b32_e32 v17, s13, v48
	v_bcnt_u32_b32 v37, v37, 0
	v_bcnt_u32_b32 v17, v17, v37
	v_lshlrev_b32_e32 v17, 3, v17
	s_waitcnt lgkmcnt(0)
	v_lshl_add_u32 v14, v14, 3, v17
	ds_write_b64 v14, v[7:8]
	s_branch .LBB31_37
.LBB31_46:                              ;   in Loop: Header=BB31_32 Depth=1
	s_mov_b64 s[10:11], -1
	s_mov_b64 s[0:1], 0
.LBB31_47:                              ;   in Loop: Header=BB31_32 Depth=1
	s_and_b64 vcc, exec, s[10:11]
	s_cbranch_vccz .LBB31_57
.LBB31_48:                              ;   in Loop: Header=BB31_32 Depth=1
	s_mov_b64 s[2:3], exec
	v_readlane_b32 s0, v60, 17
	v_readlane_b32 s1, v60, 18
	s_and_b64 s[0:1], s[2:3], s[0:1]
	s_mov_b64 exec, s[0:1]
	s_cbranch_execz .LBB31_54
; %bb.49:                               ;   in Loop: Header=BB31_32 Depth=1
	global_load_ushort v7, v18, s[58:59]
	global_load_dwordx2 v[3:4], v[19:20], off
	s_waitcnt vmcnt(1)
	v_add_u32_sdwa v17, v7, v0 dst_sel:DWORD dst_unused:UNUSED_PAD src0_sel:WORD_0 src1_sel:DWORD
	v_cmp_gt_i64_e32 vcc, s[24:25], v[17:18]
	v_readfirstlane_b32 s6, v7
	v_mov_b32_e32 v7, v0
	s_and_saveexec_b64 s[0:1], vcc
	s_cbranch_execz .LBB31_53
; %bb.50:                               ;   in Loop: Header=BB31_32 Depth=1
	v_readlane_b32 s8, v60, 28
	v_readlane_b32 s9, v60, 29
	v_mov_b32_e32 v7, s8
	v_mov_b32_e32 v8, s9
	v_mad_u64_u32 v[7:8], s[8:9], s66, v17, v[7:8]
	s_and_b32 s8, s6, 0xffff
	v_mov_b32_e32 v11, v17
	v_mad_u64_u32 v[8:9], s[6:7], s67, v17, v[8:9]
	s_mul_i32 s6, s67, s8
	s_mul_hi_u32 s7, s66, s8
	v_mov_b32_e32 v14, v1
	s_add_i32 s9, s7, s6
	s_mul_i32 s12, s66, s8
	s_mov_b64 s[10:11], 0
	v_mov_b32_e32 v12, v18
	v_mov_b32_e32 v13, v0
.LBB31_51:                              ;   Parent Loop BB31_32 Depth=1
                                        ; =>  This Inner Loop Header: Depth=2
	global_load_dwordx2 v[9:10], v[7:8], off
	v_mov_b32_e32 v38, v12
	v_mov_b32_e32 v37, v11
	v_lshlrev_b32_e32 v11, 3, v13
	v_mov_b32_e32 v13, s9
	v_add_co_u32_e32 v7, vcc, s12, v7
	s_waitcnt vmcnt(1)
	ds_write_b64 v11, v[3:4]
	v_add_co_u32_e64 v11, s[6:7], s8, v37
	v_addc_co_u32_e64 v12, s[6:7], 0, v38, s[6:7]
	v_addc_co_u32_e32 v8, vcc, v8, v13, vcc
	v_cmp_le_i64_e32 vcc, s[24:25], v[11:12]
	v_mov_b32_e32 v13, v37
	s_or_b64 s[10:11], vcc, s[10:11]
	v_mov_b32_e32 v14, v38
	s_waitcnt vmcnt(0)
	v_mov_b32_e32 v3, v9
	v_mov_b32_e32 v4, v10
	s_andn2_b64 exec, exec, s[10:11]
	s_cbranch_execnz .LBB31_51
; %bb.52:                               ;   in Loop: Header=BB31_32 Depth=1
	s_or_b64 exec, exec, s[10:11]
	v_mov_b32_e32 v3, v9
	v_subrev_u32_e32 v7, s8, v11
	v_mov_b32_e32 v4, v10
.LBB31_53:                              ;   in Loop: Header=BB31_32 Depth=1
	s_or_b64 exec, exec, s[0:1]
	v_lshlrev_b32_e32 v7, 3, v7
	s_waitcnt vmcnt(0)
	ds_write_b64 v7, v[3:4]
.LBB31_54:                              ;   in Loop: Header=BB31_32 Depth=1
	s_or_b64 exec, exec, s[2:3]
	s_waitcnt lgkmcnt(0)
	s_barrier
	s_mov_b64 s[0:1], exec
	v_readlane_b32 s2, v60, 8
	v_readlane_b32 s3, v60, 9
	s_and_b64 s[2:3], s[0:1], s[2:3]
	s_mov_b64 exec, s[2:3]
; %bb.55:                               ;   in Loop: Header=BB31_32 Depth=1
	v_mov_b32_e32 v3, s24
	v_mov_b32_e32 v4, s25
	ds_write_b64 v18, v[3:4] offset:5120
; %bb.56:                               ;   in Loop: Header=BB31_32 Depth=1
	s_or_b64 exec, exec, s[0:1]
	s_waitcnt lgkmcnt(0)
	s_barrier
	s_mov_b64 s[0:1], -1
.LBB31_57:                              ;   in Loop: Header=BB31_32 Depth=1
	s_and_b64 vcc, exec, s[0:1]
	s_cbranch_vccz .LBB31_59
; %bb.58:                               ;   in Loop: Header=BB31_32 Depth=1
	ds_read_b64 v[3:4], v18 offset:5120
	s_waitcnt lgkmcnt(0)
	v_readfirstlane_b32 s20, v3
.LBB31_59:                              ;   in Loop: Header=BB31_32 Depth=1
	s_cmp_lt_i32 s20, 1
	s_mov_b64 s[0:1], -1
                                        ; implicit-def: $vgpr13_vgpr14
                                        ; implicit-def: $vgpr9_vgpr10
	s_cbranch_scc1 .LBB31_69
; %bb.60:                               ;   in Loop: Header=BB31_32 Depth=1
	s_and_b64 vcc, exec, s[0:1]
	s_cbranch_vccnz .LBB31_83
.LBB31_61:                              ;   in Loop: Header=BB31_32 Depth=1
	s_lshl_b32 s2, s68, 6
	s_and_saveexec_b64 s[0:1], s[4:5]
	s_cbranch_execz .LBB31_63
.LBB31_62:                              ;   in Loop: Header=BB31_32 Depth=1
	v_lshl_add_u32 v3, s2, 3, v50
	ds_write_b128 v3, v[7:10]
	ds_write_b128 v3, v[11:14] offset:16
.LBB31_63:                              ;   in Loop: Header=BB31_32 Depth=1
	s_or_b64 exec, exec, s[0:1]
	s_waitcnt lgkmcnt(0)
	s_barrier
	s_and_saveexec_b64 s[6:7], s[52:53]
	s_cbranch_execz .LBB31_101
; %bb.64:                               ;   in Loop: Header=BB31_32 Depth=1
	v_readlane_b32 s0, v60, 19
	v_mov_b32_e32 v3, 0
	v_readlane_b32 s1, v60, 20
	v_mov_b32_e32 v4, 0
	s_andn2_b64 vcc, exec, s[0:1]
	s_cbranch_vccnz .LBB31_100
; %bb.65:                               ;   in Loop: Header=BB31_32 Depth=1
	v_readlane_b32 s0, v60, 23
	v_readlane_b32 s1, v60, 24
	s_andn2_b64 vcc, exec, s[0:1]
	s_cbranch_vccnz .LBB31_96
; %bb.66:                               ;   in Loop: Header=BB31_32 Depth=1
	v_mov_b32_e32 v3, 0
	v_lshl_add_u32 v7, s68, 9, v54
	v_mov_b32_e32 v4, 0
	s_mov_b32 s0, 0
.LBB31_67:                              ;   Parent Loop BB31_32 Depth=1
                                        ; =>  This Inner Loop Header: Depth=2
	ds_read2_b64 v[8:11], v7 offset1:4
	ds_read2_b64 v[37:40], v7 offset0:8 offset1:12
	ds_read2_b64 v[41:44], v7 offset0:16 offset1:20
	;; [unrolled: 1-line block ×3, first 2 shown]
	s_add_i32 s0, s0, 8
	s_waitcnt lgkmcnt(3)
	v_add_co_u32_e32 v3, vcc, v8, v3
	v_addc_co_u32_e32 v4, vcc, v9, v4, vcc
	v_add_co_u32_e32 v3, vcc, v10, v3
	v_addc_co_u32_e32 v4, vcc, v11, v4, vcc
	s_waitcnt lgkmcnt(2)
	v_add_co_u32_e32 v3, vcc, v37, v3
	v_addc_co_u32_e32 v4, vcc, v38, v4, vcc
	v_add_co_u32_e32 v3, vcc, v39, v3
	v_addc_co_u32_e32 v4, vcc, v40, v4, vcc
	;; [unrolled: 5-line block ×3, first 2 shown]
	s_waitcnt lgkmcnt(0)
	v_add_co_u32_e32 v3, vcc, v56, v3
	v_addc_co_u32_e32 v4, vcc, v57, v4, vcc
	v_add_co_u32_e32 v3, vcc, v58, v3
	v_add_u32_e32 v7, 0x100, v7
	s_cmp_eq_u32 s55, s0
	v_addc_co_u32_e32 v4, vcc, v59, v4, vcc
	s_cbranch_scc0 .LBB31_67
; %bb.68:                               ;   in Loop: Header=BB31_32 Depth=1
	s_mov_b32 s0, s55
	s_branch .LBB31_97
.LBB31_69:                              ;   in Loop: Header=BB31_32 Depth=1
	global_load_ushort v3, v18, s[58:59]
	s_mov_b32 s0, s47
	s_waitcnt vmcnt(0)
	v_readfirstlane_b32 s1, v3
	s_and_b32 s8, s1, 0xffff
	s_lshl_b32 s2, s8, 2
	s_mov_b32 s1, s25
	s_cmp_lg_u64 s[0:1], 0
	s_cbranch_scc0 .LBB31_92
; %bb.70:                               ;   in Loop: Header=BB31_32 Depth=1
	s_add_u32 s0, s2, 0
	s_addc_u32 s1, 0, 0
	s_xor_b64 s[6:7], s[0:1], 0
	v_cvt_f32_u32_e32 v3, s6
	v_cvt_f32_u32_e32 v4, s7
	s_sub_u32 s3, 0, s6
	s_subb_u32 s9, 0, s7
	v_mac_f32_e32 v3, 0x4f800000, v4
	v_rcp_f32_e32 v3, v3
	v_mul_f32_e32 v3, 0x5f7ffffc, v3
	v_mul_f32_e32 v4, 0x2f800000, v3
	v_trunc_f32_e32 v4, v4
	v_mac_f32_e32 v3, 0xcf800000, v4
	v_cvt_u32_f32_e32 v4, v4
	v_cvt_u32_f32_e32 v3, v3
	v_readfirstlane_b32 s10, v4
	v_readfirstlane_b32 s0, v3
	s_mul_i32 s1, s3, s10
	s_mul_hi_u32 s12, s3, s0
	s_mul_i32 s11, s9, s0
	s_add_i32 s1, s12, s1
	s_mul_i32 s13, s3, s0
	s_add_i32 s1, s1, s11
	s_mul_i32 s12, s0, s1
	s_mul_hi_u32 s14, s0, s13
	s_mul_hi_u32 s11, s0, s1
	s_add_u32 s12, s14, s12
	s_addc_u32 s11, 0, s11
	s_mul_hi_u32 s15, s10, s13
	s_mul_i32 s13, s10, s13
	s_add_u32 s12, s12, s13
	s_mul_hi_u32 s14, s10, s1
	s_addc_u32 s11, s11, s15
	s_addc_u32 s12, s14, 0
	s_mul_i32 s1, s10, s1
	s_add_u32 s1, s11, s1
	s_addc_u32 s11, 0, s12
	s_add_u32 s12, s0, s1
	s_cselect_b64 s[0:1], -1, 0
	s_cmp_lg_u64 s[0:1], 0
	s_addc_u32 s10, s10, s11
	s_mul_i32 s0, s3, s10
	s_mul_hi_u32 s1, s3, s12
	s_add_i32 s0, s1, s0
	s_mul_i32 s9, s9, s12
	s_add_i32 s0, s0, s9
	s_mul_i32 s3, s3, s12
	s_mul_hi_u32 s9, s10, s3
	s_mul_i32 s11, s10, s3
	s_mul_i32 s14, s12, s0
	s_mul_hi_u32 s3, s12, s3
	s_mul_hi_u32 s13, s12, s0
	s_add_u32 s3, s3, s14
	s_addc_u32 s13, 0, s13
	s_add_u32 s3, s3, s11
	s_mul_hi_u32 s1, s10, s0
	s_addc_u32 s3, s13, s9
	s_addc_u32 s1, s1, 0
	s_mul_i32 s0, s10, s0
	s_add_u32 s0, s3, s0
	s_addc_u32 s3, 0, s1
	s_add_u32 s9, s12, s0
	s_cselect_b64 s[0:1], -1, 0
	s_cmp_lg_u64 s[0:1], 0
	s_addc_u32 s3, s10, s3
	s_ashr_i32 s0, s25, 31
	s_add_u32 s10, s24, s0
	s_mov_b32 s1, s0
	s_addc_u32 s11, s25, s0
	s_xor_b64 s[10:11], s[10:11], s[0:1]
	s_mul_i32 s13, s10, s3
	s_mul_hi_u32 s14, s10, s9
	s_mul_hi_u32 s12, s10, s3
	s_add_u32 s13, s14, s13
	s_addc_u32 s12, 0, s12
	s_mul_hi_u32 s15, s11, s9
	s_mul_i32 s9, s11, s9
	s_add_u32 s9, s13, s9
	s_mul_hi_u32 s14, s11, s3
	s_addc_u32 s9, s12, s15
	s_addc_u32 s12, s14, 0
	s_mul_i32 s3, s11, s3
	s_add_u32 s3, s9, s3
	s_addc_u32 s9, 0, s12
	s_mul_i32 s9, s6, s9
	s_mul_hi_u32 s12, s6, s3
	s_add_i32 s9, s12, s9
	s_mul_i32 s12, s7, s3
	s_add_i32 s9, s9, s12
	s_sub_i32 s14, s11, s9
	s_mul_i32 s3, s6, s3
	s_sub_u32 s3, s10, s3
	s_cselect_b64 s[12:13], -1, 0
	s_cmp_lg_u64 s[12:13], 0
	s_subb_u32 s10, s14, s7
	s_sub_u32 s16, s3, s6
	s_cselect_b64 s[14:15], -1, 0
	s_cmp_lg_u64 s[14:15], 0
	s_subb_u32 s17, s10, 0
	s_cmp_ge_u32 s17, s7
	s_cselect_b32 s21, -1, 0
	s_cmp_ge_u32 s16, s6
	s_cselect_b32 s26, -1, 0
	s_cmp_eq_u32 s17, s7
	s_cselect_b32 s21, s26, s21
	s_cmp_lg_u64 s[14:15], 0
	s_subb_u32 s10, s10, s7
	s_sub_u32 s26, s16, s6
	s_cselect_b64 s[14:15], -1, 0
	s_cmp_lg_u64 s[14:15], 0
	s_subb_u32 s10, s10, 0
	s_cmp_lg_u32 s21, 0
	s_cselect_b32 s14, s26, s16
	s_cselect_b32 s10, s10, s17
	s_cmp_lg_u64 s[12:13], 0
	s_subb_u32 s9, s11, s9
	s_cmp_ge_u32 s9, s7
	s_cselect_b32 s11, -1, 0
	s_cmp_ge_u32 s3, s6
	s_cselect_b32 s6, -1, 0
	s_cmp_eq_u32 s9, s7
	s_cselect_b32 s6, s6, s11
	s_cmp_lg_u32 s6, 0
	s_cselect_b32 s7, s10, s9
	s_cselect_b32 s6, s14, s3
	s_xor_b64 s[6:7], s[6:7], s[0:1]
	s_sub_u32 s26, s6, s0
	s_subb_u32 s27, s7, s0
	s_cbranch_execnz .LBB31_72
.LBB31_71:                              ;   in Loop: Header=BB31_32 Depth=1
	v_cvt_f32_u32_e32 v3, s2
	s_sub_i32 s0, 0, s2
	v_rcp_iflag_f32_e32 v3, v3
	v_mul_f32_e32 v3, 0x4f7ffffe, v3
	v_cvt_u32_f32_e32 v3, v3
	v_readfirstlane_b32 s1, v3
	s_mul_i32 s0, s0, s1
	s_mul_hi_u32 s0, s1, s0
	s_add_i32 s1, s1, s0
	s_mul_hi_u32 s0, s24, s1
	s_mul_i32 s0, s0, s2
	s_sub_i32 s0, s24, s0
	s_sub_i32 s1, s0, s2
	s_cmp_ge_u32 s0, s2
	s_cselect_b32 s0, s1, s0
	s_sub_i32 s1, s0, s2
	s_cmp_ge_u32 s0, s2
	s_cselect_b32 s46, s1, s0
	s_mov_b64 s[26:27], s[46:47]
.LBB31_72:                              ;   in Loop: Header=BB31_32 Depth=1
	s_sub_u32 s40, s24, s26
	s_subb_u32 s41, s25, s27
	v_cmp_gt_i64_e32 vcc, s[40:41], v[21:22]
	v_mov_b32_e32 v7, 0
	v_mov_b32_e32 v9, 0
	;; [unrolled: 1-line block ×8, first 2 shown]
	s_and_saveexec_b64 s[84:85], vcc
	s_cbranch_execz .LBB31_76
; %bb.73:                               ;   in Loop: Header=BB31_32 Depth=1
	v_readlane_b32 s6, v60, 30
	v_readlane_b32 s7, v60, 31
	s_mul_i32 s0, s7, s8
	s_mul_hi_u32 s1, s6, s8
	v_mov_b32_e32 v3, v29
	v_mov_b32_e32 v38, v28
	;; [unrolled: 1-line block ×5, first 2 shown]
	s_add_i32 s0, s1, s0
	s_mul_i32 s1, s6, s8
	s_mov_b64 s[86:87], 0
	v_mov_b32_e32 v4, v30
	v_mov_b32_e32 v37, v27
	;; [unrolled: 1-line block ×4, first 2 shown]
	s_mov_b64 s[88:89], 0
	s_mov_b64 s[90:91], 0
	;; [unrolled: 1-line block ×4, first 2 shown]
	v_mov_b32_e32 v43, v21
.LBB31_74:                              ;   Parent Loop BB31_32 Depth=1
                                        ; =>  This Inner Loop Header: Depth=2
	v_add_co_u32_e32 v7, vcc, s48, v3
	v_mov_b32_e32 v12, s49
	v_addc_co_u32_e32 v8, vcc, v4, v12, vcc
	global_load_dwordx2 v[7:8], v[7:8], off
	v_add_co_u32_e32 v9, vcc, s48, v37
	v_addc_co_u32_e32 v10, vcc, v38, v12, vcc
	global_load_dwordx2 v[13:14], v[9:10], off
	v_add_co_u32_e32 v9, vcc, s48, v39
	;; [unrolled: 3-line block ×3, first 2 shown]
	v_addc_co_u32_e32 v12, vcc, v42, v12, vcc
	global_load_dwordx2 v[11:12], v[11:12], off
	s_waitcnt vmcnt(3)
	v_xor_b32_e32 v8, 0x80000000, v8
	v_and_b32_e32 v57, v8, v34
	v_and_b32_e32 v56, v7, v33
	v_lshrrev_b64 v[7:8], s19, v[7:8]
	v_cmp_eq_u64_e32 vcc, v[56:57], v[31:32]
	s_waitcnt vmcnt(2)
	v_xor_b32_e32 v14, 0x80000000, v14
	v_and_b32_e32 v17, 3, v7
	v_lshrrev_b64 v[7:8], s19, v[13:14]
	v_and_b32_e32 v57, v14, v34
	v_and_b32_e32 v56, v13, v33
	s_waitcnt vmcnt(1)
	v_xor_b32_e32 v10, 0x80000000, v10
	v_cmp_eq_u64_e64 s[6:7], 0, v[17:18]
	v_cmp_eq_u64_e64 s[12:13], v[56:57], v[31:32]
	v_and_b32_e32 v57, v10, v34
	v_and_b32_e32 v56, v9, v33
	;; [unrolled: 1-line block ×3, first 2 shown]
	v_mov_b32_e32 v8, v18
	v_lshrrev_b64 v[9:10], s19, v[9:10]
	s_waitcnt vmcnt(0)
	v_xor_b32_e32 v12, 0x80000000, v12
	s_and_b64 s[10:11], vcc, s[6:7]
	v_cmp_eq_u64_e64 s[6:7], 0, v[7:8]
	v_cmp_eq_u64_e64 s[14:15], v[56:57], v[31:32]
	v_and_b32_e32 v57, v12, v34
	v_and_b32_e32 v56, v11, v33
	;; [unrolled: 1-line block ×3, first 2 shown]
	v_mov_b32_e32 v10, v18
	v_lshrrev_b64 v[11:12], s19, v[11:12]
	s_and_b64 s[36:37], s[12:13], s[6:7]
	v_cmp_eq_u64_e64 s[6:7], 0, v[9:10]
	v_and_b32_e32 v11, 3, v11
	v_mov_b32_e32 v12, v18
	v_cmp_eq_u64_e64 s[16:17], v[56:57], v[31:32]
	s_and_b64 s[42:43], s[14:15], s[6:7]
	v_cmp_eq_u64_e64 s[6:7], 0, v[11:12]
	v_cndmask_b32_e64 v13, 0, 1, s[10:11]
	s_and_b64 s[44:45], s[16:17], s[6:7]
	v_cmp_ne_u32_e64 s[6:7], 0, v13
	v_cndmask_b32_e64 v13, 0, 1, s[36:37]
	s_bcnt1_i32_b64 s3, s[6:7]
	v_cmp_ne_u32_e64 s[6:7], 0, v13
	v_cndmask_b32_e64 v13, 0, 1, s[42:43]
	s_bcnt1_i32_b64 s9, s[6:7]
	;; [unrolled: 3-line block ×3, first 2 shown]
	v_cmp_ne_u32_e64 s[6:7], 0, v13
	s_bcnt1_i32_b64 s6, s[6:7]
	s_add_u32 s3, s3, s94
	s_addc_u32 s7, 0, s95
	s_add_u32 s3, s3, s9
	s_addc_u32 s7, s7, 0
	;; [unrolled: 2-line block ×4, first 2 shown]
	v_cmp_eq_u64_e64 s[6:7], 1, v[17:18]
	s_and_b64 s[10:11], vcc, s[6:7]
	v_cmp_eq_u64_e64 s[6:7], 1, v[7:8]
	v_cndmask_b32_e64 v13, 0, 1, s[10:11]
	s_and_b64 s[36:37], s[12:13], s[6:7]
	v_cmp_eq_u64_e64 s[6:7], 1, v[9:10]
	s_and_b64 s[42:43], s[14:15], s[6:7]
	v_cmp_eq_u64_e64 s[6:7], 1, v[11:12]
	s_and_b64 s[44:45], s[16:17], s[6:7]
	v_cmp_ne_u32_e64 s[6:7], 0, v13
	v_cndmask_b32_e64 v13, 0, 1, s[36:37]
	s_bcnt1_i32_b64 s3, s[6:7]
	v_cmp_ne_u32_e64 s[6:7], 0, v13
	v_cndmask_b32_e64 v13, 0, 1, s[42:43]
	s_bcnt1_i32_b64 s9, s[6:7]
	v_cmp_ne_u32_e64 s[6:7], 0, v13
	v_cndmask_b32_e64 v13, 0, 1, s[44:45]
	s_bcnt1_i32_b64 s10, s[6:7]
	v_cmp_ne_u32_e64 s[6:7], 0, v13
	s_bcnt1_i32_b64 s6, s[6:7]
	s_add_u32 s3, s3, s92
	s_addc_u32 s7, 0, s93
	s_add_u32 s3, s3, s9
	s_addc_u32 s7, s7, 0
	;; [unrolled: 2-line block ×4, first 2 shown]
	v_cmp_eq_u64_e64 s[6:7], 2, v[17:18]
	s_and_b64 s[10:11], vcc, s[6:7]
	v_cmp_eq_u64_e64 s[6:7], 2, v[7:8]
	v_cndmask_b32_e64 v13, 0, 1, s[10:11]
	s_and_b64 s[36:37], s[12:13], s[6:7]
	v_cmp_eq_u64_e64 s[6:7], 2, v[9:10]
	s_and_b64 s[42:43], s[14:15], s[6:7]
	v_cmp_eq_u64_e64 s[6:7], 2, v[11:12]
	s_and_b64 s[44:45], s[16:17], s[6:7]
	v_cmp_ne_u32_e64 s[6:7], 0, v13
	v_cndmask_b32_e64 v13, 0, 1, s[36:37]
	s_bcnt1_i32_b64 s3, s[6:7]
	v_cmp_ne_u32_e64 s[6:7], 0, v13
	v_cndmask_b32_e64 v13, 0, 1, s[42:43]
	s_bcnt1_i32_b64 s9, s[6:7]
	;; [unrolled: 3-line block ×3, first 2 shown]
	v_cmp_ne_u32_e64 s[6:7], 0, v13
	s_bcnt1_i32_b64 s6, s[6:7]
	s_add_u32 s3, s3, s90
	s_addc_u32 s7, 0, s91
	s_add_u32 s3, s3, s9
	s_addc_u32 s7, s7, 0
	;; [unrolled: 2-line block ×4, first 2 shown]
	v_cmp_eq_u64_e64 s[6:7], 3, v[17:18]
	s_and_b64 s[6:7], vcc, s[6:7]
	v_cmp_eq_u64_e32 vcc, 3, v[7:8]
	v_cndmask_b32_e64 v7, 0, 1, s[6:7]
	s_and_b64 s[10:11], s[12:13], vcc
	v_cmp_eq_u64_e32 vcc, 3, v[9:10]
	v_mov_b32_e32 v9, s92
	s_and_b64 s[12:13], s[14:15], vcc
	v_cmp_eq_u64_e32 vcc, 3, v[11:12]
	v_mov_b32_e32 v11, s90
	s_and_b64 s[14:15], s[16:17], vcc
	v_cmp_ne_u32_e32 vcc, 0, v7
	v_cndmask_b32_e64 v7, 0, 1, s[10:11]
	s_bcnt1_i32_b64 s3, vcc
	v_cmp_ne_u32_e32 vcc, 0, v7
	v_cndmask_b32_e64 v7, 0, 1, s[12:13]
	s_bcnt1_i32_b64 s6, vcc
	;; [unrolled: 3-line block ×3, first 2 shown]
	v_cmp_ne_u32_e32 vcc, 0, v7
	s_bcnt1_i32_b64 s9, vcc
	v_add_co_u32_e32 v43, vcc, s2, v43
	v_addc_co_u32_e32 v44, vcc, 0, v44, vcc
	v_add_co_u32_e32 v41, vcc, s1, v41
	v_mov_b32_e32 v7, s0
	v_addc_co_u32_e32 v42, vcc, v42, v7, vcc
	s_add_u32 s3, s3, s88
	v_add_co_u32_e32 v39, vcc, s1, v39
	s_addc_u32 s10, 0, s89
	v_addc_co_u32_e32 v40, vcc, v40, v7, vcc
	s_add_u32 s3, s3, s6
	v_add_co_u32_e32 v37, vcc, s1, v37
	s_addc_u32 s6, s10, 0
	;; [unrolled: 4-line block ×3, first 2 shown]
	v_addc_co_u32_e32 v4, vcc, v4, v7, vcc
	s_add_u32 s88, s3, s9
	v_cmp_le_i64_e32 vcc, s[40:41], v[43:44]
	s_addc_u32 s89, s6, 0
	v_mov_b32_e32 v7, s94
	v_mov_b32_e32 v13, s88
	s_or_b64 s[86:87], vcc, s[86:87]
	v_mov_b32_e32 v8, s95
	v_mov_b32_e32 v10, s93
	;; [unrolled: 1-line block ×4, first 2 shown]
	s_andn2_b64 exec, exec, s[86:87]
	s_cbranch_execnz .LBB31_74
; %bb.75:                               ;   in Loop: Header=BB31_32 Depth=1
	s_or_b64 exec, exec, s[86:87]
.LBB31_76:                              ;   in Loop: Header=BB31_32 Depth=1
	s_or_b64 exec, exec, s[84:85]
	v_mov_b32_e32 v4, s41
	v_add_co_u32_e32 v3, vcc, s40, v0
	v_addc_co_u32_e32 v4, vcc, 0, v4, vcc
	v_cmp_gt_i64_e32 vcc, s[24:25], v[3:4]
	s_and_saveexec_b64 s[10:11], vcc
	s_cbranch_execz .LBB31_82
; %bb.77:                               ;   in Loop: Header=BB31_32 Depth=1
	v_mul_lo_u32 v17, v4, s30
	v_mul_lo_u32 v39, v3, s31
	v_mad_u64_u32 v[37:38], s[0:1], v3, s30, 0
	v_readlane_b32 s0, v60, 16
	s_mul_i32 s14, s66, s8
	v_add3_u32 v38, v38, v39, v17
	v_lshlrev_b64 v[37:38], 3, v[37:38]
	v_mov_b32_e32 v17, s0
	v_add_co_u32_e32 v37, vcc, s69, v37
	v_addc_co_u32_e32 v38, vcc, v17, v38, vcc
	global_load_dwordx2 v[41:42], v[37:38], off
	v_add_co_u32_e32 v17, vcc, s8, v52
	v_addc_co_u32_e32 v37, vcc, 0, v53, vcc
	v_mov_b32_e32 v38, s27
	v_subrev_co_u32_e32 v17, vcc, s26, v17
	v_readlane_b32 s0, v60, 28
	v_subb_co_u32_e32 v37, vcc, v37, v38, vcc
	v_readlane_b32 s1, v60, 29
	v_mul_lo_u32 v39, s66, v37
	v_mov_b32_e32 v38, s1
	v_mov_b32_e32 v37, s0
	v_mul_lo_u32 v40, s67, v17
	v_mad_u64_u32 v[37:38], s[0:1], s66, v17, v[37:38]
	s_mul_i32 s0, s67, s8
	s_mul_hi_u32 s1, s66, s8
	v_add3_u32 v38, v40, v38, v39
	s_add_i32 s9, s1, s0
	s_mov_b64 s[2:3], 0
	s_branch .LBB31_79
.LBB31_78:                              ;   in Loop: Header=BB31_79 Depth=2
	s_or_b64 exec, exec, s[0:1]
	s_waitcnt vmcnt(0)
	v_xor_b32_e32 v42, 0x80000000, v42
	v_and_b32_e32 v44, v42, v34
	v_and_b32_e32 v43, v41, v33
	v_lshrrev_b64 v[41:42], s19, v[41:42]
	s_and_b64 s[0:1], exec, vcc
	v_and_b32_e32 v17, 3, v41
	v_cmp_eq_u64_e32 vcc, v[43:44], v[31:32]
	v_cmp_eq_u64_e64 s[6:7], 0, v[17:18]
	s_or_b64 s[2:3], s[0:1], s[2:3]
	s_and_b64 s[0:1], vcc, s[6:7]
	v_cndmask_b32_e64 v41, 0, 1, s[0:1]
	v_cmp_ne_u32_e64 s[6:7], 0, v41
	s_bcnt1_i32_b64 s0, s[6:7]
	v_cmp_eq_u64_e64 s[6:7], 1, v[17:18]
	v_add_co_u32_e64 v7, s[12:13], s0, v7
	s_and_b64 s[0:1], vcc, s[6:7]
	v_cndmask_b32_e64 v41, 0, 1, s[0:1]
	v_cmp_ne_u32_e64 s[6:7], 0, v41
	s_bcnt1_i32_b64 s0, s[6:7]
	v_cmp_eq_u64_e64 s[6:7], 2, v[17:18]
	v_addc_co_u32_e64 v8, s[12:13], 0, v8, s[12:13]
	v_add_co_u32_e64 v9, s[12:13], s0, v9
	s_and_b64 s[0:1], vcc, s[6:7]
	v_cndmask_b32_e64 v41, 0, 1, s[0:1]
	v_cmp_ne_u32_e64 s[6:7], 0, v41
	s_bcnt1_i32_b64 s0, s[6:7]
	v_cmp_eq_u64_e64 s[6:7], 3, v[17:18]
	v_addc_co_u32_e64 v10, s[12:13], 0, v10, s[12:13]
	v_add_co_u32_e64 v11, s[12:13], s0, v11
	s_and_b64 s[0:1], vcc, s[6:7]
	v_cndmask_b32_e64 v17, 0, 1, s[0:1]
	v_cmp_ne_u32_e32 vcc, 0, v17
	s_bcnt1_i32_b64 s0, vcc
	v_add_co_u32_e32 v13, vcc, s0, v13
	v_addc_co_u32_e32 v14, vcc, 0, v14, vcc
	v_mov_b32_e32 v17, s9
	v_add_co_u32_e32 v37, vcc, s14, v37
	v_mov_b32_e32 v42, v40
	v_addc_co_u32_e64 v12, s[12:13], 0, v12, s[12:13]
	v_addc_co_u32_e32 v38, vcc, v38, v17, vcc
	v_mov_b32_e32 v41, v39
	s_andn2_b64 exec, exec, s[2:3]
	s_cbranch_execz .LBB31_81
.LBB31_79:                              ;   Parent Loop BB31_32 Depth=1
                                        ; =>  This Inner Loop Header: Depth=2
	v_add_co_u32_e32 v3, vcc, s8, v3
	v_addc_co_u32_e32 v4, vcc, 0, v4, vcc
	v_cmp_gt_i64_e64 s[6:7], s[24:25], v[3:4]
	v_cmp_le_i64_e32 vcc, s[24:25], v[3:4]
	v_mov_b32_e32 v39, 0
	v_mov_b32_e32 v40, 0
	s_and_saveexec_b64 s[0:1], s[6:7]
	s_cbranch_execz .LBB31_78
; %bb.80:                               ;   in Loop: Header=BB31_79 Depth=2
	global_load_dwordx2 v[39:40], v[37:38], off
	s_branch .LBB31_78
.LBB31_81:                              ;   in Loop: Header=BB31_32 Depth=1
	s_or_b64 exec, exec, s[2:3]
.LBB31_82:                              ;   in Loop: Header=BB31_32 Depth=1
	s_or_b64 exec, exec, s[10:11]
	s_branch .LBB31_61
.LBB31_83:                              ;   in Loop: Header=BB31_32 Depth=1
	global_load_ushort v37, v18, s[58:59]
	v_mov_b32_e32 v7, 0
	v_mov_b32_e32 v9, 0
	;; [unrolled: 1-line block ×8, first 2 shown]
	s_waitcnt vmcnt(0)
	v_readfirstlane_b32 s0, v37
	s_and_b32 s0, 0xffff, s0
	s_lshl_b32 s1, s0, 2
	v_cvt_f32_u32_e32 v3, s1
	s_sub_i32 s2, 0, s1
	v_rcp_iflag_f32_e32 v3, v3
	v_mul_f32_e32 v3, 0x4f7ffffe, v3
	v_cvt_u32_f32_e32 v3, v3
	v_readfirstlane_b32 s3, v3
	s_mul_i32 s2, s2, s3
	s_mul_hi_u32 s2, s3, s2
	s_add_i32 s3, s3, s2
	s_mul_hi_u32 s2, s20, s3
	s_mul_i32 s3, s2, s1
	s_sub_i32 s3, s20, s3
	s_add_i32 s6, s2, 1
	s_sub_i32 s7, s3, s1
	s_cmp_ge_u32 s3, s1
	s_cselect_b32 s2, s6, s2
	s_cselect_b32 s3, s7, s3
	s_add_i32 s6, s2, 1
	s_cmp_ge_u32 s3, s1
	s_cselect_b32 s2, s6, s2
	s_mul_hi_u32 s27, s0, s2
	s_mul_i32 s26, s0, s2
	s_lshl_b64 s[40:41], s[26:27], 2
	v_cmp_gt_u64_e32 vcc, s[40:41], v[21:22]
	s_and_saveexec_b64 s[84:85], vcc
	s_cbranch_execz .LBB31_87
; %bb.84:                               ;   in Loop: Header=BB31_32 Depth=1
	v_mov_b32_e32 v3, v21
	s_lshl_b32 s2, s0, 5
	s_mov_b64 s[86:87], 0
	v_mov_b32_e32 v38, v51
	s_mov_b64 s[88:89], 0
	s_mov_b64 s[90:91], 0
	;; [unrolled: 1-line block ×4, first 2 shown]
	v_mov_b32_e32 v4, v22
.LBB31_85:                              ;   Parent Loop BB31_32 Depth=1
                                        ; =>  This Inner Loop Header: Depth=2
	ds_read_b128 v[11:14], v38
	ds_read_b128 v[7:10], v38 offset:16
	v_add_u32_e32 v38, s2, v38
	s_waitcnt lgkmcnt(1)
	v_xor_b32_e32 v12, 0x80000000, v12
	v_and_b32_e32 v40, v12, v34
	v_and_b32_e32 v39, v11, v33
	v_lshrrev_b64 v[11:12], s19, v[11:12]
	v_xor_b32_e32 v14, 0x80000000, v14
	v_and_b32_e32 v17, 3, v11
	v_lshrrev_b64 v[11:12], s19, v[13:14]
	s_waitcnt lgkmcnt(0)
	v_xor_b32_e32 v8, 0x80000000, v8
	v_cmp_eq_u64_e32 vcc, v[39:40], v[31:32]
	v_and_b32_e32 v40, v14, v34
	v_and_b32_e32 v39, v13, v33
	v_cmp_eq_u64_e64 s[6:7], 0, v[17:18]
	v_cmp_eq_u64_e64 s[12:13], v[39:40], v[31:32]
	v_and_b32_e32 v40, v8, v34
	v_and_b32_e32 v39, v7, v33
	;; [unrolled: 1-line block ×3, first 2 shown]
	v_mov_b32_e32 v12, v18
	v_lshrrev_b64 v[7:8], s19, v[7:8]
	v_xor_b32_e32 v10, 0x80000000, v10
	s_and_b64 s[8:9], vcc, s[6:7]
	v_cmp_eq_u64_e64 s[6:7], 0, v[11:12]
	v_cmp_eq_u64_e64 s[14:15], v[39:40], v[31:32]
	v_and_b32_e32 v40, v10, v34
	v_and_b32_e32 v39, v9, v33
	v_and_b32_e32 v7, 3, v7
	v_mov_b32_e32 v8, v18
	v_lshrrev_b64 v[9:10], s19, v[9:10]
	s_and_b64 s[10:11], s[12:13], s[6:7]
	v_cmp_eq_u64_e64 s[6:7], 0, v[7:8]
	v_and_b32_e32 v9, 3, v9
	v_mov_b32_e32 v10, v18
	v_cmp_eq_u64_e64 s[16:17], v[39:40], v[31:32]
	s_and_b64 s[36:37], s[14:15], s[6:7]
	v_cmp_eq_u64_e64 s[6:7], 0, v[9:10]
	v_cndmask_b32_e64 v13, 0, 1, s[8:9]
	s_and_b64 s[42:43], s[16:17], s[6:7]
	v_cmp_ne_u32_e64 s[6:7], 0, v13
	v_cndmask_b32_e64 v13, 0, 1, s[10:11]
	s_bcnt1_i32_b64 s3, s[6:7]
	v_cmp_ne_u32_e64 s[6:7], 0, v13
	v_cndmask_b32_e64 v13, 0, 1, s[36:37]
	s_bcnt1_i32_b64 s8, s[6:7]
	;; [unrolled: 3-line block ×3, first 2 shown]
	v_cmp_ne_u32_e64 s[6:7], 0, v13
	s_bcnt1_i32_b64 s6, s[6:7]
	s_add_u32 s3, s3, s94
	s_addc_u32 s7, 0, s95
	s_add_u32 s3, s3, s8
	s_addc_u32 s7, s7, 0
	;; [unrolled: 2-line block ×4, first 2 shown]
	v_cmp_eq_u64_e64 s[6:7], 1, v[17:18]
	s_and_b64 s[8:9], vcc, s[6:7]
	v_cmp_eq_u64_e64 s[6:7], 1, v[11:12]
	v_cndmask_b32_e64 v13, 0, 1, s[8:9]
	s_and_b64 s[10:11], s[12:13], s[6:7]
	v_cmp_eq_u64_e64 s[6:7], 1, v[7:8]
	s_and_b64 s[36:37], s[14:15], s[6:7]
	v_cmp_eq_u64_e64 s[6:7], 1, v[9:10]
	s_and_b64 s[42:43], s[16:17], s[6:7]
	v_cmp_ne_u32_e64 s[6:7], 0, v13
	v_cndmask_b32_e64 v13, 0, 1, s[10:11]
	s_bcnt1_i32_b64 s3, s[6:7]
	v_cmp_ne_u32_e64 s[6:7], 0, v13
	v_cndmask_b32_e64 v13, 0, 1, s[36:37]
	s_bcnt1_i32_b64 s8, s[6:7]
	v_cmp_ne_u32_e64 s[6:7], 0, v13
	v_cndmask_b32_e64 v13, 0, 1, s[42:43]
	s_bcnt1_i32_b64 s9, s[6:7]
	v_cmp_ne_u32_e64 s[6:7], 0, v13
	s_bcnt1_i32_b64 s6, s[6:7]
	s_add_u32 s3, s3, s92
	s_addc_u32 s7, 0, s93
	s_add_u32 s3, s3, s8
	s_addc_u32 s7, s7, 0
	;; [unrolled: 2-line block ×4, first 2 shown]
	v_cmp_eq_u64_e64 s[6:7], 2, v[17:18]
	s_and_b64 s[8:9], vcc, s[6:7]
	v_cmp_eq_u64_e64 s[6:7], 2, v[11:12]
	v_cndmask_b32_e64 v13, 0, 1, s[8:9]
	s_and_b64 s[10:11], s[12:13], s[6:7]
	v_cmp_eq_u64_e64 s[6:7], 2, v[7:8]
	s_and_b64 s[36:37], s[14:15], s[6:7]
	v_cmp_eq_u64_e64 s[6:7], 2, v[9:10]
	s_and_b64 s[42:43], s[16:17], s[6:7]
	v_cmp_ne_u32_e64 s[6:7], 0, v13
	v_cndmask_b32_e64 v13, 0, 1, s[10:11]
	s_bcnt1_i32_b64 s3, s[6:7]
	v_cmp_ne_u32_e64 s[6:7], 0, v13
	v_cndmask_b32_e64 v13, 0, 1, s[36:37]
	s_bcnt1_i32_b64 s8, s[6:7]
	v_cmp_ne_u32_e64 s[6:7], 0, v13
	v_cndmask_b32_e64 v13, 0, 1, s[42:43]
	s_bcnt1_i32_b64 s9, s[6:7]
	v_cmp_ne_u32_e64 s[6:7], 0, v13
	s_bcnt1_i32_b64 s6, s[6:7]
	s_add_u32 s3, s3, s90
	s_addc_u32 s7, 0, s91
	s_add_u32 s3, s3, s8
	s_addc_u32 s7, s7, 0
	;; [unrolled: 2-line block ×4, first 2 shown]
	v_cmp_eq_u64_e64 s[6:7], 3, v[17:18]
	s_and_b64 s[6:7], vcc, s[6:7]
	v_cmp_eq_u64_e32 vcc, 3, v[11:12]
	v_mov_b32_e32 v11, s90
	s_and_b64 s[8:9], s[12:13], vcc
	v_cmp_eq_u64_e32 vcc, 3, v[7:8]
	v_cndmask_b32_e64 v7, 0, 1, s[6:7]
	s_and_b64 s[10:11], s[14:15], vcc
	v_cmp_eq_u64_e32 vcc, 3, v[9:10]
	v_mov_b32_e32 v9, s92
	s_and_b64 s[12:13], s[16:17], vcc
	v_cmp_ne_u32_e32 vcc, 0, v7
	v_cndmask_b32_e64 v7, 0, 1, s[8:9]
	s_bcnt1_i32_b64 s3, vcc
	v_cmp_ne_u32_e32 vcc, 0, v7
	v_cndmask_b32_e64 v7, 0, 1, s[10:11]
	s_bcnt1_i32_b64 s6, vcc
	;; [unrolled: 3-line block ×3, first 2 shown]
	v_cmp_ne_u32_e32 vcc, 0, v7
	s_bcnt1_i32_b64 s8, vcc
	s_add_u32 s3, s3, s88
	s_addc_u32 s9, 0, s89
	s_add_u32 s3, s3, s6
	s_addc_u32 s6, s9, 0
	s_add_u32 s3, s3, s7
	v_add_co_u32_e32 v3, vcc, s1, v3
	s_addc_u32 s6, s6, 0
	v_addc_co_u32_e32 v4, vcc, 0, v4, vcc
	s_add_u32 s88, s3, s8
	v_cmp_le_u64_e32 vcc, s[40:41], v[3:4]
	s_addc_u32 s89, s6, 0
	v_mov_b32_e32 v7, s94
	v_mov_b32_e32 v13, s88
	s_or_b64 s[86:87], vcc, s[86:87]
	v_mov_b32_e32 v8, s95
	v_mov_b32_e32 v10, s93
	;; [unrolled: 1-line block ×4, first 2 shown]
	s_andn2_b64 exec, exec, s[86:87]
	s_cbranch_execnz .LBB31_85
; %bb.86:                               ;   in Loop: Header=BB31_32 Depth=1
	s_or_b64 exec, exec, s[86:87]
.LBB31_87:                              ;   in Loop: Header=BB31_32 Depth=1
	s_or_b64 exec, exec, s[84:85]
	v_mov_b32_e32 v4, s41
	v_add_co_u32_e32 v3, vcc, s40, v0
	s_and_b32 s46, s20, 0x7fffffff
	v_addc_co_u32_e32 v4, vcc, 0, v4, vcc
	v_cmp_gt_u64_e32 vcc, s[46:47], v[3:4]
	s_and_saveexec_b64 s[10:11], vcc
	s_cbranch_execz .LBB31_91
; %bb.88:                               ;   in Loop: Header=BB31_32 Depth=1
	v_lshl_add_u32 v38, s26, 5, v46
	s_lshl_b32 s0, s0, 3
	s_mov_b64 s[2:3], 0
.LBB31_89:                              ;   Parent Loop BB31_32 Depth=1
                                        ; =>  This Inner Loop Header: Depth=2
	ds_read_b64 v[39:40], v38
	v_add_co_u32_sdwa v3, vcc, v3, v37 dst_sel:DWORD dst_unused:UNUSED_PAD src0_sel:DWORD src1_sel:WORD_0
	v_addc_co_u32_e32 v4, vcc, 0, v4, vcc
	s_waitcnt lgkmcnt(0)
	v_xor_b32_e32 v40, 0x80000000, v40
	v_and_b32_e32 v41, v39, v33
	v_and_b32_e32 v42, v40, v34
	v_lshrrev_b64 v[39:40], s19, v[39:40]
	v_cmp_eq_u64_e64 s[6:7], v[41:42], v[31:32]
	v_and_b32_e32 v17, 3, v39
	v_cmp_eq_u64_e64 s[12:13], 0, v[17:18]
	v_cmp_eq_u64_e64 s[14:15], 1, v[17:18]
	v_cmp_eq_u64_e64 s[16:17], 2, v[17:18]
	v_cmp_eq_u64_e64 s[20:21], 3, v[17:18]
	s_and_b64 s[8:9], s[6:7], s[12:13]
	v_cndmask_b32_e64 v17, 0, 1, s[8:9]
	s_and_b64 s[8:9], s[6:7], s[14:15]
	v_cndmask_b32_e64 v39, 0, 1, s[8:9]
	s_and_b64 s[8:9], s[6:7], s[16:17]
	s_and_b64 s[6:7], s[6:7], s[20:21]
	v_cndmask_b32_e64 v41, 0, 1, s[6:7]
	v_cmp_ne_u32_e64 s[6:7], 0, v17
	s_bcnt1_i32_b64 s1, s[6:7]
	v_cmp_ne_u32_e64 s[12:13], 0, v39
	v_add_co_u32_e64 v7, s[6:7], s1, v7
	v_cndmask_b32_e64 v40, 0, 1, s[8:9]
	s_bcnt1_i32_b64 s8, s[12:13]
	v_addc_co_u32_e64 v8, s[6:7], 0, v8, s[6:7]
	v_cmp_le_u64_e32 vcc, s[46:47], v[3:4]
	v_cmp_ne_u32_e64 s[14:15], 0, v40
	v_cmp_ne_u32_e64 s[16:17], 0, v41
	v_add_co_u32_e64 v9, s[6:7], s8, v9
	s_bcnt1_i32_b64 s9, s[14:15]
	s_bcnt1_i32_b64 s12, s[16:17]
	v_addc_co_u32_e64 v10, s[6:7], 0, v10, s[6:7]
	v_add_co_u32_e64 v11, s[6:7], s9, v11
	s_or_b64 s[2:3], vcc, s[2:3]
	v_add_co_u32_e32 v13, vcc, s12, v13
	v_add_u32_e32 v38, s0, v38
	v_addc_co_u32_e64 v12, s[6:7], 0, v12, s[6:7]
	v_addc_co_u32_e32 v14, vcc, 0, v14, vcc
	s_andn2_b64 exec, exec, s[2:3]
	s_cbranch_execnz .LBB31_89
; %bb.90:                               ;   in Loop: Header=BB31_32 Depth=1
	s_or_b64 exec, exec, s[2:3]
.LBB31_91:                              ;   in Loop: Header=BB31_32 Depth=1
	s_or_b64 exec, exec, s[10:11]
	s_lshl_b32 s2, s68, 6
	s_and_saveexec_b64 s[0:1], s[4:5]
	s_cbranch_execnz .LBB31_62
	s_branch .LBB31_63
.LBB31_92:                              ;   in Loop: Header=BB31_32 Depth=1
                                        ; implicit-def: $sgpr26_sgpr27
	s_branch .LBB31_71
.LBB31_93:                              ;   in Loop: Header=BB31_32 Depth=1
	s_or_b64 exec, exec, s[14:15]
	s_waitcnt lgkmcnt(0)
	s_barrier
	s_mov_b64 s[0:1], exec
	v_readlane_b32 s2, v60, 8
	v_readlane_b32 s3, v60, 9
	s_and_b64 s[2:3], s[0:1], s[2:3]
	s_mov_b64 exec, s[2:3]
	s_cbranch_execz .LBB31_95
; %bb.94:                               ;   in Loop: Header=BB31_32 Depth=1
	ds_read_b32 v3, v18 offset:5136
	s_waitcnt lgkmcnt(0)
	v_ashrrev_i32_e32 v4, 31, v3
	ds_write_b64 v18, v[3:4] offset:5120
.LBB31_95:                              ;   in Loop: Header=BB31_32 Depth=1
	s_or_b64 exec, exec, s[0:1]
	s_waitcnt lgkmcnt(0)
	s_barrier
	s_mov_b64 s[0:1], -1
	s_and_b64 vcc, exec, s[10:11]
	s_cbranch_vccnz .LBB31_48
	s_branch .LBB31_57
.LBB31_96:                              ;   in Loop: Header=BB31_32 Depth=1
	v_mov_b32_e32 v3, 0
	v_mov_b32_e32 v4, 0
	s_mov_b32 s0, 0
.LBB31_97:                              ;   in Loop: Header=BB31_32 Depth=1
	v_readlane_b32 s8, v60, 26
	v_readlane_b32 s9, v60, 27
	s_andn2_b64 vcc, exec, s[8:9]
	s_cbranch_vccnz .LBB31_100
; %bb.98:                               ;   in Loop: Header=BB31_32 Depth=1
	s_lshl_b32 s1, s68, 9
	s_lshl_b32 s0, s0, 5
	s_add_i32 s1, s1, s0
	v_add_u32_e32 v7, s1, v54
	v_readlane_b32 s0, v60, 25
.LBB31_99:                              ;   Parent Loop BB31_32 Depth=1
                                        ; =>  This Inner Loop Header: Depth=2
	ds_read_b64 v[8:9], v7
	s_add_i32 s0, s0, -1
	v_add_u32_e32 v7, 32, v7
	s_cmp_lg_u32 s0, 0
	s_waitcnt lgkmcnt(0)
	v_add_co_u32_e32 v3, vcc, v8, v3
	v_addc_co_u32_e32 v4, vcc, v9, v4, vcc
	s_cbranch_scc1 .LBB31_99
.LBB31_100:                             ;   in Loop: Header=BB31_32 Depth=1
	v_add_lshl_u32 v7, s2, v45, 3
	ds_write_b64 v7, v[3:4] offset:3072
.LBB31_101:                             ;   in Loop: Header=BB31_32 Depth=1
	s_or_b64 exec, exec, s[6:7]
	s_lshl_b32 s0, s2, 3
	v_mov_b32_e32 v3, s0
	s_waitcnt lgkmcnt(0)
	s_barrier
	ds_read_b128 v[11:14], v3 offset:3088
	ds_read_b128 v[7:10], v3 offset:3072
	v_cmp_eq_u64_e64 s[6:7], 1, v[35:36]
	s_lshl_b64 s[14:15], 3, s19
	s_not_b64 s[88:89], s[14:15]
	s_waitcnt lgkmcnt(1)
	v_readfirstlane_b32 s84, v11
	s_waitcnt lgkmcnt(0)
	v_cmp_eq_u64_e32 vcc, 1, v[7:8]
	v_readfirstlane_b32 s85, v12
	v_readfirstlane_b32 s12, v13
	;; [unrolled: 1-line block ×3, first 2 shown]
	s_and_b64 s[20:21], vcc, s[6:7]
	s_mov_b64 s[6:7], -1
	s_mov_b64 s[0:1], -1
                                        ; implicit-def: $sgpr36_sgpr37
                                        ; implicit-def: $sgpr10_sgpr11
	s_and_saveexec_b64 s[16:17], s[20:21]
	s_cbranch_execz .LBB31_133
; %bb.102:                              ;   in Loop: Header=BB31_32 Depth=1
	ds_read_b64 v[3:4], v18 offset:5120
	s_waitcnt lgkmcnt(0)
	s_barrier
	v_readfirstlane_b32 s26, v3
	v_readfirstlane_b32 s27, v4
	s_mov_b64 s[0:1], exec
	v_readlane_b32 s2, v60, 10
	v_readlane_b32 s3, v60, 11
	s_and_b64 s[2:3], s[0:1], s[2:3]
	s_mov_b64 exec, s[2:3]
; %bb.103:                              ;   in Loop: Header=BB31_32 Depth=1
	v_mov_b32_e32 v17, v18
	ds_write_b64 v55, v[17:18]
; %bb.104:                              ;   in Loop: Header=BB31_32 Depth=1
	s_or_b64 exec, exec, s[0:1]
	v_cmp_lt_i64_e64 s[0:1], s[26:27], 1
	v_and_b32_e32 v32, s89, v32
	v_and_b32_e32 v31, s88, v31
	v_or_b32_e32 v34, s15, v34
	v_or_b32_e32 v33, s14, v33
	s_mov_b64 s[10:11], -1
	s_mov_b64 s[36:37], 0
	s_and_b64 vcc, exec, s[0:1]
	s_mov_b64 s[40:41], 0
	s_mov_b64 s[2:3], -1
	s_waitcnt lgkmcnt(0)
	s_barrier
                                        ; implicit-def: $vgpr5_vgpr6
	s_cbranch_vccz .LBB31_118
; %bb.105:                              ;   in Loop: Header=BB31_32 Depth=1
	s_mov_b32 s56, s47
	s_cmp_lg_u64 s[56:57], 0
	s_cbranch_scc0 .LBB31_159
; %bb.106:                              ;   in Loop: Header=BB31_32 Depth=1
	s_add_u32 s0, s33, 0
	s_addc_u32 s1, 0, 0
	s_xor_b64 s[40:41], s[0:1], 0
	v_cvt_f32_u32_e32 v3, s40
	v_cvt_f32_u32_e32 v4, s41
	s_sub_u32 s2, 0, s40
	s_subb_u32 s3, 0, s41
	v_mac_f32_e32 v3, 0x4f800000, v4
	v_rcp_f32_e32 v3, v3
	v_mul_f32_e32 v3, 0x5f7ffffc, v3
	v_mul_f32_e32 v4, 0x2f800000, v3
	v_trunc_f32_e32 v4, v4
	v_mac_f32_e32 v3, 0xcf800000, v4
	v_cvt_u32_f32_e32 v4, v4
	v_cvt_u32_f32_e32 v3, v3
	v_readfirstlane_b32 s8, v4
	v_readfirstlane_b32 s0, v3
	s_mul_i32 s1, s2, s8
	s_mul_hi_u32 s42, s2, s0
	s_mul_i32 s9, s3, s0
	s_add_i32 s1, s42, s1
	s_mul_i32 s43, s2, s0
	s_add_i32 s1, s1, s9
	s_mul_i32 s42, s0, s1
	s_mul_hi_u32 s44, s0, s43
	s_mul_hi_u32 s9, s0, s1
	s_add_u32 s42, s44, s42
	s_addc_u32 s9, 0, s9
	s_mul_hi_u32 s45, s8, s43
	s_mul_i32 s43, s8, s43
	s_add_u32 s42, s42, s43
	s_mul_hi_u32 s44, s8, s1
	s_addc_u32 s9, s9, s45
	s_addc_u32 s42, s44, 0
	s_mul_i32 s1, s8, s1
	s_add_u32 s1, s9, s1
	s_addc_u32 s9, 0, s42
	s_add_u32 s42, s0, s1
	s_cselect_b64 s[0:1], -1, 0
	s_cmp_lg_u64 s[0:1], 0
	s_addc_u32 s8, s8, s9
	s_mul_i32 s0, s2, s8
	s_mul_hi_u32 s1, s2, s42
	s_add_i32 s0, s1, s0
	s_mul_i32 s3, s3, s42
	s_add_i32 s0, s0, s3
	s_mul_i32 s2, s2, s42
	s_mul_hi_u32 s3, s8, s2
	s_mul_i32 s9, s8, s2
	s_mul_i32 s44, s42, s0
	s_mul_hi_u32 s2, s42, s2
	s_mul_hi_u32 s43, s42, s0
	s_add_u32 s2, s2, s44
	s_addc_u32 s43, 0, s43
	s_add_u32 s2, s2, s9
	s_mul_hi_u32 s1, s8, s0
	s_addc_u32 s2, s43, s3
	s_addc_u32 s1, s1, 0
	s_mul_i32 s0, s8, s0
	s_add_u32 s0, s2, s0
	s_addc_u32 s2, 0, s1
	s_add_u32 s9, s42, s0
	s_cselect_b64 s[0:1], -1, 0
	s_cmp_lg_u64 s[0:1], 0
	s_addc_u32 s8, s8, s2
	s_ashr_i32 s2, s57, 31
	s_add_u32 s0, s54, s2
	s_mov_b32 s3, s2
	s_addc_u32 s1, s57, s2
	s_xor_b64 s[0:1], s[0:1], s[2:3]
	s_mul_i32 s43, s0, s8
	s_mul_hi_u32 s44, s0, s9
	s_mul_hi_u32 s42, s0, s8
	s_add_u32 s43, s44, s43
	s_addc_u32 s42, 0, s42
	s_mul_hi_u32 s45, s1, s9
	s_mul_i32 s9, s1, s9
	s_add_u32 s9, s43, s9
	s_mul_hi_u32 s44, s1, s8
	s_addc_u32 s9, s42, s45
	s_addc_u32 s42, s44, 0
	s_mul_i32 s8, s1, s8
	s_add_u32 s8, s9, s8
	s_addc_u32 s9, 0, s42
	s_mul_i32 s9, s40, s9
	s_mul_hi_u32 s42, s40, s8
	s_add_i32 s9, s42, s9
	s_mul_i32 s42, s41, s8
	s_add_i32 s44, s9, s42
	s_sub_i32 s42, s1, s44
	s_mul_i32 s8, s40, s8
	s_sub_u32 s0, s0, s8
	s_cselect_b64 s[8:9], -1, 0
	s_cmp_lg_u64 s[8:9], 0
	s_subb_u32 s45, s42, s41
	s_sub_u32 s46, s0, s40
	s_cselect_b64 s[42:43], -1, 0
	s_cmp_lg_u64 s[42:43], 0
	s_subb_u32 s56, s45, 0
	s_cmp_ge_u32 s56, s41
	s_cselect_b32 s60, -1, 0
	s_cmp_ge_u32 s46, s40
	s_cselect_b32 s61, -1, 0
	s_cmp_eq_u32 s56, s41
	s_cselect_b32 s60, s61, s60
	s_cmp_lg_u64 s[42:43], 0
	s_subb_u32 s45, s45, s41
	s_sub_u32 s61, s46, s40
	s_cselect_b64 s[42:43], -1, 0
	s_cmp_lg_u64 s[42:43], 0
	s_subb_u32 s42, s45, 0
	s_cmp_lg_u32 s60, 0
	s_cselect_b32 s43, s61, s46
	s_cselect_b32 s42, s42, s56
	s_cmp_lg_u64 s[8:9], 0
	s_subb_u32 s1, s1, s44
	s_cmp_ge_u32 s1, s41
	s_cselect_b32 s8, -1, 0
	s_cmp_ge_u32 s0, s40
	s_cselect_b32 s9, -1, 0
	s_cmp_eq_u32 s1, s41
	s_cselect_b32 s8, s9, s8
	s_cmp_lg_u32 s8, 0
	s_cselect_b32 s1, s42, s1
	s_cselect_b32 s0, s43, s0
	s_xor_b64 s[0:1], s[0:1], s[2:3]
	s_sub_u32 s0, s0, s2
	s_subb_u32 s1, s1, s2
	s_cbranch_execnz .LBB31_108
.LBB31_107:                             ;   in Loop: Header=BB31_32 Depth=1
	v_cvt_f32_u32_e32 v3, s33
	s_sub_i32 s0, 0, s33
	v_rcp_iflag_f32_e32 v3, v3
	v_mul_f32_e32 v3, 0x4f7ffffe, v3
	v_cvt_u32_f32_e32 v3, v3
	v_readfirstlane_b32 s1, v3
	s_mul_i32 s0, s0, s1
	s_mul_hi_u32 s0, s1, s0
	s_add_i32 s1, s1, s0
	s_mul_hi_u32 s0, s54, s1
	s_mul_i32 s0, s0, s33
	s_sub_i32 s0, s54, s0
	s_sub_i32 s1, s0, s33
	s_cmp_ge_u32 s0, s33
	s_cselect_b32 s0, s1, s0
	s_sub_i32 s1, s0, s33
	s_cmp_ge_u32 s0, s33
	s_cselect_b32 s46, s1, s0
	s_mov_b64 s[0:1], s[46:47]
.LBB31_108:                             ;   in Loop: Header=BB31_32 Depth=1
	s_sub_u32 s44, s54, s0
	s_subb_u32 s45, s57, s1
	v_cmp_gt_i64_e32 vcc, s[44:45], v[0:1]
	s_mov_b64 s[2:3], 0
	s_mov_b64 s[40:41], 0
                                        ; implicit-def: $vgpr5_vgpr6
	s_and_saveexec_b64 s[42:43], vcc
	s_cbranch_execz .LBB31_117
; %bb.109:                              ;   in Loop: Header=BB31_32 Depth=1
	v_mov_b32_e32 v11, v15
	v_mov_b32_e32 v14, v1
	;; [unrolled: 1-line block ×4, first 2 shown]
                                        ; implicit-def: $sgpr0_sgpr1
	s_branch .LBB31_112
.LBB31_110:                             ;   in Loop: Header=BB31_112 Depth=2
	s_or_b64 exec, exec, s[60:61]
	s_waitcnt lgkmcnt(0)
	s_barrier
	ds_read_b128 v[3:6], v18 offset:3072
	s_mov_b64 s[60:61], -1
	s_mov_b64 s[62:63], -1
	s_waitcnt lgkmcnt(0)
	s_barrier
	v_cmp_ne_u64_e32 vcc, 0, v[3:4]
	s_cbranch_vccz .LBB31_115
.LBB31_111:                             ;   in Loop: Header=BB31_112 Depth=2
	s_and_b64 s[8:9], exec, s[60:61]
	s_or_b64 s[40:41], s[8:9], s[40:41]
	s_andn2_b64 s[0:1], s[0:1], exec
	s_and_b64 s[8:9], s[62:63], exec
	s_or_b64 s[0:1], s[0:1], s[8:9]
	s_andn2_b64 exec, exec, s[40:41]
	s_cbranch_execz .LBB31_116
.LBB31_112:                             ;   Parent Loop BB31_32 Depth=1
                                        ; =>  This Inner Loop Header: Depth=2
	v_cmp_gt_i64_e32 vcc, s[24:25], v[13:14]
	s_and_saveexec_b64 s[60:61], vcc
	s_cbranch_execz .LBB31_110
; %bb.113:                              ;   in Loop: Header=BB31_112 Depth=2
	global_load_dwordx2 v[4:5], v[11:12], off
	s_waitcnt vmcnt(0)
	v_xor_b32_e32 v3, 0x80000000, v5
	v_and_b32_e32 v38, v3, v34
	v_and_b32_e32 v37, v4, v33
	v_cmp_eq_u64_e32 vcc, v[37:38], v[31:32]
	s_and_b64 exec, exec, vcc
	s_cbranch_execz .LBB31_110
; %bb.114:                              ;   in Loop: Header=BB31_112 Depth=2
	v_mov_b32_e32 v3, v18
	ds_write_b128 v18, v[2:5] offset:3072
	s_branch .LBB31_110
.LBB31_115:                             ;   in Loop: Header=BB31_112 Depth=2
	v_add_co_u32_e32 v13, vcc, s33, v13
	v_addc_co_u32_e32 v14, vcc, 0, v14, vcc
	v_mov_b32_e32 v3, s51
	v_add_co_u32_e32 v11, vcc, s50, v11
	v_addc_co_u32_e32 v12, vcc, v12, v3, vcc
	v_cmp_le_i64_e32 vcc, s[44:45], v[13:14]
	s_mov_b64 s[62:63], 0
	s_orn2_b64 s[60:61], vcc, exec
	s_branch .LBB31_111
.LBB31_116:                             ;   in Loop: Header=BB31_32 Depth=1
	s_or_b64 exec, exec, s[40:41]
	s_and_b64 s[40:41], s[0:1], exec
.LBB31_117:                             ;   in Loop: Header=BB31_32 Depth=1
	s_or_b64 exec, exec, s[42:43]
.LBB31_118:                             ;   in Loop: Header=BB31_32 Depth=1
	s_and_b64 vcc, exec, s[2:3]
	s_cbranch_vccz .LBB31_132
; %bb.119:                              ;   in Loop: Header=BB31_32 Depth=1
	v_readlane_b32 s0, v60, 21
	s_add_u32 s8, s26, s0
	v_readlane_b32 s0, v60, 22
	s_addc_u32 s11, s27, s0
	s_mov_b32 s10, s47
	s_cmp_lg_u64 s[10:11], 0
	s_cbranch_scc0 .LBB31_160
; %bb.120:                              ;   in Loop: Header=BB31_32 Depth=1
	s_add_u32 s0, s33, 0
	s_addc_u32 s1, 0, 0
	s_xor_b64 s[36:37], s[0:1], 0
	v_cvt_f32_u32_e32 v3, s36
	v_cvt_f32_u32_e32 v4, s37
	s_sub_u32 s2, 0, s36
	s_subb_u32 s3, 0, s37
	v_mac_f32_e32 v3, 0x4f800000, v4
	v_rcp_f32_e32 v3, v3
	v_mul_f32_e32 v3, 0x5f7ffffc, v3
	v_mul_f32_e32 v4, 0x2f800000, v3
	v_trunc_f32_e32 v4, v4
	v_mac_f32_e32 v3, 0xcf800000, v4
	v_cvt_u32_f32_e32 v4, v4
	v_cvt_u32_f32_e32 v3, v3
	v_readfirstlane_b32 s9, v4
	v_readfirstlane_b32 s0, v3
	s_mul_i32 s1, s2, s9
	s_mul_hi_u32 s42, s2, s0
	s_mul_i32 s10, s3, s0
	s_add_i32 s1, s42, s1
	s_mul_i32 s43, s2, s0
	s_add_i32 s1, s1, s10
	s_mul_i32 s42, s0, s1
	s_mul_hi_u32 s44, s0, s43
	s_mul_hi_u32 s10, s0, s1
	s_add_u32 s42, s44, s42
	s_addc_u32 s10, 0, s10
	s_mul_hi_u32 s45, s9, s43
	s_mul_i32 s43, s9, s43
	s_add_u32 s42, s42, s43
	s_mul_hi_u32 s44, s9, s1
	s_addc_u32 s10, s10, s45
	s_addc_u32 s42, s44, 0
	s_mul_i32 s1, s9, s1
	s_add_u32 s1, s10, s1
	s_addc_u32 s10, 0, s42
	s_add_u32 s42, s0, s1
	s_cselect_b64 s[0:1], -1, 0
	s_cmp_lg_u64 s[0:1], 0
	s_addc_u32 s9, s9, s10
	s_mul_i32 s0, s2, s9
	s_mul_hi_u32 s1, s2, s42
	s_add_i32 s0, s1, s0
	s_mul_i32 s3, s3, s42
	s_add_i32 s0, s0, s3
	s_mul_i32 s2, s2, s42
	s_mul_hi_u32 s3, s9, s2
	s_mul_i32 s10, s9, s2
	s_mul_i32 s44, s42, s0
	s_mul_hi_u32 s2, s42, s2
	s_mul_hi_u32 s43, s42, s0
	s_add_u32 s2, s2, s44
	s_addc_u32 s43, 0, s43
	s_add_u32 s2, s2, s10
	s_mul_hi_u32 s1, s9, s0
	s_addc_u32 s2, s43, s3
	s_addc_u32 s1, s1, 0
	s_mul_i32 s0, s9, s0
	s_add_u32 s0, s2, s0
	s_addc_u32 s2, 0, s1
	s_add_u32 s10, s42, s0
	s_cselect_b64 s[0:1], -1, 0
	s_cmp_lg_u64 s[0:1], 0
	s_addc_u32 s9, s9, s2
	s_ashr_i32 s2, s11, 31
	s_add_u32 s0, s8, s2
	s_mov_b32 s3, s2
	s_addc_u32 s1, s11, s2
	s_xor_b64 s[0:1], s[0:1], s[2:3]
	s_mul_i32 s43, s0, s9
	s_mul_hi_u32 s44, s0, s10
	s_mul_hi_u32 s42, s0, s9
	s_add_u32 s43, s44, s43
	s_addc_u32 s42, 0, s42
	s_mul_hi_u32 s45, s1, s10
	s_mul_i32 s10, s1, s10
	s_add_u32 s10, s43, s10
	s_mul_hi_u32 s44, s1, s9
	s_addc_u32 s10, s42, s45
	s_addc_u32 s42, s44, 0
	s_mul_i32 s9, s1, s9
	s_add_u32 s9, s10, s9
	s_addc_u32 s10, 0, s42
	s_mul_i32 s10, s36, s10
	s_mul_hi_u32 s42, s36, s9
	s_add_i32 s10, s42, s10
	s_mul_i32 s42, s37, s9
	s_add_i32 s10, s10, s42
	s_sub_i32 s44, s1, s10
	s_mul_i32 s9, s36, s9
	s_sub_u32 s0, s0, s9
	s_cselect_b64 s[42:43], -1, 0
	s_cmp_lg_u64 s[42:43], 0
	s_subb_u32 s9, s44, s37
	s_sub_u32 s46, s0, s36
	s_cselect_b64 s[44:45], -1, 0
	s_cmp_lg_u64 s[44:45], 0
	s_subb_u32 s56, s9, 0
	s_cmp_ge_u32 s56, s37
	s_cselect_b32 s60, -1, 0
	s_cmp_ge_u32 s46, s36
	s_cselect_b32 s61, -1, 0
	s_cmp_eq_u32 s56, s37
	s_cselect_b32 s60, s61, s60
	s_cmp_lg_u64 s[44:45], 0
	s_subb_u32 s9, s9, s37
	s_sub_u32 s61, s46, s36
	s_cselect_b64 s[44:45], -1, 0
	s_cmp_lg_u64 s[44:45], 0
	s_subb_u32 s9, s9, 0
	s_cmp_lg_u32 s60, 0
	s_cselect_b32 s44, s61, s46
	s_cselect_b32 s9, s9, s56
	s_cmp_lg_u64 s[42:43], 0
	s_subb_u32 s1, s1, s10
	s_cmp_ge_u32 s1, s37
	s_cselect_b32 s10, -1, 0
	s_cmp_ge_u32 s0, s36
	s_cselect_b32 s36, -1, 0
	s_cmp_eq_u32 s1, s37
	s_cselect_b32 s10, s36, s10
	s_cmp_lg_u32 s10, 0
	s_cselect_b32 s1, s9, s1
	s_cselect_b32 s0, s44, s0
	s_xor_b64 s[0:1], s[0:1], s[2:3]
	s_sub_u32 s0, s0, s2
	s_subb_u32 s1, s1, s2
	s_cbranch_execnz .LBB31_122
.LBB31_121:                             ;   in Loop: Header=BB31_32 Depth=1
	v_cvt_f32_u32_e32 v3, s33
	s_sub_i32 s0, 0, s33
	v_rcp_iflag_f32_e32 v3, v3
	v_mul_f32_e32 v3, 0x4f7ffffe, v3
	v_cvt_u32_f32_e32 v3, v3
	v_readfirstlane_b32 s1, v3
	s_mul_i32 s0, s0, s1
	s_mul_hi_u32 s0, s1, s0
	s_add_i32 s1, s1, s0
	s_mul_hi_u32 s0, s8, s1
	s_mul_i32 s0, s0, s33
	s_sub_i32 s0, s8, s0
	s_sub_i32 s1, s0, s33
	s_cmp_ge_u32 s0, s33
	s_cselect_b32 s0, s1, s0
	s_sub_i32 s1, s0, s33
	s_cmp_ge_u32 s0, s33
	s_cselect_b32 s46, s1, s0
	s_mov_b64 s[0:1], s[46:47]
.LBB31_122:                             ;   in Loop: Header=BB31_32 Depth=1
	s_sub_u32 s10, s8, s0
	s_subb_u32 s11, s11, s1
	v_cmp_gt_i64_e32 vcc, s[10:11], v[0:1]
                                        ; implicit-def: $vgpr5_vgpr6
	s_and_saveexec_b64 s[2:3], vcc
	s_cbranch_execz .LBB31_131
; %bb.123:                              ;   in Loop: Header=BB31_32 Depth=1
	v_mov_b32_e32 v12, v1
	s_mov_b64 s[36:37], 0
	v_mov_b32_e32 v13, v46
	v_mov_b32_e32 v11, v0
                                        ; implicit-def: $sgpr0_sgpr1
	s_branch .LBB31_126
.LBB31_124:                             ;   in Loop: Header=BB31_126 Depth=2
	s_or_b64 exec, exec, s[42:43]
	s_waitcnt lgkmcnt(0)
	s_barrier
	ds_read_b128 v[3:6], v18 offset:3072
	s_mov_b64 s[42:43], -1
	s_mov_b64 s[44:45], -1
	s_waitcnt lgkmcnt(0)
	s_barrier
	v_cmp_ne_u64_e32 vcc, 0, v[3:4]
	s_cbranch_vccz .LBB31_129
.LBB31_125:                             ;   in Loop: Header=BB31_126 Depth=2
	s_and_b64 s[8:9], exec, s[42:43]
	s_or_b64 s[36:37], s[8:9], s[36:37]
	s_andn2_b64 s[0:1], s[0:1], exec
	s_and_b64 s[8:9], s[44:45], exec
	s_or_b64 s[0:1], s[0:1], s[8:9]
	s_andn2_b64 exec, exec, s[36:37]
	s_cbranch_execz .LBB31_130
.LBB31_126:                             ;   Parent Loop BB31_32 Depth=1
                                        ; =>  This Inner Loop Header: Depth=2
	v_cmp_gt_u64_e32 vcc, s[26:27], v[11:12]
	s_and_saveexec_b64 s[42:43], vcc
	s_cbranch_execz .LBB31_124
; %bb.127:                              ;   in Loop: Header=BB31_126 Depth=2
	ds_read_b64 v[4:5], v13
	s_waitcnt lgkmcnt(0)
	v_xor_b32_e32 v3, 0x80000000, v5
	v_and_b32_e32 v38, v3, v34
	v_and_b32_e32 v37, v4, v33
	v_cmp_eq_u64_e32 vcc, v[37:38], v[31:32]
	s_and_b64 exec, exec, vcc
	s_cbranch_execz .LBB31_124
; %bb.128:                              ;   in Loop: Header=BB31_126 Depth=2
	v_mov_b32_e32 v3, v18
	ds_write_b128 v18, v[2:5] offset:3072
	s_branch .LBB31_124
.LBB31_129:                             ;   in Loop: Header=BB31_126 Depth=2
	v_add_co_u32_e32 v11, vcc, s33, v11
	v_addc_co_u32_e32 v12, vcc, 0, v12, vcc
	v_cmp_le_i64_e32 vcc, s[10:11], v[11:12]
	v_add_u32_e32 v13, s18, v13
	s_mov_b64 s[44:45], 0
	s_orn2_b64 s[42:43], vcc, exec
	s_branch .LBB31_125
.LBB31_130:                             ;   in Loop: Header=BB31_32 Depth=1
	s_or_b64 exec, exec, s[36:37]
	s_andn2_b64 s[8:9], s[40:41], exec
	s_and_b64 s[0:1], s[0:1], exec
	s_or_b64 s[40:41], s[8:9], s[0:1]
.LBB31_131:                             ;   in Loop: Header=BB31_32 Depth=1
	s_or_b64 exec, exec, s[2:3]
	s_mov_b64 s[10:11], 0
	s_mov_b64 s[36:37], -1
.LBB31_132:                             ;   in Loop: Header=BB31_32 Depth=1
	s_orn2_b64 s[0:1], s[40:41], exec
.LBB31_133:                             ;   in Loop: Header=BB31_32 Depth=1
	s_or_b64 exec, exec, s[16:17]
	s_andn2_b64 s[2:3], s[82:83], exec
	s_and_b64 s[8:9], s[36:37], exec
	s_or_b64 s[82:83], s[2:3], s[8:9]
	s_andn2_b64 s[2:3], s[80:81], exec
	s_and_b64 s[8:9], s[10:11], exec
	s_andn2_b64 s[78:79], s[78:79], exec
	s_or_b64 s[80:81], s[2:3], s[8:9]
                                        ; implicit-def: $vgpr11_vgpr12
	s_and_saveexec_b64 s[16:17], s[0:1]
	s_cbranch_execz .LBB31_31
; %bb.134:                              ;   in Loop: Header=BB31_32 Depth=1
	v_mov_b32_e32 v11, 1
	s_xor_b64 s[0:1], s[20:21], -1
	v_mov_b32_e32 v37, 1
	v_mov_b32_e32 v12, 0
	s_mov_b64 s[10:11], 0
	s_and_saveexec_b64 s[2:3], s[0:1]
	s_cbranch_execz .LBB31_143
; %bb.135:                              ;   in Loop: Header=BB31_32 Depth=1
	v_cmp_le_i64_e32 vcc, v[35:36], v[7:8]
	s_and_saveexec_b64 s[0:1], vcc
	s_xor_b64 s[0:1], exec, s[0:1]
	s_cbranch_execz .LBB31_140
; %bb.136:                              ;   in Loop: Header=BB31_32 Depth=1
	ds_read_b64 v[3:4], v18 offset:5120
	v_and_b32_e32 v32, s89, v32
	v_and_b32_e32 v31, s88, v31
	v_or_b32_e32 v34, s15, v34
	v_or_b32_e32 v33, s14, v33
	s_waitcnt lgkmcnt(0)
	v_cmp_ne_u64_e32 vcc, 0, v[3:4]
	s_cbranch_vccnz .LBB31_140
; %bb.137:                              ;   in Loop: Header=BB31_32 Depth=1
	s_mov_b64 s[6:7], exec
	v_readlane_b32 s8, v60, 8
	v_readlane_b32 s9, v60, 9
	s_and_b64 s[8:9], s[6:7], s[8:9]
	s_mov_b64 exec, s[8:9]
; %bb.138:                              ;   in Loop: Header=BB31_32 Depth=1
	ds_write_b64 v18, v[7:8] offset:5128
; %bb.139:                              ;   in Loop: Header=BB31_32 Depth=1
	s_or_b64 exec, exec, s[6:7]
	s_waitcnt lgkmcnt(0)
	s_barrier
.LBB31_140:                             ;   in Loop: Header=BB31_32 Depth=1
	s_or_saveexec_b64 s[0:1], s[0:1]
	s_mov_b64 s[6:7], 0
	v_mov_b32_e32 v37, 8
	s_xor_b64 exec, exec, s[0:1]
; %bb.141:                              ;   in Loop: Header=BB31_32 Depth=1
	v_sub_co_u32_e32 v35, vcc, v35, v7
	s_mov_b64 s[6:7], exec
	v_subb_co_u32_e32 v36, vcc, v36, v8, vcc
	v_mov_b32_e32 v37, 0
; %bb.142:                              ;   in Loop: Header=BB31_32 Depth=1
	s_or_b64 exec, exec, s[0:1]
	v_mov_b32_e32 v11, v35
	s_and_b64 s[10:11], s[6:7], exec
	v_mov_b32_e32 v12, v36
.LBB31_143:                             ;   in Loop: Header=BB31_32 Depth=1
	s_or_b64 exec, exec, s[2:3]
	s_mov_b64 s[20:21], -1
	s_mov_b64 s[0:1], -1
                                        ; implicit-def: $sgpr6_sgpr7
                                        ; implicit-def: $sgpr86_sgpr87
	s_and_saveexec_b64 s[2:3], s[10:11]
	s_xor_b64 s[26:27], exec, s[2:3]
	s_cbranch_execz .LBB31_285
; %bb.144:                              ;   in Loop: Header=BB31_32 Depth=1
	v_cmp_eq_u64_e32 vcc, 1, v[9:10]
	v_cmp_eq_u64_e64 s[6:7], 1, v[11:12]
                                        ; implicit-def: $sgpr86_sgpr87
	s_and_b64 s[40:41], vcc, s[6:7]
                                        ; implicit-def: $sgpr6_sgpr7
	s_and_saveexec_b64 s[36:37], s[40:41]
	s_cbranch_execz .LBB31_178
; %bb.145:                              ;   in Loop: Header=BB31_32 Depth=1
	ds_read_b64 v[3:4], v18 offset:5120
	s_waitcnt lgkmcnt(0)
	s_barrier
	v_readfirstlane_b32 s42, v3
	v_readfirstlane_b32 s43, v4
	s_mov_b64 s[0:1], exec
	v_readlane_b32 s2, v60, 10
	v_readlane_b32 s3, v60, 11
	s_and_b64 s[2:3], s[0:1], s[2:3]
	s_mov_b64 exec, s[2:3]
; %bb.146:                              ;   in Loop: Header=BB31_32 Depth=1
	v_mov_b32_e32 v17, v18
	ds_write_b64 v55, v[17:18]
; %bb.147:                              ;   in Loop: Header=BB31_32 Depth=1
	s_or_b64 exec, exec, s[0:1]
	s_lshl_b64 s[0:1], 1, s19
	v_and_b32_e32 v3, s89, v32
	v_and_b32_e32 v4, s88, v31
	v_or_b32_e32 v32, s1, v3
	v_or_b32_e32 v31, s0, v4
	v_cmp_gt_i64_e64 s[0:1], s[42:43], 0
	v_or_b32_e32 v34, s15, v34
	v_or_b32_e32 v33, s14, v33
	s_mov_b64 s[6:7], -1
	s_mov_b64 s[86:87], 0
	s_and_b64 vcc, exec, s[0:1]
	s_mov_b64 s[10:11], 0
	s_mov_b64 s[44:45], -1
	s_waitcnt lgkmcnt(0)
	s_barrier
                                        ; implicit-def: $vgpr5_vgpr6
	s_cbranch_vccnz .LBB31_163
; %bb.148:                              ;   in Loop: Header=BB31_32 Depth=1
	s_mov_b32 s56, s47
	s_cmp_lg_u64 s[56:57], 0
	s_cbranch_scc0 .LBB31_205
; %bb.149:                              ;   in Loop: Header=BB31_32 Depth=1
	s_add_u32 s0, s33, 0
	s_addc_u32 s1, 0, 0
	s_xor_b64 s[10:11], s[0:1], 0
	v_cvt_f32_u32_e32 v3, s10
	v_cvt_f32_u32_e32 v4, s11
	s_sub_u32 s2, 0, s10
	s_subb_u32 s3, 0, s11
	v_mac_f32_e32 v3, 0x4f800000, v4
	v_rcp_f32_e32 v3, v3
	v_mul_f32_e32 v3, 0x5f7ffffc, v3
	v_mul_f32_e32 v4, 0x2f800000, v3
	v_trunc_f32_e32 v4, v4
	v_mac_f32_e32 v3, 0xcf800000, v4
	v_cvt_u32_f32_e32 v4, v4
	v_cvt_u32_f32_e32 v3, v3
	v_readfirstlane_b32 s8, v4
	v_readfirstlane_b32 s0, v3
	s_mul_i32 s1, s2, s8
	s_mul_hi_u32 s44, s2, s0
	s_mul_i32 s9, s3, s0
	s_add_i32 s1, s44, s1
	s_mul_i32 s45, s2, s0
	s_add_i32 s1, s1, s9
	s_mul_i32 s44, s0, s1
	s_mul_hi_u32 s46, s0, s45
	s_mul_hi_u32 s9, s0, s1
	s_add_u32 s44, s46, s44
	s_addc_u32 s9, 0, s9
	s_mul_hi_u32 s56, s8, s45
	s_mul_i32 s45, s8, s45
	s_add_u32 s44, s44, s45
	s_mul_hi_u32 s46, s8, s1
	s_addc_u32 s9, s9, s56
	s_addc_u32 s44, s46, 0
	s_mul_i32 s1, s8, s1
	s_add_u32 s1, s9, s1
	s_addc_u32 s9, 0, s44
	s_add_u32 s44, s0, s1
	s_cselect_b64 s[0:1], -1, 0
	s_cmp_lg_u64 s[0:1], 0
	s_addc_u32 s8, s8, s9
	s_mul_i32 s0, s2, s8
	s_mul_hi_u32 s1, s2, s44
	s_add_i32 s0, s1, s0
	s_mul_i32 s3, s3, s44
	s_add_i32 s0, s0, s3
	s_mul_i32 s2, s2, s44
	s_mul_hi_u32 s3, s8, s2
	s_mul_i32 s9, s8, s2
	s_mul_i32 s46, s44, s0
	s_mul_hi_u32 s2, s44, s2
	s_mul_hi_u32 s45, s44, s0
	s_add_u32 s2, s2, s46
	s_addc_u32 s45, 0, s45
	s_add_u32 s2, s2, s9
	s_mul_hi_u32 s1, s8, s0
	s_addc_u32 s2, s45, s3
	s_addc_u32 s1, s1, 0
	s_mul_i32 s0, s8, s0
	s_add_u32 s0, s2, s0
	s_addc_u32 s2, 0, s1
	s_add_u32 s9, s44, s0
	s_cselect_b64 s[0:1], -1, 0
	s_cmp_lg_u64 s[0:1], 0
	s_addc_u32 s8, s8, s2
	s_ashr_i32 s2, s57, 31
	s_add_u32 s0, s54, s2
	s_mov_b32 s3, s2
	s_addc_u32 s1, s57, s2
	s_xor_b64 s[0:1], s[0:1], s[2:3]
	s_mul_i32 s45, s0, s8
	s_mul_hi_u32 s46, s0, s9
	s_mul_hi_u32 s44, s0, s8
	s_add_u32 s45, s46, s45
	s_addc_u32 s44, 0, s44
	s_mul_hi_u32 s56, s1, s9
	s_mul_i32 s9, s1, s9
	s_add_u32 s9, s45, s9
	s_mul_hi_u32 s46, s1, s8
	s_addc_u32 s9, s44, s56
	s_addc_u32 s44, s46, 0
	s_mul_i32 s8, s1, s8
	s_add_u32 s8, s9, s8
	s_addc_u32 s9, 0, s44
	s_mul_i32 s9, s10, s9
	s_mul_hi_u32 s44, s10, s8
	s_add_i32 s9, s44, s9
	s_mul_i32 s44, s11, s8
	s_add_i32 s46, s9, s44
	s_sub_i32 s44, s1, s46
	s_mul_i32 s8, s10, s8
	s_sub_u32 s0, s0, s8
	s_cselect_b64 s[8:9], -1, 0
	s_cmp_lg_u64 s[8:9], 0
	s_subb_u32 s56, s44, s11
	s_sub_u32 s60, s0, s10
	s_cselect_b64 s[44:45], -1, 0
	s_cmp_lg_u64 s[44:45], 0
	s_subb_u32 s61, s56, 0
	s_cmp_ge_u32 s61, s11
	s_cselect_b32 s62, -1, 0
	s_cmp_ge_u32 s60, s10
	s_cselect_b32 s63, -1, 0
	s_cmp_eq_u32 s61, s11
	s_cselect_b32 s62, s63, s62
	s_cmp_lg_u64 s[44:45], 0
	s_subb_u32 s56, s56, s11
	s_sub_u32 s63, s60, s10
	s_cselect_b64 s[44:45], -1, 0
	s_cmp_lg_u64 s[44:45], 0
	s_subb_u32 s44, s56, 0
	s_cmp_lg_u32 s62, 0
	s_cselect_b32 s45, s63, s60
	s_cselect_b32 s44, s44, s61
	s_cmp_lg_u64 s[8:9], 0
	s_subb_u32 s1, s1, s46
	s_cmp_ge_u32 s1, s11
	s_cselect_b32 s8, -1, 0
	s_cmp_ge_u32 s0, s10
	s_cselect_b32 s9, -1, 0
	s_cmp_eq_u32 s1, s11
	s_cselect_b32 s8, s9, s8
	s_cmp_lg_u32 s8, 0
	s_cselect_b32 s1, s44, s1
	s_cselect_b32 s0, s45, s0
	s_xor_b64 s[0:1], s[0:1], s[2:3]
	s_sub_u32 s0, s0, s2
	s_subb_u32 s1, s1, s2
	s_cbranch_execnz .LBB31_151
.LBB31_150:                             ;   in Loop: Header=BB31_32 Depth=1
	v_cvt_f32_u32_e32 v3, s33
	s_sub_i32 s0, 0, s33
	v_rcp_iflag_f32_e32 v3, v3
	v_mul_f32_e32 v3, 0x4f7ffffe, v3
	v_cvt_u32_f32_e32 v3, v3
	v_readfirstlane_b32 s1, v3
	s_mul_i32 s0, s0, s1
	s_mul_hi_u32 s0, s1, s0
	s_add_i32 s1, s1, s0
	s_mul_hi_u32 s0, s54, s1
	s_mul_i32 s0, s0, s33
	s_sub_i32 s0, s54, s0
	s_sub_i32 s1, s0, s33
	s_cmp_ge_u32 s0, s33
	s_cselect_b32 s0, s1, s0
	s_sub_i32 s1, s0, s33
	s_cmp_ge_u32 s0, s33
	s_cselect_b32 s46, s1, s0
	s_mov_b64 s[0:1], s[46:47]
.LBB31_151:                             ;   in Loop: Header=BB31_32 Depth=1
	s_sub_u32 s60, s54, s0
	s_subb_u32 s61, s57, s1
	v_cmp_gt_i64_e32 vcc, s[60:61], v[0:1]
	s_mov_b64 s[44:45], 0
	s_mov_b64 s[10:11], 0
                                        ; implicit-def: $vgpr5_vgpr6
	s_and_saveexec_b64 s[2:3], vcc
	s_cbranch_execz .LBB31_162
; %bb.152:                              ;   in Loop: Header=BB31_32 Depth=1
	v_mov_b32_e32 v7, v15
	v_mov_b32_e32 v14, v1
	;; [unrolled: 1-line block ×4, first 2 shown]
                                        ; implicit-def: $sgpr62_sgpr63
	s_branch .LBB31_155
.LBB31_153:                             ;   in Loop: Header=BB31_155 Depth=2
	s_or_b64 exec, exec, s[0:1]
	s_waitcnt lgkmcnt(0)
	s_barrier
	ds_read_b128 v[3:6], v18 offset:3072
	s_mov_b64 s[0:1], -1
	s_mov_b64 s[64:65], -1
	s_waitcnt lgkmcnt(0)
	s_barrier
	v_cmp_ne_u64_e32 vcc, 0, v[3:4]
	s_cbranch_vccz .LBB31_158
.LBB31_154:                             ;   in Loop: Header=BB31_155 Depth=2
	s_and_b64 s[0:1], exec, s[0:1]
	s_or_b64 s[10:11], s[0:1], s[10:11]
	s_andn2_b64 s[0:1], s[62:63], exec
	s_and_b64 s[8:9], s[64:65], exec
	s_or_b64 s[62:63], s[0:1], s[8:9]
	s_andn2_b64 exec, exec, s[10:11]
	s_cbranch_execz .LBB31_161
.LBB31_155:                             ;   Parent Loop BB31_32 Depth=1
                                        ; =>  This Inner Loop Header: Depth=2
	v_cmp_gt_i64_e32 vcc, s[24:25], v[13:14]
	s_and_saveexec_b64 s[0:1], vcc
	s_cbranch_execz .LBB31_153
; %bb.156:                              ;   in Loop: Header=BB31_155 Depth=2
	global_load_dwordx2 v[4:5], v[7:8], off
	s_waitcnt vmcnt(0)
	v_xor_b32_e32 v3, 0x80000000, v5
	v_and_b32_e32 v36, v3, v34
	v_and_b32_e32 v35, v4, v33
	v_cmp_eq_u64_e32 vcc, v[35:36], v[31:32]
	s_and_b64 exec, exec, vcc
	s_cbranch_execz .LBB31_153
; %bb.157:                              ;   in Loop: Header=BB31_155 Depth=2
	v_mov_b32_e32 v3, v18
	ds_write_b128 v18, v[2:5] offset:3072
	s_branch .LBB31_153
.LBB31_158:                             ;   in Loop: Header=BB31_155 Depth=2
	v_add_co_u32_e32 v13, vcc, s33, v13
	v_addc_co_u32_e32 v14, vcc, 0, v14, vcc
	v_mov_b32_e32 v3, s51
	v_add_co_u32_e32 v7, vcc, s50, v7
	v_addc_co_u32_e32 v8, vcc, v8, v3, vcc
	v_cmp_le_i64_e32 vcc, s[60:61], v[13:14]
	s_mov_b64 s[64:65], 0
	s_orn2_b64 s[0:1], vcc, exec
	s_branch .LBB31_154
.LBB31_159:                             ;   in Loop: Header=BB31_32 Depth=1
                                        ; implicit-def: $sgpr0_sgpr1
	s_andn2_b64 vcc, exec, s[2:3]
	s_cbranch_vccz .LBB31_107
	s_branch .LBB31_108
.LBB31_160:                             ;   in Loop: Header=BB31_32 Depth=1
                                        ; implicit-def: $sgpr0_sgpr1
	s_branch .LBB31_121
.LBB31_161:                             ;   in Loop: Header=BB31_32 Depth=1
	s_or_b64 exec, exec, s[10:11]
	s_and_b64 s[10:11], s[62:63], exec
.LBB31_162:                             ;   in Loop: Header=BB31_32 Depth=1
	s_or_b64 exec, exec, s[2:3]
.LBB31_163:                             ;   in Loop: Header=BB31_32 Depth=1
	s_and_b64 vcc, exec, s[44:45]
	s_cbranch_vccz .LBB31_177
; %bb.164:                              ;   in Loop: Header=BB31_32 Depth=1
	v_readlane_b32 s0, v60, 21
	s_add_u32 s8, s42, s0
	v_readlane_b32 s0, v60, 22
	s_addc_u32 s7, s43, s0
	s_mov_b32 s6, s47
	s_cmp_lg_u64 s[6:7], 0
	s_cbranch_scc0 .LBB31_206
; %bb.165:                              ;   in Loop: Header=BB31_32 Depth=1
	s_add_u32 s0, s33, 0
	s_addc_u32 s1, 0, 0
	s_xor_b64 s[44:45], s[0:1], 0
	v_cvt_f32_u32_e32 v3, s44
	v_cvt_f32_u32_e32 v4, s45
	s_sub_u32 s2, 0, s44
	s_subb_u32 s3, 0, s45
	v_mac_f32_e32 v3, 0x4f800000, v4
	v_rcp_f32_e32 v3, v3
	v_mul_f32_e32 v3, 0x5f7ffffc, v3
	v_mul_f32_e32 v4, 0x2f800000, v3
	v_trunc_f32_e32 v4, v4
	v_mac_f32_e32 v3, 0xcf800000, v4
	v_cvt_u32_f32_e32 v4, v4
	v_cvt_u32_f32_e32 v3, v3
	v_readfirstlane_b32 s6, v4
	v_readfirstlane_b32 s0, v3
	s_mul_i32 s1, s2, s6
	s_mul_hi_u32 s46, s2, s0
	s_mul_i32 s9, s3, s0
	s_add_i32 s1, s46, s1
	s_mul_i32 s56, s2, s0
	s_add_i32 s1, s1, s9
	s_mul_i32 s46, s0, s1
	s_mul_hi_u32 s60, s0, s56
	s_mul_hi_u32 s9, s0, s1
	s_add_u32 s46, s60, s46
	s_addc_u32 s9, 0, s9
	s_mul_hi_u32 s61, s6, s56
	s_mul_i32 s56, s6, s56
	s_add_u32 s46, s46, s56
	s_mul_hi_u32 s60, s6, s1
	s_addc_u32 s9, s9, s61
	s_addc_u32 s46, s60, 0
	s_mul_i32 s1, s6, s1
	s_add_u32 s1, s9, s1
	s_addc_u32 s9, 0, s46
	s_add_u32 s46, s0, s1
	s_cselect_b64 s[0:1], -1, 0
	s_cmp_lg_u64 s[0:1], 0
	s_addc_u32 s6, s6, s9
	s_mul_i32 s0, s2, s6
	s_mul_hi_u32 s1, s2, s46
	s_add_i32 s0, s1, s0
	s_mul_i32 s3, s3, s46
	s_add_i32 s0, s0, s3
	s_mul_i32 s2, s2, s46
	s_mul_hi_u32 s3, s6, s2
	s_mul_i32 s9, s6, s2
	s_mul_i32 s60, s46, s0
	s_mul_hi_u32 s2, s46, s2
	s_mul_hi_u32 s56, s46, s0
	s_add_u32 s2, s2, s60
	s_addc_u32 s56, 0, s56
	s_add_u32 s2, s2, s9
	s_mul_hi_u32 s1, s6, s0
	s_addc_u32 s2, s56, s3
	s_addc_u32 s1, s1, 0
	s_mul_i32 s0, s6, s0
	s_add_u32 s0, s2, s0
	s_addc_u32 s2, 0, s1
	s_add_u32 s9, s46, s0
	s_cselect_b64 s[0:1], -1, 0
	s_cmp_lg_u64 s[0:1], 0
	s_addc_u32 s6, s6, s2
	s_ashr_i32 s2, s7, 31
	s_add_u32 s0, s8, s2
	s_mov_b32 s3, s2
	s_addc_u32 s1, s7, s2
	s_xor_b64 s[0:1], s[0:1], s[2:3]
	s_mul_i32 s56, s0, s6
	s_mul_hi_u32 s60, s0, s9
	s_mul_hi_u32 s46, s0, s6
	s_add_u32 s56, s60, s56
	s_addc_u32 s46, 0, s46
	s_mul_hi_u32 s61, s1, s9
	s_mul_i32 s9, s1, s9
	s_add_u32 s9, s56, s9
	s_mul_hi_u32 s60, s1, s6
	s_addc_u32 s9, s46, s61
	s_addc_u32 s46, s60, 0
	s_mul_i32 s6, s1, s6
	s_add_u32 s6, s9, s6
	s_addc_u32 s9, 0, s46
	s_mul_i32 s9, s44, s9
	s_mul_hi_u32 s46, s44, s6
	s_add_i32 s9, s46, s9
	s_mul_i32 s46, s45, s6
	s_add_i32 s9, s9, s46
	s_sub_i32 s46, s1, s9
	s_mul_i32 s6, s44, s6
	s_sub_u32 s0, s0, s6
	s_cselect_b64 s[60:61], -1, 0
	s_cmp_lg_u64 s[60:61], 0
	s_subb_u32 s6, s46, s45
	s_sub_u32 s46, s0, s44
	s_cselect_b64 s[62:63], -1, 0
	s_cmp_lg_u64 s[62:63], 0
	s_subb_u32 s56, s6, 0
	s_cmp_ge_u32 s56, s45
	s_cselect_b32 s64, -1, 0
	s_cmp_ge_u32 s46, s44
	s_cselect_b32 s65, -1, 0
	s_cmp_eq_u32 s56, s45
	s_cselect_b32 s64, s65, s64
	s_cmp_lg_u64 s[62:63], 0
	s_subb_u32 s6, s6, s45
	s_sub_u32 s65, s46, s44
	s_cselect_b64 s[62:63], -1, 0
	s_cmp_lg_u64 s[62:63], 0
	s_subb_u32 s6, s6, 0
	s_cmp_lg_u32 s64, 0
	s_cselect_b32 s46, s65, s46
	s_cselect_b32 s6, s6, s56
	s_cmp_lg_u64 s[60:61], 0
	s_subb_u32 s1, s1, s9
	s_cmp_ge_u32 s1, s45
	s_cselect_b32 s9, -1, 0
	s_cmp_ge_u32 s0, s44
	s_cselect_b32 s44, -1, 0
	s_cmp_eq_u32 s1, s45
	s_cselect_b32 s9, s44, s9
	s_cmp_lg_u32 s9, 0
	s_cselect_b32 s1, s6, s1
	s_cselect_b32 s0, s46, s0
	s_xor_b64 s[0:1], s[0:1], s[2:3]
	s_sub_u32 s0, s0, s2
	s_subb_u32 s1, s1, s2
	s_cbranch_execnz .LBB31_167
.LBB31_166:                             ;   in Loop: Header=BB31_32 Depth=1
	v_cvt_f32_u32_e32 v3, s33
	s_sub_i32 s0, 0, s33
	v_rcp_iflag_f32_e32 v3, v3
	v_mul_f32_e32 v3, 0x4f7ffffe, v3
	v_cvt_u32_f32_e32 v3, v3
	v_readfirstlane_b32 s1, v3
	s_mul_i32 s0, s0, s1
	s_mul_hi_u32 s0, s1, s0
	s_add_i32 s1, s1, s0
	s_mul_hi_u32 s0, s8, s1
	s_mul_i32 s0, s0, s33
	s_sub_i32 s0, s8, s0
	s_sub_i32 s1, s0, s33
	s_cmp_ge_u32 s0, s33
	s_cselect_b32 s0, s1, s0
	s_sub_i32 s1, s0, s33
	s_cmp_ge_u32 s0, s33
	s_cselect_b32 s46, s1, s0
	s_mov_b64 s[0:1], s[46:47]
.LBB31_167:                             ;   in Loop: Header=BB31_32 Depth=1
	s_sub_u32 s6, s8, s0
	s_subb_u32 s7, s7, s1
	v_cmp_gt_i64_e32 vcc, s[6:7], v[0:1]
                                        ; implicit-def: $vgpr5_vgpr6
	s_and_saveexec_b64 s[2:3], vcc
	s_cbranch_execz .LBB31_176
; %bb.168:                              ;   in Loop: Header=BB31_32 Depth=1
	v_mov_b32_e32 v8, v1
	s_mov_b64 s[0:1], 0
	v_mov_b32_e32 v13, v46
	v_mov_b32_e32 v7, v0
                                        ; implicit-def: $sgpr44_sgpr45
	s_branch .LBB31_171
.LBB31_169:                             ;   in Loop: Header=BB31_171 Depth=2
	s_or_b64 exec, exec, s[60:61]
	s_waitcnt lgkmcnt(0)
	s_barrier
	ds_read_b128 v[3:6], v18 offset:3072
	s_mov_b64 s[60:61], -1
	s_mov_b64 s[62:63], -1
	s_waitcnt lgkmcnt(0)
	s_barrier
	v_cmp_eq_u64_e32 vcc, 0, v[3:4]
	s_cbranch_vccnz .LBB31_174
.LBB31_170:                             ;   in Loop: Header=BB31_171 Depth=2
	s_and_b64 s[8:9], exec, s[60:61]
	s_or_b64 s[0:1], s[8:9], s[0:1]
	s_andn2_b64 s[8:9], s[44:45], exec
	s_and_b64 s[44:45], s[62:63], exec
	s_or_b64 s[44:45], s[8:9], s[44:45]
	s_andn2_b64 exec, exec, s[0:1]
	s_cbranch_execz .LBB31_175
.LBB31_171:                             ;   Parent Loop BB31_32 Depth=1
                                        ; =>  This Inner Loop Header: Depth=2
	v_cmp_gt_u64_e32 vcc, s[42:43], v[7:8]
	s_and_saveexec_b64 s[60:61], vcc
	s_cbranch_execz .LBB31_169
; %bb.172:                              ;   in Loop: Header=BB31_171 Depth=2
	ds_read_b64 v[4:5], v13
	s_waitcnt lgkmcnt(0)
	v_xor_b32_e32 v3, 0x80000000, v5
	v_and_b32_e32 v36, v3, v34
	v_and_b32_e32 v35, v4, v33
	v_cmp_eq_u64_e32 vcc, v[35:36], v[31:32]
	s_and_b64 exec, exec, vcc
	s_cbranch_execz .LBB31_169
; %bb.173:                              ;   in Loop: Header=BB31_171 Depth=2
	v_mov_b32_e32 v3, v18
	ds_write_b128 v18, v[2:5] offset:3072
	s_branch .LBB31_169
.LBB31_174:                             ;   in Loop: Header=BB31_171 Depth=2
	v_add_co_u32_e32 v7, vcc, s33, v7
	v_addc_co_u32_e32 v8, vcc, 0, v8, vcc
	v_cmp_le_i64_e32 vcc, s[6:7], v[7:8]
	v_add_u32_e32 v13, s18, v13
	s_mov_b64 s[62:63], 0
	s_orn2_b64 s[60:61], vcc, exec
	s_branch .LBB31_170
.LBB31_175:                             ;   in Loop: Header=BB31_32 Depth=1
	s_or_b64 exec, exec, s[0:1]
	s_andn2_b64 s[0:1], s[10:11], exec
	s_and_b64 s[6:7], s[44:45], exec
	s_or_b64 s[10:11], s[0:1], s[6:7]
.LBB31_176:                             ;   in Loop: Header=BB31_32 Depth=1
	s_or_b64 exec, exec, s[2:3]
	s_mov_b64 s[6:7], 0
	s_mov_b64 s[86:87], -1
.LBB31_177:                             ;   in Loop: Header=BB31_32 Depth=1
	s_orn2_b64 s[0:1], s[10:11], exec
.LBB31_178:                             ;   in Loop: Header=BB31_32 Depth=1
	s_or_b64 exec, exec, s[36:37]
	s_mov_b64 s[2:3], 0
	s_and_saveexec_b64 s[90:91], s[0:1]
	s_cbranch_execz .LBB31_284
; %bb.179:                              ;   in Loop: Header=BB31_32 Depth=1
	v_mov_b32_e32 v7, 1
	s_xor_b64 s[0:1], s[40:41], -1
	v_mov_b32_e32 v37, 1
	v_mov_b32_e32 v8, 0
	s_and_saveexec_b64 s[10:11], s[0:1]
	s_cbranch_execz .LBB31_189
; %bb.180:                              ;   in Loop: Header=BB31_32 Depth=1
	v_cmp_le_i64_e32 vcc, v[11:12], v[9:10]
	s_and_saveexec_b64 s[0:1], vcc
	s_xor_b64 s[2:3], exec, s[0:1]
	s_cbranch_execz .LBB31_186
; %bb.181:                              ;   in Loop: Header=BB31_32 Depth=1
	s_lshl_b64 s[0:1], 1, s19
	v_and_b32_e32 v3, s89, v32
	v_and_b32_e32 v4, s88, v31
	v_or_b32_e32 v32, s1, v3
	v_or_b32_e32 v31, s0, v4
	ds_read_b64 v[3:4], v18 offset:5120
	v_or_b32_e32 v34, s15, v34
	v_or_b32_e32 v33, s14, v33
	s_waitcnt lgkmcnt(0)
	v_cmp_ne_u64_e32 vcc, 0, v[3:4]
	s_cbranch_vccnz .LBB31_185
; %bb.182:                              ;   in Loop: Header=BB31_32 Depth=1
	s_mov_b64 s[0:1], exec
	v_readlane_b32 s8, v60, 8
	v_readlane_b32 s9, v60, 9
	s_and_b64 s[8:9], s[0:1], s[8:9]
	s_mov_b64 exec, s[8:9]
; %bb.183:                              ;   in Loop: Header=BB31_32 Depth=1
	ds_write_b64 v18, v[9:10] offset:5128
; %bb.184:                              ;   in Loop: Header=BB31_32 Depth=1
	s_or_b64 exec, exec, s[0:1]
	s_waitcnt lgkmcnt(0)
	s_barrier
.LBB31_185:                             ;   in Loop: Header=BB31_32 Depth=1
                                        ; implicit-def: $vgpr7_vgpr8_vgpr9_vgpr10
.LBB31_186:                             ;   in Loop: Header=BB31_32 Depth=1
	s_or_saveexec_b64 s[0:1], s[2:3]
	s_mov_b64 s[2:3], 0
	v_mov_b32_e32 v37, 8
	s_xor_b64 exec, exec, s[0:1]
; %bb.187:                              ;   in Loop: Header=BB31_32 Depth=1
	v_sub_co_u32_e32 v11, vcc, v11, v9
	v_subb_co_u32_e32 v12, vcc, v12, v10, vcc
	v_mov_b32_e32 v37, 0
	s_mov_b64 s[2:3], exec
; %bb.188:                              ;   in Loop: Header=BB31_32 Depth=1
	s_or_b64 exec, exec, s[0:1]
	v_mov_b32_e32 v7, v11
	s_and_b64 s[2:3], s[2:3], exec
	v_mov_b32_e32 v8, v12
.LBB31_189:                             ;   in Loop: Header=BB31_32 Depth=1
	s_or_b64 exec, exec, s[10:11]
	s_mov_b64 s[0:1], -1
                                        ; implicit-def: $sgpr94_sgpr95
                                        ; implicit-def: $sgpr40_sgpr41
	s_and_saveexec_b64 s[92:93], s[2:3]
	s_cbranch_execz .LBB31_283
; %bb.190:                              ;   in Loop: Header=BB31_32 Depth=1
	s_cmp_eq_u64 s[84:85], 1
	v_cmp_eq_u64_e32 vcc, 1, v[7:8]
	s_cselect_b64 s[0:1], -1, 0
	s_and_b64 s[36:37], s[0:1], vcc
	s_mov_b64 s[0:1], -1
                                        ; implicit-def: $sgpr40_sgpr41
                                        ; implicit-def: $sgpr94_sgpr95
	s_and_saveexec_b64 s[42:43], s[36:37]
	s_cbranch_execz .LBB31_224
; %bb.191:                              ;   in Loop: Header=BB31_32 Depth=1
	ds_read_b64 v[3:4], v18 offset:5120
	s_waitcnt lgkmcnt(0)
	s_barrier
	v_readfirstlane_b32 s44, v3
	v_readfirstlane_b32 s45, v4
	s_mov_b64 s[0:1], exec
	v_readlane_b32 s2, v60, 10
	v_readlane_b32 s3, v60, 11
	s_and_b64 s[2:3], s[0:1], s[2:3]
	s_mov_b64 exec, s[2:3]
; %bb.192:                              ;   in Loop: Header=BB31_32 Depth=1
	v_mov_b32_e32 v17, v18
	ds_write_b64 v55, v[17:18]
; %bb.193:                              ;   in Loop: Header=BB31_32 Depth=1
	s_or_b64 exec, exec, s[0:1]
	s_lshl_b64 s[0:1], 2, s19
	v_and_b32_e32 v3, s89, v32
	v_and_b32_e32 v4, s88, v31
	v_or_b32_e32 v32, s1, v3
	v_or_b32_e32 v31, s0, v4
	v_cmp_gt_i64_e64 s[0:1], s[44:45], 0
	v_or_b32_e32 v34, s15, v34
	v_or_b32_e32 v33, s14, v33
	s_mov_b64 s[94:95], -1
	s_mov_b64 s[40:41], 0
	s_and_b64 vcc, exec, s[0:1]
	s_mov_b64 s[10:11], 0
	s_mov_b64 s[60:61], -1
	s_waitcnt lgkmcnt(0)
	s_barrier
                                        ; implicit-def: $vgpr5_vgpr6
	s_cbranch_vccnz .LBB31_209
; %bb.194:                              ;   in Loop: Header=BB31_32 Depth=1
	s_mov_b32 s56, s47
	s_cmp_lg_u64 s[56:57], 0
	s_cbranch_scc0 .LBB31_250
; %bb.195:                              ;   in Loop: Header=BB31_32 Depth=1
	s_add_u32 s0, s33, 0
	s_addc_u32 s1, 0, 0
	s_xor_b64 s[10:11], s[0:1], 0
	v_cvt_f32_u32_e32 v3, s10
	v_cvt_f32_u32_e32 v4, s11
	s_sub_u32 s2, 0, s10
	s_subb_u32 s3, 0, s11
	v_mac_f32_e32 v3, 0x4f800000, v4
	v_rcp_f32_e32 v3, v3
	v_mul_f32_e32 v3, 0x5f7ffffc, v3
	v_mul_f32_e32 v4, 0x2f800000, v3
	v_trunc_f32_e32 v4, v4
	v_mac_f32_e32 v3, 0xcf800000, v4
	v_cvt_u32_f32_e32 v4, v4
	v_cvt_u32_f32_e32 v3, v3
	v_readfirstlane_b32 s8, v4
	v_readfirstlane_b32 s0, v3
	s_mul_i32 s1, s2, s8
	s_mul_hi_u32 s46, s2, s0
	s_mul_i32 s9, s3, s0
	s_add_i32 s1, s46, s1
	s_mul_i32 s56, s2, s0
	s_add_i32 s1, s1, s9
	s_mul_i32 s46, s0, s1
	s_mul_hi_u32 s60, s0, s56
	s_mul_hi_u32 s9, s0, s1
	s_add_u32 s46, s60, s46
	s_addc_u32 s9, 0, s9
	s_mul_hi_u32 s61, s8, s56
	s_mul_i32 s56, s8, s56
	s_add_u32 s46, s46, s56
	s_mul_hi_u32 s60, s8, s1
	s_addc_u32 s9, s9, s61
	s_addc_u32 s46, s60, 0
	s_mul_i32 s1, s8, s1
	s_add_u32 s1, s9, s1
	s_addc_u32 s9, 0, s46
	s_add_u32 s46, s0, s1
	s_cselect_b64 s[0:1], -1, 0
	s_cmp_lg_u64 s[0:1], 0
	s_addc_u32 s8, s8, s9
	s_mul_i32 s0, s2, s8
	s_mul_hi_u32 s1, s2, s46
	s_add_i32 s0, s1, s0
	s_mul_i32 s3, s3, s46
	s_add_i32 s0, s0, s3
	s_mul_i32 s2, s2, s46
	s_mul_hi_u32 s3, s8, s2
	s_mul_i32 s9, s8, s2
	s_mul_i32 s60, s46, s0
	s_mul_hi_u32 s2, s46, s2
	s_mul_hi_u32 s56, s46, s0
	s_add_u32 s2, s2, s60
	s_addc_u32 s56, 0, s56
	s_add_u32 s2, s2, s9
	s_mul_hi_u32 s1, s8, s0
	s_addc_u32 s2, s56, s3
	s_addc_u32 s1, s1, 0
	s_mul_i32 s0, s8, s0
	s_add_u32 s0, s2, s0
	s_addc_u32 s2, 0, s1
	s_add_u32 s9, s46, s0
	s_cselect_b64 s[0:1], -1, 0
	s_cmp_lg_u64 s[0:1], 0
	s_addc_u32 s8, s8, s2
	s_ashr_i32 s2, s57, 31
	s_add_u32 s0, s54, s2
	s_mov_b32 s3, s2
	s_addc_u32 s1, s57, s2
	s_xor_b64 s[0:1], s[0:1], s[2:3]
	s_mul_i32 s56, s0, s8
	s_mul_hi_u32 s60, s0, s9
	s_mul_hi_u32 s46, s0, s8
	s_add_u32 s56, s60, s56
	s_addc_u32 s46, 0, s46
	s_mul_hi_u32 s61, s1, s9
	s_mul_i32 s9, s1, s9
	s_add_u32 s9, s56, s9
	s_mul_hi_u32 s60, s1, s8
	s_addc_u32 s9, s46, s61
	s_addc_u32 s46, s60, 0
	s_mul_i32 s8, s1, s8
	s_add_u32 s8, s9, s8
	s_addc_u32 s9, 0, s46
	s_mul_i32 s9, s10, s9
	s_mul_hi_u32 s46, s10, s8
	s_add_i32 s9, s46, s9
	s_mul_i32 s46, s11, s8
	s_add_i32 s46, s9, s46
	s_sub_i32 s56, s1, s46
	s_mul_i32 s8, s10, s8
	s_sub_u32 s0, s0, s8
	s_cselect_b64 s[8:9], -1, 0
	s_cmp_lg_u64 s[8:9], 0
	s_subb_u32 s56, s56, s11
	s_sub_u32 s62, s0, s10
	s_cselect_b64 s[60:61], -1, 0
	s_cmp_lg_u64 s[60:61], 0
	s_subb_u32 s63, s56, 0
	s_cmp_ge_u32 s63, s11
	s_cselect_b32 s64, -1, 0
	s_cmp_ge_u32 s62, s10
	s_cselect_b32 s65, -1, 0
	s_cmp_eq_u32 s63, s11
	s_cselect_b32 s64, s65, s64
	s_cmp_lg_u64 s[60:61], 0
	s_subb_u32 s56, s56, s11
	s_sub_u32 s65, s62, s10
	s_cselect_b64 s[60:61], -1, 0
	s_cmp_lg_u64 s[60:61], 0
	s_subb_u32 s56, s56, 0
	s_cmp_lg_u32 s64, 0
	s_cselect_b32 s60, s65, s62
	s_cselect_b32 s56, s56, s63
	s_cmp_lg_u64 s[8:9], 0
	s_subb_u32 s1, s1, s46
	s_cmp_ge_u32 s1, s11
	s_cselect_b32 s8, -1, 0
	s_cmp_ge_u32 s0, s10
	s_cselect_b32 s9, -1, 0
	s_cmp_eq_u32 s1, s11
	s_cselect_b32 s8, s9, s8
	s_cmp_lg_u32 s8, 0
	s_cselect_b32 s1, s56, s1
	s_cselect_b32 s0, s60, s0
	s_xor_b64 s[0:1], s[0:1], s[2:3]
	s_sub_u32 s0, s0, s2
	s_subb_u32 s1, s1, s2
	s_cbranch_execnz .LBB31_197
.LBB31_196:                             ;   in Loop: Header=BB31_32 Depth=1
	v_cvt_f32_u32_e32 v3, s33
	s_sub_i32 s0, 0, s33
	v_rcp_iflag_f32_e32 v3, v3
	v_mul_f32_e32 v3, 0x4f7ffffe, v3
	v_cvt_u32_f32_e32 v3, v3
	v_readfirstlane_b32 s1, v3
	s_mul_i32 s0, s0, s1
	s_mul_hi_u32 s0, s1, s0
	s_add_i32 s1, s1, s0
	s_mul_hi_u32 s0, s54, s1
	s_mul_i32 s0, s0, s33
	s_sub_i32 s0, s54, s0
	s_sub_i32 s1, s0, s33
	s_cmp_ge_u32 s0, s33
	s_cselect_b32 s0, s1, s0
	s_sub_i32 s1, s0, s33
	s_cmp_ge_u32 s0, s33
	s_cselect_b32 s46, s1, s0
	s_mov_b64 s[0:1], s[46:47]
.LBB31_197:                             ;   in Loop: Header=BB31_32 Depth=1
	s_sub_u32 s62, s54, s0
	s_subb_u32 s63, s57, s1
	v_cmp_gt_i64_e32 vcc, s[62:63], v[0:1]
	s_mov_b64 s[60:61], 0
	s_mov_b64 s[10:11], 0
                                        ; implicit-def: $vgpr5_vgpr6
	s_and_saveexec_b64 s[2:3], vcc
	s_cbranch_execz .LBB31_208
; %bb.198:                              ;   in Loop: Header=BB31_32 Depth=1
	v_mov_b32_e32 v9, v15
	v_mov_b32_e32 v12, v1
	;; [unrolled: 1-line block ×4, first 2 shown]
                                        ; implicit-def: $sgpr64_sgpr65
	s_branch .LBB31_201
.LBB31_199:                             ;   in Loop: Header=BB31_201 Depth=2
	s_or_b64 exec, exec, s[0:1]
	s_waitcnt lgkmcnt(0)
	s_barrier
	ds_read_b128 v[3:6], v18 offset:3072
	s_mov_b64 s[0:1], -1
	s_mov_b64 s[8:9], -1
	s_waitcnt lgkmcnt(0)
	s_barrier
	v_cmp_ne_u64_e32 vcc, 0, v[3:4]
	s_cbranch_vccz .LBB31_204
.LBB31_200:                             ;   in Loop: Header=BB31_201 Depth=2
	s_and_b64 s[0:1], exec, s[0:1]
	s_or_b64 s[10:11], s[0:1], s[10:11]
	s_andn2_b64 s[0:1], s[64:65], exec
	s_and_b64 s[8:9], s[8:9], exec
	s_or_b64 s[64:65], s[0:1], s[8:9]
	s_andn2_b64 exec, exec, s[10:11]
	s_cbranch_execz .LBB31_207
.LBB31_201:                             ;   Parent Loop BB31_32 Depth=1
                                        ; =>  This Inner Loop Header: Depth=2
	v_cmp_gt_i64_e32 vcc, s[24:25], v[11:12]
	s_and_saveexec_b64 s[0:1], vcc
	s_cbranch_execz .LBB31_199
; %bb.202:                              ;   in Loop: Header=BB31_201 Depth=2
	global_load_dwordx2 v[4:5], v[9:10], off
	s_waitcnt vmcnt(0)
	v_xor_b32_e32 v3, 0x80000000, v5
	v_and_b32_e32 v14, v3, v34
	v_and_b32_e32 v13, v4, v33
	v_cmp_eq_u64_e32 vcc, v[13:14], v[31:32]
	s_and_b64 exec, exec, vcc
	s_cbranch_execz .LBB31_199
; %bb.203:                              ;   in Loop: Header=BB31_201 Depth=2
	v_mov_b32_e32 v3, v18
	ds_write_b128 v18, v[2:5] offset:3072
	s_branch .LBB31_199
.LBB31_204:                             ;   in Loop: Header=BB31_201 Depth=2
	v_add_co_u32_e32 v11, vcc, s33, v11
	v_addc_co_u32_e32 v12, vcc, 0, v12, vcc
	v_mov_b32_e32 v3, s51
	v_add_co_u32_e32 v9, vcc, s50, v9
	v_addc_co_u32_e32 v10, vcc, v10, v3, vcc
	v_cmp_le_i64_e32 vcc, s[62:63], v[11:12]
	s_mov_b64 s[8:9], 0
	s_orn2_b64 s[0:1], vcc, exec
	s_branch .LBB31_200
.LBB31_205:                             ;   in Loop: Header=BB31_32 Depth=1
                                        ; implicit-def: $sgpr0_sgpr1
	s_branch .LBB31_150
.LBB31_206:                             ;   in Loop: Header=BB31_32 Depth=1
                                        ; implicit-def: $sgpr0_sgpr1
	s_branch .LBB31_166
.LBB31_207:                             ;   in Loop: Header=BB31_32 Depth=1
	s_or_b64 exec, exec, s[10:11]
	s_and_b64 s[10:11], s[64:65], exec
.LBB31_208:                             ;   in Loop: Header=BB31_32 Depth=1
	s_or_b64 exec, exec, s[2:3]
.LBB31_209:                             ;   in Loop: Header=BB31_32 Depth=1
	s_and_b64 vcc, exec, s[60:61]
	s_cbranch_vccz .LBB31_223
; %bb.210:                              ;   in Loop: Header=BB31_32 Depth=1
	v_readlane_b32 s0, v60, 21
	s_add_u32 s8, s44, s0
	v_readlane_b32 s0, v60, 22
	s_addc_u32 s41, s45, s0
	s_mov_b32 s40, s47
	s_cmp_lg_u64 s[40:41], 0
	s_cbranch_scc0 .LBB31_251
; %bb.211:                              ;   in Loop: Header=BB31_32 Depth=1
	s_add_u32 s0, s33, 0
	s_addc_u32 s1, 0, 0
	s_xor_b64 s[60:61], s[0:1], 0
	v_cvt_f32_u32_e32 v3, s60
	v_cvt_f32_u32_e32 v4, s61
	s_sub_u32 s2, 0, s60
	s_subb_u32 s3, 0, s61
	s_mov_b32 s95, s69
	v_mac_f32_e32 v3, 0x4f800000, v4
	v_rcp_f32_e32 v3, v3
	v_mul_f32_e32 v3, 0x5f7ffffc, v3
	v_mul_f32_e32 v4, 0x2f800000, v3
	v_trunc_f32_e32 v4, v4
	v_mac_f32_e32 v3, 0xcf800000, v4
	v_cvt_u32_f32_e32 v4, v4
	v_cvt_u32_f32_e32 v3, v3
	v_readfirstlane_b32 s9, v4
	v_readfirstlane_b32 s0, v3
	s_mul_i32 s1, s2, s9
	s_mul_hi_u32 s46, s2, s0
	s_mul_i32 s40, s3, s0
	s_add_i32 s1, s46, s1
	s_mul_i32 s56, s2, s0
	s_add_i32 s1, s1, s40
	s_mul_i32 s46, s0, s1
	s_mul_hi_u32 s62, s0, s56
	s_mul_hi_u32 s40, s0, s1
	s_add_u32 s46, s62, s46
	s_addc_u32 s40, 0, s40
	s_mul_hi_u32 s63, s9, s56
	s_mul_i32 s56, s9, s56
	s_add_u32 s46, s46, s56
	s_mul_hi_u32 s62, s9, s1
	s_addc_u32 s40, s40, s63
	s_addc_u32 s46, s62, 0
	s_mul_i32 s1, s9, s1
	s_add_u32 s1, s40, s1
	s_addc_u32 s40, 0, s46
	s_add_u32 s46, s0, s1
	s_cselect_b64 s[0:1], -1, 0
	s_cmp_lg_u64 s[0:1], 0
	s_addc_u32 s9, s9, s40
	s_mul_i32 s0, s2, s9
	s_mul_hi_u32 s1, s2, s46
	s_add_i32 s0, s1, s0
	s_mul_i32 s3, s3, s46
	s_add_i32 s0, s0, s3
	s_mul_i32 s2, s2, s46
	s_mul_hi_u32 s3, s9, s2
	s_mul_i32 s40, s9, s2
	s_mul_i32 s62, s46, s0
	s_mul_hi_u32 s2, s46, s2
	s_mul_hi_u32 s56, s46, s0
	s_add_u32 s2, s2, s62
	s_addc_u32 s56, 0, s56
	s_add_u32 s2, s2, s40
	s_mul_hi_u32 s1, s9, s0
	s_addc_u32 s2, s56, s3
	s_addc_u32 s1, s1, 0
	s_mul_i32 s0, s9, s0
	s_add_u32 s0, s2, s0
	s_addc_u32 s2, 0, s1
	s_add_u32 s40, s46, s0
	s_cselect_b64 s[0:1], -1, 0
	s_cmp_lg_u64 s[0:1], 0
	s_addc_u32 s9, s9, s2
	s_ashr_i32 s2, s41, 31
	s_add_u32 s0, s8, s2
	s_mov_b32 s3, s2
	s_addc_u32 s1, s41, s2
	s_xor_b64 s[0:1], s[0:1], s[2:3]
	s_mul_i32 s56, s0, s9
	s_mul_hi_u32 s62, s0, s40
	s_mul_hi_u32 s46, s0, s9
	s_add_u32 s56, s62, s56
	s_addc_u32 s46, 0, s46
	s_mul_hi_u32 s63, s1, s40
	s_mul_i32 s40, s1, s40
	s_add_u32 s40, s56, s40
	s_mul_hi_u32 s62, s1, s9
	s_addc_u32 s40, s46, s63
	s_addc_u32 s46, s62, 0
	s_mul_i32 s9, s1, s9
	s_add_u32 s9, s40, s9
	s_addc_u32 s40, 0, s46
	s_mul_i32 s40, s60, s40
	s_mul_hi_u32 s46, s60, s9
	s_add_i32 s40, s46, s40
	s_mul_i32 s46, s61, s9
	s_add_i32 s40, s40, s46
	s_sub_i32 s46, s1, s40
	s_mul_i32 s9, s60, s9
	s_sub_u32 s0, s0, s9
	s_cselect_b64 s[62:63], -1, 0
	s_cmp_lg_u64 s[62:63], 0
	s_subb_u32 s9, s46, s61
	s_sub_u32 s46, s0, s60
	s_cselect_b64 s[64:65], -1, 0
	s_cmp_lg_u64 s[64:65], 0
	s_subb_u32 s56, s9, 0
	s_cmp_ge_u32 s56, s61
	s_cselect_b32 s69, -1, 0
	s_cmp_ge_u32 s46, s60
	s_cselect_b32 s94, -1, 0
	s_cmp_eq_u32 s56, s61
	s_cselect_b32 s69, s94, s69
	s_cmp_lg_u64 s[64:65], 0
	s_subb_u32 s9, s9, s61
	s_sub_u32 s94, s46, s60
	s_cselect_b64 s[64:65], -1, 0
	s_cmp_lg_u64 s[64:65], 0
	s_subb_u32 s9, s9, 0
	s_cmp_lg_u32 s69, 0
	s_cselect_b32 s46, s94, s46
	s_cselect_b32 s9, s9, s56
	s_cmp_lg_u64 s[62:63], 0
	s_subb_u32 s1, s1, s40
	s_cmp_ge_u32 s1, s61
	s_cselect_b32 s40, -1, 0
	s_cmp_ge_u32 s0, s60
	s_cselect_b32 s56, -1, 0
	s_cmp_eq_u32 s1, s61
	s_cselect_b32 s40, s56, s40
	s_cmp_lg_u32 s40, 0
	s_cselect_b32 s1, s9, s1
	s_cselect_b32 s0, s46, s0
	s_xor_b64 s[0:1], s[0:1], s[2:3]
	s_sub_u32 s0, s0, s2
	s_mov_b32 s69, s95
	s_subb_u32 s1, s1, s2
	s_cbranch_execnz .LBB31_213
.LBB31_212:                             ;   in Loop: Header=BB31_32 Depth=1
	v_cvt_f32_u32_e32 v3, s33
	s_sub_i32 s0, 0, s33
	v_rcp_iflag_f32_e32 v3, v3
	v_mul_f32_e32 v3, 0x4f7ffffe, v3
	v_cvt_u32_f32_e32 v3, v3
	v_readfirstlane_b32 s1, v3
	s_mul_i32 s0, s0, s1
	s_mul_hi_u32 s0, s1, s0
	s_add_i32 s1, s1, s0
	s_mul_hi_u32 s0, s8, s1
	s_mul_i32 s0, s0, s33
	s_sub_i32 s0, s8, s0
	s_sub_i32 s1, s0, s33
	s_cmp_ge_u32 s0, s33
	s_cselect_b32 s0, s1, s0
	s_sub_i32 s1, s0, s33
	s_cmp_ge_u32 s0, s33
	s_cselect_b32 s46, s1, s0
	s_mov_b64 s[0:1], s[46:47]
.LBB31_213:                             ;   in Loop: Header=BB31_32 Depth=1
	s_sub_u32 s40, s8, s0
	s_subb_u32 s41, s41, s1
	v_cmp_gt_i64_e32 vcc, s[40:41], v[0:1]
                                        ; implicit-def: $vgpr5_vgpr6
	s_and_saveexec_b64 s[2:3], vcc
	s_cbranch_execz .LBB31_222
; %bb.214:                              ;   in Loop: Header=BB31_32 Depth=1
	v_mov_b32_e32 v10, v1
	s_mov_b64 s[0:1], 0
	v_mov_b32_e32 v11, v46
	v_mov_b32_e32 v9, v0
                                        ; implicit-def: $sgpr60_sgpr61
	s_branch .LBB31_217
.LBB31_215:                             ;   in Loop: Header=BB31_217 Depth=2
	s_or_b64 exec, exec, s[62:63]
	s_waitcnt lgkmcnt(0)
	s_barrier
	ds_read_b128 v[3:6], v18 offset:3072
	s_mov_b64 s[8:9], -1
	s_mov_b64 s[62:63], -1
	s_waitcnt lgkmcnt(0)
	s_barrier
	v_cmp_eq_u64_e32 vcc, 0, v[3:4]
	s_cbranch_vccnz .LBB31_220
.LBB31_216:                             ;   in Loop: Header=BB31_217 Depth=2
	s_and_b64 s[8:9], exec, s[8:9]
	s_or_b64 s[0:1], s[8:9], s[0:1]
	s_andn2_b64 s[8:9], s[60:61], exec
	s_and_b64 s[60:61], s[62:63], exec
	s_or_b64 s[60:61], s[8:9], s[60:61]
	s_andn2_b64 exec, exec, s[0:1]
	s_cbranch_execz .LBB31_221
.LBB31_217:                             ;   Parent Loop BB31_32 Depth=1
                                        ; =>  This Inner Loop Header: Depth=2
	v_cmp_gt_u64_e32 vcc, s[44:45], v[9:10]
	s_and_saveexec_b64 s[62:63], vcc
	s_cbranch_execz .LBB31_215
; %bb.218:                              ;   in Loop: Header=BB31_217 Depth=2
	ds_read_b64 v[4:5], v11
	s_waitcnt lgkmcnt(0)
	v_xor_b32_e32 v3, 0x80000000, v5
	v_and_b32_e32 v13, v3, v34
	v_and_b32_e32 v12, v4, v33
	v_cmp_eq_u64_e32 vcc, v[12:13], v[31:32]
	s_and_b64 exec, exec, vcc
	s_cbranch_execz .LBB31_215
; %bb.219:                              ;   in Loop: Header=BB31_217 Depth=2
	v_mov_b32_e32 v3, v18
	ds_write_b128 v18, v[2:5] offset:3072
	s_branch .LBB31_215
.LBB31_220:                             ;   in Loop: Header=BB31_217 Depth=2
	v_add_co_u32_e32 v9, vcc, s33, v9
	v_addc_co_u32_e32 v10, vcc, 0, v10, vcc
	v_cmp_le_i64_e32 vcc, s[40:41], v[9:10]
	v_add_u32_e32 v11, s18, v11
	s_mov_b64 s[62:63], 0
	s_orn2_b64 s[8:9], vcc, exec
	s_branch .LBB31_216
.LBB31_221:                             ;   in Loop: Header=BB31_32 Depth=1
	s_or_b64 exec, exec, s[0:1]
	s_andn2_b64 s[0:1], s[10:11], exec
	s_and_b64 s[8:9], s[60:61], exec
	s_or_b64 s[10:11], s[0:1], s[8:9]
.LBB31_222:                             ;   in Loop: Header=BB31_32 Depth=1
	s_or_b64 exec, exec, s[2:3]
	s_mov_b64 s[94:95], 0
	s_mov_b64 s[40:41], -1
.LBB31_223:                             ;   in Loop: Header=BB31_32 Depth=1
	s_orn2_b64 s[0:1], s[10:11], exec
.LBB31_224:                             ;   in Loop: Header=BB31_32 Depth=1
	s_or_b64 exec, exec, s[42:43]
	s_mov_b64 s[2:3], 0
	s_and_saveexec_b64 s[42:43], s[0:1]
	s_cbranch_execz .LBB31_282
; %bb.225:                              ;   in Loop: Header=BB31_32 Depth=1
	v_mov_b32_e32 v9, 1
	s_xor_b64 s[0:1], s[36:37], -1
	v_mov_b32_e32 v37, 1
	v_mov_b32_e32 v10, 0
	s_and_saveexec_b64 s[10:11], s[0:1]
	s_cbranch_execz .LBB31_234
; %bb.226:                              ;   in Loop: Header=BB31_32 Depth=1
	v_cmp_ge_i64_e32 vcc, s[84:85], v[7:8]
	s_and_saveexec_b64 s[0:1], vcc
	s_xor_b64 s[2:3], exec, s[0:1]
	s_cbranch_execz .LBB31_231
; %bb.227:                              ;   in Loop: Header=BB31_32 Depth=1
	s_lshl_b64 s[0:1], 2, s19
	v_and_b32_e32 v3, s89, v32
	v_and_b32_e32 v4, s88, v31
	v_or_b32_e32 v32, s1, v3
	v_or_b32_e32 v31, s0, v4
	ds_read_b64 v[3:4], v18 offset:5120
	v_or_b32_e32 v34, s15, v34
	v_or_b32_e32 v33, s14, v33
	s_waitcnt lgkmcnt(0)
	v_cmp_ne_u64_e32 vcc, 0, v[3:4]
	s_cbranch_vccnz .LBB31_231
; %bb.228:                              ;   in Loop: Header=BB31_32 Depth=1
	s_mov_b64 s[0:1], exec
	v_readlane_b32 s8, v60, 8
	v_readlane_b32 s9, v60, 9
	s_and_b64 s[8:9], s[0:1], s[8:9]
	s_mov_b64 exec, s[8:9]
; %bb.229:                              ;   in Loop: Header=BB31_32 Depth=1
	v_mov_b32_e32 v3, s84
	v_mov_b32_e32 v4, s85
	ds_write_b64 v18, v[3:4] offset:5128
; %bb.230:                              ;   in Loop: Header=BB31_32 Depth=1
	s_or_b64 exec, exec, s[0:1]
	s_waitcnt lgkmcnt(0)
	s_barrier
.LBB31_231:                             ;   in Loop: Header=BB31_32 Depth=1
	s_or_saveexec_b64 s[0:1], s[2:3]
	s_mov_b64 s[2:3], 0
	v_mov_b32_e32 v37, 8
	s_xor_b64 exec, exec, s[0:1]
; %bb.232:                              ;   in Loop: Header=BB31_32 Depth=1
	v_subrev_co_u32_e32 v7, vcc, s84, v7
	v_mov_b32_e32 v3, s85
	v_subb_co_u32_e32 v8, vcc, v8, v3, vcc
	v_mov_b32_e32 v37, 0
	s_mov_b64 s[2:3], exec
; %bb.233:                              ;   in Loop: Header=BB31_32 Depth=1
	s_or_b64 exec, exec, s[0:1]
	v_mov_b32_e32 v10, v8
	s_and_b64 s[2:3], s[2:3], exec
	v_mov_b32_e32 v9, v7
.LBB31_234:                             ;   in Loop: Header=BB31_32 Depth=1
	s_or_b64 exec, exec, s[10:11]
	s_mov_b64 s[0:1], -1
                                        ; implicit-def: $sgpr60_sgpr61
                                        ; implicit-def: $sgpr10_sgpr11
	s_and_saveexec_b64 s[84:85], s[2:3]
	s_cbranch_execz .LBB31_281
; %bb.235:                              ;   in Loop: Header=BB31_32 Depth=1
	s_cmp_eq_u64 s[12:13], 1
	v_cmp_eq_u64_e32 vcc, 1, v[9:10]
	s_cselect_b64 s[0:1], -1, 0
	s_and_b64 s[64:65], s[0:1], vcc
	s_mov_b64 s[0:1], -1
                                        ; implicit-def: $sgpr60_sgpr61
                                        ; implicit-def: $sgpr10_sgpr11
	s_mov_b64 s[2:3], exec
	v_writelane_b32 v60, s2, 32
	v_writelane_b32 v60, s3, 33
	s_and_b64 s[2:3], s[2:3], s[64:65]
	s_mov_b64 exec, s[2:3]
	s_cbranch_execz .LBB31_269
; %bb.236:                              ;   in Loop: Header=BB31_32 Depth=1
	ds_read_b64 v[3:4], v18 offset:5120
	s_waitcnt lgkmcnt(0)
	s_barrier
	v_readfirstlane_b32 s44, v3
	v_readfirstlane_b32 s45, v4
	s_mov_b64 s[0:1], exec
	v_readlane_b32 s2, v60, 10
	v_readlane_b32 s3, v60, 11
	s_and_b64 s[2:3], s[0:1], s[2:3]
	s_mov_b64 exec, s[2:3]
; %bb.237:                              ;   in Loop: Header=BB31_32 Depth=1
	v_mov_b32_e32 v17, v18
	ds_write_b64 v55, v[17:18]
; %bb.238:                              ;   in Loop: Header=BB31_32 Depth=1
	s_or_b64 exec, exec, s[0:1]
	v_cmp_gt_i64_e64 s[0:1], s[44:45], 0
	v_or_b32_e32 v32, s15, v32
	v_or_b32_e32 v31, s14, v31
	;; [unrolled: 1-line block ×4, first 2 shown]
	s_mov_b64 s[10:11], -1
	s_mov_b64 s[60:61], 0
	s_and_b64 vcc, exec, s[0:1]
	s_mov_b64 s[62:63], 0
	s_mov_b64 s[2:3], -1
	s_waitcnt lgkmcnt(0)
	s_barrier
                                        ; implicit-def: $vgpr5_vgpr6
	s_cbranch_vccnz .LBB31_254
; %bb.239:                              ;   in Loop: Header=BB31_32 Depth=1
	s_mov_b32 s56, s47
	v_writelane_b32 v60, s64, 34
	s_mov_b32 s89, s69
	s_cmp_lg_u64 s[56:57], 0
	v_writelane_b32 v60, s65, 35
	s_cbranch_scc0 .LBB31_288
; %bb.240:                              ;   in Loop: Header=BB31_32 Depth=1
	s_add_u32 s0, s33, 0
	s_addc_u32 s1, 0, 0
	s_xor_b64 s[62:63], s[0:1], 0
	v_cvt_f32_u32_e32 v3, s62
	v_cvt_f32_u32_e32 v4, s63
	s_sub_u32 s2, 0, s62
	s_subb_u32 s3, 0, s63
	v_mac_f32_e32 v3, 0x4f800000, v4
	v_rcp_f32_e32 v3, v3
	v_mul_f32_e32 v3, 0x5f7ffffc, v3
	v_mul_f32_e32 v4, 0x2f800000, v3
	v_trunc_f32_e32 v4, v4
	v_mac_f32_e32 v3, 0xcf800000, v4
	v_cvt_u32_f32_e32 v4, v4
	v_cvt_u32_f32_e32 v3, v3
	v_readfirstlane_b32 s8, v4
	v_readfirstlane_b32 s0, v3
	s_mul_i32 s1, s2, s8
	s_mul_hi_u32 s36, s2, s0
	s_mul_i32 s9, s3, s0
	s_add_i32 s1, s36, s1
	s_mul_i32 s37, s2, s0
	s_add_i32 s1, s1, s9
	s_mul_i32 s36, s0, s1
	s_mul_hi_u32 s46, s0, s37
	s_mul_hi_u32 s9, s0, s1
	s_add_u32 s36, s46, s36
	s_addc_u32 s9, 0, s9
	s_mul_hi_u32 s56, s8, s37
	s_mul_i32 s37, s8, s37
	s_add_u32 s36, s36, s37
	s_mul_hi_u32 s46, s8, s1
	s_addc_u32 s9, s9, s56
	s_addc_u32 s36, s46, 0
	s_mul_i32 s1, s8, s1
	s_add_u32 s1, s9, s1
	s_addc_u32 s9, 0, s36
	s_add_u32 s36, s0, s1
	s_cselect_b64 s[0:1], -1, 0
	s_cmp_lg_u64 s[0:1], 0
	s_addc_u32 s8, s8, s9
	s_mul_i32 s0, s2, s8
	s_mul_hi_u32 s1, s2, s36
	s_add_i32 s0, s1, s0
	s_mul_i32 s3, s3, s36
	s_add_i32 s0, s0, s3
	s_mul_i32 s2, s2, s36
	s_mul_hi_u32 s3, s8, s2
	s_mul_i32 s9, s8, s2
	s_mul_i32 s46, s36, s0
	s_mul_hi_u32 s2, s36, s2
	s_mul_hi_u32 s37, s36, s0
	s_add_u32 s2, s2, s46
	s_addc_u32 s37, 0, s37
	s_add_u32 s2, s2, s9
	s_mul_hi_u32 s1, s8, s0
	s_addc_u32 s2, s37, s3
	s_addc_u32 s1, s1, 0
	s_mul_i32 s0, s8, s0
	s_add_u32 s0, s2, s0
	s_addc_u32 s2, 0, s1
	s_add_u32 s9, s36, s0
	s_cselect_b64 s[0:1], -1, 0
	s_cmp_lg_u64 s[0:1], 0
	s_addc_u32 s8, s8, s2
	s_ashr_i32 s2, s57, 31
	s_add_u32 s0, s54, s2
	s_mov_b32 s3, s2
	s_addc_u32 s1, s57, s2
	s_xor_b64 s[0:1], s[0:1], s[2:3]
	s_mul_i32 s37, s0, s8
	s_mul_hi_u32 s46, s0, s9
	s_mul_hi_u32 s36, s0, s8
	s_add_u32 s37, s46, s37
	s_addc_u32 s36, 0, s36
	s_mul_hi_u32 s56, s1, s9
	s_mul_i32 s9, s1, s9
	s_add_u32 s9, s37, s9
	s_mul_hi_u32 s46, s1, s8
	s_addc_u32 s9, s36, s56
	s_addc_u32 s36, s46, 0
	s_mul_i32 s8, s1, s8
	s_add_u32 s8, s9, s8
	s_addc_u32 s9, 0, s36
	s_mul_i32 s9, s62, s9
	s_mul_hi_u32 s36, s62, s8
	s_add_i32 s9, s36, s9
	s_mul_i32 s36, s63, s8
	s_add_i32 s46, s9, s36
	s_sub_i32 s36, s1, s46
	s_mul_i32 s8, s62, s8
	s_sub_u32 s0, s0, s8
	s_cselect_b64 s[8:9], -1, 0
	s_cmp_lg_u64 s[8:9], 0
	s_subb_u32 s56, s36, s63
	s_sub_u32 s64, s0, s62
	s_cselect_b64 s[36:37], -1, 0
	s_cmp_lg_u64 s[36:37], 0
	s_subb_u32 s65, s56, 0
	s_cmp_ge_u32 s65, s63
	s_cselect_b32 s69, -1, 0
	s_cmp_ge_u32 s64, s62
	s_cselect_b32 s88, -1, 0
	s_cmp_eq_u32 s65, s63
	s_cselect_b32 s69, s88, s69
	s_cmp_lg_u64 s[36:37], 0
	s_subb_u32 s56, s56, s63
	s_sub_u32 s88, s64, s62
	s_cselect_b64 s[36:37], -1, 0
	s_cmp_lg_u64 s[36:37], 0
	s_subb_u32 s36, s56, 0
	s_cmp_lg_u32 s69, 0
	s_cselect_b32 s37, s88, s64
	s_cselect_b32 s36, s36, s65
	s_cmp_lg_u64 s[8:9], 0
	s_subb_u32 s1, s1, s46
	s_cmp_ge_u32 s1, s63
	s_cselect_b32 s8, -1, 0
	s_cmp_ge_u32 s0, s62
	s_cselect_b32 s9, -1, 0
	s_cmp_eq_u32 s1, s63
	s_cselect_b32 s8, s9, s8
	s_cmp_lg_u32 s8, 0
	s_cselect_b32 s1, s36, s1
	s_cselect_b32 s0, s37, s0
	s_xor_b64 s[0:1], s[0:1], s[2:3]
	s_sub_u32 s0, s0, s2
	s_subb_u32 s1, s1, s2
	s_cbranch_execnz .LBB31_242
.LBB31_241:                             ;   in Loop: Header=BB31_32 Depth=1
	v_cvt_f32_u32_e32 v3, s33
	s_sub_i32 s0, 0, s33
	v_rcp_iflag_f32_e32 v3, v3
	v_mul_f32_e32 v3, 0x4f7ffffe, v3
	v_cvt_u32_f32_e32 v3, v3
	v_readfirstlane_b32 s1, v3
	s_mul_i32 s0, s0, s1
	s_mul_hi_u32 s0, s1, s0
	s_add_i32 s1, s1, s0
	s_mul_hi_u32 s0, s54, s1
	s_mul_i32 s0, s0, s33
	s_sub_i32 s0, s54, s0
	s_sub_i32 s1, s0, s33
	s_cmp_ge_u32 s0, s33
	s_cselect_b32 s0, s1, s0
	s_sub_i32 s1, s0, s33
	s_cmp_ge_u32 s0, s33
	s_cselect_b32 s46, s1, s0
	s_mov_b64 s[0:1], s[46:47]
.LBB31_242:                             ;   in Loop: Header=BB31_32 Depth=1
	s_sub_u32 s64, s54, s0
	s_subb_u32 s65, s57, s1
	v_cmp_gt_i64_e32 vcc, s[64:65], v[0:1]
	s_mov_b64 s[2:3], 0
	s_mov_b64 s[62:63], 0
                                        ; implicit-def: $vgpr5_vgpr6
	s_and_saveexec_b64 s[36:37], vcc
	s_mov_b32 s69, s89
	s_cbranch_execz .LBB31_253
; %bb.243:                              ;   in Loop: Header=BB31_32 Depth=1
	v_mov_b32_e32 v7, v15
	v_mov_b32_e32 v12, v1
	;; [unrolled: 1-line block ×4, first 2 shown]
                                        ; implicit-def: $sgpr0_sgpr1
	s_branch .LBB31_246
.LBB31_244:                             ;   in Loop: Header=BB31_246 Depth=2
	s_or_b64 exec, exec, s[88:89]
	s_waitcnt lgkmcnt(0)
	s_barrier
	ds_read_b128 v[3:6], v18 offset:3072
	s_mov_b64 s[8:9], -1
	s_mov_b64 s[88:89], -1
	s_waitcnt lgkmcnt(0)
	s_barrier
	v_cmp_ne_u64_e32 vcc, 0, v[3:4]
	s_cbranch_vccz .LBB31_249
.LBB31_245:                             ;   in Loop: Header=BB31_246 Depth=2
	s_and_b64 s[8:9], exec, s[8:9]
	s_or_b64 s[62:63], s[8:9], s[62:63]
	s_andn2_b64 s[0:1], s[0:1], exec
	s_and_b64 s[8:9], s[88:89], exec
	s_or_b64 s[0:1], s[0:1], s[8:9]
	s_andn2_b64 exec, exec, s[62:63]
	s_cbranch_execz .LBB31_252
.LBB31_246:                             ;   Parent Loop BB31_32 Depth=1
                                        ; =>  This Inner Loop Header: Depth=2
	v_cmp_gt_i64_e32 vcc, s[24:25], v[11:12]
	s_and_saveexec_b64 s[88:89], vcc
	s_cbranch_execz .LBB31_244
; %bb.247:                              ;   in Loop: Header=BB31_246 Depth=2
	global_load_dwordx2 v[4:5], v[7:8], off
	s_waitcnt vmcnt(0)
	v_xor_b32_e32 v3, 0x80000000, v5
	v_and_b32_e32 v14, v3, v34
	v_and_b32_e32 v13, v4, v33
	v_cmp_eq_u64_e32 vcc, v[13:14], v[31:32]
	s_and_b64 exec, exec, vcc
	s_cbranch_execz .LBB31_244
; %bb.248:                              ;   in Loop: Header=BB31_246 Depth=2
	v_mov_b32_e32 v3, v18
	ds_write_b128 v18, v[2:5] offset:3072
	s_branch .LBB31_244
.LBB31_249:                             ;   in Loop: Header=BB31_246 Depth=2
	v_add_co_u32_e32 v11, vcc, s33, v11
	v_addc_co_u32_e32 v12, vcc, 0, v12, vcc
	v_mov_b32_e32 v3, s51
	v_add_co_u32_e32 v7, vcc, s50, v7
	v_addc_co_u32_e32 v8, vcc, v8, v3, vcc
	v_cmp_le_i64_e32 vcc, s[64:65], v[11:12]
	s_mov_b64 s[88:89], 0
	s_orn2_b64 s[8:9], vcc, exec
	s_branch .LBB31_245
.LBB31_250:                             ;   in Loop: Header=BB31_32 Depth=1
                                        ; implicit-def: $sgpr0_sgpr1
	s_branch .LBB31_196
.LBB31_251:                             ;   in Loop: Header=BB31_32 Depth=1
                                        ; implicit-def: $sgpr0_sgpr1
	s_branch .LBB31_212
.LBB31_252:                             ;   in Loop: Header=BB31_32 Depth=1
	s_or_b64 exec, exec, s[62:63]
	s_and_b64 s[62:63], s[0:1], exec
.LBB31_253:                             ;   in Loop: Header=BB31_32 Depth=1
	s_or_b64 exec, exec, s[36:37]
	v_readlane_b32 s64, v60, 34
	v_readlane_b32 s65, v60, 35
.LBB31_254:                             ;   in Loop: Header=BB31_32 Depth=1
	s_and_b64 vcc, exec, s[2:3]
	s_cbranch_vccz .LBB31_268
; %bb.255:                              ;   in Loop: Header=BB31_32 Depth=1
	v_readlane_b32 s0, v60, 21
	s_add_u32 s8, s44, s0
	v_readlane_b32 s0, v60, 22
	s_addc_u32 s11, s45, s0
	s_mov_b32 s10, s47
	s_cmp_lg_u64 s[10:11], 0
	s_cbranch_scc0 .LBB31_289
; %bb.256:                              ;   in Loop: Header=BB31_32 Depth=1
	s_add_u32 s0, s33, 0
	s_addc_u32 s1, 0, 0
	s_xor_b64 s[60:61], s[0:1], 0
	v_cvt_f32_u32_e32 v3, s60
	v_cvt_f32_u32_e32 v4, s61
	s_sub_u32 s2, 0, s60
	s_subb_u32 s3, 0, s61
	s_mov_b64 vcc, s[64:65]
	v_mac_f32_e32 v3, 0x4f800000, v4
	v_rcp_f32_e32 v3, v3
	s_mov_b32 s89, s69
	v_mul_f32_e32 v3, 0x5f7ffffc, v3
	v_mul_f32_e32 v4, 0x2f800000, v3
	v_trunc_f32_e32 v4, v4
	v_mac_f32_e32 v3, 0xcf800000, v4
	v_cvt_u32_f32_e32 v4, v4
	v_cvt_u32_f32_e32 v3, v3
	v_readfirstlane_b32 s9, v4
	v_readfirstlane_b32 s0, v3
	s_mul_i32 s1, s2, s9
	s_mul_hi_u32 s36, s2, s0
	s_mul_i32 s10, s3, s0
	s_add_i32 s1, s36, s1
	s_mul_i32 s37, s2, s0
	s_add_i32 s1, s1, s10
	s_mul_i32 s36, s0, s1
	s_mul_hi_u32 s46, s0, s37
	s_mul_hi_u32 s10, s0, s1
	s_add_u32 s36, s46, s36
	s_addc_u32 s10, 0, s10
	s_mul_hi_u32 s56, s9, s37
	s_mul_i32 s37, s9, s37
	s_add_u32 s36, s36, s37
	s_mul_hi_u32 s46, s9, s1
	s_addc_u32 s10, s10, s56
	s_addc_u32 s36, s46, 0
	s_mul_i32 s1, s9, s1
	s_add_u32 s1, s10, s1
	s_addc_u32 s10, 0, s36
	s_add_u32 s36, s0, s1
	s_cselect_b64 s[0:1], -1, 0
	s_cmp_lg_u64 s[0:1], 0
	s_addc_u32 s9, s9, s10
	s_mul_i32 s0, s2, s9
	s_mul_hi_u32 s1, s2, s36
	s_add_i32 s0, s1, s0
	s_mul_i32 s3, s3, s36
	s_add_i32 s0, s0, s3
	s_mul_i32 s2, s2, s36
	s_mul_hi_u32 s3, s9, s2
	s_mul_i32 s10, s9, s2
	s_mul_i32 s46, s36, s0
	s_mul_hi_u32 s2, s36, s2
	s_mul_hi_u32 s37, s36, s0
	s_add_u32 s2, s2, s46
	s_addc_u32 s37, 0, s37
	s_add_u32 s2, s2, s10
	s_mul_hi_u32 s1, s9, s0
	s_addc_u32 s2, s37, s3
	s_addc_u32 s1, s1, 0
	s_mul_i32 s0, s9, s0
	s_add_u32 s0, s2, s0
	s_addc_u32 s2, 0, s1
	s_add_u32 s10, s36, s0
	s_cselect_b64 s[0:1], -1, 0
	s_cmp_lg_u64 s[0:1], 0
	s_addc_u32 s9, s9, s2
	s_ashr_i32 s2, s11, 31
	s_add_u32 s0, s8, s2
	s_mov_b32 s3, s2
	s_addc_u32 s1, s11, s2
	s_xor_b64 s[0:1], s[0:1], s[2:3]
	s_mul_i32 s37, s0, s9
	s_mul_hi_u32 s46, s0, s10
	s_mul_hi_u32 s36, s0, s9
	s_add_u32 s37, s46, s37
	s_addc_u32 s36, 0, s36
	s_mul_hi_u32 s56, s1, s10
	s_mul_i32 s10, s1, s10
	s_add_u32 s10, s37, s10
	s_mul_hi_u32 s46, s1, s9
	s_addc_u32 s10, s36, s56
	s_addc_u32 s36, s46, 0
	s_mul_i32 s9, s1, s9
	s_add_u32 s9, s10, s9
	s_addc_u32 s10, 0, s36
	s_mul_i32 s10, s60, s10
	s_mul_hi_u32 s36, s60, s9
	s_add_i32 s10, s36, s10
	s_mul_i32 s36, s61, s9
	s_add_i32 s10, s10, s36
	s_sub_i32 s46, s1, s10
	s_mul_i32 s9, s60, s9
	s_sub_u32 s0, s0, s9
	s_cselect_b64 s[36:37], -1, 0
	s_cmp_lg_u64 s[36:37], 0
	s_subb_u32 s9, s46, s61
	s_sub_u32 s46, s0, s60
	s_cselect_b64 s[64:65], -1, 0
	s_cmp_lg_u64 s[64:65], 0
	s_subb_u32 s56, s9, 0
	s_cmp_ge_u32 s56, s61
	s_cselect_b32 s69, -1, 0
	s_cmp_ge_u32 s46, s60
	s_cselect_b32 s88, -1, 0
	s_cmp_eq_u32 s56, s61
	s_cselect_b32 s69, s88, s69
	s_cmp_lg_u64 s[64:65], 0
	s_subb_u32 s9, s9, s61
	s_sub_u32 s88, s46, s60
	s_cselect_b64 s[64:65], -1, 0
	s_cmp_lg_u64 s[64:65], 0
	s_subb_u32 s9, s9, 0
	s_cmp_lg_u32 s69, 0
	s_cselect_b32 s46, s88, s46
	s_cselect_b32 s9, s9, s56
	s_cmp_lg_u64 s[36:37], 0
	s_subb_u32 s1, s1, s10
	s_cmp_ge_u32 s1, s61
	s_cselect_b32 s10, -1, 0
	s_cmp_ge_u32 s0, s60
	s_cselect_b32 s36, -1, 0
	s_cmp_eq_u32 s1, s61
	s_cselect_b32 s10, s36, s10
	s_cmp_lg_u32 s10, 0
	s_cselect_b32 s1, s9, s1
	s_cselect_b32 s0, s46, s0
	s_xor_b64 s[0:1], s[0:1], s[2:3]
	s_sub_u32 s0, s0, s2
	s_mov_b64 s[64:65], vcc
	s_mov_b32 s69, s89
	s_subb_u32 s1, s1, s2
	s_cbranch_execnz .LBB31_258
.LBB31_257:                             ;   in Loop: Header=BB31_32 Depth=1
	v_cvt_f32_u32_e32 v3, s33
	s_sub_i32 s0, 0, s33
	v_rcp_iflag_f32_e32 v3, v3
	v_mul_f32_e32 v3, 0x4f7ffffe, v3
	v_cvt_u32_f32_e32 v3, v3
	v_readfirstlane_b32 s1, v3
	s_mul_i32 s0, s0, s1
	s_mul_hi_u32 s0, s1, s0
	s_add_i32 s1, s1, s0
	s_mul_hi_u32 s0, s8, s1
	s_mul_i32 s0, s0, s33
	s_sub_i32 s0, s8, s0
	s_sub_i32 s1, s0, s33
	s_cmp_ge_u32 s0, s33
	s_cselect_b32 s0, s1, s0
	s_sub_i32 s1, s0, s33
	s_cmp_ge_u32 s0, s33
	s_cselect_b32 s46, s1, s0
	s_mov_b64 s[0:1], s[46:47]
.LBB31_258:                             ;   in Loop: Header=BB31_32 Depth=1
	s_sub_u32 s10, s8, s0
	s_subb_u32 s11, s11, s1
	v_cmp_gt_i64_e32 vcc, s[10:11], v[0:1]
                                        ; implicit-def: $vgpr5_vgpr6
	s_and_saveexec_b64 s[2:3], vcc
	s_cbranch_execz .LBB31_267
; %bb.259:                              ;   in Loop: Header=BB31_32 Depth=1
	v_mov_b32_e32 v8, v1
	s_mov_b64 s[0:1], 0
	v_mov_b32_e32 v11, v46
	v_mov_b32_e32 v7, v0
                                        ; implicit-def: $sgpr36_sgpr37
	s_branch .LBB31_262
.LBB31_260:                             ;   in Loop: Header=BB31_262 Depth=2
	s_or_b64 exec, exec, s[60:61]
	s_waitcnt lgkmcnt(0)
	s_barrier
	ds_read_b128 v[3:6], v18 offset:3072
	s_mov_b64 s[8:9], -1
	s_mov_b64 s[60:61], -1
	s_waitcnt lgkmcnt(0)
	s_barrier
	v_cmp_eq_u64_e32 vcc, 0, v[3:4]
	s_cbranch_vccnz .LBB31_265
.LBB31_261:                             ;   in Loop: Header=BB31_262 Depth=2
	s_and_b64 s[8:9], exec, s[8:9]
	s_or_b64 s[0:1], s[8:9], s[0:1]
	s_andn2_b64 s[8:9], s[36:37], exec
	s_and_b64 s[36:37], s[60:61], exec
	s_or_b64 s[36:37], s[8:9], s[36:37]
	s_andn2_b64 exec, exec, s[0:1]
	s_cbranch_execz .LBB31_266
.LBB31_262:                             ;   Parent Loop BB31_32 Depth=1
                                        ; =>  This Inner Loop Header: Depth=2
	v_cmp_gt_u64_e32 vcc, s[44:45], v[7:8]
	s_and_saveexec_b64 s[60:61], vcc
	s_cbranch_execz .LBB31_260
; %bb.263:                              ;   in Loop: Header=BB31_262 Depth=2
	ds_read_b64 v[4:5], v11
	s_waitcnt lgkmcnt(0)
	v_xor_b32_e32 v3, 0x80000000, v5
	v_and_b32_e32 v13, v3, v34
	v_and_b32_e32 v12, v4, v33
	v_cmp_eq_u64_e32 vcc, v[12:13], v[31:32]
	s_and_b64 exec, exec, vcc
	s_cbranch_execz .LBB31_260
; %bb.264:                              ;   in Loop: Header=BB31_262 Depth=2
	v_mov_b32_e32 v3, v18
	ds_write_b128 v18, v[2:5] offset:3072
	s_branch .LBB31_260
.LBB31_265:                             ;   in Loop: Header=BB31_262 Depth=2
	v_add_co_u32_e32 v7, vcc, s33, v7
	v_addc_co_u32_e32 v8, vcc, 0, v8, vcc
	v_cmp_le_i64_e32 vcc, s[10:11], v[7:8]
	v_add_u32_e32 v11, s18, v11
	s_mov_b64 s[60:61], 0
	s_orn2_b64 s[8:9], vcc, exec
	s_branch .LBB31_261
.LBB31_266:                             ;   in Loop: Header=BB31_32 Depth=1
	s_or_b64 exec, exec, s[0:1]
	s_andn2_b64 s[0:1], s[62:63], exec
	s_and_b64 s[8:9], s[36:37], exec
	s_or_b64 s[62:63], s[0:1], s[8:9]
.LBB31_267:                             ;   in Loop: Header=BB31_32 Depth=1
	s_or_b64 exec, exec, s[2:3]
	s_mov_b64 s[10:11], 0
	s_mov_b64 s[60:61], -1
.LBB31_268:                             ;   in Loop: Header=BB31_32 Depth=1
	s_orn2_b64 s[0:1], s[62:63], exec
.LBB31_269:                             ;   in Loop: Header=BB31_32 Depth=1
	v_readlane_b32 s2, v60, 32
	v_readlane_b32 s3, v60, 33
	s_or_b64 exec, exec, s[2:3]
	s_mov_b64 s[2:3], 0
	s_and_saveexec_b64 s[44:45], s[0:1]
	s_cbranch_execz .LBB31_280
; %bb.270:                              ;   in Loop: Header=BB31_32 Depth=1
	v_mov_b32_e32 v3, 1
	s_xor_b64 s[0:1], s[64:65], -1
	v_mov_b32_e32 v4, 0
	v_mov_b32_e32 v37, 1
	s_and_saveexec_b64 s[2:3], s[0:1]
	s_cbranch_execz .LBB31_279
; %bb.271:                              ;   in Loop: Header=BB31_32 Depth=1
	v_cmp_ge_i64_e32 vcc, s[12:13], v[9:10]
	s_and_saveexec_b64 s[0:1], vcc
	s_xor_b64 s[0:1], exec, s[0:1]
	s_cbranch_execz .LBB31_276
; %bb.272:                              ;   in Loop: Header=BB31_32 Depth=1
	ds_read_b64 v[3:4], v18 offset:5120
	v_or_b32_e32 v32, s15, v32
	v_or_b32_e32 v31, s14, v31
	;; [unrolled: 1-line block ×4, first 2 shown]
	s_waitcnt lgkmcnt(0)
	v_cmp_ne_u64_e32 vcc, 0, v[3:4]
	s_cbranch_vccnz .LBB31_276
; %bb.273:                              ;   in Loop: Header=BB31_32 Depth=1
	s_mov_b64 s[8:9], exec
	v_readlane_b32 s14, v60, 8
	v_readlane_b32 s15, v60, 9
	s_and_b64 s[14:15], s[8:9], s[14:15]
	s_mov_b64 exec, s[14:15]
; %bb.274:                              ;   in Loop: Header=BB31_32 Depth=1
	v_mov_b32_e32 v3, s12
	v_mov_b32_e32 v4, s13
	ds_write_b64 v18, v[3:4] offset:5128
; %bb.275:                              ;   in Loop: Header=BB31_32 Depth=1
	s_or_b64 exec, exec, s[8:9]
	s_waitcnt lgkmcnt(0)
	s_barrier
.LBB31_276:                             ;   in Loop: Header=BB31_32 Depth=1
	s_andn2_saveexec_b64 s[0:1], s[0:1]
; %bb.277:                              ;   in Loop: Header=BB31_32 Depth=1
	v_mov_b32_e32 v3, s13
	v_subrev_co_u32_e32 v9, vcc, s12, v9
	v_subb_co_u32_e32 v10, vcc, v10, v3, vcc
; %bb.278:                              ;   in Loop: Header=BB31_32 Depth=1
	s_or_b64 exec, exec, s[0:1]
	v_mov_b32_e32 v3, v9
	v_mov_b32_e32 v37, 8
	;; [unrolled: 1-line block ×3, first 2 shown]
.LBB31_279:                             ;   in Loop: Header=BB31_32 Depth=1
	s_or_b64 exec, exec, s[2:3]
	v_mov_b32_e32 v10, v4
	s_mov_b64 s[2:3], exec
	v_mov_b32_e32 v9, v3
.LBB31_280:                             ;   in Loop: Header=BB31_32 Depth=1
	s_or_b64 exec, exec, s[44:45]
	s_orn2_b64 s[0:1], s[2:3], exec
.LBB31_281:                             ;   in Loop: Header=BB31_32 Depth=1
	s_or_b64 exec, exec, s[84:85]
	s_andn2_b64 s[2:3], s[40:41], exec
	s_and_b64 s[8:9], s[60:61], exec
	s_or_b64 s[40:41], s[2:3], s[8:9]
	s_andn2_b64 s[2:3], s[94:95], exec
	s_and_b64 s[8:9], s[10:11], exec
	v_mov_b32_e32 v7, v9
	s_or_b64 s[94:95], s[2:3], s[8:9]
	s_and_b64 s[2:3], s[0:1], exec
	v_mov_b32_e32 v8, v10
.LBB31_282:                             ;   in Loop: Header=BB31_32 Depth=1
	s_or_b64 exec, exec, s[42:43]
	s_orn2_b64 s[0:1], s[2:3], exec
.LBB31_283:                             ;   in Loop: Header=BB31_32 Depth=1
	s_or_b64 exec, exec, s[92:93]
	s_andn2_b64 s[2:3], s[86:87], exec
	s_and_b64 s[8:9], s[40:41], exec
	s_or_b64 s[86:87], s[2:3], s[8:9]
	s_andn2_b64 s[2:3], s[6:7], exec
	s_and_b64 s[6:7], s[94:95], exec
	v_mov_b32_e32 v12, v8
	s_or_b64 s[6:7], s[2:3], s[6:7]
	s_and_b64 s[2:3], s[0:1], exec
	v_mov_b32_e32 v11, v7
.LBB31_284:                             ;   in Loop: Header=BB31_32 Depth=1
	s_or_b64 exec, exec, s[90:91]
	s_orn2_b64 s[0:1], s[2:3], exec
.LBB31_285:                             ;   in Loop: Header=BB31_32 Depth=1
	s_or_b64 exec, exec, s[26:27]
	s_mov_b64 s[2:3], 0
	s_and_saveexec_b64 s[8:9], s[0:1]
	s_xor_b64 s[0:1], exec, s[8:9]
	s_cbranch_execz .LBB31_30
; %bb.286:                              ;   in Loop: Header=BB31_32 Depth=1
	v_and_b32_e32 v3, 7, v37
	v_cmp_eq_u32_e32 vcc, 0, v3
	s_mov_b64 s[10:11], -1
	s_mov_b64 s[2:3], -1
	s_and_saveexec_b64 s[12:13], vcc
	s_cbranch_execz .LBB31_29
; %bb.287:                              ;   in Loop: Header=BB31_32 Depth=1
	s_xor_b32 s68, s68, 1
	s_add_i32 s14, s19, -2
	s_cmp_eq_u32 s19, 0
	s_cselect_b64 s[8:9], -1, 0
	s_xor_b64 s[2:3], exec, -1
	s_orn2_b64 s[10:11], s[8:9], exec
	s_mov_b32 s19, s14
	s_branch .LBB31_29
.LBB31_288:                             ;   in Loop: Header=BB31_32 Depth=1
                                        ; implicit-def: $sgpr0_sgpr1
	s_andn2_b64 vcc, exec, s[2:3]
	s_cbranch_vccz .LBB31_241
	s_branch .LBB31_242
.LBB31_289:                             ;   in Loop: Header=BB31_32 Depth=1
                                        ; implicit-def: $sgpr0_sgpr1
	s_branch .LBB31_257
.LBB31_290:
	s_or_b64 exec, exec, s[70:71]
	s_xor_b64 s[6:7], s[76:77], -1
	s_xor_b64 s[4:5], s[72:73], -1
	;; [unrolled: 1-line block ×3, first 2 shown]
	s_mov_b64 s[0:1], 0
	s_and_saveexec_b64 s[8:9], s[4:5]
	s_xor_b64 s[4:5], exec, s[8:9]
	s_cbranch_execnz .LBB31_295
; %bb.291:
	s_andn2_saveexec_b64 s[2:3], s[4:5]
	s_cbranch_execnz .LBB31_317
.LBB31_292:
	s_or_b64 exec, exec, s[2:3]
	s_and_saveexec_b64 s[2:3], s[0:1]
.LBB31_293:
	; divergent unreachable
.LBB31_294:
	s_endpgm
.LBB31_295:
	s_and_saveexec_b64 s[0:1], s[6:7]
	s_xor_b64 s[6:7], exec, s[0:1]
	s_cbranch_execz .LBB31_315
; %bb.296:
	s_and_saveexec_b64 s[0:1], s[2:3]
	s_xor_b64 s[0:1], exec, s[0:1]
; %bb.297:
	v_xor_b32_e32 v32, 0x80000000, v32
	v_mov_b32_e32 v5, v31
	v_mov_b32_e32 v6, v32
; %bb.298:
	s_or_b64 exec, exec, s[0:1]
	s_mov_b64 s[0:1], exec
	v_readlane_b32 s2, v60, 8
	v_readlane_b32 s3, v60, 9
	s_and_b64 s[2:3], s[0:1], s[2:3]
	s_mov_b64 exec, s[2:3]
; %bb.299:
	v_mov_b32_e32 v2, 0
	v_mov_b32_e32 v3, s24
	ds_write_b32 v2, v3 offset:5140
; %bb.300:
	s_or_b64 exec, exec, s[0:1]
	s_waitcnt lgkmcnt(0)
	s_barrier
	s_mov_b64 s[8:9], exec
	v_readlane_b32 s0, v60, 17
	v_readlane_b32 s1, v60, 18
	s_and_b64 s[0:1], s[8:9], s[0:1]
	s_mov_b64 exec, s[0:1]
	s_cbranch_execz .LBB31_312
; %bb.301:
	v_mov_b32_e32 v2, 0
	ds_read_b32 v7, v2 offset:5140
	s_mov_b64 s[10:11], 0
                                        ; implicit-def: $sgpr12_sgpr13
                                        ; implicit-def: $sgpr14_sgpr15
                                        ; implicit-def: $sgpr16_sgpr17
	s_waitcnt lgkmcnt(0)
	v_ashrrev_i32_e32 v8, 31, v7
	s_branch .LBB31_304
.LBB31_302:                             ;   in Loop: Header=BB31_304 Depth=1
	s_or_b64 exec, exec, s[20:21]
	s_andn2_b64 s[16:17], s[16:17], exec
	s_and_b64 s[18:19], s[18:19], exec
	s_andn2_b64 s[14:15], s[14:15], exec
	s_and_b64 s[2:3], s[2:3], exec
	s_or_b64 s[16:17], s[16:17], s[18:19]
	s_or_b64 s[14:15], s[14:15], s[2:3]
.LBB31_303:                             ;   in Loop: Header=BB31_304 Depth=1
	s_or_b64 exec, exec, s[0:1]
	s_and_b64 s[0:1], exec, s[14:15]
	s_or_b64 s[10:11], s[0:1], s[10:11]
	s_andn2_b64 s[0:1], s[12:13], exec
	s_and_b64 s[2:3], s[16:17], exec
	s_or_b64 s[12:13], s[0:1], s[2:3]
	s_andn2_b64 exec, exec, s[10:11]
	s_cbranch_execz .LBB31_307
.LBB31_304:                             ; =>This Inner Loop Header: Depth=1
	v_mov_b32_e32 v3, v1
	v_mov_b32_e32 v2, v0
	v_cmp_lt_i64_e32 vcc, v[2:3], v[7:8]
	s_or_b64 s[16:17], s[16:17], exec
	s_or_b64 s[14:15], s[14:15], exec
                                        ; implicit-def: $vgpr0_vgpr1
	s_and_saveexec_b64 s[0:1], vcc
	s_cbranch_execz .LBB31_303
; %bb.305:                              ;   in Loop: Header=BB31_304 Depth=1
	global_load_dwordx2 v[0:1], v[15:16], off
	s_mov_b64 s[2:3], -1
	s_mov_b64 s[18:19], 0
	s_waitcnt vmcnt(0)
	v_cmp_ne_u64_e32 vcc, v[0:1], v[5:6]
                                        ; implicit-def: $vgpr0_vgpr1
	s_and_saveexec_b64 s[20:21], vcc
	s_cbranch_execz .LBB31_302
; %bb.306:                              ;   in Loop: Header=BB31_304 Depth=1
	v_add_co_u32_e32 v0, vcc, s33, v2
	v_addc_co_u32_e32 v1, vcc, 0, v3, vcc
	v_mov_b32_e32 v3, s51
	v_cmp_le_i64_e32 vcc, s[24:25], v[0:1]
	v_add_co_u32_e64 v15, s[2:3], s50, v15
	v_addc_co_u32_e64 v16, s[2:3], v16, v3, s[2:3]
	s_mov_b64 s[18:19], exec
	s_orn2_b64 s[2:3], vcc, exec
	s_branch .LBB31_302
.LBB31_307:
	s_or_b64 exec, exec, s[10:11]
	s_xor_b64 s[0:1], s[12:13], -1
	s_and_saveexec_b64 s[2:3], s[0:1]
	s_xor_b64 s[2:3], exec, s[2:3]
	s_cbranch_execz .LBB31_312
; %bb.308:
	s_mov_b64 s[0:1], exec
	s_brev_b32 s2, -2
.LBB31_309:                             ; =>This Inner Loop Header: Depth=1
	s_ff1_i32_b64 s3, s[0:1]
	v_readlane_b32 s12, v2, s3
	s_lshl_b64 s[10:11], 1, s3
	s_min_i32 s2, s2, s12
	s_andn2_b64 s[0:1], s[0:1], s[10:11]
	s_cmp_lg_u64 s[0:1], 0
	s_cbranch_scc1 .LBB31_309
; %bb.310:
	v_mbcnt_lo_u32_b32 v0, exec_lo, 0
	v_mbcnt_hi_u32_b32 v0, exec_hi, v0
	v_cmp_eq_u32_e32 vcc, 0, v0
	s_and_saveexec_b64 s[0:1], vcc
	s_xor_b64 s[0:1], exec, s[0:1]
; %bb.311:
	v_mov_b32_e32 v0, 0
	v_mov_b32_e32 v1, s2
	ds_min_i32 v0, v1 offset:5140
.LBB31_312:
	s_or_b64 exec, exec, s[8:9]
	s_waitcnt lgkmcnt(0)
	s_barrier
	s_mov_b64 s[0:1], exec
	v_readlane_b32 s2, v60, 8
	v_readlane_b32 s3, v60, 9
	s_and_b64 s[2:3], s[0:1], s[2:3]
	s_mov_b64 exec, s[2:3]
	s_cbranch_execz .LBB31_314
; %bb.313:
	v_readlane_b32 s8, v60, 0
	v_readlane_b32 s9, v60, 1
	s_mul_i32 s2, s8, s29
	s_mul_hi_u32 s3, s8, s28
	s_add_i32 s2, s3, s2
	s_mul_i32 s3, s9, s28
	v_readlane_b32 s10, v60, 2
	s_add_i32 s3, s2, s3
	s_mul_i32 s2, s8, s28
	v_readlane_b32 s11, v60, 3
	s_mul_i32 s8, s10, s39
	s_mul_hi_u32 s9, s10, s38
	s_add_i32 s8, s9, s8
	s_mul_i32 s9, s11, s38
	s_add_i32 s9, s8, s9
	s_mul_i32 s8, s10, s38
	s_lshl_b64 s[2:3], s[2:3], 3
	v_readlane_b32 s10, v60, 4
	v_readlane_b32 s11, v60, 5
	s_add_u32 s10, s10, s2
	s_addc_u32 s11, s11, s3
	s_lshl_b64 s[2:3], s[22:23], 3
	v_mov_b32_e32 v2, 0
	s_add_u32 s2, s10, s2
	ds_read_b32 v0, v2 offset:5140
	s_addc_u32 s3, s11, s3
	s_lshl_b64 s[8:9], s[8:9], 3
	v_readlane_b32 s10, v60, 6
	v_readlane_b32 s11, v60, 7
	s_add_u32 s10, s10, s8
	s_addc_u32 s11, s11, s9
	s_lshl_b64 s[8:9], s[34:35], 3
	s_add_u32 s8, s10, s8
	s_addc_u32 s9, s11, s9
	s_waitcnt lgkmcnt(0)
	v_ashrrev_i32_e32 v1, 31, v0
	global_store_dwordx2 v2, v[0:1], s[8:9]
	global_store_dwordx2 v2, v[5:6], s[2:3]
.LBB31_314:
	s_or_b64 exec, exec, s[0:1]
.LBB31_315:
	s_or_saveexec_b64 s[0:1], s[6:7]
	s_mov_b64 s[2:3], 0
	s_xor_b64 exec, exec, s[0:1]
	s_cbranch_execnz .LBB31_318
.LBB31_316:
	s_or_b64 exec, exec, s[0:1]
	s_and_b64 s[0:1], s[2:3], exec
	s_andn2_saveexec_b64 s[2:3], s[4:5]
	s_cbranch_execz .LBB31_292
.LBB31_317:
	s_or_b64 s[0:1], s[0:1], exec
	s_trap 2
	s_or_b64 exec, exec, s[2:3]
	s_and_saveexec_b64 s[2:3], s[0:1]
	s_cbranch_execnz .LBB31_293
	s_branch .LBB31_294
.LBB31_318:
	s_mov_b64 s[2:3], exec
	s_trap 2
	s_branch .LBB31_316
	.section	.rodata,"a",@progbits
	.p2align	6, 0x0
	.amdhsa_kernel _ZN2at6native12_GLOBAL__N_114gatherKthValueIllLin1EEEvNS_4cuda6detail10TensorInfoIKT_T0_EES8_S8_S8_S8_NS5_IS6_S8_EENS5_IlS8_EE
		.amdhsa_group_segment_fixed_size 5144
		.amdhsa_private_segment_fixed_size 0
		.amdhsa_kernarg_size 1536
		.amdhsa_user_sgpr_count 6
		.amdhsa_user_sgpr_private_segment_buffer 1
		.amdhsa_user_sgpr_dispatch_ptr 0
		.amdhsa_user_sgpr_queue_ptr 0
		.amdhsa_user_sgpr_kernarg_segment_ptr 1
		.amdhsa_user_sgpr_dispatch_id 0
		.amdhsa_user_sgpr_flat_scratch_init 0
		.amdhsa_user_sgpr_private_segment_size 0
		.amdhsa_uses_dynamic_stack 0
		.amdhsa_system_sgpr_private_segment_wavefront_offset 0
		.amdhsa_system_sgpr_workgroup_id_x 1
		.amdhsa_system_sgpr_workgroup_id_y 1
		.amdhsa_system_sgpr_workgroup_id_z 1
		.amdhsa_system_sgpr_workgroup_info 0
		.amdhsa_system_vgpr_workitem_id 0
		.amdhsa_next_free_vgpr 61
		.amdhsa_next_free_sgpr 96
		.amdhsa_reserve_vcc 1
		.amdhsa_reserve_flat_scratch 0
		.amdhsa_float_round_mode_32 0
		.amdhsa_float_round_mode_16_64 0
		.amdhsa_float_denorm_mode_32 3
		.amdhsa_float_denorm_mode_16_64 3
		.amdhsa_dx10_clamp 1
		.amdhsa_ieee_mode 1
		.amdhsa_fp16_overflow 0
		.amdhsa_exception_fp_ieee_invalid_op 0
		.amdhsa_exception_fp_denorm_src 0
		.amdhsa_exception_fp_ieee_div_zero 0
		.amdhsa_exception_fp_ieee_overflow 0
		.amdhsa_exception_fp_ieee_underflow 0
		.amdhsa_exception_fp_ieee_inexact 0
		.amdhsa_exception_int_div_zero 0
	.end_amdhsa_kernel
	.section	.text._ZN2at6native12_GLOBAL__N_114gatherKthValueIllLin1EEEvNS_4cuda6detail10TensorInfoIKT_T0_EES8_S8_S8_S8_NS5_IS6_S8_EENS5_IlS8_EE,"axG",@progbits,_ZN2at6native12_GLOBAL__N_114gatherKthValueIllLin1EEEvNS_4cuda6detail10TensorInfoIKT_T0_EES8_S8_S8_S8_NS5_IS6_S8_EENS5_IlS8_EE,comdat
.Lfunc_end31:
	.size	_ZN2at6native12_GLOBAL__N_114gatherKthValueIllLin1EEEvNS_4cuda6detail10TensorInfoIKT_T0_EES8_S8_S8_S8_NS5_IS6_S8_EENS5_IlS8_EE, .Lfunc_end31-_ZN2at6native12_GLOBAL__N_114gatherKthValueIllLin1EEEvNS_4cuda6detail10TensorInfoIKT_T0_EES8_S8_S8_S8_NS5_IS6_S8_EENS5_IlS8_EE
                                        ; -- End function
	.set _ZN2at6native12_GLOBAL__N_114gatherKthValueIllLin1EEEvNS_4cuda6detail10TensorInfoIKT_T0_EES8_S8_S8_S8_NS5_IS6_S8_EENS5_IlS8_EE.num_vgpr, 61
	.set _ZN2at6native12_GLOBAL__N_114gatherKthValueIllLin1EEEvNS_4cuda6detail10TensorInfoIKT_T0_EES8_S8_S8_S8_NS5_IS6_S8_EENS5_IlS8_EE.num_agpr, 0
	.set _ZN2at6native12_GLOBAL__N_114gatherKthValueIllLin1EEEvNS_4cuda6detail10TensorInfoIKT_T0_EES8_S8_S8_S8_NS5_IS6_S8_EENS5_IlS8_EE.numbered_sgpr, 96
	.set _ZN2at6native12_GLOBAL__N_114gatherKthValueIllLin1EEEvNS_4cuda6detail10TensorInfoIKT_T0_EES8_S8_S8_S8_NS5_IS6_S8_EENS5_IlS8_EE.num_named_barrier, 0
	.set _ZN2at6native12_GLOBAL__N_114gatherKthValueIllLin1EEEvNS_4cuda6detail10TensorInfoIKT_T0_EES8_S8_S8_S8_NS5_IS6_S8_EENS5_IlS8_EE.private_seg_size, 0
	.set _ZN2at6native12_GLOBAL__N_114gatherKthValueIllLin1EEEvNS_4cuda6detail10TensorInfoIKT_T0_EES8_S8_S8_S8_NS5_IS6_S8_EENS5_IlS8_EE.uses_vcc, 1
	.set _ZN2at6native12_GLOBAL__N_114gatherKthValueIllLin1EEEvNS_4cuda6detail10TensorInfoIKT_T0_EES8_S8_S8_S8_NS5_IS6_S8_EENS5_IlS8_EE.uses_flat_scratch, 0
	.set _ZN2at6native12_GLOBAL__N_114gatherKthValueIllLin1EEEvNS_4cuda6detail10TensorInfoIKT_T0_EES8_S8_S8_S8_NS5_IS6_S8_EENS5_IlS8_EE.has_dyn_sized_stack, 0
	.set _ZN2at6native12_GLOBAL__N_114gatherKthValueIllLin1EEEvNS_4cuda6detail10TensorInfoIKT_T0_EES8_S8_S8_S8_NS5_IS6_S8_EENS5_IlS8_EE.has_recursion, 0
	.set _ZN2at6native12_GLOBAL__N_114gatherKthValueIllLin1EEEvNS_4cuda6detail10TensorInfoIKT_T0_EES8_S8_S8_S8_NS5_IS6_S8_EENS5_IlS8_EE.has_indirect_call, 0
	.section	.AMDGPU.csdata,"",@progbits
; Kernel info:
; codeLenInByte = 18532
; TotalNumSgprs: 100
; NumVgprs: 61
; ScratchSize: 0
; MemoryBound: 0
; FloatMode: 240
; IeeeMode: 1
; LDSByteSize: 5144 bytes/workgroup (compile time only)
; SGPRBlocks: 12
; VGPRBlocks: 15
; NumSGPRsForWavesPerEU: 100
; NumVGPRsForWavesPerEU: 61
; Occupancy: 4
; WaveLimiterHint : 1
; COMPUTE_PGM_RSRC2:SCRATCH_EN: 0
; COMPUTE_PGM_RSRC2:USER_SGPR: 6
; COMPUTE_PGM_RSRC2:TRAP_HANDLER: 0
; COMPUTE_PGM_RSRC2:TGID_X_EN: 1
; COMPUTE_PGM_RSRC2:TGID_Y_EN: 1
; COMPUTE_PGM_RSRC2:TGID_Z_EN: 1
; COMPUTE_PGM_RSRC2:TIDIG_COMP_CNT: 0
	.section	.text._ZN2at6native12_GLOBAL__N_114gatherKthValueIsiLi1EEEvNS_4cuda6detail10TensorInfoIKT_T0_EES8_S8_S8_S8_NS5_IS6_S8_EENS5_IlS8_EE,"axG",@progbits,_ZN2at6native12_GLOBAL__N_114gatherKthValueIsiLi1EEEvNS_4cuda6detail10TensorInfoIKT_T0_EES8_S8_S8_S8_NS5_IS6_S8_EENS5_IlS8_EE,comdat
	.globl	_ZN2at6native12_GLOBAL__N_114gatherKthValueIsiLi1EEEvNS_4cuda6detail10TensorInfoIKT_T0_EES8_S8_S8_S8_NS5_IS6_S8_EENS5_IlS8_EE ; -- Begin function _ZN2at6native12_GLOBAL__N_114gatherKthValueIsiLi1EEEvNS_4cuda6detail10TensorInfoIKT_T0_EES8_S8_S8_S8_NS5_IS6_S8_EENS5_IlS8_EE
	.p2align	8
	.type	_ZN2at6native12_GLOBAL__N_114gatherKthValueIsiLi1EEEvNS_4cuda6detail10TensorInfoIKT_T0_EES8_S8_S8_S8_NS5_IS6_S8_EENS5_IlS8_EE,@function
_ZN2at6native12_GLOBAL__N_114gatherKthValueIsiLi1EEEvNS_4cuda6detail10TensorInfoIKT_T0_EES8_S8_S8_S8_NS5_IS6_S8_EENS5_IlS8_EE: ; @_ZN2at6native12_GLOBAL__N_114gatherKthValueIsiLi1EEEvNS_4cuda6detail10TensorInfoIKT_T0_EES8_S8_S8_S8_NS5_IS6_S8_EENS5_IlS8_EE
; %bb.0:
	s_load_dwordx2 s[12:13], s[4:5], 0x298
	s_load_dwordx4 s[60:63], s[4:5], 0xd8
	s_add_u32 s10, s4, 0x298
	s_addc_u32 s11, s5, 0
	s_waitcnt lgkmcnt(0)
	s_mul_i32 s0, s13, s8
	s_add_i32 s0, s0, s7
	s_mul_i32 s0, s0, s12
	s_add_i32 s7, s0, s6
	s_cmp_ge_i32 s7, s62
	s_cbranch_scc1 .LBB32_234
; %bb.1:
	s_load_dwordx2 s[0:1], s[4:5], 0x1c0
                                        ; implicit-def: $vgpr48 : SGPR spill to VGPR lane
	s_mov_b32 s76, 0
	v_cmp_eq_u32_e64 s[14:15], 0, v0
	s_waitcnt lgkmcnt(0)
	v_writelane_b32 v48, s0, 0
	v_writelane_b32 v48, s1, 1
	s_load_dwordx2 s[0:1], s[4:5], 0xe8
	s_waitcnt lgkmcnt(0)
	v_writelane_b32 v48, s0, 2
	v_writelane_b32 v48, s1, 3
	s_load_dword s0, s[4:5], 0x6c
	s_load_dwordx2 s[2:3], s[4:5], 0x0
	s_mov_b64 s[8:9], exec
	v_writelane_b32 v48, s14, 4
	v_writelane_b32 v48, s15, 5
	s_and_b64 s[14:15], s[8:9], s[14:15]
	s_mov_b64 exec, s[14:15]
; %bb.2:
	v_mov_b32_e32 v1, 0
	v_mov_b32_e32 v2, s60
	;; [unrolled: 1-line block ×3, first 2 shown]
	ds_write_b96 v1, v[1:3] offset:4096
; %bb.3:
	s_or_b64 exec, exec, s[8:9]
	s_load_dword s1, s[4:5], 0x22c
                                        ; kill: killed $sgpr4 killed $sgpr5
	s_waitcnt lgkmcnt(0)
	s_barrier
	v_mul_lo_u32 v5, s63, v0
	v_writelane_b32 v48, s1, 6
	s_load_dword s1, s[4:5], 0x154
	s_mul_i32 s0, s0, s7
	s_load_dword s4, s[10:11], 0xc
	v_mov_b32_e32 v7, 0
	v_mbcnt_lo_u32_b32 v1, -1, 0
	s_waitcnt lgkmcnt(0)
	v_writelane_b32 v48, s1, 7
	s_ashr_i32 s1, s0, 31
	s_lshl_b64 s[0:1], s[0:1], 1
	v_mov_b32_e32 v6, v7
	s_add_u32 s62, s2, s0
	v_mbcnt_hi_u32_b32 v17, -1, v1
	v_lshlrev_b64 v[1:2], 1, v[5:6]
	s_addc_u32 s67, s3, s1
	s_and_b32 s66, s4, 0xffff
	s_bfe_u32 s0, s4, 0xa0006
	v_cmp_gt_u32_e32 vcc, 64, v0
	v_cmp_gt_i32_e64 s[4:5], 4, v17
	s_and_b64 s[68:69], vcc, s[4:5]
	s_add_i32 s1, s66, -1
	v_mov_b32_e32 v20, s67
	v_add_co_u32_e32 v8, vcc, s62, v1
	s_lshl_b32 s33, s66, 2
	s_add_i32 s79, s1, s60
	v_addc_co_u32_e32 v9, vcc, v20, v2, vcc
	v_lshlrev_b64 v[2:3], v17, -1
	v_writelane_b32 v48, s7, 8
	s_cmpk_gt_i32 s60, 0x600
	v_writelane_b32 v48, s1, 9
	s_cselect_b64 s[8:9], -1, 0
	v_not_b32_e32 v23, v2
	v_lshrrev_b32_e32 v2, 2, v0
	v_writelane_b32 v48, s8, 10
	v_and_b32_e32 v2, 0xf0, v2
	v_writelane_b32 v48, s9, 11
	v_cmp_gt_u32_e64 s[8:9], s60, v0
	s_cmp_gt_u32 s66, 63
	v_or_b32_e32 v24, 0xc00, v2
	v_cvt_f32_u32_e32 v2, s33
	v_writelane_b32 v48, s8, 12
	s_cselect_b64 s[72:73], -1, 0
	s_cmp_lt_u32 s6, s12
	v_writelane_b32 v48, s9, 13
	v_cmp_gt_i32_e64 s[8:9], s60, v0
	s_cselect_b32 s1, 12, 18
	v_writelane_b32 v48, s8, 14
	s_add_u32 s6, s10, s1
	v_writelane_b32 v48, s9, 15
	s_addc_u32 s7, s11, 0
	v_rcp_iflag_f32_e32 v2, v2
	v_writelane_b32 v48, s6, 16
	s_add_i32 s1, s0, -1
	v_writelane_b32 v48, s7, 17
	s_bfe_u32 s6, s66, 0x30006
	s_and_b32 s1, s1, 0xffff
	s_cmp_gt_u32 s1, 6
	s_cselect_b64 s[8:9], -1, 0
	v_mul_f32_e32 v2, 0x4f7ffffe, v2
	v_writelane_b32 v48, s8, 18
	s_and_b32 s77, s0, 0x3f8
	v_cvt_u32_f32_e32 v2, v2
	v_writelane_b32 v48, s9, 19
	s_cmp_lg_u32 s6, 0
	v_writelane_b32 v48, s6, 20
	s_cselect_b64 s[0:1], -1, 0
	v_writelane_b32 v48, s0, 21
	v_writelane_b32 v48, s1, 22
	s_sub_i32 s0, 0, s33
	v_readfirstlane_b32 s1, v2
	s_mul_i32 s0, s0, s1
	s_mul_hi_u32 s0, s1, s0
	s_add_i32 s8, s1, s0
	s_mul_hi_u32 s0, s60, s8
	s_mul_i32 s0, s0, s33
	s_sub_i32 s0, s60, s0
	s_sub_i32 s1, s0, s33
	s_cmp_ge_u32 s0, s33
	s_cselect_b32 s0, s1, s0
	s_sub_i32 s1, s0, s33
	s_cmp_ge_u32 s0, s33
	s_cselect_b32 s0, s1, s0
	s_sub_i32 s9, s60, s0
	v_add_u32_e32 v25, s9, v0
	v_cvt_f32_u32_e32 v4, s66
	v_mul_lo_u32 v2, v25, s63
	v_not_b32_e32 v22, v3
	s_sub_i32 s7, 0, s66
	v_rcp_iflag_f32_e32 v4, v4
	v_ashrrev_i32_e32 v3, 31, v2
	v_lshlrev_b64 v[2:3], 1, v[2:3]
	s_abs_i32 s6, s79
	v_add_co_u32_e32 v10, vcc, s62, v2
	v_mul_f32_e32 v2, 0x4f7ffffe, v4
	v_cvt_u32_f32_e32 v2, v2
	s_ashr_i32 s1, s79, 31
	v_lshlrev_b32_e32 v16, 2, v0
	v_lshlrev_b32_e32 v18, 1, v0
	v_readfirstlane_b32 s16, v2
	s_mul_i32 s7, s7, s16
	s_mul_hi_u32 s7, s16, s7
	s_add_i32 s7, s16, s7
	v_writelane_b32 v48, s7, 23
	s_mul_hi_u32 s7, s6, s7
	s_mul_i32 s7, s7, s66
	s_sub_i32 s6, s6, s7
	s_sub_i32 s7, s6, s66
	s_cmp_ge_u32 s6, s66
	s_cselect_b32 s6, s7, s6
	s_sub_i32 s7, s6, s66
	v_mul_lo_u32 v2, s63, v16
	s_cmp_ge_u32 s6, s66
	s_cselect_b32 s6, s7, s6
	s_xor_b32 s6, s6, s1
	s_sub_i32 s1, s1, s6
	v_add_u32_e32 v26, s63, v2
	v_or_b32_e32 v2, 2, v16
	s_add_i32 s79, s79, s1
	v_mul_lo_u32 v27, s63, v2
	v_or_b32_e32 v2, 3, v16
	s_add_i32 s1, s66, s60
	v_mul_lo_u32 v28, s63, v2
	v_add_u32_e32 v2, s1, v0
	v_subrev_u32_e32 v2, s0, v2
	v_mul_lo_u32 v31, s63, v2
	v_lshlrev_b32_e32 v1, 2, v17
	v_mov_b32_e32 v6, s67
	v_cmp_gt_i32_e64 s[6:7], s79, v0
	s_mul_i32 s18, s63, s66
	v_cmp_eq_u32_e64 s[2:3], 0, v17
	v_cmp_gt_u32_e64 s[4:5], 2, v0
	v_add_u32_e32 v19, 0xc00, v18
	v_and_b32_e32 v21, 0x100, v1
	v_cmp_gt_i32_e64 s[10:11], s9, v16
	v_cmp_gt_u32_e64 s[12:13], s60, v25
	v_addc_co_u32_e32 v11, vcc, v6, v3, vcc
	v_cmp_gt_i32_e64 s[14:15], s60, v25
	v_writelane_b32 v48, s6, 24
	s_lshl_b32 s74, s18, 2
	v_lshlrev_b32_e32 v29, 2, v5
	v_lshlrev_b32_e32 v32, 3, v0
	s_lshl_b32 s75, s66, 3
	s_lshl_b32 s16, s66, 1
	v_or_b32_e32 v33, 0xc00, v1
	s_mov_b64 s[80:81], 0
	v_mov_b32_e32 v34, 14
	v_mov_b32_e32 v38, s61
	s_mov_b32 s17, 0x8000
	v_mov_b32_e32 v35, 0x5040100
	v_mov_b32_e32 v37, 0
	;; [unrolled: 1-line block ×4, first 2 shown]
	v_writelane_b32 v48, s7, 25
                                        ; implicit-def: $sgpr82_sgpr83
                                        ; implicit-def: $sgpr86_sgpr87
                                        ; implicit-def: $sgpr84_sgpr85
                                        ; implicit-def: $sgpr90_sgpr91
                                        ; implicit-def: $sgpr92_sgpr93
                                        ; implicit-def: $sgpr88_sgpr89
	s_branch .LBB32_7
.LBB32_4:                               ;   in Loop: Header=BB32_7 Depth=1
	s_or_b64 exec, exec, s[30:31]
	s_and_b64 s[30:31], s[28:29], exec
	s_andn2_b64 s[26:27], s[26:27], exec
	s_andn2_b64 s[24:25], s[24:25], exec
	s_orn2_b64 s[20:21], s[20:21], exec
.LBB32_5:                               ;   in Loop: Header=BB32_7 Depth=1
	s_or_b64 exec, exec, s[22:23]
	s_andn2_b64 s[22:23], s[88:89], exec
	s_and_b64 s[28:29], s[30:31], exec
	s_or_b64 s[88:89], s[22:23], s[28:29]
	s_andn2_b64 s[22:23], s[92:93], exec
	s_and_b64 s[26:27], s[26:27], exec
	s_or_b64 s[92:93], s[22:23], s[26:27]
	;; [unrolled: 3-line block ×3, first 2 shown]
	s_orn2_b64 s[20:21], s[20:21], exec
.LBB32_6:                               ;   in Loop: Header=BB32_7 Depth=1
	s_or_b64 exec, exec, s[6:7]
	s_and_b64 s[6:7], exec, s[20:21]
	s_or_b64 s[80:81], s[6:7], s[80:81]
	s_andn2_b64 s[6:7], s[84:85], exec
	s_and_b64 s[20:21], s[88:89], exec
	s_or_b64 s[84:85], s[6:7], s[20:21]
	s_andn2_b64 s[6:7], s[86:87], exec
	s_and_b64 s[20:21], s[92:93], exec
	;; [unrolled: 3-line block ×3, first 2 shown]
	s_or_b64 s[82:83], s[6:7], s[20:21]
	s_mov_b32 s76, s0
	v_mov_b32_e32 v38, v12
	s_andn2_b64 exec, exec, s[80:81]
	s_cbranch_execz .LBB32_230
.LBB32_7:                               ; =>This Loop Header: Depth=1
                                        ;     Child Loop BB32_12 Depth 2
                                        ;     Child Loop BB32_27 Depth 2
	;; [unrolled: 1-line block ×16, first 2 shown]
	ds_read_b64 v[1:2], v7 offset:4096
	s_waitcnt lgkmcnt(0)
	v_readfirstlane_b32 s61, v1
	s_cmp_gt_i32 s61, 0
	s_cbranch_scc1 .LBB32_34
; %bb.8:                                ;   in Loop: Header=BB32_7 Depth=1
	v_readlane_b32 s0, v48, 10
	v_readlane_b32 s1, v48, 11
	s_and_b64 vcc, exec, s[0:1]
	s_cbranch_vccz .LBB32_20
; %bb.9:                                ;   in Loop: Header=BB32_7 Depth=1
	s_movk_i32 s0, 0x601
	v_cmp_gt_i32_e32 vcc, s0, v2
	s_mov_b64 s[20:21], 0
	s_mov_b64 s[6:7], 0
	s_cbranch_vccz .LBB32_21
; %bb.10:                               ;   in Loop: Header=BB32_7 Depth=1
	v_readlane_b32 s0, v48, 16
	v_readlane_b32 s1, v48, 17
	s_nop 4
	global_load_ushort v1, v7, s[0:1]
	global_load_ushort v3, v[8:9], off
	s_mov_b64 s[22:23], 0
	v_mov_b32_e32 v4, v0
	s_waitcnt vmcnt(1)
	v_add_u32_e32 v2, v0, v1
	v_mul_lo_u32 v6, s63, v2
	v_mul_lo_u32 v2, s63, v1
	s_branch .LBB32_12
.LBB32_11:                              ;   in Loop: Header=BB32_12 Depth=2
	s_or_b64 exec, exec, s[6:7]
	v_cmp_le_i32_e32 vcc, s60, v4
	v_add_u32_e32 v6, v6, v2
	s_or_b64 s[22:23], vcc, s[22:23]
	v_mov_b32_e32 v3, v12
	s_andn2_b64 exec, exec, s[22:23]
	s_cbranch_execz .LBB32_66
.LBB32_12:                              ;   Parent Loop BB32_7 Depth=1
                                        ; =>  This Inner Loop Header: Depth=2
	v_add_u32_e32 v4, v4, v1
	v_cmp_gt_u32_e32 vcc, s60, v4
	s_waitcnt lgkmcnt(0)
	v_mov_b32_e32 v13, 0
	v_mov_b32_e32 v12, 0
	s_and_saveexec_b64 s[6:7], vcc
	s_cbranch_execz .LBB32_14
; %bb.13:                               ;   in Loop: Header=BB32_12 Depth=2
	v_lshlrev_b64 v[14:15], 1, v[6:7]
	v_add_co_u32_e32 v14, vcc, s62, v14
	v_addc_co_u32_e32 v15, vcc, v20, v15, vcc
	global_load_ushort v12, v[14:15], off
.LBB32_14:                              ;   in Loop: Header=BB32_12 Depth=2
	s_or_b64 exec, exec, s[6:7]
	s_waitcnt vmcnt(0)
	v_add_u32_sdwa v14, sext(v3), s17 dst_sel:DWORD dst_unused:UNUSED_PAD src0_sel:WORD_0 src1_sel:DWORD
	v_and_b32_e32 v14, v14, v36
	v_cmp_eq_u32_e32 vcc, v14, v30
	s_cmp_lg_u64 vcc, 0
	s_cselect_b64 s[0:1], -1, 0
	s_and_b64 s[0:1], s[2:3], s[0:1]
	s_and_saveexec_b64 s[24:25], s[0:1]
	s_cbranch_execz .LBB32_18
; %bb.15:                               ;   in Loop: Header=BB32_12 Depth=2
	s_mov_b64 s[28:29], exec
	v_mbcnt_lo_u32_b32 v13, s28, 0
	v_mbcnt_hi_u32_b32 v13, s29, v13
	s_bcnt1_i32_b64 s0, vcc
	v_cmp_eq_u32_e64 s[6:7], 0, v13
                                        ; implicit-def: $vgpr14
	s_and_saveexec_b64 s[26:27], s[6:7]
; %bb.16:                               ;   in Loop: Header=BB32_12 Depth=2
	s_bcnt1_i32_b64 s1, s[28:29]
	s_mul_i32 s1, s0, s1
	v_mov_b32_e32 v14, s1
	ds_add_rtn_u32 v14, v7, v14 offset:4104
; %bb.17:                               ;   in Loop: Header=BB32_12 Depth=2
	s_or_b64 exec, exec, s[26:27]
	s_waitcnt lgkmcnt(0)
	v_readfirstlane_b32 s1, v14
	v_mov_b32_e32 v14, s1
	v_mad_u32_u24 v13, s0, v13, v14
.LBB32_18:                              ;   in Loop: Header=BB32_12 Depth=2
	s_or_b64 exec, exec, s[24:25]
	ds_bpermute_b32 v13, v21, v13
	s_and_saveexec_b64 s[6:7], vcc
	s_cbranch_execz .LBB32_11
; %bb.19:                               ;   in Loop: Header=BB32_12 Depth=2
	v_and_b32_e32 v15, vcc_lo, v23
	v_and_b32_e32 v14, vcc_hi, v22
	v_bcnt_u32_b32 v15, v15, 0
	v_bcnt_u32_b32 v14, v14, v15
	v_lshlrev_b32_e32 v14, 1, v14
	s_waitcnt lgkmcnt(0)
	v_lshl_add_u32 v13, v13, 1, v14
	ds_write_b16 v13, v3
	s_branch .LBB32_11
.LBB32_20:                              ;   in Loop: Header=BB32_7 Depth=1
	s_mov_b64 s[20:21], -1
	s_mov_b64 s[6:7], 0
.LBB32_21:                              ;   in Loop: Header=BB32_7 Depth=1
	s_and_b64 vcc, exec, s[20:21]
	s_cbranch_vccz .LBB32_32
.LBB32_22:                              ;   in Loop: Header=BB32_7 Depth=1
	v_mov_b32_e32 v1, 0
	s_mov_b64 s[6:7], exec
	v_readlane_b32 s0, v48, 12
	v_readlane_b32 s1, v48, 13
	s_and_b64 s[0:1], s[6:7], s[0:1]
	s_mov_b64 exec, s[0:1]
	s_cbranch_execz .LBB32_24
; %bb.23:                               ;   in Loop: Header=BB32_7 Depth=1
	global_load_ushort v1, v[8:9], off
.LBB32_24:                              ;   in Loop: Header=BB32_7 Depth=1
	s_or_b64 exec, exec, s[6:7]
	s_mov_b64 s[6:7], exec
	v_readlane_b32 s0, v48, 14
	v_readlane_b32 s1, v48, 15
	s_and_b64 s[0:1], s[6:7], s[0:1]
	s_mov_b64 exec, s[0:1]
	s_cbranch_execz .LBB32_29
; %bb.25:                               ;   in Loop: Header=BB32_7 Depth=1
	v_readlane_b32 s0, v48, 16
	v_readlane_b32 s1, v48, 17
	s_mov_b64 s[20:21], 0
	v_mov_b32_e32 v12, v18
	v_mov_b32_e32 v13, v0
	s_nop 1
	global_load_ushort v2, v7, s[0:1]
	s_waitcnt vmcnt(0)
	v_add_u32_e32 v4, v0, v2
	v_mul_lo_u32 v6, s63, v4
	v_mul_lo_u32 v4, s63, v2
	v_lshlrev_b32_e32 v3, 1, v2
	s_branch .LBB32_27
.LBB32_26:                              ;   in Loop: Header=BB32_27 Depth=2
	s_or_b64 exec, exec, s[22:23]
	v_cmp_le_i32_e32 vcc, s60, v13
	ds_write_b16 v12, v1
	v_add_u32_e32 v12, v12, v3
	v_add_u32_e32 v6, v6, v4
	s_or_b64 s[20:21], vcc, s[20:21]
	s_waitcnt vmcnt(0)
	v_mov_b32_e32 v1, v14
	s_andn2_b64 exec, exec, s[20:21]
	s_cbranch_execz .LBB32_29
.LBB32_27:                              ;   Parent Loop BB32_7 Depth=1
                                        ; =>  This Inner Loop Header: Depth=2
	v_add_u32_e32 v13, v13, v2
	v_cmp_gt_u32_e32 vcc, s60, v13
	v_mov_b32_e32 v14, 0
	s_and_saveexec_b64 s[22:23], vcc
	s_cbranch_execz .LBB32_26
; %bb.28:                               ;   in Loop: Header=BB32_27 Depth=2
	v_lshlrev_b64 v[14:15], 1, v[6:7]
	v_mov_b32_e32 v39, s67
	v_add_co_u32_e32 v14, vcc, s62, v14
	v_addc_co_u32_e32 v15, vcc, v39, v15, vcc
	global_load_ushort v14, v[14:15], off
	s_branch .LBB32_26
.LBB32_29:                              ;   in Loop: Header=BB32_7 Depth=1
	s_or_b64 exec, exec, s[6:7]
	s_waitcnt vmcnt(0) lgkmcnt(0)
	s_barrier
	s_mov_b64 s[6:7], exec
	v_readlane_b32 s0, v48, 4
	v_readlane_b32 s1, v48, 5
	s_and_b64 s[0:1], s[6:7], s[0:1]
	s_mov_b64 exec, s[0:1]
; %bb.30:                               ;   in Loop: Header=BB32_7 Depth=1
	v_mov_b32_e32 v1, s60
	ds_write_b32 v7, v1 offset:4096
; %bb.31:                               ;   in Loop: Header=BB32_7 Depth=1
	s_or_b64 exec, exec, s[6:7]
	s_mov_b64 s[6:7], -1
	s_waitcnt lgkmcnt(0)
	s_barrier
.LBB32_32:                              ;   in Loop: Header=BB32_7 Depth=1
	s_and_b64 vcc, exec, s[6:7]
	s_cbranch_vccz .LBB32_34
; %bb.33:                               ;   in Loop: Header=BB32_7 Depth=1
	ds_read_b32 v1, v7 offset:4096
	s_waitcnt lgkmcnt(0)
	v_readfirstlane_b32 s61, v1
.LBB32_34:                              ;   in Loop: Header=BB32_7 Depth=1
	s_cmp_lt_i32 s61, 1
	s_mov_b64 s[6:7], -1
                                        ; implicit-def: $vgpr1
	s_cbranch_scc1 .LBB32_44
; %bb.35:                               ;   in Loop: Header=BB32_7 Depth=1
	s_and_b64 vcc, exec, s[6:7]
	s_cbranch_vccnz .LBB32_57
.LBB32_36:                              ;   in Loop: Header=BB32_7 Depth=1
	s_lshl_b32 s0, s76, 6
	s_and_saveexec_b64 s[6:7], s[2:3]
.LBB32_37:                              ;   in Loop: Header=BB32_7 Depth=1
	v_lshl_add_u32 v6, s0, 2, v24
	ds_write_b128 v6, v[1:4]
.LBB32_38:                              ;   in Loop: Header=BB32_7 Depth=1
	s_or_b64 exec, exec, s[6:7]
	s_waitcnt vmcnt(0) lgkmcnt(0)
	s_barrier
	s_and_saveexec_b64 s[6:7], s[68:69]
	s_cbranch_execz .LBB32_74
; %bb.39:                               ;   in Loop: Header=BB32_7 Depth=1
	s_andn2_b64 vcc, exec, s[72:73]
	v_mov_b32_e32 v1, 0
	s_cbranch_vccnz .LBB32_73
; %bb.40:                               ;   in Loop: Header=BB32_7 Depth=1
	v_readlane_b32 s20, v48, 18
	v_readlane_b32 s21, v48, 19
	s_andn2_b64 vcc, exec, s[20:21]
	s_cbranch_vccnz .LBB32_69
; %bb.41:                               ;   in Loop: Header=BB32_7 Depth=1
	v_lshl_add_u32 v2, s76, 8, v33
	s_mov_b32 s1, 0
	v_mov_b32_e32 v1, 0
.LBB32_42:                              ;   Parent Loop BB32_7 Depth=1
                                        ; =>  This Inner Loop Header: Depth=2
	ds_read2_b32 v[3:4], v2 offset1:4
	ds_read2_b32 v[12:13], v2 offset0:8 offset1:12
	ds_read2_b32 v[14:15], v2 offset0:16 offset1:20
	;; [unrolled: 1-line block ×3, first 2 shown]
	s_add_i32 s1, s1, 8
	s_waitcnt lgkmcnt(3)
	v_add3_u32 v1, v3, v1, v4
	s_waitcnt lgkmcnt(2)
	v_add3_u32 v1, v12, v1, v13
	;; [unrolled: 2-line block ×3, first 2 shown]
	v_add_u32_e32 v2, 0x80, v2
	s_cmp_eq_u32 s77, s1
	s_waitcnt lgkmcnt(0)
	v_add3_u32 v1, v39, v1, v40
	s_cbranch_scc0 .LBB32_42
; %bb.43:                               ;   in Loop: Header=BB32_7 Depth=1
	s_mov_b32 s1, s77
	s_branch .LBB32_70
.LBB32_44:                              ;   in Loop: Header=BB32_7 Depth=1
	v_mov_b32_e32 v1, 0
	v_mov_b32_e32 v2, 0
	;; [unrolled: 1-line block ×4, first 2 shown]
	s_and_saveexec_b64 s[94:95], s[10:11]
	s_cbranch_execnz .LBB32_47
; %bb.45:                               ;   in Loop: Header=BB32_7 Depth=1
	s_or_b64 exec, exec, s[94:95]
	v_mov_b32_e32 v14, 0
	s_and_saveexec_b64 s[6:7], s[12:13]
	s_cbranch_execnz .LBB32_50
.LBB32_46:                              ;   in Loop: Header=BB32_7 Depth=1
	s_or_b64 exec, exec, s[6:7]
	s_and_saveexec_b64 s[20:21], s[14:15]
	s_cbranch_execnz .LBB32_51
	s_branch .LBB32_56
.LBB32_47:                              ;   in Loop: Header=BB32_7 Depth=1
	s_mov_b32 s19, 0
	s_mov_b64 s[64:65], 0
	s_mov_b32 s78, 0
	s_mov_b32 s0, 0
	;; [unrolled: 1-line block ×4, first 2 shown]
	v_mov_b32_e32 v6, v16
.LBB32_48:                              ;   Parent Loop BB32_7 Depth=1
                                        ; =>  This Inner Loop Header: Depth=2
	v_add_u32_e32 v1, s19, v29
	v_ashrrev_i32_e32 v2, 31, v1
	v_add_u32_e32 v3, s19, v26
	v_lshlrev_b64 v[1:2], 1, v[1:2]
	v_ashrrev_i32_e32 v4, 31, v3
	v_mov_b32_e32 v39, s67
	v_add_u32_e32 v12, s19, v27
	v_lshlrev_b64 v[3:4], 1, v[3:4]
	v_add_co_u32_e64 v1, s[6:7], s62, v1
	v_ashrrev_i32_e32 v13, 31, v12
	v_addc_co_u32_e64 v2, s[6:7], v39, v2, s[6:7]
	v_add_u32_e32 v14, s19, v28
	v_lshlrev_b64 v[12:13], 1, v[12:13]
	v_add_co_u32_e64 v3, s[6:7], s62, v3
	v_ashrrev_i32_e32 v15, 31, v14
	v_addc_co_u32_e64 v4, s[6:7], v39, v4, s[6:7]
	v_lshlrev_b64 v[14:15], 1, v[14:15]
	v_add_co_u32_e64 v12, s[6:7], s62, v12
	v_addc_co_u32_e64 v13, s[6:7], v39, v13, s[6:7]
	v_add_co_u32_e64 v14, s[6:7], s62, v14
	v_addc_co_u32_e64 v15, s[6:7], v39, v15, s[6:7]
	global_load_sshort v1, v[1:2], off
	s_nop 0
	global_load_sshort v2, v[3:4], off
	s_nop 0
	global_load_sshort v3, v[12:13], off
	global_load_sshort v4, v[14:15], off
	v_add_u32_e32 v6, s33, v6
	s_add_i32 s19, s19, s74
	v_cmp_le_i32_e32 vcc, s9, v6
	s_waitcnt vmcnt(3)
	v_add_u32_e32 v1, 0x8000, v1
	s_waitcnt vmcnt(2)
	v_add_u32_e32 v2, 0x8000, v2
	v_and_b32_e32 v12, v1, v36
	v_bfe_u32 v1, v1, v34, 2
	s_waitcnt vmcnt(1)
	v_add_u32_e32 v3, 0x8000, v3
	v_and_b32_e32 v13, v2, v36
	v_bfe_u32 v2, v2, v34, 2
	v_cmp_eq_u32_e64 s[6:7], v12, v30
	v_cmp_eq_u32_e64 s[26:27], 0, v1
	s_waitcnt vmcnt(0)
	v_add_u32_e32 v4, 0x8000, v4
	v_and_b32_e32 v14, v3, v36
	v_bfe_u32 v3, v3, v34, 2
	v_cmp_eq_u32_e64 s[20:21], v13, v30
	v_cmp_eq_u32_e64 s[28:29], 0, v2
	s_and_b64 s[26:27], s[6:7], s[26:27]
	v_and_b32_e32 v15, v4, v36
	v_bfe_u32 v4, v4, v34, 2
	v_cmp_eq_u32_e64 s[22:23], v14, v30
	v_cmp_eq_u32_e64 s[30:31], 0, v3
	;; [unrolled: 1-line block ×5, first 2 shown]
	v_cndmask_b32_e64 v1, 0, 1, s[26:27]
	s_and_b64 s[26:27], s[20:21], s[28:29]
	v_cmp_eq_u32_e64 s[24:25], v15, v30
	v_cmp_eq_u32_e64 s[34:35], 0, v4
	;; [unrolled: 1-line block ×5, first 2 shown]
	v_cndmask_b32_e64 v2, 0, 1, s[26:27]
	s_and_b64 s[26:27], s[22:23], s[30:31]
	v_cmp_eq_u32_e64 s[40:41], 1, v3
	v_cmp_eq_u32_e64 s[48:49], 2, v3
	;; [unrolled: 1-line block ×3, first 2 shown]
	v_cndmask_b32_e64 v3, 0, 1, s[26:27]
	s_and_b64 s[26:27], s[24:25], s[34:35]
	v_cmp_eq_u32_e64 s[42:43], 1, v4
	v_cmp_eq_u32_e64 s[50:51], 2, v4
	;; [unrolled: 1-line block ×3, first 2 shown]
	v_cndmask_b32_e64 v4, 0, 1, s[26:27]
	s_and_b64 s[26:27], s[6:7], s[36:37]
	v_cndmask_b32_e64 v12, 0, 1, s[26:27]
	s_and_b64 s[26:27], s[20:21], s[38:39]
	;; [unrolled: 2-line block ×5, first 2 shown]
	s_and_b64 s[6:7], s[6:7], s[52:53]
	v_cndmask_b32_e64 v39, 0, 1, s[26:27]
	s_and_b64 s[26:27], s[20:21], s[46:47]
	v_cndmask_b32_e64 v43, 0, 1, s[6:7]
	;; [unrolled: 2-line block ×7, first 2 shown]
	v_cndmask_b32_e64 v46, 0, 1, s[6:7]
	v_cmp_ne_u32_e64 s[6:7], 0, v1
	v_cmp_ne_u32_e64 s[20:21], 0, v2
	;; [unrolled: 1-line block ×11, first 2 shown]
	s_bcnt1_i32_b64 s6, s[6:7]
	s_bcnt1_i32_b64 s7, s[20:21]
	;; [unrolled: 1-line block ×8, first 2 shown]
	v_cmp_ne_u32_e64 s[34:35], 0, v15
	v_cmp_ne_u32_e64 s[40:41], 0, v41
	;; [unrolled: 1-line block ×3, first 2 shown]
	s_bcnt1_i32_b64 s23, s[28:29]
	s_bcnt1_i32_b64 s27, s[38:39]
	;; [unrolled: 1-line block ×3, first 2 shown]
	s_add_i32 s6, s70, s6
	s_add_i32 s1, s1, s22
	;; [unrolled: 1-line block ×4, first 2 shown]
	v_cmp_ne_u32_e64 s[42:43], 0, v42
	v_cmp_ne_u32_e64 s[50:51], 0, v46
	s_bcnt1_i32_b64 s25, s[34:35]
	s_bcnt1_i32_b64 s28, s[40:41]
	;; [unrolled: 1-line block ×3, first 2 shown]
	s_add_i32 s6, s6, s7
	s_add_i32 s1, s1, s23
	;; [unrolled: 1-line block ×4, first 2 shown]
	s_bcnt1_i32_b64 s29, s[42:43]
	s_bcnt1_i32_b64 s35, s[50:51]
	s_add_i32 s6, s6, s20
	s_add_i32 s1, s1, s24
	;; [unrolled: 1-line block ×8, first 2 shown]
	s_or_b64 s[64:65], vcc, s[64:65]
	v_mov_b32_e32 v1, s70
	v_mov_b32_e32 v2, s1
	;; [unrolled: 1-line block ×4, first 2 shown]
	s_andn2_b64 exec, exec, s[64:65]
	s_cbranch_execnz .LBB32_48
; %bb.49:                               ;   in Loop: Header=BB32_7 Depth=1
	s_or_b64 exec, exec, s[64:65]
	s_or_b64 exec, exec, s[94:95]
	v_mov_b32_e32 v14, 0
	s_and_saveexec_b64 s[6:7], s[12:13]
	s_cbranch_execz .LBB32_46
.LBB32_50:                              ;   in Loop: Header=BB32_7 Depth=1
	global_load_ushort v14, v[10:11], off
	s_or_b64 exec, exec, s[6:7]
	s_and_saveexec_b64 s[20:21], s[14:15]
	s_cbranch_execz .LBB32_56
.LBB32_51:                              ;   in Loop: Header=BB32_7 Depth=1
	s_mov_b64 s[22:23], 0
	v_mov_b32_e32 v12, v31
	v_mov_b32_e32 v6, v25
	s_branch .LBB32_53
.LBB32_52:                              ;   in Loop: Header=BB32_53 Depth=2
	s_or_b64 exec, exec, s[6:7]
	s_waitcnt vmcnt(0)
	v_add_u32_sdwa v14, sext(v14), s17 dst_sel:DWORD dst_unused:UNUSED_PAD src0_sel:WORD_0 src1_sel:DWORD
	v_and_b32_e32 v15, v14, v36
	v_bfe_u32 v14, v14, v34, 2
	v_cmp_eq_u32_e32 vcc, v15, v30
	v_cmp_eq_u32_e64 s[6:7], 0, v14
	s_and_b64 s[0:1], vcc, s[6:7]
	v_cndmask_b32_e64 v15, 0, 1, s[0:1]
	v_cmp_ne_u32_e64 s[6:7], 0, v15
	s_bcnt1_i32_b64 s0, s[6:7]
	v_cmp_eq_u32_e64 s[6:7], 1, v14
	v_add_u32_e32 v1, s0, v1
	s_and_b64 s[0:1], vcc, s[6:7]
	v_cndmask_b32_e64 v15, 0, 1, s[0:1]
	v_cmp_ne_u32_e64 s[6:7], 0, v15
	s_bcnt1_i32_b64 s0, s[6:7]
	v_cmp_eq_u32_e64 s[6:7], 2, v14
	v_add_u32_e32 v2, s0, v2
	;; [unrolled: 6-line block ×3, first 2 shown]
	s_and_b64 s[0:1], vcc, s[6:7]
	v_cndmask_b32_e64 v14, 0, 1, s[0:1]
	v_cmp_ne_u32_e32 vcc, 0, v14
	s_bcnt1_i32_b64 s0, vcc
	v_cmp_le_i32_e32 vcc, s60, v6
	v_add_u32_e32 v4, s0, v4
	v_add_u32_e32 v12, s18, v12
	s_or_b64 s[22:23], vcc, s[22:23]
	v_mov_b32_e32 v14, v13
	s_andn2_b64 exec, exec, s[22:23]
	s_cbranch_execz .LBB32_55
.LBB32_53:                              ;   Parent Loop BB32_7 Depth=1
                                        ; =>  This Inner Loop Header: Depth=2
	v_add_u32_e32 v6, s66, v6
	v_cmp_gt_u32_e32 vcc, s60, v6
	v_mov_b32_e32 v13, 0
	s_and_saveexec_b64 s[6:7], vcc
	s_cbranch_execz .LBB32_52
; %bb.54:                               ;   in Loop: Header=BB32_53 Depth=2
	v_ashrrev_i32_e32 v13, 31, v12
	v_lshlrev_b64 v[39:40], 1, v[12:13]
	v_mov_b32_e32 v13, s67
	v_add_co_u32_e32 v39, vcc, s62, v39
	v_addc_co_u32_e32 v40, vcc, v13, v40, vcc
	global_load_ushort v13, v[39:40], off
	s_branch .LBB32_52
.LBB32_55:                              ;   in Loop: Header=BB32_7 Depth=1
	s_or_b64 exec, exec, s[22:23]
.LBB32_56:                              ;   in Loop: Header=BB32_7 Depth=1
	s_or_b64 exec, exec, s[20:21]
	s_branch .LBB32_36
.LBB32_57:                              ;   in Loop: Header=BB32_7 Depth=1
	s_mul_hi_u32 s0, s61, s8
	s_mul_i32 s0, s0, s33
	s_sub_i32 s0, s61, s0
	s_sub_i32 s1, s0, s33
	s_cmp_ge_u32 s0, s33
	s_cselect_b32 s0, s1, s0
	s_sub_i32 s1, s0, s33
	s_cmp_ge_u32 s0, s33
	s_cselect_b32 s0, s1, s0
	s_sub_i32 s0, s61, s0
	v_cmp_gt_u32_e32 vcc, s0, v16
	v_mov_b32_e32 v1, 0
	v_mov_b32_e32 v2, 0
	;; [unrolled: 1-line block ×4, first 2 shown]
	s_and_saveexec_b64 s[64:65], vcc
	s_cbranch_execz .LBB32_61
; %bb.58:                               ;   in Loop: Header=BB32_7 Depth=1
	s_mov_b32 s1, 0
	s_mov_b64 s[94:95], 0
	v_mov_b32_e32 v6, v32
	s_mov_b32 s19, 0
	s_mov_b32 s70, 0
	;; [unrolled: 1-line block ×3, first 2 shown]
	v_mov_b32_e32 v12, v16
.LBB32_59:                              ;   Parent Loop BB32_7 Depth=1
                                        ; =>  This Inner Loop Header: Depth=2
	ds_read_b64 v[1:2], v6
	v_add_u32_e32 v12, s33, v12
	v_cmp_le_i32_e32 vcc, s0, v12
	v_add_u32_e32 v6, s75, v6
	s_waitcnt lgkmcnt(0)
	v_add_u32_sdwa v3, sext(v1), s17 dst_sel:DWORD dst_unused:UNUSED_PAD src0_sel:WORD_0 src1_sel:DWORD
	v_add_u32_sdwa v1, sext(v1), s17 dst_sel:DWORD dst_unused:UNUSED_PAD src0_sel:WORD_1 src1_sel:DWORD
	v_and_b32_e32 v13, v3, v36
	v_bfe_u32 v3, v3, v34, 2
	v_add_u32_sdwa v4, sext(v2), s17 dst_sel:DWORD dst_unused:UNUSED_PAD src0_sel:WORD_0 src1_sel:DWORD
	s_waitcnt vmcnt(0)
	v_and_b32_e32 v14, v1, v36
	v_bfe_u32 v1, v1, v34, 2
	v_cmp_eq_u32_e64 s[6:7], v13, v30
	v_cmp_eq_u32_e64 s[26:27], 0, v3
	v_add_u32_sdwa v2, sext(v2), s17 dst_sel:DWORD dst_unused:UNUSED_PAD src0_sel:WORD_1 src1_sel:DWORD
	v_and_b32_e32 v15, v4, v36
	v_bfe_u32 v4, v4, v34, 2
	v_cmp_eq_u32_e64 s[20:21], v14, v30
	v_cmp_eq_u32_e64 s[28:29], 0, v1
	s_and_b64 s[26:27], s[6:7], s[26:27]
	v_and_b32_e32 v39, v2, v36
	v_bfe_u32 v2, v2, v34, 2
	v_cmp_eq_u32_e64 s[22:23], v15, v30
	v_cmp_eq_u32_e64 s[30:31], 0, v4
	;; [unrolled: 1-line block ×5, first 2 shown]
	v_cndmask_b32_e64 v1, 0, 1, s[26:27]
	s_and_b64 s[26:27], s[20:21], s[28:29]
	v_cmp_eq_u32_e64 s[24:25], v39, v30
	v_cmp_eq_u32_e64 s[34:35], 0, v2
	;; [unrolled: 1-line block ×5, first 2 shown]
	v_cndmask_b32_e64 v2, 0, 1, s[26:27]
	s_and_b64 s[26:27], s[22:23], s[30:31]
	v_cmp_eq_u32_e64 s[36:37], 1, v3
	v_cmp_eq_u32_e64 s[44:45], 2, v3
	;; [unrolled: 1-line block ×3, first 2 shown]
	v_cndmask_b32_e64 v3, 0, 1, s[26:27]
	s_and_b64 s[26:27], s[24:25], s[34:35]
	v_cmp_eq_u32_e64 s[40:41], 1, v4
	v_cmp_eq_u32_e64 s[48:49], 2, v4
	;; [unrolled: 1-line block ×3, first 2 shown]
	v_cndmask_b32_e64 v4, 0, 1, s[26:27]
	s_and_b64 s[26:27], s[6:7], s[36:37]
	v_cndmask_b32_e64 v13, 0, 1, s[26:27]
	s_and_b64 s[26:27], s[20:21], s[38:39]
	;; [unrolled: 2-line block ×5, first 2 shown]
	s_and_b64 s[6:7], s[6:7], s[52:53]
	v_cndmask_b32_e64 v40, 0, 1, s[26:27]
	s_and_b64 s[26:27], s[20:21], s[46:47]
	v_cndmask_b32_e64 v44, 0, 1, s[6:7]
	s_and_b64 s[6:7], s[20:21], s[54:55]
	v_cndmask_b32_e64 v41, 0, 1, s[26:27]
	s_and_b64 s[26:27], s[22:23], s[48:49]
	v_cndmask_b32_e64 v45, 0, 1, s[6:7]
	s_and_b64 s[6:7], s[22:23], s[56:57]
	v_cndmask_b32_e64 v42, 0, 1, s[26:27]
	s_and_b64 s[26:27], s[24:25], s[50:51]
	v_cndmask_b32_e64 v46, 0, 1, s[6:7]
	s_and_b64 s[6:7], s[24:25], s[58:59]
	v_cndmask_b32_e64 v43, 0, 1, s[26:27]
	v_cndmask_b32_e64 v47, 0, 1, s[6:7]
	v_cmp_ne_u32_e64 s[6:7], 0, v1
	v_cmp_ne_u32_e64 s[20:21], 0, v2
	;; [unrolled: 1-line block ×11, first 2 shown]
	s_bcnt1_i32_b64 s6, s[6:7]
	s_bcnt1_i32_b64 s7, s[20:21]
	;; [unrolled: 1-line block ×8, first 2 shown]
	v_cmp_ne_u32_e64 s[34:35], 0, v39
	v_cmp_ne_u32_e64 s[40:41], 0, v42
	;; [unrolled: 1-line block ×3, first 2 shown]
	s_bcnt1_i32_b64 s23, s[28:29]
	s_bcnt1_i32_b64 s27, s[38:39]
	s_bcnt1_i32_b64 s31, s[46:47]
	s_add_i32 s6, s71, s6
	s_add_i32 s22, s70, s22
	;; [unrolled: 1-line block ×4, first 2 shown]
	v_cmp_ne_u32_e64 s[42:43], 0, v43
	v_cmp_ne_u32_e64 s[50:51], 0, v47
	s_bcnt1_i32_b64 s25, s[34:35]
	s_bcnt1_i32_b64 s28, s[40:41]
	;; [unrolled: 1-line block ×3, first 2 shown]
	s_add_i32 s6, s6, s7
	s_add_i32 s7, s22, s23
	;; [unrolled: 1-line block ×4, first 2 shown]
	s_bcnt1_i32_b64 s29, s[42:43]
	s_bcnt1_i32_b64 s35, s[50:51]
	s_add_i32 s6, s6, s20
	s_add_i32 s7, s7, s24
	;; [unrolled: 1-line block ×8, first 2 shown]
	s_or_b64 s[94:95], vcc, s[94:95]
	v_mov_b32_e32 v1, s71
	v_mov_b32_e32 v2, s70
	;; [unrolled: 1-line block ×4, first 2 shown]
	s_andn2_b64 exec, exec, s[94:95]
	s_cbranch_execnz .LBB32_59
; %bb.60:                               ;   in Loop: Header=BB32_7 Depth=1
	s_or_b64 exec, exec, s[94:95]
.LBB32_61:                              ;   in Loop: Header=BB32_7 Depth=1
	s_or_b64 exec, exec, s[64:65]
	v_add_u32_e32 v6, s0, v0
	v_cmp_gt_i32_e32 vcc, s61, v6
	s_and_saveexec_b64 s[28:29], vcc
	s_cbranch_execz .LBB32_65
; %bb.62:                               ;   in Loop: Header=BB32_7 Depth=1
	v_lshlrev_b32_e32 v12, 1, v6
	s_mov_b64 s[30:31], 0
.LBB32_63:                              ;   Parent Loop BB32_7 Depth=1
                                        ; =>  This Inner Loop Header: Depth=2
	ds_read_i16 v13, v12
	v_add_u32_e32 v6, s66, v6
	v_cmp_le_i32_e32 vcc, s61, v6
	v_add_u32_e32 v12, s16, v12
	s_waitcnt lgkmcnt(0)
	v_add_u32_e32 v13, 0x8000, v13
	s_waitcnt vmcnt(0)
	v_and_b32_e32 v14, v13, v36
	v_bfe_u32 v13, v13, v34, 2
	v_cmp_eq_u32_e64 s[6:7], v14, v30
	v_cmp_eq_u32_e64 s[20:21], 0, v13
	;; [unrolled: 1-line block ×3, first 2 shown]
	s_and_b64 s[0:1], s[6:7], s[20:21]
	v_cmp_eq_u32_e64 s[24:25], 2, v13
	v_cmp_eq_u32_e64 s[26:27], 3, v13
	v_cndmask_b32_e64 v13, 0, 1, s[0:1]
	s_and_b64 s[0:1], s[6:7], s[22:23]
	v_cndmask_b32_e64 v14, 0, 1, s[0:1]
	s_and_b64 s[0:1], s[6:7], s[24:25]
	;; [unrolled: 2-line block ×3, first 2 shown]
	v_cndmask_b32_e64 v39, 0, 1, s[0:1]
	v_cmp_ne_u32_e64 s[6:7], 0, v13
	v_cmp_ne_u32_e64 s[20:21], 0, v14
	;; [unrolled: 1-line block ×4, first 2 shown]
	s_bcnt1_i32_b64 s0, s[6:7]
	s_bcnt1_i32_b64 s1, s[20:21]
	;; [unrolled: 1-line block ×4, first 2 shown]
	v_add_u32_e32 v1, s0, v1
	v_add_u32_e32 v2, s1, v2
	;; [unrolled: 1-line block ×3, first 2 shown]
	s_or_b64 s[30:31], vcc, s[30:31]
	v_add_u32_e32 v4, s7, v4
	s_andn2_b64 exec, exec, s[30:31]
	s_cbranch_execnz .LBB32_63
; %bb.64:                               ;   in Loop: Header=BB32_7 Depth=1
	s_or_b64 exec, exec, s[30:31]
.LBB32_65:                              ;   in Loop: Header=BB32_7 Depth=1
	s_or_b64 exec, exec, s[28:29]
	s_lshl_b32 s0, s76, 6
	s_and_saveexec_b64 s[6:7], s[2:3]
	s_cbranch_execnz .LBB32_37
	s_branch .LBB32_38
.LBB32_66:                              ;   in Loop: Header=BB32_7 Depth=1
	s_or_b64 exec, exec, s[22:23]
	s_waitcnt lgkmcnt(0)
	s_barrier
	s_mov_b64 s[6:7], exec
	v_readlane_b32 s0, v48, 4
	v_readlane_b32 s1, v48, 5
	s_and_b64 s[0:1], s[6:7], s[0:1]
	s_mov_b64 exec, s[0:1]
	s_cbranch_execz .LBB32_68
; %bb.67:                               ;   in Loop: Header=BB32_7 Depth=1
	ds_read_b32 v1, v7 offset:4104
	s_waitcnt lgkmcnt(0)
	ds_write_b32 v7, v1 offset:4096
.LBB32_68:                              ;   in Loop: Header=BB32_7 Depth=1
	s_or_b64 exec, exec, s[6:7]
	s_waitcnt lgkmcnt(0)
	s_barrier
	s_mov_b64 s[6:7], -1
	s_and_b64 vcc, exec, s[20:21]
	s_cbranch_vccnz .LBB32_22
	s_branch .LBB32_32
.LBB32_69:                              ;   in Loop: Header=BB32_7 Depth=1
	v_mov_b32_e32 v1, 0
	s_mov_b32 s1, 0
.LBB32_70:                              ;   in Loop: Header=BB32_7 Depth=1
	v_readlane_b32 s20, v48, 21
	v_readlane_b32 s21, v48, 22
	s_andn2_b64 vcc, exec, s[20:21]
	s_cbranch_vccnz .LBB32_73
; %bb.71:                               ;   in Loop: Header=BB32_7 Depth=1
	s_lshl_b32 s19, s76, 8
	s_lshl_b32 s1, s1, 4
	s_add_i32 s19, s19, s1
	v_add_u32_e32 v2, s19, v33
	v_readlane_b32 s1, v48, 20
.LBB32_72:                              ;   Parent Loop BB32_7 Depth=1
                                        ; =>  This Inner Loop Header: Depth=2
	ds_read_b32 v3, v2
	s_add_i32 s1, s1, -1
	v_add_u32_e32 v2, 16, v2
	s_cmp_lg_u32 s1, 0
	s_waitcnt lgkmcnt(0)
	v_add_u32_e32 v1, v3, v1
	s_cbranch_scc1 .LBB32_72
.LBB32_73:                              ;   in Loop: Header=BB32_7 Depth=1
	v_add_lshl_u32 v2, s0, v17, 2
	ds_write_b32 v2, v1 offset:3072
.LBB32_74:                              ;   in Loop: Header=BB32_7 Depth=1
	s_or_b64 exec, exec, s[6:7]
	s_lshl_b32 s0, s0, 2
	v_mov_b32_e32 v1, s0
	s_waitcnt lgkmcnt(0)
	s_barrier
	ds_read_b128 v[1:4], v1 offset:3072
	v_cmp_eq_u32_e32 vcc, 1, v38
	s_mov_b64 s[20:21], -1
	s_mov_b64 s[28:29], -1
                                        ; implicit-def: $sgpr26_sgpr27
                                        ; implicit-def: $sgpr24_sgpr25
	s_waitcnt lgkmcnt(0)
	v_readfirstlane_b32 s42, v1
	s_cmp_eq_u32 s42, 1
	v_readfirstlane_b32 s54, v3
	v_lshlrev_b32_e64 v3, v34, 3
	s_cselect_b64 s[0:1], -1, 0
	v_readfirstlane_b32 s46, v2
	v_readfirstlane_b32 s61, v4
	v_not_b32_e32 v6, v3
	s_and_b64 s[22:23], s[0:1], vcc
	s_and_saveexec_b64 s[6:7], s[22:23]
	s_cbranch_execz .LBB32_100
; %bb.75:                               ;   in Loop: Header=BB32_7 Depth=1
	ds_read_b32 v1, v7 offset:4096
	s_waitcnt lgkmcnt(0)
	s_barrier
	v_readfirstlane_b32 s0, v1
	s_and_saveexec_b64 s[24:25], s[4:5]
; %bb.76:                               ;   in Loop: Header=BB32_7 Depth=1
	ds_write_b16 v19, v7
; %bb.77:                               ;   in Loop: Header=BB32_7 Depth=1
	s_or_b64 exec, exec, s[24:25]
	v_and_b32_e32 v30, v30, v6
	v_or_b32_e32 v36, v36, v3
	s_mov_b64 s[24:25], -1
	s_mov_b64 s[26:27], 0
	s_cmp_lt_i32 s0, 1
	s_mov_b64 s[28:29], 0
	s_mov_b64 s[30:31], -1
	s_waitcnt lgkmcnt(0)
	s_barrier
                                        ; implicit-def: $vgpr37
	s_cbranch_scc0 .LBB32_88
; %bb.78:                               ;   in Loop: Header=BB32_7 Depth=1
	s_mov_b64 s[30:31], 0
                                        ; implicit-def: $vgpr37
	s_mov_b64 s[34:35], exec
	v_readlane_b32 s36, v48, 24
	v_readlane_b32 s37, v48, 25
	s_and_b64 s[36:37], s[34:35], s[36:37]
	s_mov_b64 exec, s[36:37]
	s_cbranch_execz .LBB32_87
; %bb.79:                               ;   in Loop: Header=BB32_7 Depth=1
	v_mov_b32_e32 v1, v5
	v_mov_b32_e32 v4, v0
                                        ; implicit-def: $sgpr36_sgpr37
	s_branch .LBB32_82
.LBB32_80:                              ;   in Loop: Header=BB32_82 Depth=2
	s_or_b64 exec, exec, s[38:39]
	s_waitcnt lgkmcnt(0)
	s_barrier
	ds_read_b32 v2, v7 offset:3072
	s_mov_b64 s[38:39], -1
	s_waitcnt lgkmcnt(0)
	s_barrier
	v_cmp_ne_u32_sdwa s[40:41], v2, v7 src0_sel:WORD_0 src1_sel:DWORD
	s_and_b64 vcc, exec, s[40:41]
	s_mov_b64 s[40:41], -1
	s_cbranch_vccz .LBB32_85
.LBB32_81:                              ;   in Loop: Header=BB32_82 Depth=2
	s_and_b64 s[38:39], exec, s[38:39]
	s_or_b64 s[28:29], s[38:39], s[28:29]
	s_andn2_b64 s[36:37], s[36:37], exec
	s_and_b64 s[38:39], s[40:41], exec
	s_or_b64 s[36:37], s[36:37], s[38:39]
	s_andn2_b64 exec, exec, s[28:29]
	s_cbranch_execz .LBB32_86
.LBB32_82:                              ;   Parent Loop BB32_7 Depth=1
                                        ; =>  This Inner Loop Header: Depth=2
	v_cmp_gt_i32_e32 vcc, s60, v4
	s_and_saveexec_b64 s[38:39], vcc
	s_cbranch_execz .LBB32_80
; %bb.83:                               ;   in Loop: Header=BB32_82 Depth=2
	v_ashrrev_i32_e32 v2, 31, v1
	v_lshlrev_b64 v[12:13], 1, v[1:2]
	v_mov_b32_e32 v2, s67
	v_add_co_u32_e32 v12, vcc, s62, v12
	v_addc_co_u32_e32 v13, vcc, v2, v13, vcc
	global_load_ushort v2, v[12:13], off
	s_waitcnt vmcnt(0)
	v_add_u32_sdwa v12, sext(v2), s17 dst_sel:DWORD dst_unused:UNUSED_PAD src0_sel:WORD_0 src1_sel:DWORD
	v_and_b32_e32 v12, v12, v36
	v_cmp_eq_u32_e32 vcc, v12, v30
	s_and_b64 exec, exec, vcc
	s_cbranch_execz .LBB32_80
; %bb.84:                               ;   in Loop: Header=BB32_82 Depth=2
	v_perm_b32 v2, v2, 1, v35
	ds_write_b32 v7, v2 offset:3072
	s_branch .LBB32_80
.LBB32_85:                              ;   in Loop: Header=BB32_82 Depth=2
	v_add_u32_e32 v4, s66, v4
	v_cmp_le_i32_e32 vcc, s79, v4
	v_add_u32_e32 v1, s18, v1
	s_mov_b64 s[40:41], 0
	s_orn2_b64 s[38:39], vcc, exec
	s_branch .LBB32_81
.LBB32_86:                              ;   in Loop: Header=BB32_7 Depth=1
	s_or_b64 exec, exec, s[28:29]
	v_lshrrev_b32_e32 v37, 16, v2
	s_and_b64 s[28:29], s[36:37], exec
.LBB32_87:                              ;   in Loop: Header=BB32_7 Depth=1
	s_or_b64 exec, exec, s[34:35]
.LBB32_88:                              ;   in Loop: Header=BB32_7 Depth=1
	s_and_b64 vcc, exec, s[30:31]
	s_cbranch_vccz .LBB32_99
; %bb.89:                               ;   in Loop: Header=BB32_7 Depth=1
	v_readlane_b32 s1, v48, 9
	s_add_i32 s1, s0, s1
	s_abs_i32 s24, s1
	v_readlane_b32 s25, v48, 23
	s_mul_hi_u32 s25, s24, s25
	s_mul_i32 s25, s25, s66
	s_sub_i32 s24, s24, s25
	s_ashr_i32 s19, s1, 31
	s_sub_i32 s25, s24, s66
	s_cmp_ge_u32 s24, s66
	s_cselect_b32 s24, s25, s24
	s_sub_i32 s25, s24, s66
	s_cmp_ge_u32 s24, s66
	s_cselect_b32 s24, s25, s24
	s_xor_b32 s24, s24, s19
	s_sub_i32 s19, s19, s24
	s_add_i32 s1, s1, s19
	v_cmp_gt_i32_e32 vcc, s1, v0
                                        ; implicit-def: $vgpr37
	s_and_saveexec_b64 s[24:25], vcc
	s_cbranch_execz .LBB32_98
; %bb.90:                               ;   in Loop: Header=BB32_7 Depth=1
	s_mov_b64 s[26:27], 0
	v_mov_b32_e32 v1, v18
	v_mov_b32_e32 v2, v0
                                        ; implicit-def: $sgpr30_sgpr31
	s_branch .LBB32_93
.LBB32_91:                              ;   in Loop: Header=BB32_93 Depth=2
	s_or_b64 exec, exec, s[34:35]
	s_waitcnt lgkmcnt(0)
	s_barrier
	ds_read_b32 v4, v7 offset:3072
	s_mov_b64 s[34:35], -1
	s_waitcnt lgkmcnt(0)
	s_barrier
	v_cmp_ne_u32_sdwa s[36:37], v4, v7 src0_sel:WORD_0 src1_sel:DWORD
	s_and_b64 vcc, exec, s[36:37]
	s_mov_b64 s[36:37], -1
	s_cbranch_vccz .LBB32_96
.LBB32_92:                              ;   in Loop: Header=BB32_93 Depth=2
	s_and_b64 s[34:35], exec, s[34:35]
	s_or_b64 s[26:27], s[34:35], s[26:27]
	s_andn2_b64 s[30:31], s[30:31], exec
	s_and_b64 s[34:35], s[36:37], exec
	s_or_b64 s[30:31], s[30:31], s[34:35]
	s_andn2_b64 exec, exec, s[26:27]
	s_cbranch_execz .LBB32_97
.LBB32_93:                              ;   Parent Loop BB32_7 Depth=1
                                        ; =>  This Inner Loop Header: Depth=2
	v_cmp_gt_i32_e32 vcc, s0, v2
	s_and_saveexec_b64 s[34:35], vcc
	s_cbranch_execz .LBB32_91
; %bb.94:                               ;   in Loop: Header=BB32_93 Depth=2
	ds_read_u16 v4, v1
	s_waitcnt lgkmcnt(0)
	v_add_u32_sdwa v12, sext(v4), s17 dst_sel:DWORD dst_unused:UNUSED_PAD src0_sel:WORD_0 src1_sel:DWORD
	v_and_b32_e32 v12, v12, v36
	v_cmp_eq_u32_e32 vcc, v12, v30
	s_and_b64 exec, exec, vcc
	s_cbranch_execz .LBB32_91
; %bb.95:                               ;   in Loop: Header=BB32_93 Depth=2
	v_perm_b32 v4, v4, 1, v35
	ds_write_b32 v7, v4 offset:3072
	s_branch .LBB32_91
.LBB32_96:                              ;   in Loop: Header=BB32_93 Depth=2
	v_add_u32_e32 v2, s66, v2
	v_cmp_le_i32_e32 vcc, s1, v2
	v_add_u32_e32 v1, s16, v1
	s_mov_b64 s[36:37], 0
	s_orn2_b64 s[34:35], vcc, exec
	s_branch .LBB32_92
.LBB32_97:                              ;   in Loop: Header=BB32_7 Depth=1
	s_or_b64 exec, exec, s[26:27]
	s_andn2_b64 s[0:1], s[28:29], exec
	s_and_b64 s[26:27], s[30:31], exec
	v_lshrrev_b32_e32 v37, 16, v4
	s_or_b64 s[28:29], s[0:1], s[26:27]
.LBB32_98:                              ;   in Loop: Header=BB32_7 Depth=1
	s_or_b64 exec, exec, s[24:25]
	s_mov_b64 s[24:25], 0
	s_mov_b64 s[26:27], -1
.LBB32_99:                              ;   in Loop: Header=BB32_7 Depth=1
	s_orn2_b64 s[28:29], s[28:29], exec
.LBB32_100:                             ;   in Loop: Header=BB32_7 Depth=1
	s_or_b64 exec, exec, s[6:7]
	s_andn2_b64 s[6:7], s[92:93], exec
	s_and_b64 s[26:27], s[26:27], exec
	s_or_b64 s[92:93], s[6:7], s[26:27]
	s_andn2_b64 s[6:7], s[90:91], exec
	s_and_b64 s[24:25], s[24:25], exec
	v_readfirstlane_b32 s0, v0
	s_andn2_b64 s[88:89], s[88:89], exec
	s_or_b64 s[90:91], s[6:7], s[24:25]
                                        ; implicit-def: $vgpr12
	s_and_saveexec_b64 s[6:7], s[28:29]
	s_cbranch_execz .LBB32_6
; %bb.101:                              ;   in Loop: Header=BB32_7 Depth=1
	s_xor_b64 s[0:1], s[22:23], -1
	s_mov_b64 s[22:23], 0
	v_mov_b32_e32 v12, 1
	v_mov_b32_e32 v4, 1
	s_and_saveexec_b64 s[20:21], s[0:1]
	s_cbranch_execz .LBB32_110
; %bb.102:                              ;   in Loop: Header=BB32_7 Depth=1
	v_cmp_ge_i32_e32 vcc, s42, v38
	s_and_saveexec_b64 s[0:1], vcc
	s_xor_b64 s[22:23], exec, s[0:1]
	s_cbranch_execz .LBB32_107
; %bb.103:                              ;   in Loop: Header=BB32_7 Depth=1
	ds_read_b32 v1, v7 offset:4096
	v_and_b32_e32 v30, v30, v6
	v_or_b32_e32 v36, v36, v3
	s_waitcnt lgkmcnt(0)
	v_cmp_ne_u32_e32 vcc, 0, v1
	s_cbranch_vccnz .LBB32_107
; %bb.104:                              ;   in Loop: Header=BB32_7 Depth=1
	s_mov_b64 s[24:25], exec
	v_readlane_b32 s0, v48, 4
	v_readlane_b32 s1, v48, 5
	s_and_b64 s[0:1], s[24:25], s[0:1]
	s_mov_b64 exec, s[0:1]
; %bb.105:                              ;   in Loop: Header=BB32_7 Depth=1
	v_mov_b32_e32 v1, s42
	ds_write_b32 v7, v1 offset:4100
; %bb.106:                              ;   in Loop: Header=BB32_7 Depth=1
	s_or_b64 exec, exec, s[24:25]
	s_waitcnt lgkmcnt(0)
	s_barrier
.LBB32_107:                             ;   in Loop: Header=BB32_7 Depth=1
	s_or_saveexec_b64 s[22:23], s[22:23]
	s_mov_b64 s[24:25], 0
	v_mov_b32_e32 v4, 8
	s_xor_b64 exec, exec, s[22:23]
; %bb.108:                              ;   in Loop: Header=BB32_7 Depth=1
	s_mov_b64 s[24:25], exec
	v_subrev_u32_e32 v38, s42, v38
	v_mov_b32_e32 v4, 0
; %bb.109:                              ;   in Loop: Header=BB32_7 Depth=1
	s_or_b64 exec, exec, s[22:23]
	s_and_b64 s[22:23], s[24:25], exec
	v_mov_b32_e32 v12, v38
.LBB32_110:                             ;   in Loop: Header=BB32_7 Depth=1
	s_or_b64 exec, exec, s[20:21]
	s_mov_b64 s[20:21], -1
	s_mov_b64 s[28:29], -1
                                        ; implicit-def: $sgpr24_sgpr25
                                        ; implicit-def: $sgpr26_sgpr27
	s_and_saveexec_b64 s[0:1], s[22:23]
	s_xor_b64 s[22:23], exec, s[0:1]
	s_cbranch_execz .LBB32_227
; %bb.111:                              ;   in Loop: Header=BB32_7 Depth=1
	s_cmp_eq_u32 s46, 1
	s_cselect_b64 s[0:1], -1, 0
	v_cmp_eq_u32_e32 vcc, 1, v12
	s_and_b64 s[30:31], s[0:1], vcc
	s_mov_b64 s[34:35], -1
                                        ; implicit-def: $sgpr26_sgpr27
                                        ; implicit-def: $sgpr24_sgpr25
	s_and_saveexec_b64 s[28:29], s[30:31]
	s_cbranch_execz .LBB32_137
; %bb.112:                              ;   in Loop: Header=BB32_7 Depth=1
	ds_read_b32 v1, v7 offset:4096
	s_waitcnt lgkmcnt(0)
	s_barrier
	v_readfirstlane_b32 s0, v1
	s_and_saveexec_b64 s[24:25], s[4:5]
; %bb.113:                              ;   in Loop: Header=BB32_7 Depth=1
	ds_write_b16 v19, v7
; %bb.114:                              ;   in Loop: Header=BB32_7 Depth=1
	s_or_b64 exec, exec, s[24:25]
	v_and_b32_e32 v1, v30, v6
	v_lshl_or_b32 v30, 1, v34, v1
	v_or_b32_e32 v36, v36, v3
	s_mov_b64 s[24:25], -1
	s_mov_b64 s[26:27], 0
	s_cmp_gt_i32 s0, 0
	s_mov_b64 s[34:35], 0
	s_mov_b64 s[36:37], -1
	s_waitcnt lgkmcnt(0)
	s_barrier
                                        ; implicit-def: $vgpr37
	s_cbranch_scc1 .LBB32_125
; %bb.115:                              ;   in Loop: Header=BB32_7 Depth=1
	s_mov_b64 s[36:37], 0
                                        ; implicit-def: $vgpr37
	s_mov_b64 s[38:39], exec
	v_readlane_b32 s40, v48, 24
	v_readlane_b32 s41, v48, 25
	s_and_b64 s[40:41], s[38:39], s[40:41]
	s_mov_b64 exec, s[40:41]
	s_cbranch_execz .LBB32_124
; %bb.116:                              ;   in Loop: Header=BB32_7 Depth=1
	v_mov_b32_e32 v1, v5
	v_mov_b32_e32 v13, v0
                                        ; implicit-def: $sgpr40_sgpr41
	s_branch .LBB32_119
.LBB32_117:                             ;   in Loop: Header=BB32_119 Depth=2
	s_or_b64 exec, exec, s[42:43]
	s_waitcnt lgkmcnt(0)
	s_barrier
	ds_read_b32 v2, v7 offset:3072
	s_mov_b64 s[42:43], -1
	s_waitcnt lgkmcnt(0)
	s_barrier
	v_cmp_ne_u32_sdwa s[44:45], v2, v7 src0_sel:WORD_0 src1_sel:DWORD
	s_and_b64 vcc, exec, s[44:45]
	s_mov_b64 s[44:45], -1
	s_cbranch_vccz .LBB32_122
.LBB32_118:                             ;   in Loop: Header=BB32_119 Depth=2
	s_and_b64 s[42:43], exec, s[42:43]
	s_or_b64 s[34:35], s[42:43], s[34:35]
	s_andn2_b64 s[40:41], s[40:41], exec
	s_and_b64 s[42:43], s[44:45], exec
	s_or_b64 s[40:41], s[40:41], s[42:43]
	s_andn2_b64 exec, exec, s[34:35]
	s_cbranch_execz .LBB32_123
.LBB32_119:                             ;   Parent Loop BB32_7 Depth=1
                                        ; =>  This Inner Loop Header: Depth=2
	v_cmp_gt_i32_e32 vcc, s60, v13
	s_and_saveexec_b64 s[42:43], vcc
	s_cbranch_execz .LBB32_117
; %bb.120:                              ;   in Loop: Header=BB32_119 Depth=2
	v_ashrrev_i32_e32 v2, 31, v1
	v_lshlrev_b64 v[14:15], 1, v[1:2]
	v_mov_b32_e32 v2, s67
	v_add_co_u32_e32 v14, vcc, s62, v14
	v_addc_co_u32_e32 v15, vcc, v2, v15, vcc
	global_load_ushort v2, v[14:15], off
	s_waitcnt vmcnt(0)
	v_add_u32_sdwa v14, sext(v2), s17 dst_sel:DWORD dst_unused:UNUSED_PAD src0_sel:WORD_0 src1_sel:DWORD
	v_and_b32_e32 v14, v14, v36
	v_cmp_eq_u32_e32 vcc, v14, v30
	s_and_b64 exec, exec, vcc
	s_cbranch_execz .LBB32_117
; %bb.121:                              ;   in Loop: Header=BB32_119 Depth=2
	v_perm_b32 v2, v2, 1, v35
	ds_write_b32 v7, v2 offset:3072
	s_branch .LBB32_117
.LBB32_122:                             ;   in Loop: Header=BB32_119 Depth=2
	v_add_u32_e32 v13, s66, v13
	v_cmp_le_i32_e32 vcc, s79, v13
	v_add_u32_e32 v1, s18, v1
	s_mov_b64 s[44:45], 0
	s_orn2_b64 s[42:43], vcc, exec
	s_branch .LBB32_118
.LBB32_123:                             ;   in Loop: Header=BB32_7 Depth=1
	s_or_b64 exec, exec, s[34:35]
	v_lshrrev_b32_e32 v37, 16, v2
	s_and_b64 s[34:35], s[40:41], exec
.LBB32_124:                             ;   in Loop: Header=BB32_7 Depth=1
	s_or_b64 exec, exec, s[38:39]
.LBB32_125:                             ;   in Loop: Header=BB32_7 Depth=1
	s_and_b64 vcc, exec, s[36:37]
	s_cbranch_vccz .LBB32_136
; %bb.126:                              ;   in Loop: Header=BB32_7 Depth=1
	v_readlane_b32 s1, v48, 9
	s_add_i32 s1, s0, s1
	s_abs_i32 s24, s1
	v_readlane_b32 s25, v48, 23
	s_mul_hi_u32 s25, s24, s25
	s_mul_i32 s25, s25, s66
	s_sub_i32 s24, s24, s25
	s_ashr_i32 s19, s1, 31
	s_sub_i32 s25, s24, s66
	s_cmp_ge_u32 s24, s66
	s_cselect_b32 s24, s25, s24
	s_sub_i32 s25, s24, s66
	s_cmp_ge_u32 s24, s66
	s_cselect_b32 s24, s25, s24
	s_xor_b32 s24, s24, s19
	s_sub_i32 s19, s19, s24
	s_add_i32 s1, s1, s19
	v_cmp_gt_i32_e32 vcc, s1, v0
                                        ; implicit-def: $vgpr37
	s_and_saveexec_b64 s[24:25], vcc
	s_cbranch_execz .LBB32_135
; %bb.127:                              ;   in Loop: Header=BB32_7 Depth=1
	s_mov_b64 s[26:27], 0
	v_mov_b32_e32 v1, v18
	v_mov_b32_e32 v2, v0
                                        ; implicit-def: $sgpr36_sgpr37
	s_branch .LBB32_130
.LBB32_128:                             ;   in Loop: Header=BB32_130 Depth=2
	s_or_b64 exec, exec, s[38:39]
	s_waitcnt lgkmcnt(0)
	s_barrier
	ds_read_b32 v13, v7 offset:3072
	s_mov_b64 s[38:39], -1
	s_waitcnt lgkmcnt(0)
	s_barrier
	v_cmp_eq_u32_sdwa s[40:41], v13, v7 src0_sel:WORD_0 src1_sel:DWORD
	s_and_b64 vcc, exec, s[40:41]
	s_mov_b64 s[40:41], -1
	s_cbranch_vccnz .LBB32_133
.LBB32_129:                             ;   in Loop: Header=BB32_130 Depth=2
	s_and_b64 s[38:39], exec, s[38:39]
	s_or_b64 s[26:27], s[38:39], s[26:27]
	s_andn2_b64 s[36:37], s[36:37], exec
	s_and_b64 s[38:39], s[40:41], exec
	s_or_b64 s[36:37], s[36:37], s[38:39]
	s_andn2_b64 exec, exec, s[26:27]
	s_cbranch_execz .LBB32_134
.LBB32_130:                             ;   Parent Loop BB32_7 Depth=1
                                        ; =>  This Inner Loop Header: Depth=2
	v_cmp_gt_i32_e32 vcc, s0, v2
	s_and_saveexec_b64 s[38:39], vcc
	s_cbranch_execz .LBB32_128
; %bb.131:                              ;   in Loop: Header=BB32_130 Depth=2
	ds_read_u16 v13, v1
	s_waitcnt lgkmcnt(0)
	v_add_u32_sdwa v14, sext(v13), s17 dst_sel:DWORD dst_unused:UNUSED_PAD src0_sel:WORD_0 src1_sel:DWORD
	v_and_b32_e32 v14, v14, v36
	v_cmp_eq_u32_e32 vcc, v14, v30
	s_and_b64 exec, exec, vcc
	s_cbranch_execz .LBB32_128
; %bb.132:                              ;   in Loop: Header=BB32_130 Depth=2
	v_perm_b32 v13, v13, 1, v35
	ds_write_b32 v7, v13 offset:3072
	s_branch .LBB32_128
.LBB32_133:                             ;   in Loop: Header=BB32_130 Depth=2
	v_add_u32_e32 v2, s66, v2
	v_cmp_le_i32_e32 vcc, s1, v2
	v_add_u32_e32 v1, s16, v1
	s_mov_b64 s[40:41], 0
	s_orn2_b64 s[38:39], vcc, exec
	s_branch .LBB32_129
.LBB32_134:                             ;   in Loop: Header=BB32_7 Depth=1
	s_or_b64 exec, exec, s[26:27]
	s_andn2_b64 s[0:1], s[34:35], exec
	s_and_b64 s[26:27], s[36:37], exec
	v_lshrrev_b32_e32 v37, 16, v13
	s_or_b64 s[34:35], s[0:1], s[26:27]
.LBB32_135:                             ;   in Loop: Header=BB32_7 Depth=1
	s_or_b64 exec, exec, s[24:25]
	s_mov_b64 s[24:25], 0
	s_mov_b64 s[26:27], -1
.LBB32_136:                             ;   in Loop: Header=BB32_7 Depth=1
	s_orn2_b64 s[34:35], s[34:35], exec
.LBB32_137:                             ;   in Loop: Header=BB32_7 Depth=1
	s_or_b64 exec, exec, s[28:29]
	s_mov_b64 s[36:37], 0
	s_and_saveexec_b64 s[28:29], s[34:35]
	s_cbranch_execz .LBB32_226
; %bb.138:                              ;   in Loop: Header=BB32_7 Depth=1
	s_xor_b64 s[0:1], s[30:31], -1
	s_mov_b64 s[40:41], 0
	v_mov_b32_e32 v13, 1
	v_mov_b32_e32 v4, 1
	s_and_saveexec_b64 s[30:31], s[0:1]
	s_cbranch_execz .LBB32_147
; %bb.139:                              ;   in Loop: Header=BB32_7 Depth=1
	v_cmp_ge_i32_e32 vcc, s46, v12
	s_and_saveexec_b64 s[0:1], vcc
	s_xor_b64 s[34:35], exec, s[0:1]
	s_cbranch_execz .LBB32_144
; %bb.140:                              ;   in Loop: Header=BB32_7 Depth=1
	ds_read_b32 v1, v7 offset:4096
	v_and_b32_e32 v2, v30, v6
	v_lshl_or_b32 v30, 1, v34, v2
	v_or_b32_e32 v36, v36, v3
	s_waitcnt lgkmcnt(0)
	v_cmp_ne_u32_e32 vcc, 0, v1
	s_cbranch_vccnz .LBB32_144
; %bb.141:                              ;   in Loop: Header=BB32_7 Depth=1
	s_mov_b64 s[36:37], exec
	v_readlane_b32 s0, v48, 4
	v_readlane_b32 s1, v48, 5
	s_and_b64 s[0:1], s[36:37], s[0:1]
	s_mov_b64 exec, s[0:1]
; %bb.142:                              ;   in Loop: Header=BB32_7 Depth=1
	v_mov_b32_e32 v1, s46
	ds_write_b32 v7, v1 offset:4100
; %bb.143:                              ;   in Loop: Header=BB32_7 Depth=1
	s_or_b64 exec, exec, s[36:37]
	s_waitcnt lgkmcnt(0)
	s_barrier
.LBB32_144:                             ;   in Loop: Header=BB32_7 Depth=1
	s_or_saveexec_b64 s[34:35], s[34:35]
	s_mov_b64 s[36:37], 0
	v_mov_b32_e32 v4, 8
	s_xor_b64 exec, exec, s[34:35]
; %bb.145:                              ;   in Loop: Header=BB32_7 Depth=1
	s_mov_b64 s[36:37], exec
	v_subrev_u32_e32 v12, s46, v12
	v_mov_b32_e32 v4, 0
; %bb.146:                              ;   in Loop: Header=BB32_7 Depth=1
	s_or_b64 exec, exec, s[34:35]
	s_and_b64 s[40:41], s[36:37], exec
	v_mov_b32_e32 v13, v12
.LBB32_147:                             ;   in Loop: Header=BB32_7 Depth=1
	s_or_b64 exec, exec, s[30:31]
	s_mov_b64 s[38:39], -1
                                        ; implicit-def: $sgpr34_sgpr35
                                        ; implicit-def: $sgpr36_sgpr37
	s_and_saveexec_b64 s[30:31], s[40:41]
	s_cbranch_execz .LBB32_225
; %bb.148:                              ;   in Loop: Header=BB32_7 Depth=1
	s_cmp_eq_u32 s54, 1
	s_cselect_b64 s[0:1], -1, 0
	v_cmp_eq_u32_e32 vcc, 1, v13
	s_and_b64 s[40:41], s[0:1], vcc
	s_mov_b64 s[42:43], -1
                                        ; implicit-def: $sgpr36_sgpr37
                                        ; implicit-def: $sgpr34_sgpr35
	s_and_saveexec_b64 s[38:39], s[40:41]
	s_cbranch_execz .LBB32_174
; %bb.149:                              ;   in Loop: Header=BB32_7 Depth=1
	ds_read_b32 v1, v7 offset:4096
	s_waitcnt lgkmcnt(0)
	s_barrier
	v_readfirstlane_b32 s0, v1
	s_and_saveexec_b64 s[34:35], s[4:5]
; %bb.150:                              ;   in Loop: Header=BB32_7 Depth=1
	ds_write_b16 v19, v7
; %bb.151:                              ;   in Loop: Header=BB32_7 Depth=1
	s_or_b64 exec, exec, s[34:35]
	v_and_b32_e32 v1, v30, v6
	v_lshl_or_b32 v30, 2, v34, v1
	v_or_b32_e32 v36, v36, v3
	s_mov_b64 s[34:35], -1
	s_mov_b64 s[36:37], 0
	s_cmp_gt_i32 s0, 0
	s_mov_b64 s[42:43], 0
	s_mov_b64 s[44:45], -1
	s_waitcnt lgkmcnt(0)
	s_barrier
                                        ; implicit-def: $vgpr37
	s_cbranch_scc1 .LBB32_162
; %bb.152:                              ;   in Loop: Header=BB32_7 Depth=1
	s_mov_b64 s[44:45], 0
                                        ; implicit-def: $vgpr37
	s_mov_b64 s[46:47], exec
	v_readlane_b32 s48, v48, 24
	v_readlane_b32 s49, v48, 25
	s_and_b64 s[48:49], s[46:47], s[48:49]
	s_mov_b64 exec, s[48:49]
	s_cbranch_execz .LBB32_161
; %bb.153:                              ;   in Loop: Header=BB32_7 Depth=1
	v_mov_b32_e32 v1, v5
	v_mov_b32_e32 v12, v0
                                        ; implicit-def: $sgpr48_sgpr49
	s_branch .LBB32_156
.LBB32_154:                             ;   in Loop: Header=BB32_156 Depth=2
	s_or_b64 exec, exec, s[50:51]
	s_waitcnt lgkmcnt(0)
	s_barrier
	ds_read_b32 v2, v7 offset:3072
	s_mov_b64 s[50:51], -1
	s_waitcnt lgkmcnt(0)
	s_barrier
	v_cmp_ne_u32_sdwa s[52:53], v2, v7 src0_sel:WORD_0 src1_sel:DWORD
	s_and_b64 vcc, exec, s[52:53]
	s_mov_b64 s[52:53], -1
	s_cbranch_vccz .LBB32_159
.LBB32_155:                             ;   in Loop: Header=BB32_156 Depth=2
	s_and_b64 s[50:51], exec, s[50:51]
	s_or_b64 s[42:43], s[50:51], s[42:43]
	s_andn2_b64 s[48:49], s[48:49], exec
	s_and_b64 s[50:51], s[52:53], exec
	s_or_b64 s[48:49], s[48:49], s[50:51]
	s_andn2_b64 exec, exec, s[42:43]
	s_cbranch_execz .LBB32_160
.LBB32_156:                             ;   Parent Loop BB32_7 Depth=1
                                        ; =>  This Inner Loop Header: Depth=2
	v_cmp_gt_i32_e32 vcc, s60, v12
	s_and_saveexec_b64 s[50:51], vcc
	s_cbranch_execz .LBB32_154
; %bb.157:                              ;   in Loop: Header=BB32_156 Depth=2
	v_ashrrev_i32_e32 v2, 31, v1
	v_lshlrev_b64 v[14:15], 1, v[1:2]
	v_mov_b32_e32 v2, s67
	v_add_co_u32_e32 v14, vcc, s62, v14
	v_addc_co_u32_e32 v15, vcc, v2, v15, vcc
	global_load_ushort v2, v[14:15], off
	s_waitcnt vmcnt(0)
	v_add_u32_sdwa v14, sext(v2), s17 dst_sel:DWORD dst_unused:UNUSED_PAD src0_sel:WORD_0 src1_sel:DWORD
	v_and_b32_e32 v14, v14, v36
	v_cmp_eq_u32_e32 vcc, v14, v30
	s_and_b64 exec, exec, vcc
	s_cbranch_execz .LBB32_154
; %bb.158:                              ;   in Loop: Header=BB32_156 Depth=2
	v_perm_b32 v2, v2, 1, v35
	ds_write_b32 v7, v2 offset:3072
	s_branch .LBB32_154
.LBB32_159:                             ;   in Loop: Header=BB32_156 Depth=2
	v_add_u32_e32 v12, s66, v12
	v_cmp_le_i32_e32 vcc, s79, v12
	v_add_u32_e32 v1, s18, v1
	s_mov_b64 s[52:53], 0
	s_orn2_b64 s[50:51], vcc, exec
	s_branch .LBB32_155
.LBB32_160:                             ;   in Loop: Header=BB32_7 Depth=1
	s_or_b64 exec, exec, s[42:43]
	v_lshrrev_b32_e32 v37, 16, v2
	s_and_b64 s[42:43], s[48:49], exec
.LBB32_161:                             ;   in Loop: Header=BB32_7 Depth=1
	s_or_b64 exec, exec, s[46:47]
.LBB32_162:                             ;   in Loop: Header=BB32_7 Depth=1
	s_and_b64 vcc, exec, s[44:45]
	s_cbranch_vccz .LBB32_173
; %bb.163:                              ;   in Loop: Header=BB32_7 Depth=1
	v_readlane_b32 s1, v48, 9
	s_add_i32 s1, s0, s1
	s_abs_i32 s34, s1
	v_readlane_b32 s35, v48, 23
	s_mul_hi_u32 s35, s34, s35
	s_mul_i32 s35, s35, s66
	s_sub_i32 s34, s34, s35
	s_ashr_i32 s19, s1, 31
	s_sub_i32 s35, s34, s66
	s_cmp_ge_u32 s34, s66
	s_cselect_b32 s34, s35, s34
	s_sub_i32 s35, s34, s66
	s_cmp_ge_u32 s34, s66
	s_cselect_b32 s34, s35, s34
	s_xor_b32 s34, s34, s19
	s_sub_i32 s19, s19, s34
	s_add_i32 s1, s1, s19
	v_cmp_gt_i32_e32 vcc, s1, v0
                                        ; implicit-def: $vgpr37
	s_and_saveexec_b64 s[34:35], vcc
	s_cbranch_execz .LBB32_172
; %bb.164:                              ;   in Loop: Header=BB32_7 Depth=1
	s_mov_b64 s[36:37], 0
	v_mov_b32_e32 v1, v18
	v_mov_b32_e32 v2, v0
                                        ; implicit-def: $sgpr44_sgpr45
	s_branch .LBB32_167
.LBB32_165:                             ;   in Loop: Header=BB32_167 Depth=2
	s_or_b64 exec, exec, s[46:47]
	s_waitcnt lgkmcnt(0)
	s_barrier
	ds_read_b32 v12, v7 offset:3072
	s_mov_b64 s[46:47], -1
	s_waitcnt lgkmcnt(0)
	s_barrier
	v_cmp_eq_u32_sdwa s[48:49], v12, v7 src0_sel:WORD_0 src1_sel:DWORD
	s_and_b64 vcc, exec, s[48:49]
	s_mov_b64 s[48:49], -1
	s_cbranch_vccnz .LBB32_170
.LBB32_166:                             ;   in Loop: Header=BB32_167 Depth=2
	s_and_b64 s[46:47], exec, s[46:47]
	s_or_b64 s[36:37], s[46:47], s[36:37]
	s_andn2_b64 s[44:45], s[44:45], exec
	s_and_b64 s[46:47], s[48:49], exec
	s_or_b64 s[44:45], s[44:45], s[46:47]
	s_andn2_b64 exec, exec, s[36:37]
	s_cbranch_execz .LBB32_171
.LBB32_167:                             ;   Parent Loop BB32_7 Depth=1
                                        ; =>  This Inner Loop Header: Depth=2
	v_cmp_gt_i32_e32 vcc, s0, v2
	s_and_saveexec_b64 s[46:47], vcc
	s_cbranch_execz .LBB32_165
; %bb.168:                              ;   in Loop: Header=BB32_167 Depth=2
	ds_read_u16 v12, v1
	s_waitcnt lgkmcnt(0)
	v_add_u32_sdwa v14, sext(v12), s17 dst_sel:DWORD dst_unused:UNUSED_PAD src0_sel:WORD_0 src1_sel:DWORD
	v_and_b32_e32 v14, v14, v36
	v_cmp_eq_u32_e32 vcc, v14, v30
	s_and_b64 exec, exec, vcc
	s_cbranch_execz .LBB32_165
; %bb.169:                              ;   in Loop: Header=BB32_167 Depth=2
	v_perm_b32 v12, v12, 1, v35
	ds_write_b32 v7, v12 offset:3072
	s_branch .LBB32_165
.LBB32_170:                             ;   in Loop: Header=BB32_167 Depth=2
	v_add_u32_e32 v2, s66, v2
	v_cmp_le_i32_e32 vcc, s1, v2
	v_add_u32_e32 v1, s16, v1
	s_mov_b64 s[48:49], 0
	s_orn2_b64 s[46:47], vcc, exec
	s_branch .LBB32_166
.LBB32_171:                             ;   in Loop: Header=BB32_7 Depth=1
	s_or_b64 exec, exec, s[36:37]
	s_andn2_b64 s[0:1], s[42:43], exec
	s_and_b64 s[36:37], s[44:45], exec
	v_lshrrev_b32_e32 v37, 16, v12
	s_or_b64 s[42:43], s[0:1], s[36:37]
.LBB32_172:                             ;   in Loop: Header=BB32_7 Depth=1
	s_or_b64 exec, exec, s[34:35]
	s_mov_b64 s[34:35], 0
	s_mov_b64 s[36:37], -1
.LBB32_173:                             ;   in Loop: Header=BB32_7 Depth=1
	s_orn2_b64 s[42:43], s[42:43], exec
.LBB32_174:                             ;   in Loop: Header=BB32_7 Depth=1
	s_or_b64 exec, exec, s[38:39]
	s_mov_b64 s[44:45], 0
	s_and_saveexec_b64 s[38:39], s[42:43]
	s_cbranch_execz .LBB32_224
; %bb.175:                              ;   in Loop: Header=BB32_7 Depth=1
	s_xor_b64 s[0:1], s[40:41], -1
	s_mov_b64 s[48:49], 0
	v_mov_b32_e32 v12, 1
	v_mov_b32_e32 v4, 1
	s_and_saveexec_b64 s[40:41], s[0:1]
	s_cbranch_execz .LBB32_184
; %bb.176:                              ;   in Loop: Header=BB32_7 Depth=1
	v_cmp_ge_i32_e32 vcc, s54, v13
	s_and_saveexec_b64 s[0:1], vcc
	s_xor_b64 s[42:43], exec, s[0:1]
	s_cbranch_execz .LBB32_181
; %bb.177:                              ;   in Loop: Header=BB32_7 Depth=1
	ds_read_b32 v1, v7 offset:4096
	v_and_b32_e32 v2, v30, v6
	v_lshl_or_b32 v30, 2, v34, v2
	v_or_b32_e32 v36, v36, v3
	s_waitcnt lgkmcnt(0)
	v_cmp_ne_u32_e32 vcc, 0, v1
	s_cbranch_vccnz .LBB32_181
; %bb.178:                              ;   in Loop: Header=BB32_7 Depth=1
	s_mov_b64 s[44:45], exec
	v_readlane_b32 s0, v48, 4
	v_readlane_b32 s1, v48, 5
	s_and_b64 s[0:1], s[44:45], s[0:1]
	s_mov_b64 exec, s[0:1]
; %bb.179:                              ;   in Loop: Header=BB32_7 Depth=1
	v_mov_b32_e32 v1, s54
	ds_write_b32 v7, v1 offset:4100
; %bb.180:                              ;   in Loop: Header=BB32_7 Depth=1
	s_or_b64 exec, exec, s[44:45]
	s_waitcnt lgkmcnt(0)
	s_barrier
.LBB32_181:                             ;   in Loop: Header=BB32_7 Depth=1
	s_or_saveexec_b64 s[42:43], s[42:43]
	s_mov_b64 s[44:45], 0
	v_mov_b32_e32 v4, 8
	s_xor_b64 exec, exec, s[42:43]
; %bb.182:                              ;   in Loop: Header=BB32_7 Depth=1
	s_mov_b64 s[44:45], exec
	v_subrev_u32_e32 v13, s54, v13
	v_mov_b32_e32 v4, 0
; %bb.183:                              ;   in Loop: Header=BB32_7 Depth=1
	s_or_b64 exec, exec, s[42:43]
	s_and_b64 s[48:49], s[44:45], exec
	v_mov_b32_e32 v12, v13
.LBB32_184:                             ;   in Loop: Header=BB32_7 Depth=1
	s_or_b64 exec, exec, s[40:41]
	s_mov_b64 s[42:43], -1
                                        ; implicit-def: $sgpr46_sgpr47
                                        ; implicit-def: $sgpr44_sgpr45
	s_and_saveexec_b64 s[40:41], s[48:49]
	s_cbranch_execz .LBB32_223
; %bb.185:                              ;   in Loop: Header=BB32_7 Depth=1
	s_cmp_eq_u32 s61, 1
	s_cselect_b64 s[0:1], -1, 0
	v_cmp_eq_u32_e32 vcc, 1, v12
	s_and_b64 s[42:43], s[0:1], vcc
	s_mov_b64 s[50:51], -1
                                        ; implicit-def: $sgpr46_sgpr47
                                        ; implicit-def: $sgpr44_sgpr45
	s_and_saveexec_b64 s[48:49], s[42:43]
	s_cbranch_execz .LBB32_211
; %bb.186:                              ;   in Loop: Header=BB32_7 Depth=1
	ds_read_b32 v1, v7 offset:4096
	s_waitcnt lgkmcnt(0)
	s_barrier
	v_readfirstlane_b32 s0, v1
	s_and_saveexec_b64 s[44:45], s[4:5]
; %bb.187:                              ;   in Loop: Header=BB32_7 Depth=1
	ds_write_b16 v19, v7
; %bb.188:                              ;   in Loop: Header=BB32_7 Depth=1
	s_or_b64 exec, exec, s[44:45]
	v_or_b32_e32 v30, v30, v3
	v_or_b32_e32 v36, v36, v3
	s_mov_b64 s[44:45], -1
	s_mov_b64 s[46:47], 0
	s_cmp_gt_i32 s0, 0
	s_mov_b64 s[50:51], 0
	s_mov_b64 s[52:53], -1
	s_waitcnt lgkmcnt(0)
	s_barrier
                                        ; implicit-def: $vgpr37
	s_cbranch_scc1 .LBB32_199
; %bb.189:                              ;   in Loop: Header=BB32_7 Depth=1
	s_mov_b64 s[52:53], 0
                                        ; implicit-def: $vgpr37
	s_mov_b64 s[54:55], exec
	v_readlane_b32 s56, v48, 24
	v_readlane_b32 s57, v48, 25
	s_and_b64 s[56:57], s[54:55], s[56:57]
	s_mov_b64 exec, s[56:57]
	s_cbranch_execz .LBB32_198
; %bb.190:                              ;   in Loop: Header=BB32_7 Depth=1
	v_mov_b32_e32 v1, v5
	v_mov_b32_e32 v6, v0
                                        ; implicit-def: $sgpr56_sgpr57
	s_branch .LBB32_193
.LBB32_191:                             ;   in Loop: Header=BB32_193 Depth=2
	s_or_b64 exec, exec, s[58:59]
	s_waitcnt lgkmcnt(0)
	s_barrier
	ds_read_b32 v2, v7 offset:3072
	s_mov_b64 s[58:59], -1
	s_waitcnt lgkmcnt(0)
	s_barrier
	v_cmp_ne_u32_sdwa s[64:65], v2, v7 src0_sel:WORD_0 src1_sel:DWORD
	s_and_b64 vcc, exec, s[64:65]
	s_mov_b64 s[64:65], -1
	s_cbranch_vccz .LBB32_196
.LBB32_192:                             ;   in Loop: Header=BB32_193 Depth=2
	s_and_b64 s[58:59], exec, s[58:59]
	s_or_b64 s[50:51], s[58:59], s[50:51]
	s_andn2_b64 s[56:57], s[56:57], exec
	s_and_b64 s[58:59], s[64:65], exec
	s_or_b64 s[56:57], s[56:57], s[58:59]
	s_andn2_b64 exec, exec, s[50:51]
	s_cbranch_execz .LBB32_197
.LBB32_193:                             ;   Parent Loop BB32_7 Depth=1
                                        ; =>  This Inner Loop Header: Depth=2
	v_cmp_gt_i32_e32 vcc, s60, v6
	s_and_saveexec_b64 s[58:59], vcc
	s_cbranch_execz .LBB32_191
; %bb.194:                              ;   in Loop: Header=BB32_193 Depth=2
	v_ashrrev_i32_e32 v2, 31, v1
	v_lshlrev_b64 v[13:14], 1, v[1:2]
	v_mov_b32_e32 v2, s67
	v_add_co_u32_e32 v13, vcc, s62, v13
	v_addc_co_u32_e32 v14, vcc, v2, v14, vcc
	global_load_ushort v2, v[13:14], off
	s_waitcnt vmcnt(0)
	v_add_u32_sdwa v13, sext(v2), s17 dst_sel:DWORD dst_unused:UNUSED_PAD src0_sel:WORD_0 src1_sel:DWORD
	v_and_b32_e32 v13, v13, v36
	v_cmp_eq_u32_e32 vcc, v13, v30
	s_and_b64 exec, exec, vcc
	s_cbranch_execz .LBB32_191
; %bb.195:                              ;   in Loop: Header=BB32_193 Depth=2
	v_perm_b32 v2, v2, 1, v35
	ds_write_b32 v7, v2 offset:3072
	s_branch .LBB32_191
.LBB32_196:                             ;   in Loop: Header=BB32_193 Depth=2
	v_add_u32_e32 v6, s66, v6
	v_cmp_le_i32_e32 vcc, s79, v6
	v_add_u32_e32 v1, s18, v1
	s_mov_b64 s[64:65], 0
	s_orn2_b64 s[58:59], vcc, exec
	s_branch .LBB32_192
.LBB32_197:                             ;   in Loop: Header=BB32_7 Depth=1
	s_or_b64 exec, exec, s[50:51]
	v_lshrrev_b32_e32 v37, 16, v2
	s_and_b64 s[50:51], s[56:57], exec
.LBB32_198:                             ;   in Loop: Header=BB32_7 Depth=1
	s_or_b64 exec, exec, s[54:55]
.LBB32_199:                             ;   in Loop: Header=BB32_7 Depth=1
	s_and_b64 vcc, exec, s[52:53]
	s_cbranch_vccz .LBB32_210
; %bb.200:                              ;   in Loop: Header=BB32_7 Depth=1
	v_readlane_b32 s1, v48, 9
	s_add_i32 s1, s0, s1
	s_abs_i32 s44, s1
	v_readlane_b32 s45, v48, 23
	s_mul_hi_u32 s45, s44, s45
	s_mul_i32 s45, s45, s66
	s_sub_i32 s44, s44, s45
	s_ashr_i32 s19, s1, 31
	s_sub_i32 s45, s44, s66
	s_cmp_ge_u32 s44, s66
	s_cselect_b32 s44, s45, s44
	s_sub_i32 s45, s44, s66
	s_cmp_ge_u32 s44, s66
	s_cselect_b32 s44, s45, s44
	s_xor_b32 s44, s44, s19
	s_sub_i32 s19, s19, s44
	s_add_i32 s1, s1, s19
	v_cmp_gt_i32_e32 vcc, s1, v0
                                        ; implicit-def: $vgpr37
	s_and_saveexec_b64 s[44:45], vcc
	s_cbranch_execz .LBB32_209
; %bb.201:                              ;   in Loop: Header=BB32_7 Depth=1
	s_mov_b64 s[46:47], 0
	v_mov_b32_e32 v1, v18
	v_mov_b32_e32 v2, v0
                                        ; implicit-def: $sgpr52_sgpr53
	s_branch .LBB32_204
.LBB32_202:                             ;   in Loop: Header=BB32_204 Depth=2
	s_or_b64 exec, exec, s[54:55]
	s_waitcnt lgkmcnt(0)
	s_barrier
	ds_read_b32 v6, v7 offset:3072
	s_mov_b64 s[54:55], -1
	s_waitcnt lgkmcnt(0)
	s_barrier
	v_cmp_eq_u32_sdwa s[56:57], v6, v7 src0_sel:WORD_0 src1_sel:DWORD
	s_and_b64 vcc, exec, s[56:57]
	s_mov_b64 s[56:57], -1
	s_cbranch_vccnz .LBB32_207
.LBB32_203:                             ;   in Loop: Header=BB32_204 Depth=2
	s_and_b64 s[54:55], exec, s[54:55]
	s_or_b64 s[46:47], s[54:55], s[46:47]
	s_andn2_b64 s[52:53], s[52:53], exec
	s_and_b64 s[54:55], s[56:57], exec
	s_or_b64 s[52:53], s[52:53], s[54:55]
	s_andn2_b64 exec, exec, s[46:47]
	s_cbranch_execz .LBB32_208
.LBB32_204:                             ;   Parent Loop BB32_7 Depth=1
                                        ; =>  This Inner Loop Header: Depth=2
	v_cmp_gt_i32_e32 vcc, s0, v2
	s_and_saveexec_b64 s[54:55], vcc
	s_cbranch_execz .LBB32_202
; %bb.205:                              ;   in Loop: Header=BB32_204 Depth=2
	ds_read_u16 v6, v1
	s_waitcnt lgkmcnt(0)
	v_add_u32_sdwa v13, sext(v6), s17 dst_sel:DWORD dst_unused:UNUSED_PAD src0_sel:WORD_0 src1_sel:DWORD
	v_and_b32_e32 v13, v13, v36
	v_cmp_eq_u32_e32 vcc, v13, v30
	s_and_b64 exec, exec, vcc
	s_cbranch_execz .LBB32_202
; %bb.206:                              ;   in Loop: Header=BB32_204 Depth=2
	v_perm_b32 v6, v6, 1, v35
	ds_write_b32 v7, v6 offset:3072
	s_branch .LBB32_202
.LBB32_207:                             ;   in Loop: Header=BB32_204 Depth=2
	v_add_u32_e32 v2, s66, v2
	v_cmp_le_i32_e32 vcc, s1, v2
	v_add_u32_e32 v1, s16, v1
	s_mov_b64 s[56:57], 0
	s_orn2_b64 s[54:55], vcc, exec
	s_branch .LBB32_203
.LBB32_208:                             ;   in Loop: Header=BB32_7 Depth=1
	s_or_b64 exec, exec, s[46:47]
	s_andn2_b64 s[0:1], s[50:51], exec
	s_and_b64 s[46:47], s[52:53], exec
	v_lshrrev_b32_e32 v37, 16, v6
	s_or_b64 s[50:51], s[0:1], s[46:47]
.LBB32_209:                             ;   in Loop: Header=BB32_7 Depth=1
	s_or_b64 exec, exec, s[44:45]
	s_mov_b64 s[44:45], 0
	s_mov_b64 s[46:47], -1
.LBB32_210:                             ;   in Loop: Header=BB32_7 Depth=1
	s_orn2_b64 s[50:51], s[50:51], exec
.LBB32_211:                             ;   in Loop: Header=BB32_7 Depth=1
	s_or_b64 exec, exec, s[48:49]
	s_mov_b64 s[52:53], 0
	s_and_saveexec_b64 s[48:49], s[50:51]
	s_cbranch_execz .LBB32_222
; %bb.212:                              ;   in Loop: Header=BB32_7 Depth=1
	s_xor_b64 s[0:1], s[42:43], -1
	v_mov_b32_e32 v4, 1
	v_mov_b32_e32 v1, 1
	s_and_saveexec_b64 s[42:43], s[0:1]
	s_cbranch_execz .LBB32_221
; %bb.213:                              ;   in Loop: Header=BB32_7 Depth=1
	v_cmp_ge_i32_e32 vcc, s61, v12
	s_and_saveexec_b64 s[0:1], vcc
	s_xor_b64 s[50:51], exec, s[0:1]
	s_cbranch_execz .LBB32_218
; %bb.214:                              ;   in Loop: Header=BB32_7 Depth=1
	ds_read_b32 v1, v7 offset:4096
	v_or_b32_e32 v30, v30, v3
	v_or_b32_e32 v36, v36, v3
	s_waitcnt lgkmcnt(0)
	v_cmp_ne_u32_e32 vcc, 0, v1
	s_cbranch_vccnz .LBB32_218
; %bb.215:                              ;   in Loop: Header=BB32_7 Depth=1
	s_mov_b64 s[52:53], exec
	v_readlane_b32 s0, v48, 4
	v_readlane_b32 s1, v48, 5
	s_and_b64 s[0:1], s[52:53], s[0:1]
	s_mov_b64 exec, s[0:1]
; %bb.216:                              ;   in Loop: Header=BB32_7 Depth=1
	v_mov_b32_e32 v1, s61
	ds_write_b32 v7, v1 offset:4100
; %bb.217:                              ;   in Loop: Header=BB32_7 Depth=1
	s_or_b64 exec, exec, s[52:53]
	s_waitcnt lgkmcnt(0)
	s_barrier
.LBB32_218:                             ;   in Loop: Header=BB32_7 Depth=1
	s_andn2_saveexec_b64 s[50:51], s[50:51]
; %bb.219:                              ;   in Loop: Header=BB32_7 Depth=1
	v_subrev_u32_e32 v12, s61, v12
; %bb.220:                              ;   in Loop: Header=BB32_7 Depth=1
	s_or_b64 exec, exec, s[50:51]
	v_mov_b32_e32 v4, 8
	v_mov_b32_e32 v1, v12
.LBB32_221:                             ;   in Loop: Header=BB32_7 Depth=1
	s_or_b64 exec, exec, s[42:43]
	s_mov_b64 s[52:53], exec
	v_mov_b32_e32 v12, v1
.LBB32_222:                             ;   in Loop: Header=BB32_7 Depth=1
	s_or_b64 exec, exec, s[48:49]
	s_orn2_b64 s[42:43], s[52:53], exec
.LBB32_223:                             ;   in Loop: Header=BB32_7 Depth=1
	s_or_b64 exec, exec, s[40:41]
	s_andn2_b64 s[0:1], s[36:37], exec
	s_and_b64 s[36:37], s[46:47], exec
	s_or_b64 s[36:37], s[0:1], s[36:37]
	s_andn2_b64 s[0:1], s[34:35], exec
	s_and_b64 s[34:35], s[44:45], exec
	s_or_b64 s[34:35], s[0:1], s[34:35]
	s_and_b64 s[44:45], s[42:43], exec
	v_mov_b32_e32 v13, v12
.LBB32_224:                             ;   in Loop: Header=BB32_7 Depth=1
	s_or_b64 exec, exec, s[38:39]
	s_orn2_b64 s[38:39], s[44:45], exec
.LBB32_225:                             ;   in Loop: Header=BB32_7 Depth=1
	s_or_b64 exec, exec, s[30:31]
	s_andn2_b64 s[0:1], s[26:27], exec
	s_and_b64 s[26:27], s[36:37], exec
	s_or_b64 s[26:27], s[0:1], s[26:27]
	s_andn2_b64 s[0:1], s[24:25], exec
	s_and_b64 s[24:25], s[34:35], exec
	s_or_b64 s[24:25], s[0:1], s[24:25]
	s_and_b64 s[36:37], s[38:39], exec
	v_mov_b32_e32 v12, v13
.LBB32_226:                             ;   in Loop: Header=BB32_7 Depth=1
	s_or_b64 exec, exec, s[28:29]
	s_orn2_b64 s[28:29], s[36:37], exec
.LBB32_227:                             ;   in Loop: Header=BB32_7 Depth=1
	s_or_b64 exec, exec, s[22:23]
	s_mov_b64 s[30:31], 0
                                        ; implicit-def: $sgpr0
	s_and_saveexec_b64 s[22:23], s[28:29]
	s_xor_b64 s[22:23], exec, s[22:23]
	s_cbranch_execz .LBB32_5
; %bb.228:                              ;   in Loop: Header=BB32_7 Depth=1
	v_and_b32_e32 v1, 7, v4
	v_cmp_eq_u32_e32 vcc, 0, v1
	s_mov_b64 s[20:21], -1
	s_mov_b64 s[28:29], -1
                                        ; implicit-def: $sgpr0
	s_and_saveexec_b64 s[30:31], vcc
	s_cbranch_execz .LBB32_4
; %bb.229:                              ;   in Loop: Header=BB32_7 Depth=1
	v_add_u32_e32 v1, -2, v34
	v_cmp_eq_u32_e32 vcc, 0, v34
	s_xor_b32 s0, s76, 1
	s_xor_b64 s[28:29], exec, -1
	s_orn2_b64 s[20:21], vcc, exec
	v_mov_b32_e32 v34, v1
	s_branch .LBB32_4
.LBB32_230:
	s_or_b64 exec, exec, s[80:81]
	s_xor_b64 s[8:9], s[86:87], -1
	s_xor_b64 s[0:1], s[82:83], -1
	;; [unrolled: 1-line block ×3, first 2 shown]
	s_mov_b64 s[4:5], 0
	s_and_saveexec_b64 s[2:3], s[0:1]
	s_xor_b64 s[2:3], exec, s[2:3]
	s_cbranch_execnz .LBB32_235
; %bb.231:
	s_andn2_saveexec_b64 s[0:1], s[2:3]
	s_cbranch_execnz .LBB32_255
.LBB32_232:
	s_or_b64 exec, exec, s[0:1]
	s_and_saveexec_b64 s[0:1], s[4:5]
.LBB32_233:
	; divergent unreachable
.LBB32_234:
	s_endpgm
.LBB32_235:
	s_and_saveexec_b64 s[0:1], s[8:9]
	s_xor_b64 s[4:5], exec, s[0:1]
	s_cbranch_execz .LBB32_253
; %bb.236:
	s_and_saveexec_b64 s[0:1], s[6:7]
	s_xor_b64 s[6:7], exec, s[0:1]
; %bb.237:
	v_xor_b32_e32 v37, 0xffff8000, v30
; %bb.238:
	s_or_b64 exec, exec, s[6:7]
	s_mov_b64 s[6:7], exec
	v_readlane_b32 s0, v48, 4
	v_readlane_b32 s1, v48, 5
	s_and_b64 s[0:1], s[6:7], s[0:1]
	s_mov_b64 exec, s[0:1]
; %bb.239:
	v_mov_b32_e32 v1, 0
	v_mov_b32_e32 v2, s60
	ds_write_b32 v1, v2 offset:4108
; %bb.240:
	s_or_b64 exec, exec, s[6:7]
	v_mov_b32_e32 v1, 0
	s_waitcnt lgkmcnt(0)
	s_barrier
	ds_read_b32 v1, v1 offset:4108
	s_waitcnt lgkmcnt(0)
	v_min_i32_e32 v1, s60, v1
	v_cmp_lt_i32_e32 vcc, v0, v1
	s_and_saveexec_b64 s[6:7], vcc
	s_cbranch_execz .LBB32_250
; %bb.241:
	s_mov_b64 s[8:9], 0
	v_mov_b32_e32 v3, s67
                                        ; implicit-def: $sgpr10_sgpr11
                                        ; implicit-def: $sgpr14_sgpr15
                                        ; implicit-def: $sgpr12_sgpr13
	s_branch .LBB32_243
.LBB32_242:                             ;   in Loop: Header=BB32_243 Depth=1
	s_or_b64 exec, exec, s[16:17]
	s_and_b64 s[0:1], exec, s[14:15]
	s_or_b64 s[8:9], s[0:1], s[8:9]
	s_andn2_b64 s[0:1], s[10:11], exec
	s_and_b64 s[10:11], s[12:13], exec
	s_or_b64 s[10:11], s[0:1], s[10:11]
	s_andn2_b64 exec, exec, s[8:9]
	s_cbranch_execz .LBB32_245
.LBB32_243:                             ; =>This Inner Loop Header: Depth=1
	v_ashrrev_i32_e32 v6, 31, v5
	v_lshlrev_b64 v[6:7], 1, v[5:6]
	v_mov_b32_e32 v2, v0
	v_add_co_u32_e32 v6, vcc, s62, v6
	v_addc_co_u32_e32 v7, vcc, v3, v7, vcc
	global_load_ushort v4, v[6:7], off
	s_or_b64 s[12:13], s[12:13], exec
	s_or_b64 s[14:15], s[14:15], exec
                                        ; implicit-def: $vgpr0
	s_waitcnt vmcnt(0)
	v_cmp_ne_u16_e32 vcc, v4, v37
	s_and_saveexec_b64 s[16:17], vcc
	s_cbranch_execz .LBB32_242
; %bb.244:                              ;   in Loop: Header=BB32_243 Depth=1
	v_add_u32_e32 v0, s66, v2
	v_cmp_ge_i32_e32 vcc, v0, v1
	s_andn2_b64 s[0:1], s[14:15], exec
	s_and_b64 s[14:15], vcc, exec
	v_add_u32_e32 v5, s18, v5
	s_andn2_b64 s[12:13], s[12:13], exec
	s_or_b64 s[14:15], s[0:1], s[14:15]
	s_branch .LBB32_242
.LBB32_245:
	s_or_b64 exec, exec, s[8:9]
	s_and_saveexec_b64 s[0:1], s[10:11]
	s_xor_b64 s[0:1], exec, s[0:1]
	s_cbranch_execz .LBB32_250
; %bb.246:
	s_mov_b64 s[8:9], exec
	s_brev_b32 s0, -2
.LBB32_247:                             ; =>This Inner Loop Header: Depth=1
	s_ff1_i32_b64 s1, s[8:9]
	v_readlane_b32 s12, v2, s1
	s_lshl_b64 s[10:11], 1, s1
	s_min_i32 s0, s0, s12
	s_andn2_b64 s[8:9], s[8:9], s[10:11]
	s_cmp_lg_u64 s[8:9], 0
	s_cbranch_scc1 .LBB32_247
; %bb.248:
	v_mbcnt_lo_u32_b32 v0, exec_lo, 0
	v_mbcnt_hi_u32_b32 v0, exec_hi, v0
	v_cmp_eq_u32_e32 vcc, 0, v0
	s_and_saveexec_b64 s[8:9], vcc
	s_xor_b64 s[8:9], exec, s[8:9]
; %bb.249:
	v_mov_b32_e32 v0, 0
	v_mov_b32_e32 v1, s0
	ds_min_i32 v0, v1 offset:4108
.LBB32_250:
	s_or_b64 exec, exec, s[6:7]
	s_waitcnt lgkmcnt(0)
	s_barrier
	s_mov_b64 s[6:7], exec
	v_readlane_b32 s0, v48, 4
	v_readlane_b32 s1, v48, 5
	s_and_b64 s[0:1], s[6:7], s[0:1]
	s_mov_b64 exec, s[0:1]
	s_cbranch_execz .LBB32_252
; %bb.251:
	v_readlane_b32 s1, v48, 8
	v_readlane_b32 s0, v48, 7
	s_mul_i32 s0, s0, s1
	v_readlane_b32 s8, v48, 6
	s_mul_i32 s8, s8, s1
	s_ashr_i32 s1, s0, 31
	v_mov_b32_e32 v2, 0
	s_lshl_b64 s[0:1], s[0:1], 1
	v_readlane_b32 s10, v48, 2
	ds_read_b32 v0, v2 offset:4108
	v_readlane_b32 s11, v48, 3
	s_add_u32 s0, s10, s0
	s_addc_u32 s1, s11, s1
	s_ashr_i32 s9, s8, 31
	s_lshl_b64 s[8:9], s[8:9], 3
	v_readlane_b32 s10, v48, 0
	v_readlane_b32 s11, v48, 1
	s_add_u32 s8, s10, s8
	s_addc_u32 s9, s11, s9
	s_waitcnt lgkmcnt(0)
	v_ashrrev_i32_e32 v1, 31, v0
	global_store_dwordx2 v2, v[0:1], s[8:9]
	global_store_short v2, v37, s[0:1]
.LBB32_252:
	s_or_b64 exec, exec, s[6:7]
.LBB32_253:
	s_or_saveexec_b64 s[0:1], s[4:5]
	s_mov_b64 s[4:5], 0
	s_xor_b64 exec, exec, s[0:1]
	s_cbranch_execnz .LBB32_256
.LBB32_254:
	s_or_b64 exec, exec, s[0:1]
	s_and_b64 s[4:5], s[4:5], exec
	s_andn2_saveexec_b64 s[0:1], s[2:3]
	s_cbranch_execz .LBB32_232
.LBB32_255:
	s_or_b64 s[4:5], s[4:5], exec
	s_trap 2
	s_or_b64 exec, exec, s[0:1]
	s_and_saveexec_b64 s[0:1], s[4:5]
	s_cbranch_execnz .LBB32_233
	s_branch .LBB32_234
.LBB32_256:
	s_mov_b64 s[4:5], exec
	s_trap 2
	s_branch .LBB32_254
	.section	.rodata,"a",@progbits
	.p2align	6, 0x0
	.amdhsa_kernel _ZN2at6native12_GLOBAL__N_114gatherKthValueIsiLi1EEEvNS_4cuda6detail10TensorInfoIKT_T0_EES8_S8_S8_S8_NS5_IS6_S8_EENS5_IlS8_EE
		.amdhsa_group_segment_fixed_size 4112
		.amdhsa_private_segment_fixed_size 0
		.amdhsa_kernarg_size 920
		.amdhsa_user_sgpr_count 6
		.amdhsa_user_sgpr_private_segment_buffer 1
		.amdhsa_user_sgpr_dispatch_ptr 0
		.amdhsa_user_sgpr_queue_ptr 0
		.amdhsa_user_sgpr_kernarg_segment_ptr 1
		.amdhsa_user_sgpr_dispatch_id 0
		.amdhsa_user_sgpr_flat_scratch_init 0
		.amdhsa_user_sgpr_private_segment_size 0
		.amdhsa_uses_dynamic_stack 0
		.amdhsa_system_sgpr_private_segment_wavefront_offset 0
		.amdhsa_system_sgpr_workgroup_id_x 1
		.amdhsa_system_sgpr_workgroup_id_y 1
		.amdhsa_system_sgpr_workgroup_id_z 1
		.amdhsa_system_sgpr_workgroup_info 0
		.amdhsa_system_vgpr_workitem_id 0
		.amdhsa_next_free_vgpr 49
		.amdhsa_next_free_sgpr 96
		.amdhsa_reserve_vcc 1
		.amdhsa_reserve_flat_scratch 0
		.amdhsa_float_round_mode_32 0
		.amdhsa_float_round_mode_16_64 0
		.amdhsa_float_denorm_mode_32 3
		.amdhsa_float_denorm_mode_16_64 3
		.amdhsa_dx10_clamp 1
		.amdhsa_ieee_mode 1
		.amdhsa_fp16_overflow 0
		.amdhsa_exception_fp_ieee_invalid_op 0
		.amdhsa_exception_fp_denorm_src 0
		.amdhsa_exception_fp_ieee_div_zero 0
		.amdhsa_exception_fp_ieee_overflow 0
		.amdhsa_exception_fp_ieee_underflow 0
		.amdhsa_exception_fp_ieee_inexact 0
		.amdhsa_exception_int_div_zero 0
	.end_amdhsa_kernel
	.section	.text._ZN2at6native12_GLOBAL__N_114gatherKthValueIsiLi1EEEvNS_4cuda6detail10TensorInfoIKT_T0_EES8_S8_S8_S8_NS5_IS6_S8_EENS5_IlS8_EE,"axG",@progbits,_ZN2at6native12_GLOBAL__N_114gatherKthValueIsiLi1EEEvNS_4cuda6detail10TensorInfoIKT_T0_EES8_S8_S8_S8_NS5_IS6_S8_EENS5_IlS8_EE,comdat
.Lfunc_end32:
	.size	_ZN2at6native12_GLOBAL__N_114gatherKthValueIsiLi1EEEvNS_4cuda6detail10TensorInfoIKT_T0_EES8_S8_S8_S8_NS5_IS6_S8_EENS5_IlS8_EE, .Lfunc_end32-_ZN2at6native12_GLOBAL__N_114gatherKthValueIsiLi1EEEvNS_4cuda6detail10TensorInfoIKT_T0_EES8_S8_S8_S8_NS5_IS6_S8_EENS5_IlS8_EE
                                        ; -- End function
	.set _ZN2at6native12_GLOBAL__N_114gatherKthValueIsiLi1EEEvNS_4cuda6detail10TensorInfoIKT_T0_EES8_S8_S8_S8_NS5_IS6_S8_EENS5_IlS8_EE.num_vgpr, 49
	.set _ZN2at6native12_GLOBAL__N_114gatherKthValueIsiLi1EEEvNS_4cuda6detail10TensorInfoIKT_T0_EES8_S8_S8_S8_NS5_IS6_S8_EENS5_IlS8_EE.num_agpr, 0
	.set _ZN2at6native12_GLOBAL__N_114gatherKthValueIsiLi1EEEvNS_4cuda6detail10TensorInfoIKT_T0_EES8_S8_S8_S8_NS5_IS6_S8_EENS5_IlS8_EE.numbered_sgpr, 96
	.set _ZN2at6native12_GLOBAL__N_114gatherKthValueIsiLi1EEEvNS_4cuda6detail10TensorInfoIKT_T0_EES8_S8_S8_S8_NS5_IS6_S8_EENS5_IlS8_EE.num_named_barrier, 0
	.set _ZN2at6native12_GLOBAL__N_114gatherKthValueIsiLi1EEEvNS_4cuda6detail10TensorInfoIKT_T0_EES8_S8_S8_S8_NS5_IS6_S8_EENS5_IlS8_EE.private_seg_size, 0
	.set _ZN2at6native12_GLOBAL__N_114gatherKthValueIsiLi1EEEvNS_4cuda6detail10TensorInfoIKT_T0_EES8_S8_S8_S8_NS5_IS6_S8_EENS5_IlS8_EE.uses_vcc, 1
	.set _ZN2at6native12_GLOBAL__N_114gatherKthValueIsiLi1EEEvNS_4cuda6detail10TensorInfoIKT_T0_EES8_S8_S8_S8_NS5_IS6_S8_EENS5_IlS8_EE.uses_flat_scratch, 0
	.set _ZN2at6native12_GLOBAL__N_114gatherKthValueIsiLi1EEEvNS_4cuda6detail10TensorInfoIKT_T0_EES8_S8_S8_S8_NS5_IS6_S8_EENS5_IlS8_EE.has_dyn_sized_stack, 0
	.set _ZN2at6native12_GLOBAL__N_114gatherKthValueIsiLi1EEEvNS_4cuda6detail10TensorInfoIKT_T0_EES8_S8_S8_S8_NS5_IS6_S8_EENS5_IlS8_EE.has_recursion, 0
	.set _ZN2at6native12_GLOBAL__N_114gatherKthValueIsiLi1EEEvNS_4cuda6detail10TensorInfoIKT_T0_EES8_S8_S8_S8_NS5_IS6_S8_EENS5_IlS8_EE.has_indirect_call, 0
	.section	.AMDGPU.csdata,"",@progbits
; Kernel info:
; codeLenInByte = 9228
; TotalNumSgprs: 100
; NumVgprs: 49
; ScratchSize: 0
; MemoryBound: 0
; FloatMode: 240
; IeeeMode: 1
; LDSByteSize: 4112 bytes/workgroup (compile time only)
; SGPRBlocks: 12
; VGPRBlocks: 12
; NumSGPRsForWavesPerEU: 100
; NumVGPRsForWavesPerEU: 49
; Occupancy: 4
; WaveLimiterHint : 1
; COMPUTE_PGM_RSRC2:SCRATCH_EN: 0
; COMPUTE_PGM_RSRC2:USER_SGPR: 6
; COMPUTE_PGM_RSRC2:TRAP_HANDLER: 0
; COMPUTE_PGM_RSRC2:TGID_X_EN: 1
; COMPUTE_PGM_RSRC2:TGID_Y_EN: 1
; COMPUTE_PGM_RSRC2:TGID_Z_EN: 1
; COMPUTE_PGM_RSRC2:TIDIG_COMP_CNT: 0
	.section	.text._ZN2at6native12_GLOBAL__N_114gatherKthValueIsiLi2EEEvNS_4cuda6detail10TensorInfoIKT_T0_EES8_S8_S8_S8_NS5_IS6_S8_EENS5_IlS8_EE,"axG",@progbits,_ZN2at6native12_GLOBAL__N_114gatherKthValueIsiLi2EEEvNS_4cuda6detail10TensorInfoIKT_T0_EES8_S8_S8_S8_NS5_IS6_S8_EENS5_IlS8_EE,comdat
	.globl	_ZN2at6native12_GLOBAL__N_114gatherKthValueIsiLi2EEEvNS_4cuda6detail10TensorInfoIKT_T0_EES8_S8_S8_S8_NS5_IS6_S8_EENS5_IlS8_EE ; -- Begin function _ZN2at6native12_GLOBAL__N_114gatherKthValueIsiLi2EEEvNS_4cuda6detail10TensorInfoIKT_T0_EES8_S8_S8_S8_NS5_IS6_S8_EENS5_IlS8_EE
	.p2align	8
	.type	_ZN2at6native12_GLOBAL__N_114gatherKthValueIsiLi2EEEvNS_4cuda6detail10TensorInfoIKT_T0_EES8_S8_S8_S8_NS5_IS6_S8_EENS5_IlS8_EE,@function
_ZN2at6native12_GLOBAL__N_114gatherKthValueIsiLi2EEEvNS_4cuda6detail10TensorInfoIKT_T0_EES8_S8_S8_S8_NS5_IS6_S8_EENS5_IlS8_EE: ; @_ZN2at6native12_GLOBAL__N_114gatherKthValueIsiLi2EEEvNS_4cuda6detail10TensorInfoIKT_T0_EES8_S8_S8_S8_NS5_IS6_S8_EENS5_IlS8_EE
; %bb.0:
	s_load_dwordx2 s[12:13], s[4:5], 0x298
	s_load_dwordx4 s[60:63], s[4:5], 0xd8
	s_add_u32 s10, s4, 0x298
	s_addc_u32 s11, s5, 0
	s_waitcnt lgkmcnt(0)
	s_mul_i32 s0, s13, s8
	s_add_i32 s0, s0, s7
	s_mul_i32 s0, s0, s12
	s_add_i32 s16, s0, s6
	s_cmp_ge_i32 s16, s62
	s_cbranch_scc1 .LBB33_234
; %bb.1:
	s_load_dword s0, s[4:5], 0xc
	s_load_dwordx2 s[2:3], s[4:5], 0xe8
                                        ; implicit-def: $vgpr48 : SGPR spill to VGPR lane
                                        ; kill: killed $sgpr4 killed $sgpr5
	s_abs_i32 s20, s16
	s_ashr_i32 s18, s16, 31
	s_mov_b32 s19, 0
	s_waitcnt lgkmcnt(0)
	s_abs_i32 s1, s0
	v_writelane_b32 v48, s2, 0
	v_writelane_b32 v48, s3, 1
	s_load_dwordx2 s[8:9], s[4:5], 0x6c
	s_load_dwordx2 s[2:3], s[4:5], 0x0
	;; [unrolled: 1-line block ×3, first 2 shown]
	v_cvt_f32_u32_e32 v1, s1
	s_ashr_i32 s7, s0, 31
	s_load_dword s21, s[4:5], 0xf4
	s_waitcnt lgkmcnt(0)
	v_writelane_b32 v48, s14, 2
	v_writelane_b32 v48, s15, 3
	s_load_dword s17, s[4:5], 0x1cc
	s_load_dwordx2 s[14:15], s[4:5], 0x1c0
	v_rcp_iflag_f32_e32 v1, v1
	s_waitcnt lgkmcnt(0)
	v_writelane_b32 v48, s14, 4
	v_writelane_b32 v48, s15, 5
	s_load_dwordx2 s[14:15], s[4:5], 0x154
	v_mul_f32_e32 v1, 0x4f7ffffe, v1
	v_cvt_u32_f32_e32 v1, v1
	s_sub_i32 s4, 0, s1
	s_waitcnt lgkmcnt(0)
	v_writelane_b32 v48, s14, 6
	v_writelane_b32 v48, s15, 7
	s_abs_i32 s15, s21
	v_cvt_f32_u32_e32 v2, s15
	v_readfirstlane_b32 s5, v1
	s_abs_i32 s14, s17
	s_mul_i32 s4, s4, s5
	v_rcp_iflag_f32_e32 v1, v2
	v_cvt_f32_u32_e32 v2, s14
	s_mul_hi_u32 s4, s5, s4
	s_add_i32 s5, s5, s4
	v_mul_f32_e32 v1, 0x4f7ffffe, v1
	v_cvt_u32_f32_e32 v1, v1
	v_rcp_iflag_f32_e32 v2, v2
	s_mul_hi_u32 s13, s20, s5
	s_sub_i32 s4, 0, s15
	v_readfirstlane_b32 s5, v1
	v_mul_f32_e32 v1, 0x4f7ffffe, v2
	s_mul_i32 s4, s4, s5
	v_cvt_u32_f32_e32 v1, v1
	s_mul_hi_u32 s4, s5, s4
	s_add_i32 s5, s5, s4
	v_writelane_b32 v48, s15, 8
	s_mul_hi_u32 s4, s20, s5
	v_writelane_b32 v48, s4, 9
	s_sub_i32 s4, 0, s14
	v_readfirstlane_b32 s5, v1
	s_mul_i32 s4, s4, s5
	s_mul_hi_u32 s4, s5, s4
	s_add_i32 s5, s5, s4
	v_writelane_b32 v48, s14, 10
	s_mul_hi_u32 s4, s20, s5
	v_writelane_b32 v48, s4, 11
	v_cmp_eq_u32_e64 s[14:15], 0, v0
	s_mov_b64 s[4:5], exec
	v_writelane_b32 v48, s14, 12
	v_writelane_b32 v48, s15, 13
	s_and_b64 s[14:15], s[4:5], s[14:15]
	s_mov_b64 exec, s[14:15]
; %bb.2:
	v_mov_b32_e32 v1, 0
	v_mov_b32_e32 v2, s60
	;; [unrolled: 1-line block ×3, first 2 shown]
	ds_write_b96 v1, v[1:3] offset:4096
; %bb.3:
	s_or_b64 exec, exec, s[4:5]
	v_writelane_b32 v48, s21, 14
	s_ashr_i32 s4, s21, 31
	v_writelane_b32 v48, s4, 15
	s_mul_i32 s5, s13, s1
	v_writelane_b32 v48, s17, 16
	s_ashr_i32 s4, s17, 31
	s_sub_i32 s5, s20, s5
	v_writelane_b32 v48, s4, 17
	s_xor_b32 s4, s18, s7
	s_add_i32 s7, s13, 1
	s_sub_i32 s14, s5, s1
	s_cmp_ge_u32 s5, s1
	s_cselect_b32 s7, s7, s13
	s_cselect_b32 s5, s14, s5
	s_add_i32 s13, s7, 1
	s_cmp_ge_u32 s5, s1
	s_cselect_b32 s1, s13, s7
	s_xor_b32 s1, s1, s4
	s_sub_i32 s1, s1, s4
	s_mul_i32 s0, s1, s0
	s_sub_i32 s0, s16, s0
	s_mul_i32 s0, s0, s9
	s_mul_i32 s1, s1, s8
	s_waitcnt lgkmcnt(0)
	s_barrier
	s_load_dword s4, s[10:11], 0xc
	s_add_i32 s0, s1, s0
	v_mul_lo_u32 v5, s63, v0
	s_ashr_i32 s1, s0, 31
	s_lshl_b64 s[0:1], s[0:1], 1
	v_mov_b32_e32 v7, 0
	s_add_u32 s62, s2, s0
	v_mbcnt_lo_u32_b32 v1, -1, 0
	v_mov_b32_e32 v6, v7
	s_addc_u32 s71, s3, s1
	s_waitcnt lgkmcnt(0)
	s_and_b32 s70, s4, 0xffff
	v_mbcnt_hi_u32_b32 v17, -1, v1
	v_lshlrev_b64 v[1:2], 1, v[5:6]
	v_writelane_b32 v48, s18, 18
	s_bfe_u32 s0, s4, 0xa0006
	v_cmp_gt_u32_e32 vcc, 64, v0
	v_cmp_gt_i32_e64 s[4:5], 4, v17
	s_add_i32 s1, s70, -1
	v_writelane_b32 v48, s20, 19
	s_lshl_b32 s33, s70, 2
	s_and_b64 s[72:73], vcc, s[4:5]
	s_add_i32 s83, s1, s60
	v_mov_b32_e32 v20, s71
	v_add_co_u32_e32 v8, vcc, s62, v1
	v_writelane_b32 v48, s16, 20
	s_cmpk_gt_i32 s60, 0x600
	v_addc_co_u32_e32 v9, vcc, v20, v2, vcc
	v_lshlrev_b64 v[2:3], v17, -1
	v_writelane_b32 v48, s1, 21
	s_cselect_b64 s[8:9], -1, 0
	v_writelane_b32 v48, s8, 22
	v_not_b32_e32 v23, v2
	v_lshrrev_b32_e32 v2, 2, v0
	v_writelane_b32 v48, s9, 23
	v_cmp_gt_u32_e64 s[8:9], s60, v0
	s_cmp_gt_u32 s70, 63
	v_and_b32_e32 v2, 0xf0, v2
	v_writelane_b32 v48, s8, 24
	s_cselect_b64 s[76:77], -1, 0
	v_or_b32_e32 v24, 0xc00, v2
	s_cmp_lt_u32 s6, s12
	v_cvt_f32_u32_e32 v2, s33
	v_writelane_b32 v48, s9, 25
	v_cmp_gt_i32_e64 s[8:9], s60, v0
	s_cselect_b32 s1, 12, 18
	v_writelane_b32 v48, s8, 26
	s_add_u32 s6, s10, s1
	v_writelane_b32 v48, s9, 27
	s_addc_u32 s7, s11, 0
	v_writelane_b32 v48, s6, 28
	s_add_i32 s1, s0, -1
	v_rcp_iflag_f32_e32 v2, v2
	v_writelane_b32 v48, s7, 29
	s_bfe_u32 s6, s70, 0x30006
	s_and_b32 s1, s1, 0xffff
	s_cmp_gt_u32 s1, 6
	s_cselect_b64 s[8:9], -1, 0
	v_writelane_b32 v48, s8, 30
	v_mul_f32_e32 v2, 0x4f7ffffe, v2
	v_writelane_b32 v48, s9, 31
	s_and_b32 s9, s0, 0x3f8
	v_cvt_u32_f32_e32 v2, v2
	s_cmp_lg_u32 s6, 0
	v_writelane_b32 v48, s6, 32
	s_cselect_b64 s[0:1], -1, 0
	v_writelane_b32 v48, s0, 33
	v_writelane_b32 v48, s1, 34
	s_sub_i32 s0, 0, s33
	v_readfirstlane_b32 s1, v2
	s_mul_i32 s0, s0, s1
	s_mul_hi_u32 s0, s1, s0
	s_add_i32 s80, s1, s0
	s_mul_hi_u32 s0, s60, s80
	s_mul_i32 s0, s0, s33
	s_sub_i32 s0, s60, s0
	s_sub_i32 s1, s0, s33
	s_cmp_ge_u32 s0, s33
	s_cselect_b32 s0, s1, s0
	s_sub_i32 s1, s0, s33
	s_cmp_ge_u32 s0, s33
	s_cselect_b32 s0, s1, s0
	s_sub_i32 s81, s60, s0
	v_add_u32_e32 v25, s81, v0
	v_cvt_f32_u32_e32 v4, s70
	v_mul_lo_u32 v2, v25, s63
	v_not_b32_e32 v22, v3
	s_sub_i32 s7, 0, s70
	v_rcp_iflag_f32_e32 v4, v4
	v_ashrrev_i32_e32 v3, 31, v2
	v_lshlrev_b64 v[2:3], 1, v[2:3]
	s_abs_i32 s6, s83
	v_add_co_u32_e32 v10, vcc, s62, v2
	v_mul_f32_e32 v2, 0x4f7ffffe, v4
	v_cvt_u32_f32_e32 v2, v2
	s_ashr_i32 s1, s83, 31
	v_lshlrev_b32_e32 v16, 2, v0
	v_lshlrev_b32_e32 v18, 1, v0
	v_readfirstlane_b32 s8, v2
	s_mul_i32 s7, s7, s8
	s_mul_hi_u32 s7, s8, s7
	s_add_i32 s7, s8, s7
	v_writelane_b32 v48, s7, 35
	s_mul_hi_u32 s7, s6, s7
	s_mul_i32 s7, s7, s70
	s_sub_i32 s6, s6, s7
	s_sub_i32 s7, s6, s70
	s_cmp_ge_u32 s6, s70
	s_cselect_b32 s6, s7, s6
	s_sub_i32 s7, s6, s70
	v_mul_lo_u32 v2, s63, v16
	s_cmp_ge_u32 s6, s70
	s_cselect_b32 s6, s7, s6
	s_xor_b32 s6, s6, s1
	s_sub_i32 s1, s1, s6
	v_add_u32_e32 v26, s63, v2
	v_or_b32_e32 v2, 2, v16
	s_add_i32 s83, s83, s1
	v_mul_lo_u32 v27, s63, v2
	v_or_b32_e32 v2, 3, v16
	s_add_i32 s1, s70, s60
	v_mul_lo_u32 v28, s63, v2
	v_add_u32_e32 v2, s1, v0
	v_subrev_u32_e32 v2, s0, v2
	v_mul_lo_u32 v31, s63, v2
	v_lshlrev_b32_e32 v1, 2, v17
	v_mov_b32_e32 v6, s71
	v_cmp_gt_i32_e64 s[6:7], s83, v0
	s_mul_i32 s18, s63, s70
	v_cmp_eq_u32_e64 s[2:3], 0, v17
	v_cmp_gt_u32_e64 s[4:5], 2, v0
	v_add_u32_e32 v19, 0xc00, v18
	v_and_b32_e32 v21, 0x100, v1
	v_cmp_gt_i32_e64 s[10:11], s81, v16
	v_cmp_gt_u32_e64 s[12:13], s60, v25
	v_addc_co_u32_e32 v11, vcc, v6, v3, vcc
	v_cmp_gt_i32_e64 s[14:15], s60, v25
	v_writelane_b32 v48, s6, 36
	s_lshl_b32 s78, s18, 2
	v_lshlrev_b32_e32 v29, 2, v5
	v_lshlrev_b32_e32 v32, 3, v0
	s_lshl_b32 s79, s70, 3
	s_lshl_b32 s16, s70, 1
	v_or_b32_e32 v33, 0xc00, v1
	s_mov_b64 s[84:85], 0
	v_mov_b32_e32 v34, 14
	v_mov_b32_e32 v38, s61
	s_mov_b32 s17, 0x8000
	v_mov_b32_e32 v35, 0x5040100
	v_mov_b32_e32 v37, 0
	;; [unrolled: 1-line block ×4, first 2 shown]
	v_writelane_b32 v48, s7, 37
                                        ; implicit-def: $sgpr86_sgpr87
                                        ; implicit-def: $sgpr90_sgpr91
                                        ; implicit-def: $sgpr88_sgpr89
                                        ; implicit-def: $sgpr94_sgpr95
                                        ; implicit-def: $sgpr64_sgpr65
                                        ; implicit-def: $sgpr92_sgpr93
	s_branch .LBB33_7
.LBB33_4:                               ;   in Loop: Header=BB33_7 Depth=1
	s_or_b64 exec, exec, s[30:31]
	s_and_b64 s[30:31], s[28:29], exec
	s_andn2_b64 s[26:27], s[26:27], exec
	s_andn2_b64 s[24:25], s[24:25], exec
	s_orn2_b64 s[20:21], s[20:21], exec
.LBB33_5:                               ;   in Loop: Header=BB33_7 Depth=1
	s_or_b64 exec, exec, s[22:23]
	s_andn2_b64 s[22:23], s[92:93], exec
	s_and_b64 s[28:29], s[30:31], exec
	s_or_b64 s[92:93], s[22:23], s[28:29]
	s_andn2_b64 s[22:23], s[64:65], exec
	s_and_b64 s[26:27], s[26:27], exec
	s_or_b64 s[64:65], s[22:23], s[26:27]
	;; [unrolled: 3-line block ×3, first 2 shown]
	s_orn2_b64 s[20:21], s[20:21], exec
.LBB33_6:                               ;   in Loop: Header=BB33_7 Depth=1
	s_or_b64 exec, exec, s[6:7]
	s_and_b64 s[6:7], exec, s[20:21]
	s_or_b64 s[84:85], s[6:7], s[84:85]
	s_andn2_b64 s[6:7], s[88:89], exec
	s_and_b64 s[20:21], s[92:93], exec
	s_or_b64 s[88:89], s[6:7], s[20:21]
	s_andn2_b64 s[6:7], s[90:91], exec
	s_and_b64 s[20:21], s[64:65], exec
	;; [unrolled: 3-line block ×3, first 2 shown]
	s_or_b64 s[86:87], s[6:7], s[20:21]
	s_mov_b32 s19, s0
	v_mov_b32_e32 v38, v12
	s_andn2_b64 exec, exec, s[84:85]
	s_cbranch_execz .LBB33_230
.LBB33_7:                               ; =>This Loop Header: Depth=1
                                        ;     Child Loop BB33_12 Depth 2
                                        ;     Child Loop BB33_27 Depth 2
	;; [unrolled: 1-line block ×16, first 2 shown]
	ds_read_b64 v[1:2], v7 offset:4096
	s_waitcnt lgkmcnt(0)
	v_readfirstlane_b32 s61, v1
	s_cmp_gt_i32 s61, 0
	s_cbranch_scc1 .LBB33_34
; %bb.8:                                ;   in Loop: Header=BB33_7 Depth=1
	v_readlane_b32 s0, v48, 22
	v_readlane_b32 s1, v48, 23
	s_and_b64 vcc, exec, s[0:1]
	s_cbranch_vccz .LBB33_20
; %bb.9:                                ;   in Loop: Header=BB33_7 Depth=1
	s_movk_i32 s0, 0x601
	v_cmp_gt_i32_e32 vcc, s0, v2
	s_mov_b64 s[20:21], 0
	s_mov_b64 s[6:7], 0
	s_cbranch_vccz .LBB33_21
; %bb.10:                               ;   in Loop: Header=BB33_7 Depth=1
	v_readlane_b32 s0, v48, 28
	v_readlane_b32 s1, v48, 29
	s_nop 4
	global_load_ushort v1, v7, s[0:1]
	global_load_ushort v3, v[8:9], off
	s_mov_b64 s[22:23], 0
	v_mov_b32_e32 v4, v0
	s_waitcnt vmcnt(1)
	v_add_u32_e32 v2, v0, v1
	v_mul_lo_u32 v6, s63, v2
	v_mul_lo_u32 v2, s63, v1
	s_branch .LBB33_12
.LBB33_11:                              ;   in Loop: Header=BB33_12 Depth=2
	s_or_b64 exec, exec, s[6:7]
	v_cmp_le_i32_e32 vcc, s60, v4
	v_add_u32_e32 v6, v6, v2
	s_or_b64 s[22:23], vcc, s[22:23]
	v_mov_b32_e32 v3, v12
	s_andn2_b64 exec, exec, s[22:23]
	s_cbranch_execz .LBB33_66
.LBB33_12:                              ;   Parent Loop BB33_7 Depth=1
                                        ; =>  This Inner Loop Header: Depth=2
	v_add_u32_e32 v4, v4, v1
	v_cmp_gt_u32_e32 vcc, s60, v4
	s_waitcnt lgkmcnt(0)
	v_mov_b32_e32 v13, 0
	v_mov_b32_e32 v12, 0
	s_and_saveexec_b64 s[6:7], vcc
	s_cbranch_execz .LBB33_14
; %bb.13:                               ;   in Loop: Header=BB33_12 Depth=2
	v_lshlrev_b64 v[14:15], 1, v[6:7]
	v_add_co_u32_e32 v14, vcc, s62, v14
	v_addc_co_u32_e32 v15, vcc, v20, v15, vcc
	global_load_ushort v12, v[14:15], off
.LBB33_14:                              ;   in Loop: Header=BB33_12 Depth=2
	s_or_b64 exec, exec, s[6:7]
	s_waitcnt vmcnt(0)
	v_add_u32_sdwa v14, sext(v3), s17 dst_sel:DWORD dst_unused:UNUSED_PAD src0_sel:WORD_0 src1_sel:DWORD
	v_and_b32_e32 v14, v14, v36
	v_cmp_eq_u32_e32 vcc, v14, v30
	s_cmp_lg_u64 vcc, 0
	s_cselect_b64 s[0:1], -1, 0
	s_and_b64 s[0:1], s[2:3], s[0:1]
	s_and_saveexec_b64 s[24:25], s[0:1]
	s_cbranch_execz .LBB33_18
; %bb.15:                               ;   in Loop: Header=BB33_12 Depth=2
	s_mov_b64 s[28:29], exec
	v_mbcnt_lo_u32_b32 v13, s28, 0
	v_mbcnt_hi_u32_b32 v13, s29, v13
	s_bcnt1_i32_b64 s0, vcc
	v_cmp_eq_u32_e64 s[6:7], 0, v13
                                        ; implicit-def: $vgpr14
	s_and_saveexec_b64 s[26:27], s[6:7]
; %bb.16:                               ;   in Loop: Header=BB33_12 Depth=2
	s_bcnt1_i32_b64 s1, s[28:29]
	s_mul_i32 s1, s0, s1
	v_mov_b32_e32 v14, s1
	ds_add_rtn_u32 v14, v7, v14 offset:4104
; %bb.17:                               ;   in Loop: Header=BB33_12 Depth=2
	s_or_b64 exec, exec, s[26:27]
	s_waitcnt lgkmcnt(0)
	v_readfirstlane_b32 s1, v14
	v_mov_b32_e32 v14, s1
	v_mad_u32_u24 v13, s0, v13, v14
.LBB33_18:                              ;   in Loop: Header=BB33_12 Depth=2
	s_or_b64 exec, exec, s[24:25]
	ds_bpermute_b32 v13, v21, v13
	s_and_saveexec_b64 s[6:7], vcc
	s_cbranch_execz .LBB33_11
; %bb.19:                               ;   in Loop: Header=BB33_12 Depth=2
	v_and_b32_e32 v15, vcc_lo, v23
	v_and_b32_e32 v14, vcc_hi, v22
	v_bcnt_u32_b32 v15, v15, 0
	v_bcnt_u32_b32 v14, v14, v15
	v_lshlrev_b32_e32 v14, 1, v14
	s_waitcnt lgkmcnt(0)
	v_lshl_add_u32 v13, v13, 1, v14
	ds_write_b16 v13, v3
	s_branch .LBB33_11
.LBB33_20:                              ;   in Loop: Header=BB33_7 Depth=1
	s_mov_b64 s[20:21], -1
	s_mov_b64 s[6:7], 0
.LBB33_21:                              ;   in Loop: Header=BB33_7 Depth=1
	s_and_b64 vcc, exec, s[20:21]
	s_cbranch_vccz .LBB33_32
.LBB33_22:                              ;   in Loop: Header=BB33_7 Depth=1
	v_mov_b32_e32 v1, 0
	s_mov_b64 s[6:7], exec
	v_readlane_b32 s0, v48, 24
	v_readlane_b32 s1, v48, 25
	s_and_b64 s[0:1], s[6:7], s[0:1]
	s_mov_b64 exec, s[0:1]
	s_cbranch_execz .LBB33_24
; %bb.23:                               ;   in Loop: Header=BB33_7 Depth=1
	global_load_ushort v1, v[8:9], off
.LBB33_24:                              ;   in Loop: Header=BB33_7 Depth=1
	s_or_b64 exec, exec, s[6:7]
	s_mov_b64 s[6:7], exec
	v_readlane_b32 s0, v48, 26
	v_readlane_b32 s1, v48, 27
	s_and_b64 s[0:1], s[6:7], s[0:1]
	s_mov_b64 exec, s[0:1]
	s_cbranch_execz .LBB33_29
; %bb.25:                               ;   in Loop: Header=BB33_7 Depth=1
	v_readlane_b32 s0, v48, 28
	v_readlane_b32 s1, v48, 29
	s_mov_b64 s[20:21], 0
	v_mov_b32_e32 v12, v18
	v_mov_b32_e32 v13, v0
	s_nop 1
	global_load_ushort v2, v7, s[0:1]
	s_waitcnt vmcnt(0)
	v_add_u32_e32 v4, v0, v2
	v_mul_lo_u32 v6, s63, v4
	v_mul_lo_u32 v4, s63, v2
	v_lshlrev_b32_e32 v3, 1, v2
	s_branch .LBB33_27
.LBB33_26:                              ;   in Loop: Header=BB33_27 Depth=2
	s_or_b64 exec, exec, s[22:23]
	v_cmp_le_i32_e32 vcc, s60, v13
	ds_write_b16 v12, v1
	v_add_u32_e32 v12, v12, v3
	v_add_u32_e32 v6, v6, v4
	s_or_b64 s[20:21], vcc, s[20:21]
	s_waitcnt vmcnt(0)
	v_mov_b32_e32 v1, v14
	s_andn2_b64 exec, exec, s[20:21]
	s_cbranch_execz .LBB33_29
.LBB33_27:                              ;   Parent Loop BB33_7 Depth=1
                                        ; =>  This Inner Loop Header: Depth=2
	v_add_u32_e32 v13, v13, v2
	v_cmp_gt_u32_e32 vcc, s60, v13
	v_mov_b32_e32 v14, 0
	s_and_saveexec_b64 s[22:23], vcc
	s_cbranch_execz .LBB33_26
; %bb.28:                               ;   in Loop: Header=BB33_27 Depth=2
	v_lshlrev_b64 v[14:15], 1, v[6:7]
	v_mov_b32_e32 v39, s71
	v_add_co_u32_e32 v14, vcc, s62, v14
	v_addc_co_u32_e32 v15, vcc, v39, v15, vcc
	global_load_ushort v14, v[14:15], off
	s_branch .LBB33_26
.LBB33_29:                              ;   in Loop: Header=BB33_7 Depth=1
	s_or_b64 exec, exec, s[6:7]
	s_waitcnt vmcnt(0) lgkmcnt(0)
	s_barrier
	s_mov_b64 s[6:7], exec
	v_readlane_b32 s0, v48, 12
	v_readlane_b32 s1, v48, 13
	s_and_b64 s[0:1], s[6:7], s[0:1]
	s_mov_b64 exec, s[0:1]
; %bb.30:                               ;   in Loop: Header=BB33_7 Depth=1
	v_mov_b32_e32 v1, s60
	ds_write_b32 v7, v1 offset:4096
; %bb.31:                               ;   in Loop: Header=BB33_7 Depth=1
	s_or_b64 exec, exec, s[6:7]
	s_mov_b64 s[6:7], -1
	s_waitcnt lgkmcnt(0)
	s_barrier
.LBB33_32:                              ;   in Loop: Header=BB33_7 Depth=1
	s_and_b64 vcc, exec, s[6:7]
	s_cbranch_vccz .LBB33_34
; %bb.33:                               ;   in Loop: Header=BB33_7 Depth=1
	ds_read_b32 v1, v7 offset:4096
	s_waitcnt lgkmcnt(0)
	v_readfirstlane_b32 s61, v1
.LBB33_34:                              ;   in Loop: Header=BB33_7 Depth=1
	s_cmp_lt_i32 s61, 1
	s_mov_b64 s[6:7], -1
                                        ; implicit-def: $vgpr1
	s_cbranch_scc1 .LBB33_44
; %bb.35:                               ;   in Loop: Header=BB33_7 Depth=1
	s_and_b64 vcc, exec, s[6:7]
	s_cbranch_vccnz .LBB33_57
.LBB33_36:                              ;   in Loop: Header=BB33_7 Depth=1
	s_lshl_b32 s0, s19, 6
	s_and_saveexec_b64 s[6:7], s[2:3]
.LBB33_37:                              ;   in Loop: Header=BB33_7 Depth=1
	v_lshl_add_u32 v6, s0, 2, v24
	ds_write_b128 v6, v[1:4]
.LBB33_38:                              ;   in Loop: Header=BB33_7 Depth=1
	s_or_b64 exec, exec, s[6:7]
	s_waitcnt vmcnt(0) lgkmcnt(0)
	s_barrier
	s_and_saveexec_b64 s[6:7], s[72:73]
	s_cbranch_execz .LBB33_74
; %bb.39:                               ;   in Loop: Header=BB33_7 Depth=1
	s_andn2_b64 vcc, exec, s[76:77]
	v_mov_b32_e32 v1, 0
	s_cbranch_vccnz .LBB33_73
; %bb.40:                               ;   in Loop: Header=BB33_7 Depth=1
	v_readlane_b32 s20, v48, 30
	v_readlane_b32 s21, v48, 31
	s_andn2_b64 vcc, exec, s[20:21]
	s_cbranch_vccnz .LBB33_69
; %bb.41:                               ;   in Loop: Header=BB33_7 Depth=1
	v_lshl_add_u32 v2, s19, 8, v33
	s_mov_b32 s1, 0
	v_mov_b32_e32 v1, 0
.LBB33_42:                              ;   Parent Loop BB33_7 Depth=1
                                        ; =>  This Inner Loop Header: Depth=2
	ds_read2_b32 v[3:4], v2 offset1:4
	ds_read2_b32 v[12:13], v2 offset0:8 offset1:12
	ds_read2_b32 v[14:15], v2 offset0:16 offset1:20
	;; [unrolled: 1-line block ×3, first 2 shown]
	s_add_i32 s1, s1, 8
	s_waitcnt lgkmcnt(3)
	v_add3_u32 v1, v3, v1, v4
	s_waitcnt lgkmcnt(2)
	v_add3_u32 v1, v12, v1, v13
	;; [unrolled: 2-line block ×3, first 2 shown]
	v_add_u32_e32 v2, 0x80, v2
	s_cmp_eq_u32 s9, s1
	s_waitcnt lgkmcnt(0)
	v_add3_u32 v1, v39, v1, v40
	s_cbranch_scc0 .LBB33_42
; %bb.43:                               ;   in Loop: Header=BB33_7 Depth=1
	s_mov_b32 s1, s9
	s_branch .LBB33_70
.LBB33_44:                              ;   in Loop: Header=BB33_7 Depth=1
	v_mov_b32_e32 v1, 0
	v_mov_b32_e32 v2, 0
	;; [unrolled: 1-line block ×4, first 2 shown]
	s_and_saveexec_b64 s[66:67], s[10:11]
	s_cbranch_execnz .LBB33_47
; %bb.45:                               ;   in Loop: Header=BB33_7 Depth=1
	s_or_b64 exec, exec, s[66:67]
	v_mov_b32_e32 v14, 0
	s_and_saveexec_b64 s[6:7], s[12:13]
	s_cbranch_execnz .LBB33_50
.LBB33_46:                              ;   in Loop: Header=BB33_7 Depth=1
	s_or_b64 exec, exec, s[6:7]
	s_and_saveexec_b64 s[20:21], s[14:15]
	s_cbranch_execnz .LBB33_51
	s_branch .LBB33_56
.LBB33_47:                              ;   in Loop: Header=BB33_7 Depth=1
	s_mov_b32 s8, 0
	s_mov_b64 s[68:69], 0
	s_mov_b32 s82, 0
	s_mov_b32 s0, 0
	;; [unrolled: 1-line block ×4, first 2 shown]
	v_mov_b32_e32 v6, v16
.LBB33_48:                              ;   Parent Loop BB33_7 Depth=1
                                        ; =>  This Inner Loop Header: Depth=2
	v_add_u32_e32 v1, s8, v29
	v_ashrrev_i32_e32 v2, 31, v1
	v_add_u32_e32 v3, s8, v26
	v_lshlrev_b64 v[1:2], 1, v[1:2]
	v_ashrrev_i32_e32 v4, 31, v3
	v_mov_b32_e32 v39, s71
	v_add_u32_e32 v12, s8, v27
	v_lshlrev_b64 v[3:4], 1, v[3:4]
	v_add_co_u32_e64 v1, s[6:7], s62, v1
	v_ashrrev_i32_e32 v13, 31, v12
	v_addc_co_u32_e64 v2, s[6:7], v39, v2, s[6:7]
	v_add_u32_e32 v14, s8, v28
	v_lshlrev_b64 v[12:13], 1, v[12:13]
	v_add_co_u32_e64 v3, s[6:7], s62, v3
	v_ashrrev_i32_e32 v15, 31, v14
	v_addc_co_u32_e64 v4, s[6:7], v39, v4, s[6:7]
	v_lshlrev_b64 v[14:15], 1, v[14:15]
	v_add_co_u32_e64 v12, s[6:7], s62, v12
	v_addc_co_u32_e64 v13, s[6:7], v39, v13, s[6:7]
	v_add_co_u32_e64 v14, s[6:7], s62, v14
	v_addc_co_u32_e64 v15, s[6:7], v39, v15, s[6:7]
	global_load_sshort v1, v[1:2], off
	s_nop 0
	global_load_sshort v2, v[3:4], off
	s_nop 0
	global_load_sshort v3, v[12:13], off
	global_load_sshort v4, v[14:15], off
	v_add_u32_e32 v6, s33, v6
	s_add_i32 s8, s8, s78
	v_cmp_le_i32_e32 vcc, s81, v6
	s_waitcnt vmcnt(3)
	v_add_u32_e32 v1, 0x8000, v1
	s_waitcnt vmcnt(2)
	v_add_u32_e32 v2, 0x8000, v2
	v_and_b32_e32 v12, v1, v36
	v_bfe_u32 v1, v1, v34, 2
	s_waitcnt vmcnt(1)
	v_add_u32_e32 v3, 0x8000, v3
	v_and_b32_e32 v13, v2, v36
	v_bfe_u32 v2, v2, v34, 2
	v_cmp_eq_u32_e64 s[6:7], v12, v30
	v_cmp_eq_u32_e64 s[26:27], 0, v1
	s_waitcnt vmcnt(0)
	v_add_u32_e32 v4, 0x8000, v4
	v_and_b32_e32 v14, v3, v36
	v_bfe_u32 v3, v3, v34, 2
	v_cmp_eq_u32_e64 s[20:21], v13, v30
	v_cmp_eq_u32_e64 s[28:29], 0, v2
	s_and_b64 s[26:27], s[6:7], s[26:27]
	v_and_b32_e32 v15, v4, v36
	v_bfe_u32 v4, v4, v34, 2
	v_cmp_eq_u32_e64 s[22:23], v14, v30
	v_cmp_eq_u32_e64 s[30:31], 0, v3
	;; [unrolled: 1-line block ×5, first 2 shown]
	v_cndmask_b32_e64 v1, 0, 1, s[26:27]
	s_and_b64 s[26:27], s[20:21], s[28:29]
	v_cmp_eq_u32_e64 s[24:25], v15, v30
	v_cmp_eq_u32_e64 s[34:35], 0, v4
	;; [unrolled: 1-line block ×5, first 2 shown]
	v_cndmask_b32_e64 v2, 0, 1, s[26:27]
	s_and_b64 s[26:27], s[22:23], s[30:31]
	v_cmp_eq_u32_e64 s[40:41], 1, v3
	v_cmp_eq_u32_e64 s[48:49], 2, v3
	;; [unrolled: 1-line block ×3, first 2 shown]
	v_cndmask_b32_e64 v3, 0, 1, s[26:27]
	s_and_b64 s[26:27], s[24:25], s[34:35]
	v_cmp_eq_u32_e64 s[42:43], 1, v4
	v_cmp_eq_u32_e64 s[50:51], 2, v4
	;; [unrolled: 1-line block ×3, first 2 shown]
	v_cndmask_b32_e64 v4, 0, 1, s[26:27]
	s_and_b64 s[26:27], s[6:7], s[36:37]
	v_cndmask_b32_e64 v12, 0, 1, s[26:27]
	s_and_b64 s[26:27], s[20:21], s[38:39]
	;; [unrolled: 2-line block ×5, first 2 shown]
	s_and_b64 s[6:7], s[6:7], s[52:53]
	v_cndmask_b32_e64 v39, 0, 1, s[26:27]
	s_and_b64 s[26:27], s[20:21], s[46:47]
	v_cndmask_b32_e64 v43, 0, 1, s[6:7]
	;; [unrolled: 2-line block ×7, first 2 shown]
	v_cndmask_b32_e64 v46, 0, 1, s[6:7]
	v_cmp_ne_u32_e64 s[6:7], 0, v1
	v_cmp_ne_u32_e64 s[20:21], 0, v2
	;; [unrolled: 1-line block ×11, first 2 shown]
	s_bcnt1_i32_b64 s6, s[6:7]
	s_bcnt1_i32_b64 s7, s[20:21]
	;; [unrolled: 1-line block ×8, first 2 shown]
	v_cmp_ne_u32_e64 s[34:35], 0, v15
	v_cmp_ne_u32_e64 s[40:41], 0, v41
	;; [unrolled: 1-line block ×3, first 2 shown]
	s_bcnt1_i32_b64 s23, s[28:29]
	s_bcnt1_i32_b64 s27, s[38:39]
	;; [unrolled: 1-line block ×3, first 2 shown]
	s_add_i32 s6, s74, s6
	s_add_i32 s1, s1, s22
	;; [unrolled: 1-line block ×4, first 2 shown]
	v_cmp_ne_u32_e64 s[42:43], 0, v42
	v_cmp_ne_u32_e64 s[50:51], 0, v46
	s_bcnt1_i32_b64 s25, s[34:35]
	s_bcnt1_i32_b64 s28, s[40:41]
	;; [unrolled: 1-line block ×3, first 2 shown]
	s_add_i32 s6, s6, s7
	s_add_i32 s1, s1, s23
	;; [unrolled: 1-line block ×4, first 2 shown]
	s_bcnt1_i32_b64 s29, s[42:43]
	s_bcnt1_i32_b64 s35, s[50:51]
	s_add_i32 s6, s6, s20
	s_add_i32 s1, s1, s24
	;; [unrolled: 1-line block ×8, first 2 shown]
	s_or_b64 s[68:69], vcc, s[68:69]
	v_mov_b32_e32 v1, s74
	v_mov_b32_e32 v2, s1
	;; [unrolled: 1-line block ×4, first 2 shown]
	s_andn2_b64 exec, exec, s[68:69]
	s_cbranch_execnz .LBB33_48
; %bb.49:                               ;   in Loop: Header=BB33_7 Depth=1
	s_or_b64 exec, exec, s[68:69]
	s_or_b64 exec, exec, s[66:67]
	v_mov_b32_e32 v14, 0
	s_and_saveexec_b64 s[6:7], s[12:13]
	s_cbranch_execz .LBB33_46
.LBB33_50:                              ;   in Loop: Header=BB33_7 Depth=1
	global_load_ushort v14, v[10:11], off
	s_or_b64 exec, exec, s[6:7]
	s_and_saveexec_b64 s[20:21], s[14:15]
	s_cbranch_execz .LBB33_56
.LBB33_51:                              ;   in Loop: Header=BB33_7 Depth=1
	s_mov_b64 s[22:23], 0
	v_mov_b32_e32 v12, v31
	v_mov_b32_e32 v6, v25
	s_branch .LBB33_53
.LBB33_52:                              ;   in Loop: Header=BB33_53 Depth=2
	s_or_b64 exec, exec, s[6:7]
	s_waitcnt vmcnt(0)
	v_add_u32_sdwa v14, sext(v14), s17 dst_sel:DWORD dst_unused:UNUSED_PAD src0_sel:WORD_0 src1_sel:DWORD
	v_and_b32_e32 v15, v14, v36
	v_bfe_u32 v14, v14, v34, 2
	v_cmp_eq_u32_e32 vcc, v15, v30
	v_cmp_eq_u32_e64 s[6:7], 0, v14
	s_and_b64 s[0:1], vcc, s[6:7]
	v_cndmask_b32_e64 v15, 0, 1, s[0:1]
	v_cmp_ne_u32_e64 s[6:7], 0, v15
	s_bcnt1_i32_b64 s0, s[6:7]
	v_cmp_eq_u32_e64 s[6:7], 1, v14
	v_add_u32_e32 v1, s0, v1
	s_and_b64 s[0:1], vcc, s[6:7]
	v_cndmask_b32_e64 v15, 0, 1, s[0:1]
	v_cmp_ne_u32_e64 s[6:7], 0, v15
	s_bcnt1_i32_b64 s0, s[6:7]
	v_cmp_eq_u32_e64 s[6:7], 2, v14
	v_add_u32_e32 v2, s0, v2
	s_and_b64 s[0:1], vcc, s[6:7]
	v_cndmask_b32_e64 v15, 0, 1, s[0:1]
	v_cmp_ne_u32_e64 s[6:7], 0, v15
	s_bcnt1_i32_b64 s0, s[6:7]
	v_cmp_eq_u32_e64 s[6:7], 3, v14
	v_add_u32_e32 v3, s0, v3
	s_and_b64 s[0:1], vcc, s[6:7]
	v_cndmask_b32_e64 v14, 0, 1, s[0:1]
	v_cmp_ne_u32_e32 vcc, 0, v14
	s_bcnt1_i32_b64 s0, vcc
	v_cmp_le_i32_e32 vcc, s60, v6
	v_add_u32_e32 v4, s0, v4
	v_add_u32_e32 v12, s18, v12
	s_or_b64 s[22:23], vcc, s[22:23]
	v_mov_b32_e32 v14, v13
	s_andn2_b64 exec, exec, s[22:23]
	s_cbranch_execz .LBB33_55
.LBB33_53:                              ;   Parent Loop BB33_7 Depth=1
                                        ; =>  This Inner Loop Header: Depth=2
	v_add_u32_e32 v6, s70, v6
	v_cmp_gt_u32_e32 vcc, s60, v6
	v_mov_b32_e32 v13, 0
	s_and_saveexec_b64 s[6:7], vcc
	s_cbranch_execz .LBB33_52
; %bb.54:                               ;   in Loop: Header=BB33_53 Depth=2
	v_ashrrev_i32_e32 v13, 31, v12
	v_lshlrev_b64 v[39:40], 1, v[12:13]
	v_mov_b32_e32 v13, s71
	v_add_co_u32_e32 v39, vcc, s62, v39
	v_addc_co_u32_e32 v40, vcc, v13, v40, vcc
	global_load_ushort v13, v[39:40], off
	s_branch .LBB33_52
.LBB33_55:                              ;   in Loop: Header=BB33_7 Depth=1
	s_or_b64 exec, exec, s[22:23]
.LBB33_56:                              ;   in Loop: Header=BB33_7 Depth=1
	s_or_b64 exec, exec, s[20:21]
	s_branch .LBB33_36
.LBB33_57:                              ;   in Loop: Header=BB33_7 Depth=1
	s_mul_hi_u32 s0, s61, s80
	s_mul_i32 s0, s0, s33
	s_sub_i32 s0, s61, s0
	s_sub_i32 s1, s0, s33
	s_cmp_ge_u32 s0, s33
	s_cselect_b32 s0, s1, s0
	s_sub_i32 s1, s0, s33
	s_cmp_ge_u32 s0, s33
	s_cselect_b32 s0, s1, s0
	s_sub_i32 s0, s61, s0
	v_cmp_gt_u32_e32 vcc, s0, v16
	v_mov_b32_e32 v1, 0
	v_mov_b32_e32 v2, 0
	;; [unrolled: 1-line block ×4, first 2 shown]
	s_and_saveexec_b64 s[66:67], vcc
	s_cbranch_execz .LBB33_61
; %bb.58:                               ;   in Loop: Header=BB33_7 Depth=1
	s_mov_b32 s1, 0
	s_mov_b64 s[68:69], 0
	v_mov_b32_e32 v6, v32
	s_mov_b32 s8, 0
	s_mov_b32 s74, 0
	;; [unrolled: 1-line block ×3, first 2 shown]
	v_mov_b32_e32 v12, v16
.LBB33_59:                              ;   Parent Loop BB33_7 Depth=1
                                        ; =>  This Inner Loop Header: Depth=2
	ds_read_b64 v[1:2], v6
	v_add_u32_e32 v12, s33, v12
	v_cmp_le_i32_e32 vcc, s0, v12
	v_add_u32_e32 v6, s79, v6
	s_waitcnt lgkmcnt(0)
	v_add_u32_sdwa v3, sext(v1), s17 dst_sel:DWORD dst_unused:UNUSED_PAD src0_sel:WORD_0 src1_sel:DWORD
	v_add_u32_sdwa v1, sext(v1), s17 dst_sel:DWORD dst_unused:UNUSED_PAD src0_sel:WORD_1 src1_sel:DWORD
	v_and_b32_e32 v13, v3, v36
	v_bfe_u32 v3, v3, v34, 2
	v_add_u32_sdwa v4, sext(v2), s17 dst_sel:DWORD dst_unused:UNUSED_PAD src0_sel:WORD_0 src1_sel:DWORD
	s_waitcnt vmcnt(0)
	v_and_b32_e32 v14, v1, v36
	v_bfe_u32 v1, v1, v34, 2
	v_cmp_eq_u32_e64 s[6:7], v13, v30
	v_cmp_eq_u32_e64 s[26:27], 0, v3
	v_add_u32_sdwa v2, sext(v2), s17 dst_sel:DWORD dst_unused:UNUSED_PAD src0_sel:WORD_1 src1_sel:DWORD
	v_and_b32_e32 v15, v4, v36
	v_bfe_u32 v4, v4, v34, 2
	v_cmp_eq_u32_e64 s[20:21], v14, v30
	v_cmp_eq_u32_e64 s[28:29], 0, v1
	s_and_b64 s[26:27], s[6:7], s[26:27]
	v_and_b32_e32 v39, v2, v36
	v_bfe_u32 v2, v2, v34, 2
	v_cmp_eq_u32_e64 s[22:23], v15, v30
	v_cmp_eq_u32_e64 s[30:31], 0, v4
	;; [unrolled: 1-line block ×5, first 2 shown]
	v_cndmask_b32_e64 v1, 0, 1, s[26:27]
	s_and_b64 s[26:27], s[20:21], s[28:29]
	v_cmp_eq_u32_e64 s[24:25], v39, v30
	v_cmp_eq_u32_e64 s[34:35], 0, v2
	;; [unrolled: 1-line block ×5, first 2 shown]
	v_cndmask_b32_e64 v2, 0, 1, s[26:27]
	s_and_b64 s[26:27], s[22:23], s[30:31]
	v_cmp_eq_u32_e64 s[36:37], 1, v3
	v_cmp_eq_u32_e64 s[44:45], 2, v3
	;; [unrolled: 1-line block ×3, first 2 shown]
	v_cndmask_b32_e64 v3, 0, 1, s[26:27]
	s_and_b64 s[26:27], s[24:25], s[34:35]
	v_cmp_eq_u32_e64 s[40:41], 1, v4
	v_cmp_eq_u32_e64 s[48:49], 2, v4
	;; [unrolled: 1-line block ×3, first 2 shown]
	v_cndmask_b32_e64 v4, 0, 1, s[26:27]
	s_and_b64 s[26:27], s[6:7], s[36:37]
	v_cndmask_b32_e64 v13, 0, 1, s[26:27]
	s_and_b64 s[26:27], s[20:21], s[38:39]
	;; [unrolled: 2-line block ×5, first 2 shown]
	s_and_b64 s[6:7], s[6:7], s[52:53]
	v_cndmask_b32_e64 v40, 0, 1, s[26:27]
	s_and_b64 s[26:27], s[20:21], s[46:47]
	v_cndmask_b32_e64 v44, 0, 1, s[6:7]
	;; [unrolled: 2-line block ×7, first 2 shown]
	v_cndmask_b32_e64 v47, 0, 1, s[6:7]
	v_cmp_ne_u32_e64 s[6:7], 0, v1
	v_cmp_ne_u32_e64 s[20:21], 0, v2
	;; [unrolled: 1-line block ×11, first 2 shown]
	s_bcnt1_i32_b64 s6, s[6:7]
	s_bcnt1_i32_b64 s7, s[20:21]
	;; [unrolled: 1-line block ×8, first 2 shown]
	v_cmp_ne_u32_e64 s[34:35], 0, v39
	v_cmp_ne_u32_e64 s[40:41], 0, v42
	;; [unrolled: 1-line block ×3, first 2 shown]
	s_bcnt1_i32_b64 s23, s[28:29]
	s_bcnt1_i32_b64 s27, s[38:39]
	;; [unrolled: 1-line block ×3, first 2 shown]
	s_add_i32 s6, s75, s6
	s_add_i32 s22, s74, s22
	;; [unrolled: 1-line block ×4, first 2 shown]
	v_cmp_ne_u32_e64 s[42:43], 0, v43
	v_cmp_ne_u32_e64 s[50:51], 0, v47
	s_bcnt1_i32_b64 s25, s[34:35]
	s_bcnt1_i32_b64 s28, s[40:41]
	;; [unrolled: 1-line block ×3, first 2 shown]
	s_add_i32 s6, s6, s7
	s_add_i32 s7, s22, s23
	;; [unrolled: 1-line block ×4, first 2 shown]
	s_bcnt1_i32_b64 s29, s[42:43]
	s_bcnt1_i32_b64 s35, s[50:51]
	s_add_i32 s6, s6, s20
	s_add_i32 s7, s7, s24
	;; [unrolled: 1-line block ×8, first 2 shown]
	s_or_b64 s[68:69], vcc, s[68:69]
	v_mov_b32_e32 v1, s75
	v_mov_b32_e32 v2, s74
	;; [unrolled: 1-line block ×4, first 2 shown]
	s_andn2_b64 exec, exec, s[68:69]
	s_cbranch_execnz .LBB33_59
; %bb.60:                               ;   in Loop: Header=BB33_7 Depth=1
	s_or_b64 exec, exec, s[68:69]
.LBB33_61:                              ;   in Loop: Header=BB33_7 Depth=1
	s_or_b64 exec, exec, s[66:67]
	v_add_u32_e32 v6, s0, v0
	v_cmp_gt_i32_e32 vcc, s61, v6
	s_and_saveexec_b64 s[28:29], vcc
	s_cbranch_execz .LBB33_65
; %bb.62:                               ;   in Loop: Header=BB33_7 Depth=1
	v_lshlrev_b32_e32 v12, 1, v6
	s_mov_b64 s[30:31], 0
.LBB33_63:                              ;   Parent Loop BB33_7 Depth=1
                                        ; =>  This Inner Loop Header: Depth=2
	ds_read_i16 v13, v12
	v_add_u32_e32 v6, s70, v6
	v_cmp_le_i32_e32 vcc, s61, v6
	v_add_u32_e32 v12, s16, v12
	s_waitcnt lgkmcnt(0)
	v_add_u32_e32 v13, 0x8000, v13
	s_waitcnt vmcnt(0)
	v_and_b32_e32 v14, v13, v36
	v_bfe_u32 v13, v13, v34, 2
	v_cmp_eq_u32_e64 s[6:7], v14, v30
	v_cmp_eq_u32_e64 s[20:21], 0, v13
	v_cmp_eq_u32_e64 s[22:23], 1, v13
	s_and_b64 s[0:1], s[6:7], s[20:21]
	v_cmp_eq_u32_e64 s[24:25], 2, v13
	v_cmp_eq_u32_e64 s[26:27], 3, v13
	v_cndmask_b32_e64 v13, 0, 1, s[0:1]
	s_and_b64 s[0:1], s[6:7], s[22:23]
	v_cndmask_b32_e64 v14, 0, 1, s[0:1]
	s_and_b64 s[0:1], s[6:7], s[24:25]
	;; [unrolled: 2-line block ×3, first 2 shown]
	v_cndmask_b32_e64 v39, 0, 1, s[0:1]
	v_cmp_ne_u32_e64 s[6:7], 0, v13
	v_cmp_ne_u32_e64 s[20:21], 0, v14
	;; [unrolled: 1-line block ×4, first 2 shown]
	s_bcnt1_i32_b64 s0, s[6:7]
	s_bcnt1_i32_b64 s1, s[20:21]
	;; [unrolled: 1-line block ×4, first 2 shown]
	v_add_u32_e32 v1, s0, v1
	v_add_u32_e32 v2, s1, v2
	;; [unrolled: 1-line block ×3, first 2 shown]
	s_or_b64 s[30:31], vcc, s[30:31]
	v_add_u32_e32 v4, s7, v4
	s_andn2_b64 exec, exec, s[30:31]
	s_cbranch_execnz .LBB33_63
; %bb.64:                               ;   in Loop: Header=BB33_7 Depth=1
	s_or_b64 exec, exec, s[30:31]
.LBB33_65:                              ;   in Loop: Header=BB33_7 Depth=1
	s_or_b64 exec, exec, s[28:29]
	s_lshl_b32 s0, s19, 6
	s_and_saveexec_b64 s[6:7], s[2:3]
	s_cbranch_execnz .LBB33_37
	s_branch .LBB33_38
.LBB33_66:                              ;   in Loop: Header=BB33_7 Depth=1
	s_or_b64 exec, exec, s[22:23]
	s_waitcnt lgkmcnt(0)
	s_barrier
	s_mov_b64 s[6:7], exec
	v_readlane_b32 s0, v48, 12
	v_readlane_b32 s1, v48, 13
	s_and_b64 s[0:1], s[6:7], s[0:1]
	s_mov_b64 exec, s[0:1]
	s_cbranch_execz .LBB33_68
; %bb.67:                               ;   in Loop: Header=BB33_7 Depth=1
	ds_read_b32 v1, v7 offset:4104
	s_waitcnt lgkmcnt(0)
	ds_write_b32 v7, v1 offset:4096
.LBB33_68:                              ;   in Loop: Header=BB33_7 Depth=1
	s_or_b64 exec, exec, s[6:7]
	s_waitcnt lgkmcnt(0)
	s_barrier
	s_mov_b64 s[6:7], -1
	s_and_b64 vcc, exec, s[20:21]
	s_cbranch_vccnz .LBB33_22
	s_branch .LBB33_32
.LBB33_69:                              ;   in Loop: Header=BB33_7 Depth=1
	v_mov_b32_e32 v1, 0
	s_mov_b32 s1, 0
.LBB33_70:                              ;   in Loop: Header=BB33_7 Depth=1
	v_readlane_b32 s20, v48, 33
	v_readlane_b32 s21, v48, 34
	s_andn2_b64 vcc, exec, s[20:21]
	s_cbranch_vccnz .LBB33_73
; %bb.71:                               ;   in Loop: Header=BB33_7 Depth=1
	s_lshl_b32 s8, s19, 8
	s_lshl_b32 s1, s1, 4
	s_add_i32 s8, s8, s1
	v_add_u32_e32 v2, s8, v33
	v_readlane_b32 s1, v48, 32
.LBB33_72:                              ;   Parent Loop BB33_7 Depth=1
                                        ; =>  This Inner Loop Header: Depth=2
	ds_read_b32 v3, v2
	s_add_i32 s1, s1, -1
	v_add_u32_e32 v2, 16, v2
	s_cmp_lg_u32 s1, 0
	s_waitcnt lgkmcnt(0)
	v_add_u32_e32 v1, v3, v1
	s_cbranch_scc1 .LBB33_72
.LBB33_73:                              ;   in Loop: Header=BB33_7 Depth=1
	v_add_lshl_u32 v2, s0, v17, 2
	ds_write_b32 v2, v1 offset:3072
.LBB33_74:                              ;   in Loop: Header=BB33_7 Depth=1
	s_or_b64 exec, exec, s[6:7]
	s_lshl_b32 s0, s0, 2
	v_mov_b32_e32 v1, s0
	s_waitcnt lgkmcnt(0)
	s_barrier
	ds_read_b128 v[1:4], v1 offset:3072
	v_cmp_eq_u32_e32 vcc, 1, v38
	s_mov_b64 s[20:21], -1
	s_mov_b64 s[28:29], -1
                                        ; implicit-def: $sgpr26_sgpr27
                                        ; implicit-def: $sgpr24_sgpr25
	s_waitcnt lgkmcnt(0)
	v_readfirstlane_b32 s42, v1
	s_cmp_eq_u32 s42, 1
	v_readfirstlane_b32 s54, v3
	v_lshlrev_b32_e64 v3, v34, 3
	s_cselect_b64 s[0:1], -1, 0
	v_readfirstlane_b32 s46, v2
	v_readfirstlane_b32 s61, v4
	v_not_b32_e32 v6, v3
	s_and_b64 s[22:23], s[0:1], vcc
	s_and_saveexec_b64 s[6:7], s[22:23]
	s_cbranch_execz .LBB33_100
; %bb.75:                               ;   in Loop: Header=BB33_7 Depth=1
	ds_read_b32 v1, v7 offset:4096
	s_waitcnt lgkmcnt(0)
	s_barrier
	v_readfirstlane_b32 s0, v1
	s_and_saveexec_b64 s[24:25], s[4:5]
; %bb.76:                               ;   in Loop: Header=BB33_7 Depth=1
	ds_write_b16 v19, v7
; %bb.77:                               ;   in Loop: Header=BB33_7 Depth=1
	s_or_b64 exec, exec, s[24:25]
	v_and_b32_e32 v30, v30, v6
	v_or_b32_e32 v36, v36, v3
	s_mov_b64 s[24:25], -1
	s_mov_b64 s[26:27], 0
	s_cmp_lt_i32 s0, 1
	s_mov_b64 s[28:29], 0
	s_mov_b64 s[30:31], -1
	s_waitcnt lgkmcnt(0)
	s_barrier
                                        ; implicit-def: $vgpr37
	s_cbranch_scc0 .LBB33_88
; %bb.78:                               ;   in Loop: Header=BB33_7 Depth=1
	s_mov_b64 s[30:31], 0
                                        ; implicit-def: $vgpr37
	s_mov_b64 s[34:35], exec
	v_readlane_b32 s36, v48, 36
	v_readlane_b32 s37, v48, 37
	s_and_b64 s[36:37], s[34:35], s[36:37]
	s_mov_b64 exec, s[36:37]
	s_cbranch_execz .LBB33_87
; %bb.79:                               ;   in Loop: Header=BB33_7 Depth=1
	v_mov_b32_e32 v1, v5
	v_mov_b32_e32 v4, v0
                                        ; implicit-def: $sgpr36_sgpr37
	s_branch .LBB33_82
.LBB33_80:                              ;   in Loop: Header=BB33_82 Depth=2
	s_or_b64 exec, exec, s[38:39]
	s_waitcnt lgkmcnt(0)
	s_barrier
	ds_read_b32 v2, v7 offset:3072
	s_mov_b64 s[38:39], -1
	s_waitcnt lgkmcnt(0)
	s_barrier
	v_cmp_ne_u32_sdwa s[40:41], v2, v7 src0_sel:WORD_0 src1_sel:DWORD
	s_and_b64 vcc, exec, s[40:41]
	s_mov_b64 s[40:41], -1
	s_cbranch_vccz .LBB33_85
.LBB33_81:                              ;   in Loop: Header=BB33_82 Depth=2
	s_and_b64 s[38:39], exec, s[38:39]
	s_or_b64 s[28:29], s[38:39], s[28:29]
	s_andn2_b64 s[36:37], s[36:37], exec
	s_and_b64 s[38:39], s[40:41], exec
	s_or_b64 s[36:37], s[36:37], s[38:39]
	s_andn2_b64 exec, exec, s[28:29]
	s_cbranch_execz .LBB33_86
.LBB33_82:                              ;   Parent Loop BB33_7 Depth=1
                                        ; =>  This Inner Loop Header: Depth=2
	v_cmp_gt_i32_e32 vcc, s60, v4
	s_and_saveexec_b64 s[38:39], vcc
	s_cbranch_execz .LBB33_80
; %bb.83:                               ;   in Loop: Header=BB33_82 Depth=2
	v_ashrrev_i32_e32 v2, 31, v1
	v_lshlrev_b64 v[12:13], 1, v[1:2]
	v_mov_b32_e32 v2, s71
	v_add_co_u32_e32 v12, vcc, s62, v12
	v_addc_co_u32_e32 v13, vcc, v2, v13, vcc
	global_load_ushort v2, v[12:13], off
	s_waitcnt vmcnt(0)
	v_add_u32_sdwa v12, sext(v2), s17 dst_sel:DWORD dst_unused:UNUSED_PAD src0_sel:WORD_0 src1_sel:DWORD
	v_and_b32_e32 v12, v12, v36
	v_cmp_eq_u32_e32 vcc, v12, v30
	s_and_b64 exec, exec, vcc
	s_cbranch_execz .LBB33_80
; %bb.84:                               ;   in Loop: Header=BB33_82 Depth=2
	v_perm_b32 v2, v2, 1, v35
	ds_write_b32 v7, v2 offset:3072
	s_branch .LBB33_80
.LBB33_85:                              ;   in Loop: Header=BB33_82 Depth=2
	v_add_u32_e32 v4, s70, v4
	v_cmp_le_i32_e32 vcc, s83, v4
	v_add_u32_e32 v1, s18, v1
	s_mov_b64 s[40:41], 0
	s_orn2_b64 s[38:39], vcc, exec
	s_branch .LBB33_81
.LBB33_86:                              ;   in Loop: Header=BB33_7 Depth=1
	s_or_b64 exec, exec, s[28:29]
	v_lshrrev_b32_e32 v37, 16, v2
	s_and_b64 s[28:29], s[36:37], exec
.LBB33_87:                              ;   in Loop: Header=BB33_7 Depth=1
	s_or_b64 exec, exec, s[34:35]
.LBB33_88:                              ;   in Loop: Header=BB33_7 Depth=1
	s_and_b64 vcc, exec, s[30:31]
	s_cbranch_vccz .LBB33_99
; %bb.89:                               ;   in Loop: Header=BB33_7 Depth=1
	v_readlane_b32 s1, v48, 21
	s_add_i32 s1, s0, s1
	s_abs_i32 s24, s1
	v_readlane_b32 s25, v48, 35
	s_mul_hi_u32 s25, s24, s25
	s_mul_i32 s25, s25, s70
	s_sub_i32 s24, s24, s25
	s_ashr_i32 s8, s1, 31
	s_sub_i32 s25, s24, s70
	s_cmp_ge_u32 s24, s70
	s_cselect_b32 s24, s25, s24
	s_sub_i32 s25, s24, s70
	s_cmp_ge_u32 s24, s70
	s_cselect_b32 s24, s25, s24
	s_xor_b32 s24, s24, s8
	s_sub_i32 s8, s8, s24
	s_add_i32 s1, s1, s8
	v_cmp_gt_i32_e32 vcc, s1, v0
                                        ; implicit-def: $vgpr37
	s_and_saveexec_b64 s[24:25], vcc
	s_cbranch_execz .LBB33_98
; %bb.90:                               ;   in Loop: Header=BB33_7 Depth=1
	s_mov_b64 s[26:27], 0
	v_mov_b32_e32 v1, v18
	v_mov_b32_e32 v2, v0
                                        ; implicit-def: $sgpr30_sgpr31
	s_branch .LBB33_93
.LBB33_91:                              ;   in Loop: Header=BB33_93 Depth=2
	s_or_b64 exec, exec, s[34:35]
	s_waitcnt lgkmcnt(0)
	s_barrier
	ds_read_b32 v4, v7 offset:3072
	s_mov_b64 s[34:35], -1
	s_waitcnt lgkmcnt(0)
	s_barrier
	v_cmp_ne_u32_sdwa s[36:37], v4, v7 src0_sel:WORD_0 src1_sel:DWORD
	s_and_b64 vcc, exec, s[36:37]
	s_mov_b64 s[36:37], -1
	s_cbranch_vccz .LBB33_96
.LBB33_92:                              ;   in Loop: Header=BB33_93 Depth=2
	s_and_b64 s[34:35], exec, s[34:35]
	s_or_b64 s[26:27], s[34:35], s[26:27]
	s_andn2_b64 s[30:31], s[30:31], exec
	s_and_b64 s[34:35], s[36:37], exec
	s_or_b64 s[30:31], s[30:31], s[34:35]
	s_andn2_b64 exec, exec, s[26:27]
	s_cbranch_execz .LBB33_97
.LBB33_93:                              ;   Parent Loop BB33_7 Depth=1
                                        ; =>  This Inner Loop Header: Depth=2
	v_cmp_gt_i32_e32 vcc, s0, v2
	s_and_saveexec_b64 s[34:35], vcc
	s_cbranch_execz .LBB33_91
; %bb.94:                               ;   in Loop: Header=BB33_93 Depth=2
	ds_read_u16 v4, v1
	s_waitcnt lgkmcnt(0)
	v_add_u32_sdwa v12, sext(v4), s17 dst_sel:DWORD dst_unused:UNUSED_PAD src0_sel:WORD_0 src1_sel:DWORD
	v_and_b32_e32 v12, v12, v36
	v_cmp_eq_u32_e32 vcc, v12, v30
	s_and_b64 exec, exec, vcc
	s_cbranch_execz .LBB33_91
; %bb.95:                               ;   in Loop: Header=BB33_93 Depth=2
	v_perm_b32 v4, v4, 1, v35
	ds_write_b32 v7, v4 offset:3072
	s_branch .LBB33_91
.LBB33_96:                              ;   in Loop: Header=BB33_93 Depth=2
	v_add_u32_e32 v2, s70, v2
	v_cmp_le_i32_e32 vcc, s1, v2
	v_add_u32_e32 v1, s16, v1
	s_mov_b64 s[36:37], 0
	s_orn2_b64 s[34:35], vcc, exec
	s_branch .LBB33_92
.LBB33_97:                              ;   in Loop: Header=BB33_7 Depth=1
	s_or_b64 exec, exec, s[26:27]
	s_andn2_b64 s[0:1], s[28:29], exec
	s_and_b64 s[26:27], s[30:31], exec
	v_lshrrev_b32_e32 v37, 16, v4
	s_or_b64 s[28:29], s[0:1], s[26:27]
.LBB33_98:                              ;   in Loop: Header=BB33_7 Depth=1
	s_or_b64 exec, exec, s[24:25]
	s_mov_b64 s[24:25], 0
	s_mov_b64 s[26:27], -1
.LBB33_99:                              ;   in Loop: Header=BB33_7 Depth=1
	s_orn2_b64 s[28:29], s[28:29], exec
.LBB33_100:                             ;   in Loop: Header=BB33_7 Depth=1
	s_or_b64 exec, exec, s[6:7]
	s_andn2_b64 s[6:7], s[64:65], exec
	s_and_b64 s[26:27], s[26:27], exec
	s_or_b64 s[64:65], s[6:7], s[26:27]
	s_andn2_b64 s[6:7], s[94:95], exec
	s_and_b64 s[24:25], s[24:25], exec
	v_readfirstlane_b32 s0, v0
	s_andn2_b64 s[92:93], s[92:93], exec
	s_or_b64 s[94:95], s[6:7], s[24:25]
                                        ; implicit-def: $vgpr12
	s_and_saveexec_b64 s[6:7], s[28:29]
	s_cbranch_execz .LBB33_6
; %bb.101:                              ;   in Loop: Header=BB33_7 Depth=1
	s_xor_b64 s[0:1], s[22:23], -1
	s_mov_b64 s[22:23], 0
	v_mov_b32_e32 v12, 1
	v_mov_b32_e32 v4, 1
	s_and_saveexec_b64 s[20:21], s[0:1]
	s_cbranch_execz .LBB33_110
; %bb.102:                              ;   in Loop: Header=BB33_7 Depth=1
	v_cmp_ge_i32_e32 vcc, s42, v38
	s_and_saveexec_b64 s[0:1], vcc
	s_xor_b64 s[22:23], exec, s[0:1]
	s_cbranch_execz .LBB33_107
; %bb.103:                              ;   in Loop: Header=BB33_7 Depth=1
	ds_read_b32 v1, v7 offset:4096
	v_and_b32_e32 v30, v30, v6
	v_or_b32_e32 v36, v36, v3
	s_waitcnt lgkmcnt(0)
	v_cmp_ne_u32_e32 vcc, 0, v1
	s_cbranch_vccnz .LBB33_107
; %bb.104:                              ;   in Loop: Header=BB33_7 Depth=1
	s_mov_b64 s[24:25], exec
	v_readlane_b32 s0, v48, 12
	v_readlane_b32 s1, v48, 13
	s_and_b64 s[0:1], s[24:25], s[0:1]
	s_mov_b64 exec, s[0:1]
; %bb.105:                              ;   in Loop: Header=BB33_7 Depth=1
	v_mov_b32_e32 v1, s42
	ds_write_b32 v7, v1 offset:4100
; %bb.106:                              ;   in Loop: Header=BB33_7 Depth=1
	s_or_b64 exec, exec, s[24:25]
	s_waitcnt lgkmcnt(0)
	s_barrier
.LBB33_107:                             ;   in Loop: Header=BB33_7 Depth=1
	s_or_saveexec_b64 s[22:23], s[22:23]
	s_mov_b64 s[24:25], 0
	v_mov_b32_e32 v4, 8
	s_xor_b64 exec, exec, s[22:23]
; %bb.108:                              ;   in Loop: Header=BB33_7 Depth=1
	s_mov_b64 s[24:25], exec
	v_subrev_u32_e32 v38, s42, v38
	v_mov_b32_e32 v4, 0
; %bb.109:                              ;   in Loop: Header=BB33_7 Depth=1
	s_or_b64 exec, exec, s[22:23]
	s_and_b64 s[22:23], s[24:25], exec
	v_mov_b32_e32 v12, v38
.LBB33_110:                             ;   in Loop: Header=BB33_7 Depth=1
	s_or_b64 exec, exec, s[20:21]
	s_mov_b64 s[20:21], -1
	s_mov_b64 s[28:29], -1
                                        ; implicit-def: $sgpr24_sgpr25
                                        ; implicit-def: $sgpr26_sgpr27
	s_and_saveexec_b64 s[0:1], s[22:23]
	s_xor_b64 s[22:23], exec, s[0:1]
	s_cbranch_execz .LBB33_227
; %bb.111:                              ;   in Loop: Header=BB33_7 Depth=1
	s_cmp_eq_u32 s46, 1
	s_cselect_b64 s[0:1], -1, 0
	v_cmp_eq_u32_e32 vcc, 1, v12
	s_and_b64 s[30:31], s[0:1], vcc
	s_mov_b64 s[34:35], -1
                                        ; implicit-def: $sgpr26_sgpr27
                                        ; implicit-def: $sgpr24_sgpr25
	s_and_saveexec_b64 s[28:29], s[30:31]
	s_cbranch_execz .LBB33_137
; %bb.112:                              ;   in Loop: Header=BB33_7 Depth=1
	ds_read_b32 v1, v7 offset:4096
	s_waitcnt lgkmcnt(0)
	s_barrier
	v_readfirstlane_b32 s0, v1
	s_and_saveexec_b64 s[24:25], s[4:5]
; %bb.113:                              ;   in Loop: Header=BB33_7 Depth=1
	ds_write_b16 v19, v7
; %bb.114:                              ;   in Loop: Header=BB33_7 Depth=1
	s_or_b64 exec, exec, s[24:25]
	v_and_b32_e32 v1, v30, v6
	v_lshl_or_b32 v30, 1, v34, v1
	v_or_b32_e32 v36, v36, v3
	s_mov_b64 s[24:25], -1
	s_mov_b64 s[26:27], 0
	s_cmp_gt_i32 s0, 0
	s_mov_b64 s[34:35], 0
	s_mov_b64 s[36:37], -1
	s_waitcnt lgkmcnt(0)
	s_barrier
                                        ; implicit-def: $vgpr37
	s_cbranch_scc1 .LBB33_125
; %bb.115:                              ;   in Loop: Header=BB33_7 Depth=1
	s_mov_b64 s[36:37], 0
                                        ; implicit-def: $vgpr37
	s_mov_b64 s[38:39], exec
	v_readlane_b32 s40, v48, 36
	v_readlane_b32 s41, v48, 37
	s_and_b64 s[40:41], s[38:39], s[40:41]
	s_mov_b64 exec, s[40:41]
	s_cbranch_execz .LBB33_124
; %bb.116:                              ;   in Loop: Header=BB33_7 Depth=1
	v_mov_b32_e32 v1, v5
	v_mov_b32_e32 v13, v0
                                        ; implicit-def: $sgpr40_sgpr41
	s_branch .LBB33_119
.LBB33_117:                             ;   in Loop: Header=BB33_119 Depth=2
	s_or_b64 exec, exec, s[42:43]
	s_waitcnt lgkmcnt(0)
	s_barrier
	ds_read_b32 v2, v7 offset:3072
	s_mov_b64 s[42:43], -1
	s_waitcnt lgkmcnt(0)
	s_barrier
	v_cmp_ne_u32_sdwa s[44:45], v2, v7 src0_sel:WORD_0 src1_sel:DWORD
	s_and_b64 vcc, exec, s[44:45]
	s_mov_b64 s[44:45], -1
	s_cbranch_vccz .LBB33_122
.LBB33_118:                             ;   in Loop: Header=BB33_119 Depth=2
	s_and_b64 s[42:43], exec, s[42:43]
	s_or_b64 s[34:35], s[42:43], s[34:35]
	s_andn2_b64 s[40:41], s[40:41], exec
	s_and_b64 s[42:43], s[44:45], exec
	s_or_b64 s[40:41], s[40:41], s[42:43]
	s_andn2_b64 exec, exec, s[34:35]
	s_cbranch_execz .LBB33_123
.LBB33_119:                             ;   Parent Loop BB33_7 Depth=1
                                        ; =>  This Inner Loop Header: Depth=2
	v_cmp_gt_i32_e32 vcc, s60, v13
	s_and_saveexec_b64 s[42:43], vcc
	s_cbranch_execz .LBB33_117
; %bb.120:                              ;   in Loop: Header=BB33_119 Depth=2
	v_ashrrev_i32_e32 v2, 31, v1
	v_lshlrev_b64 v[14:15], 1, v[1:2]
	v_mov_b32_e32 v2, s71
	v_add_co_u32_e32 v14, vcc, s62, v14
	v_addc_co_u32_e32 v15, vcc, v2, v15, vcc
	global_load_ushort v2, v[14:15], off
	s_waitcnt vmcnt(0)
	v_add_u32_sdwa v14, sext(v2), s17 dst_sel:DWORD dst_unused:UNUSED_PAD src0_sel:WORD_0 src1_sel:DWORD
	v_and_b32_e32 v14, v14, v36
	v_cmp_eq_u32_e32 vcc, v14, v30
	s_and_b64 exec, exec, vcc
	s_cbranch_execz .LBB33_117
; %bb.121:                              ;   in Loop: Header=BB33_119 Depth=2
	v_perm_b32 v2, v2, 1, v35
	ds_write_b32 v7, v2 offset:3072
	s_branch .LBB33_117
.LBB33_122:                             ;   in Loop: Header=BB33_119 Depth=2
	v_add_u32_e32 v13, s70, v13
	v_cmp_le_i32_e32 vcc, s83, v13
	v_add_u32_e32 v1, s18, v1
	s_mov_b64 s[44:45], 0
	s_orn2_b64 s[42:43], vcc, exec
	s_branch .LBB33_118
.LBB33_123:                             ;   in Loop: Header=BB33_7 Depth=1
	s_or_b64 exec, exec, s[34:35]
	v_lshrrev_b32_e32 v37, 16, v2
	s_and_b64 s[34:35], s[40:41], exec
.LBB33_124:                             ;   in Loop: Header=BB33_7 Depth=1
	s_or_b64 exec, exec, s[38:39]
.LBB33_125:                             ;   in Loop: Header=BB33_7 Depth=1
	s_and_b64 vcc, exec, s[36:37]
	s_cbranch_vccz .LBB33_136
; %bb.126:                              ;   in Loop: Header=BB33_7 Depth=1
	v_readlane_b32 s1, v48, 21
	s_add_i32 s1, s0, s1
	s_abs_i32 s24, s1
	v_readlane_b32 s25, v48, 35
	s_mul_hi_u32 s25, s24, s25
	s_mul_i32 s25, s25, s70
	s_sub_i32 s24, s24, s25
	s_ashr_i32 s8, s1, 31
	s_sub_i32 s25, s24, s70
	s_cmp_ge_u32 s24, s70
	s_cselect_b32 s24, s25, s24
	s_sub_i32 s25, s24, s70
	s_cmp_ge_u32 s24, s70
	s_cselect_b32 s24, s25, s24
	s_xor_b32 s24, s24, s8
	s_sub_i32 s8, s8, s24
	s_add_i32 s1, s1, s8
	v_cmp_gt_i32_e32 vcc, s1, v0
                                        ; implicit-def: $vgpr37
	s_and_saveexec_b64 s[24:25], vcc
	s_cbranch_execz .LBB33_135
; %bb.127:                              ;   in Loop: Header=BB33_7 Depth=1
	s_mov_b64 s[26:27], 0
	v_mov_b32_e32 v1, v18
	v_mov_b32_e32 v2, v0
                                        ; implicit-def: $sgpr36_sgpr37
	s_branch .LBB33_130
.LBB33_128:                             ;   in Loop: Header=BB33_130 Depth=2
	s_or_b64 exec, exec, s[38:39]
	s_waitcnt lgkmcnt(0)
	s_barrier
	ds_read_b32 v13, v7 offset:3072
	s_mov_b64 s[38:39], -1
	s_waitcnt lgkmcnt(0)
	s_barrier
	v_cmp_eq_u32_sdwa s[40:41], v13, v7 src0_sel:WORD_0 src1_sel:DWORD
	s_and_b64 vcc, exec, s[40:41]
	s_mov_b64 s[40:41], -1
	s_cbranch_vccnz .LBB33_133
.LBB33_129:                             ;   in Loop: Header=BB33_130 Depth=2
	s_and_b64 s[38:39], exec, s[38:39]
	s_or_b64 s[26:27], s[38:39], s[26:27]
	s_andn2_b64 s[36:37], s[36:37], exec
	s_and_b64 s[38:39], s[40:41], exec
	s_or_b64 s[36:37], s[36:37], s[38:39]
	s_andn2_b64 exec, exec, s[26:27]
	s_cbranch_execz .LBB33_134
.LBB33_130:                             ;   Parent Loop BB33_7 Depth=1
                                        ; =>  This Inner Loop Header: Depth=2
	v_cmp_gt_i32_e32 vcc, s0, v2
	s_and_saveexec_b64 s[38:39], vcc
	s_cbranch_execz .LBB33_128
; %bb.131:                              ;   in Loop: Header=BB33_130 Depth=2
	ds_read_u16 v13, v1
	s_waitcnt lgkmcnt(0)
	v_add_u32_sdwa v14, sext(v13), s17 dst_sel:DWORD dst_unused:UNUSED_PAD src0_sel:WORD_0 src1_sel:DWORD
	v_and_b32_e32 v14, v14, v36
	v_cmp_eq_u32_e32 vcc, v14, v30
	s_and_b64 exec, exec, vcc
	s_cbranch_execz .LBB33_128
; %bb.132:                              ;   in Loop: Header=BB33_130 Depth=2
	v_perm_b32 v13, v13, 1, v35
	ds_write_b32 v7, v13 offset:3072
	s_branch .LBB33_128
.LBB33_133:                             ;   in Loop: Header=BB33_130 Depth=2
	v_add_u32_e32 v2, s70, v2
	v_cmp_le_i32_e32 vcc, s1, v2
	v_add_u32_e32 v1, s16, v1
	s_mov_b64 s[40:41], 0
	s_orn2_b64 s[38:39], vcc, exec
	s_branch .LBB33_129
.LBB33_134:                             ;   in Loop: Header=BB33_7 Depth=1
	s_or_b64 exec, exec, s[26:27]
	s_andn2_b64 s[0:1], s[34:35], exec
	s_and_b64 s[26:27], s[36:37], exec
	v_lshrrev_b32_e32 v37, 16, v13
	s_or_b64 s[34:35], s[0:1], s[26:27]
.LBB33_135:                             ;   in Loop: Header=BB33_7 Depth=1
	s_or_b64 exec, exec, s[24:25]
	s_mov_b64 s[24:25], 0
	s_mov_b64 s[26:27], -1
.LBB33_136:                             ;   in Loop: Header=BB33_7 Depth=1
	s_orn2_b64 s[34:35], s[34:35], exec
.LBB33_137:                             ;   in Loop: Header=BB33_7 Depth=1
	s_or_b64 exec, exec, s[28:29]
	s_mov_b64 s[36:37], 0
	s_and_saveexec_b64 s[28:29], s[34:35]
	s_cbranch_execz .LBB33_226
; %bb.138:                              ;   in Loop: Header=BB33_7 Depth=1
	s_xor_b64 s[0:1], s[30:31], -1
	s_mov_b64 s[40:41], 0
	v_mov_b32_e32 v13, 1
	v_mov_b32_e32 v4, 1
	s_and_saveexec_b64 s[30:31], s[0:1]
	s_cbranch_execz .LBB33_147
; %bb.139:                              ;   in Loop: Header=BB33_7 Depth=1
	v_cmp_ge_i32_e32 vcc, s46, v12
	s_and_saveexec_b64 s[0:1], vcc
	s_xor_b64 s[34:35], exec, s[0:1]
	s_cbranch_execz .LBB33_144
; %bb.140:                              ;   in Loop: Header=BB33_7 Depth=1
	ds_read_b32 v1, v7 offset:4096
	v_and_b32_e32 v2, v30, v6
	v_lshl_or_b32 v30, 1, v34, v2
	v_or_b32_e32 v36, v36, v3
	s_waitcnt lgkmcnt(0)
	v_cmp_ne_u32_e32 vcc, 0, v1
	s_cbranch_vccnz .LBB33_144
; %bb.141:                              ;   in Loop: Header=BB33_7 Depth=1
	s_mov_b64 s[36:37], exec
	v_readlane_b32 s0, v48, 12
	v_readlane_b32 s1, v48, 13
	s_and_b64 s[0:1], s[36:37], s[0:1]
	s_mov_b64 exec, s[0:1]
; %bb.142:                              ;   in Loop: Header=BB33_7 Depth=1
	v_mov_b32_e32 v1, s46
	ds_write_b32 v7, v1 offset:4100
; %bb.143:                              ;   in Loop: Header=BB33_7 Depth=1
	s_or_b64 exec, exec, s[36:37]
	s_waitcnt lgkmcnt(0)
	s_barrier
.LBB33_144:                             ;   in Loop: Header=BB33_7 Depth=1
	s_or_saveexec_b64 s[34:35], s[34:35]
	s_mov_b64 s[36:37], 0
	v_mov_b32_e32 v4, 8
	s_xor_b64 exec, exec, s[34:35]
; %bb.145:                              ;   in Loop: Header=BB33_7 Depth=1
	s_mov_b64 s[36:37], exec
	v_subrev_u32_e32 v12, s46, v12
	v_mov_b32_e32 v4, 0
; %bb.146:                              ;   in Loop: Header=BB33_7 Depth=1
	s_or_b64 exec, exec, s[34:35]
	s_and_b64 s[40:41], s[36:37], exec
	v_mov_b32_e32 v13, v12
.LBB33_147:                             ;   in Loop: Header=BB33_7 Depth=1
	s_or_b64 exec, exec, s[30:31]
	s_mov_b64 s[38:39], -1
                                        ; implicit-def: $sgpr34_sgpr35
                                        ; implicit-def: $sgpr36_sgpr37
	s_and_saveexec_b64 s[30:31], s[40:41]
	s_cbranch_execz .LBB33_225
; %bb.148:                              ;   in Loop: Header=BB33_7 Depth=1
	s_cmp_eq_u32 s54, 1
	s_cselect_b64 s[0:1], -1, 0
	v_cmp_eq_u32_e32 vcc, 1, v13
	s_and_b64 s[40:41], s[0:1], vcc
	s_mov_b64 s[42:43], -1
                                        ; implicit-def: $sgpr36_sgpr37
                                        ; implicit-def: $sgpr34_sgpr35
	s_and_saveexec_b64 s[38:39], s[40:41]
	s_cbranch_execz .LBB33_174
; %bb.149:                              ;   in Loop: Header=BB33_7 Depth=1
	ds_read_b32 v1, v7 offset:4096
	s_waitcnt lgkmcnt(0)
	s_barrier
	v_readfirstlane_b32 s0, v1
	s_and_saveexec_b64 s[34:35], s[4:5]
; %bb.150:                              ;   in Loop: Header=BB33_7 Depth=1
	ds_write_b16 v19, v7
; %bb.151:                              ;   in Loop: Header=BB33_7 Depth=1
	s_or_b64 exec, exec, s[34:35]
	v_and_b32_e32 v1, v30, v6
	v_lshl_or_b32 v30, 2, v34, v1
	v_or_b32_e32 v36, v36, v3
	s_mov_b64 s[34:35], -1
	s_mov_b64 s[36:37], 0
	s_cmp_gt_i32 s0, 0
	s_mov_b64 s[42:43], 0
	s_mov_b64 s[44:45], -1
	s_waitcnt lgkmcnt(0)
	s_barrier
                                        ; implicit-def: $vgpr37
	s_cbranch_scc1 .LBB33_162
; %bb.152:                              ;   in Loop: Header=BB33_7 Depth=1
	s_mov_b64 s[44:45], 0
                                        ; implicit-def: $vgpr37
	s_mov_b64 s[46:47], exec
	v_readlane_b32 s48, v48, 36
	v_readlane_b32 s49, v48, 37
	s_and_b64 s[48:49], s[46:47], s[48:49]
	s_mov_b64 exec, s[48:49]
	s_cbranch_execz .LBB33_161
; %bb.153:                              ;   in Loop: Header=BB33_7 Depth=1
	v_mov_b32_e32 v1, v5
	v_mov_b32_e32 v12, v0
                                        ; implicit-def: $sgpr48_sgpr49
	s_branch .LBB33_156
.LBB33_154:                             ;   in Loop: Header=BB33_156 Depth=2
	s_or_b64 exec, exec, s[50:51]
	s_waitcnt lgkmcnt(0)
	s_barrier
	ds_read_b32 v2, v7 offset:3072
	s_mov_b64 s[50:51], -1
	s_waitcnt lgkmcnt(0)
	s_barrier
	v_cmp_ne_u32_sdwa s[52:53], v2, v7 src0_sel:WORD_0 src1_sel:DWORD
	s_and_b64 vcc, exec, s[52:53]
	s_mov_b64 s[52:53], -1
	s_cbranch_vccz .LBB33_159
.LBB33_155:                             ;   in Loop: Header=BB33_156 Depth=2
	s_and_b64 s[50:51], exec, s[50:51]
	s_or_b64 s[42:43], s[50:51], s[42:43]
	s_andn2_b64 s[48:49], s[48:49], exec
	s_and_b64 s[50:51], s[52:53], exec
	s_or_b64 s[48:49], s[48:49], s[50:51]
	s_andn2_b64 exec, exec, s[42:43]
	s_cbranch_execz .LBB33_160
.LBB33_156:                             ;   Parent Loop BB33_7 Depth=1
                                        ; =>  This Inner Loop Header: Depth=2
	v_cmp_gt_i32_e32 vcc, s60, v12
	s_and_saveexec_b64 s[50:51], vcc
	s_cbranch_execz .LBB33_154
; %bb.157:                              ;   in Loop: Header=BB33_156 Depth=2
	v_ashrrev_i32_e32 v2, 31, v1
	v_lshlrev_b64 v[14:15], 1, v[1:2]
	v_mov_b32_e32 v2, s71
	v_add_co_u32_e32 v14, vcc, s62, v14
	v_addc_co_u32_e32 v15, vcc, v2, v15, vcc
	global_load_ushort v2, v[14:15], off
	s_waitcnt vmcnt(0)
	v_add_u32_sdwa v14, sext(v2), s17 dst_sel:DWORD dst_unused:UNUSED_PAD src0_sel:WORD_0 src1_sel:DWORD
	v_and_b32_e32 v14, v14, v36
	v_cmp_eq_u32_e32 vcc, v14, v30
	s_and_b64 exec, exec, vcc
	s_cbranch_execz .LBB33_154
; %bb.158:                              ;   in Loop: Header=BB33_156 Depth=2
	v_perm_b32 v2, v2, 1, v35
	ds_write_b32 v7, v2 offset:3072
	s_branch .LBB33_154
.LBB33_159:                             ;   in Loop: Header=BB33_156 Depth=2
	v_add_u32_e32 v12, s70, v12
	v_cmp_le_i32_e32 vcc, s83, v12
	v_add_u32_e32 v1, s18, v1
	s_mov_b64 s[52:53], 0
	s_orn2_b64 s[50:51], vcc, exec
	s_branch .LBB33_155
.LBB33_160:                             ;   in Loop: Header=BB33_7 Depth=1
	s_or_b64 exec, exec, s[42:43]
	v_lshrrev_b32_e32 v37, 16, v2
	s_and_b64 s[42:43], s[48:49], exec
.LBB33_161:                             ;   in Loop: Header=BB33_7 Depth=1
	s_or_b64 exec, exec, s[46:47]
.LBB33_162:                             ;   in Loop: Header=BB33_7 Depth=1
	s_and_b64 vcc, exec, s[44:45]
	s_cbranch_vccz .LBB33_173
; %bb.163:                              ;   in Loop: Header=BB33_7 Depth=1
	v_readlane_b32 s1, v48, 21
	s_add_i32 s1, s0, s1
	s_abs_i32 s34, s1
	v_readlane_b32 s35, v48, 35
	s_mul_hi_u32 s35, s34, s35
	s_mul_i32 s35, s35, s70
	s_sub_i32 s34, s34, s35
	s_ashr_i32 s8, s1, 31
	s_sub_i32 s35, s34, s70
	s_cmp_ge_u32 s34, s70
	s_cselect_b32 s34, s35, s34
	s_sub_i32 s35, s34, s70
	s_cmp_ge_u32 s34, s70
	s_cselect_b32 s34, s35, s34
	s_xor_b32 s34, s34, s8
	s_sub_i32 s8, s8, s34
	s_add_i32 s1, s1, s8
	v_cmp_gt_i32_e32 vcc, s1, v0
                                        ; implicit-def: $vgpr37
	s_and_saveexec_b64 s[34:35], vcc
	s_cbranch_execz .LBB33_172
; %bb.164:                              ;   in Loop: Header=BB33_7 Depth=1
	s_mov_b64 s[36:37], 0
	v_mov_b32_e32 v1, v18
	v_mov_b32_e32 v2, v0
                                        ; implicit-def: $sgpr44_sgpr45
	s_branch .LBB33_167
.LBB33_165:                             ;   in Loop: Header=BB33_167 Depth=2
	s_or_b64 exec, exec, s[46:47]
	s_waitcnt lgkmcnt(0)
	s_barrier
	ds_read_b32 v12, v7 offset:3072
	s_mov_b64 s[46:47], -1
	s_waitcnt lgkmcnt(0)
	s_barrier
	v_cmp_eq_u32_sdwa s[48:49], v12, v7 src0_sel:WORD_0 src1_sel:DWORD
	s_and_b64 vcc, exec, s[48:49]
	s_mov_b64 s[48:49], -1
	s_cbranch_vccnz .LBB33_170
.LBB33_166:                             ;   in Loop: Header=BB33_167 Depth=2
	s_and_b64 s[46:47], exec, s[46:47]
	s_or_b64 s[36:37], s[46:47], s[36:37]
	s_andn2_b64 s[44:45], s[44:45], exec
	s_and_b64 s[46:47], s[48:49], exec
	s_or_b64 s[44:45], s[44:45], s[46:47]
	s_andn2_b64 exec, exec, s[36:37]
	s_cbranch_execz .LBB33_171
.LBB33_167:                             ;   Parent Loop BB33_7 Depth=1
                                        ; =>  This Inner Loop Header: Depth=2
	v_cmp_gt_i32_e32 vcc, s0, v2
	s_and_saveexec_b64 s[46:47], vcc
	s_cbranch_execz .LBB33_165
; %bb.168:                              ;   in Loop: Header=BB33_167 Depth=2
	ds_read_u16 v12, v1
	s_waitcnt lgkmcnt(0)
	v_add_u32_sdwa v14, sext(v12), s17 dst_sel:DWORD dst_unused:UNUSED_PAD src0_sel:WORD_0 src1_sel:DWORD
	v_and_b32_e32 v14, v14, v36
	v_cmp_eq_u32_e32 vcc, v14, v30
	s_and_b64 exec, exec, vcc
	s_cbranch_execz .LBB33_165
; %bb.169:                              ;   in Loop: Header=BB33_167 Depth=2
	v_perm_b32 v12, v12, 1, v35
	ds_write_b32 v7, v12 offset:3072
	s_branch .LBB33_165
.LBB33_170:                             ;   in Loop: Header=BB33_167 Depth=2
	v_add_u32_e32 v2, s70, v2
	v_cmp_le_i32_e32 vcc, s1, v2
	v_add_u32_e32 v1, s16, v1
	s_mov_b64 s[48:49], 0
	s_orn2_b64 s[46:47], vcc, exec
	s_branch .LBB33_166
.LBB33_171:                             ;   in Loop: Header=BB33_7 Depth=1
	s_or_b64 exec, exec, s[36:37]
	s_andn2_b64 s[0:1], s[42:43], exec
	s_and_b64 s[36:37], s[44:45], exec
	v_lshrrev_b32_e32 v37, 16, v12
	s_or_b64 s[42:43], s[0:1], s[36:37]
.LBB33_172:                             ;   in Loop: Header=BB33_7 Depth=1
	s_or_b64 exec, exec, s[34:35]
	s_mov_b64 s[34:35], 0
	s_mov_b64 s[36:37], -1
.LBB33_173:                             ;   in Loop: Header=BB33_7 Depth=1
	s_orn2_b64 s[42:43], s[42:43], exec
.LBB33_174:                             ;   in Loop: Header=BB33_7 Depth=1
	s_or_b64 exec, exec, s[38:39]
	s_mov_b64 s[44:45], 0
	s_and_saveexec_b64 s[38:39], s[42:43]
	s_cbranch_execz .LBB33_224
; %bb.175:                              ;   in Loop: Header=BB33_7 Depth=1
	s_xor_b64 s[0:1], s[40:41], -1
	s_mov_b64 s[48:49], 0
	v_mov_b32_e32 v12, 1
	v_mov_b32_e32 v4, 1
	s_and_saveexec_b64 s[40:41], s[0:1]
	s_cbranch_execz .LBB33_184
; %bb.176:                              ;   in Loop: Header=BB33_7 Depth=1
	v_cmp_ge_i32_e32 vcc, s54, v13
	s_and_saveexec_b64 s[0:1], vcc
	s_xor_b64 s[42:43], exec, s[0:1]
	s_cbranch_execz .LBB33_181
; %bb.177:                              ;   in Loop: Header=BB33_7 Depth=1
	ds_read_b32 v1, v7 offset:4096
	v_and_b32_e32 v2, v30, v6
	v_lshl_or_b32 v30, 2, v34, v2
	v_or_b32_e32 v36, v36, v3
	s_waitcnt lgkmcnt(0)
	v_cmp_ne_u32_e32 vcc, 0, v1
	s_cbranch_vccnz .LBB33_181
; %bb.178:                              ;   in Loop: Header=BB33_7 Depth=1
	s_mov_b64 s[44:45], exec
	v_readlane_b32 s0, v48, 12
	v_readlane_b32 s1, v48, 13
	s_and_b64 s[0:1], s[44:45], s[0:1]
	s_mov_b64 exec, s[0:1]
; %bb.179:                              ;   in Loop: Header=BB33_7 Depth=1
	v_mov_b32_e32 v1, s54
	ds_write_b32 v7, v1 offset:4100
; %bb.180:                              ;   in Loop: Header=BB33_7 Depth=1
	s_or_b64 exec, exec, s[44:45]
	s_waitcnt lgkmcnt(0)
	s_barrier
.LBB33_181:                             ;   in Loop: Header=BB33_7 Depth=1
	s_or_saveexec_b64 s[42:43], s[42:43]
	s_mov_b64 s[44:45], 0
	v_mov_b32_e32 v4, 8
	s_xor_b64 exec, exec, s[42:43]
; %bb.182:                              ;   in Loop: Header=BB33_7 Depth=1
	s_mov_b64 s[44:45], exec
	v_subrev_u32_e32 v13, s54, v13
	v_mov_b32_e32 v4, 0
; %bb.183:                              ;   in Loop: Header=BB33_7 Depth=1
	s_or_b64 exec, exec, s[42:43]
	s_and_b64 s[48:49], s[44:45], exec
	v_mov_b32_e32 v12, v13
.LBB33_184:                             ;   in Loop: Header=BB33_7 Depth=1
	s_or_b64 exec, exec, s[40:41]
	s_mov_b64 s[42:43], -1
                                        ; implicit-def: $sgpr46_sgpr47
                                        ; implicit-def: $sgpr44_sgpr45
	s_and_saveexec_b64 s[40:41], s[48:49]
	s_cbranch_execz .LBB33_223
; %bb.185:                              ;   in Loop: Header=BB33_7 Depth=1
	s_cmp_eq_u32 s61, 1
	s_cselect_b64 s[0:1], -1, 0
	v_cmp_eq_u32_e32 vcc, 1, v12
	s_and_b64 s[42:43], s[0:1], vcc
	s_mov_b64 s[50:51], -1
                                        ; implicit-def: $sgpr46_sgpr47
                                        ; implicit-def: $sgpr44_sgpr45
	s_and_saveexec_b64 s[48:49], s[42:43]
	s_cbranch_execz .LBB33_211
; %bb.186:                              ;   in Loop: Header=BB33_7 Depth=1
	ds_read_b32 v1, v7 offset:4096
	s_waitcnt lgkmcnt(0)
	s_barrier
	v_readfirstlane_b32 s0, v1
	s_and_saveexec_b64 s[44:45], s[4:5]
; %bb.187:                              ;   in Loop: Header=BB33_7 Depth=1
	ds_write_b16 v19, v7
; %bb.188:                              ;   in Loop: Header=BB33_7 Depth=1
	s_or_b64 exec, exec, s[44:45]
	v_or_b32_e32 v30, v30, v3
	v_or_b32_e32 v36, v36, v3
	s_mov_b64 s[44:45], -1
	s_mov_b64 s[46:47], 0
	s_cmp_gt_i32 s0, 0
	s_mov_b64 s[50:51], 0
	s_mov_b64 s[52:53], -1
	s_waitcnt lgkmcnt(0)
	s_barrier
                                        ; implicit-def: $vgpr37
	s_cbranch_scc1 .LBB33_199
; %bb.189:                              ;   in Loop: Header=BB33_7 Depth=1
	s_mov_b64 s[52:53], 0
                                        ; implicit-def: $vgpr37
	s_mov_b64 s[54:55], exec
	v_readlane_b32 s56, v48, 36
	v_readlane_b32 s57, v48, 37
	s_and_b64 s[56:57], s[54:55], s[56:57]
	s_mov_b64 exec, s[56:57]
	s_cbranch_execz .LBB33_198
; %bb.190:                              ;   in Loop: Header=BB33_7 Depth=1
	v_mov_b32_e32 v1, v5
	v_mov_b32_e32 v6, v0
                                        ; implicit-def: $sgpr56_sgpr57
	s_branch .LBB33_193
.LBB33_191:                             ;   in Loop: Header=BB33_193 Depth=2
	s_or_b64 exec, exec, s[58:59]
	s_waitcnt lgkmcnt(0)
	s_barrier
	ds_read_b32 v2, v7 offset:3072
	s_mov_b64 s[58:59], -1
	s_waitcnt lgkmcnt(0)
	s_barrier
	v_cmp_ne_u32_sdwa s[66:67], v2, v7 src0_sel:WORD_0 src1_sel:DWORD
	s_and_b64 vcc, exec, s[66:67]
	s_mov_b64 s[66:67], -1
	s_cbranch_vccz .LBB33_196
.LBB33_192:                             ;   in Loop: Header=BB33_193 Depth=2
	s_and_b64 s[58:59], exec, s[58:59]
	s_or_b64 s[50:51], s[58:59], s[50:51]
	s_andn2_b64 s[56:57], s[56:57], exec
	s_and_b64 s[58:59], s[66:67], exec
	s_or_b64 s[56:57], s[56:57], s[58:59]
	s_andn2_b64 exec, exec, s[50:51]
	s_cbranch_execz .LBB33_197
.LBB33_193:                             ;   Parent Loop BB33_7 Depth=1
                                        ; =>  This Inner Loop Header: Depth=2
	v_cmp_gt_i32_e32 vcc, s60, v6
	s_and_saveexec_b64 s[58:59], vcc
	s_cbranch_execz .LBB33_191
; %bb.194:                              ;   in Loop: Header=BB33_193 Depth=2
	v_ashrrev_i32_e32 v2, 31, v1
	v_lshlrev_b64 v[13:14], 1, v[1:2]
	v_mov_b32_e32 v2, s71
	v_add_co_u32_e32 v13, vcc, s62, v13
	v_addc_co_u32_e32 v14, vcc, v2, v14, vcc
	global_load_ushort v2, v[13:14], off
	s_waitcnt vmcnt(0)
	v_add_u32_sdwa v13, sext(v2), s17 dst_sel:DWORD dst_unused:UNUSED_PAD src0_sel:WORD_0 src1_sel:DWORD
	v_and_b32_e32 v13, v13, v36
	v_cmp_eq_u32_e32 vcc, v13, v30
	s_and_b64 exec, exec, vcc
	s_cbranch_execz .LBB33_191
; %bb.195:                              ;   in Loop: Header=BB33_193 Depth=2
	v_perm_b32 v2, v2, 1, v35
	ds_write_b32 v7, v2 offset:3072
	s_branch .LBB33_191
.LBB33_196:                             ;   in Loop: Header=BB33_193 Depth=2
	v_add_u32_e32 v6, s70, v6
	v_cmp_le_i32_e32 vcc, s83, v6
	v_add_u32_e32 v1, s18, v1
	s_mov_b64 s[66:67], 0
	s_orn2_b64 s[58:59], vcc, exec
	s_branch .LBB33_192
.LBB33_197:                             ;   in Loop: Header=BB33_7 Depth=1
	s_or_b64 exec, exec, s[50:51]
	v_lshrrev_b32_e32 v37, 16, v2
	s_and_b64 s[50:51], s[56:57], exec
.LBB33_198:                             ;   in Loop: Header=BB33_7 Depth=1
	s_or_b64 exec, exec, s[54:55]
.LBB33_199:                             ;   in Loop: Header=BB33_7 Depth=1
	s_and_b64 vcc, exec, s[52:53]
	s_cbranch_vccz .LBB33_210
; %bb.200:                              ;   in Loop: Header=BB33_7 Depth=1
	v_readlane_b32 s1, v48, 21
	s_add_i32 s1, s0, s1
	s_abs_i32 s44, s1
	v_readlane_b32 s45, v48, 35
	s_mul_hi_u32 s45, s44, s45
	s_mul_i32 s45, s45, s70
	s_sub_i32 s44, s44, s45
	s_ashr_i32 s8, s1, 31
	s_sub_i32 s45, s44, s70
	s_cmp_ge_u32 s44, s70
	s_cselect_b32 s44, s45, s44
	s_sub_i32 s45, s44, s70
	s_cmp_ge_u32 s44, s70
	s_cselect_b32 s44, s45, s44
	s_xor_b32 s44, s44, s8
	s_sub_i32 s8, s8, s44
	s_add_i32 s1, s1, s8
	v_cmp_gt_i32_e32 vcc, s1, v0
                                        ; implicit-def: $vgpr37
	s_and_saveexec_b64 s[44:45], vcc
	s_cbranch_execz .LBB33_209
; %bb.201:                              ;   in Loop: Header=BB33_7 Depth=1
	s_mov_b64 s[46:47], 0
	v_mov_b32_e32 v1, v18
	v_mov_b32_e32 v2, v0
                                        ; implicit-def: $sgpr52_sgpr53
	s_branch .LBB33_204
.LBB33_202:                             ;   in Loop: Header=BB33_204 Depth=2
	s_or_b64 exec, exec, s[54:55]
	s_waitcnt lgkmcnt(0)
	s_barrier
	ds_read_b32 v6, v7 offset:3072
	s_mov_b64 s[54:55], -1
	s_waitcnt lgkmcnt(0)
	s_barrier
	v_cmp_eq_u32_sdwa s[56:57], v6, v7 src0_sel:WORD_0 src1_sel:DWORD
	s_and_b64 vcc, exec, s[56:57]
	s_mov_b64 s[56:57], -1
	s_cbranch_vccnz .LBB33_207
.LBB33_203:                             ;   in Loop: Header=BB33_204 Depth=2
	s_and_b64 s[54:55], exec, s[54:55]
	s_or_b64 s[46:47], s[54:55], s[46:47]
	s_andn2_b64 s[52:53], s[52:53], exec
	s_and_b64 s[54:55], s[56:57], exec
	s_or_b64 s[52:53], s[52:53], s[54:55]
	s_andn2_b64 exec, exec, s[46:47]
	s_cbranch_execz .LBB33_208
.LBB33_204:                             ;   Parent Loop BB33_7 Depth=1
                                        ; =>  This Inner Loop Header: Depth=2
	v_cmp_gt_i32_e32 vcc, s0, v2
	s_and_saveexec_b64 s[54:55], vcc
	s_cbranch_execz .LBB33_202
; %bb.205:                              ;   in Loop: Header=BB33_204 Depth=2
	ds_read_u16 v6, v1
	s_waitcnt lgkmcnt(0)
	v_add_u32_sdwa v13, sext(v6), s17 dst_sel:DWORD dst_unused:UNUSED_PAD src0_sel:WORD_0 src1_sel:DWORD
	v_and_b32_e32 v13, v13, v36
	v_cmp_eq_u32_e32 vcc, v13, v30
	s_and_b64 exec, exec, vcc
	s_cbranch_execz .LBB33_202
; %bb.206:                              ;   in Loop: Header=BB33_204 Depth=2
	v_perm_b32 v6, v6, 1, v35
	ds_write_b32 v7, v6 offset:3072
	s_branch .LBB33_202
.LBB33_207:                             ;   in Loop: Header=BB33_204 Depth=2
	v_add_u32_e32 v2, s70, v2
	v_cmp_le_i32_e32 vcc, s1, v2
	v_add_u32_e32 v1, s16, v1
	s_mov_b64 s[56:57], 0
	s_orn2_b64 s[54:55], vcc, exec
	s_branch .LBB33_203
.LBB33_208:                             ;   in Loop: Header=BB33_7 Depth=1
	s_or_b64 exec, exec, s[46:47]
	s_andn2_b64 s[0:1], s[50:51], exec
	s_and_b64 s[46:47], s[52:53], exec
	v_lshrrev_b32_e32 v37, 16, v6
	s_or_b64 s[50:51], s[0:1], s[46:47]
.LBB33_209:                             ;   in Loop: Header=BB33_7 Depth=1
	s_or_b64 exec, exec, s[44:45]
	s_mov_b64 s[44:45], 0
	s_mov_b64 s[46:47], -1
.LBB33_210:                             ;   in Loop: Header=BB33_7 Depth=1
	s_orn2_b64 s[50:51], s[50:51], exec
.LBB33_211:                             ;   in Loop: Header=BB33_7 Depth=1
	s_or_b64 exec, exec, s[48:49]
	s_mov_b64 s[52:53], 0
	s_and_saveexec_b64 s[48:49], s[50:51]
	s_cbranch_execz .LBB33_222
; %bb.212:                              ;   in Loop: Header=BB33_7 Depth=1
	s_xor_b64 s[0:1], s[42:43], -1
	v_mov_b32_e32 v4, 1
	v_mov_b32_e32 v1, 1
	s_and_saveexec_b64 s[42:43], s[0:1]
	s_cbranch_execz .LBB33_221
; %bb.213:                              ;   in Loop: Header=BB33_7 Depth=1
	v_cmp_ge_i32_e32 vcc, s61, v12
	s_and_saveexec_b64 s[0:1], vcc
	s_xor_b64 s[50:51], exec, s[0:1]
	s_cbranch_execz .LBB33_218
; %bb.214:                              ;   in Loop: Header=BB33_7 Depth=1
	ds_read_b32 v1, v7 offset:4096
	v_or_b32_e32 v30, v30, v3
	v_or_b32_e32 v36, v36, v3
	s_waitcnt lgkmcnt(0)
	v_cmp_ne_u32_e32 vcc, 0, v1
	s_cbranch_vccnz .LBB33_218
; %bb.215:                              ;   in Loop: Header=BB33_7 Depth=1
	s_mov_b64 s[52:53], exec
	v_readlane_b32 s0, v48, 12
	v_readlane_b32 s1, v48, 13
	s_and_b64 s[0:1], s[52:53], s[0:1]
	s_mov_b64 exec, s[0:1]
; %bb.216:                              ;   in Loop: Header=BB33_7 Depth=1
	v_mov_b32_e32 v1, s61
	ds_write_b32 v7, v1 offset:4100
; %bb.217:                              ;   in Loop: Header=BB33_7 Depth=1
	s_or_b64 exec, exec, s[52:53]
	s_waitcnt lgkmcnt(0)
	s_barrier
.LBB33_218:                             ;   in Loop: Header=BB33_7 Depth=1
	s_andn2_saveexec_b64 s[50:51], s[50:51]
; %bb.219:                              ;   in Loop: Header=BB33_7 Depth=1
	v_subrev_u32_e32 v12, s61, v12
; %bb.220:                              ;   in Loop: Header=BB33_7 Depth=1
	s_or_b64 exec, exec, s[50:51]
	v_mov_b32_e32 v4, 8
	v_mov_b32_e32 v1, v12
.LBB33_221:                             ;   in Loop: Header=BB33_7 Depth=1
	s_or_b64 exec, exec, s[42:43]
	s_mov_b64 s[52:53], exec
	v_mov_b32_e32 v12, v1
.LBB33_222:                             ;   in Loop: Header=BB33_7 Depth=1
	s_or_b64 exec, exec, s[48:49]
	s_orn2_b64 s[42:43], s[52:53], exec
.LBB33_223:                             ;   in Loop: Header=BB33_7 Depth=1
	s_or_b64 exec, exec, s[40:41]
	s_andn2_b64 s[0:1], s[36:37], exec
	s_and_b64 s[36:37], s[46:47], exec
	s_or_b64 s[36:37], s[0:1], s[36:37]
	s_andn2_b64 s[0:1], s[34:35], exec
	s_and_b64 s[34:35], s[44:45], exec
	s_or_b64 s[34:35], s[0:1], s[34:35]
	s_and_b64 s[44:45], s[42:43], exec
	v_mov_b32_e32 v13, v12
.LBB33_224:                             ;   in Loop: Header=BB33_7 Depth=1
	s_or_b64 exec, exec, s[38:39]
	s_orn2_b64 s[38:39], s[44:45], exec
.LBB33_225:                             ;   in Loop: Header=BB33_7 Depth=1
	s_or_b64 exec, exec, s[30:31]
	s_andn2_b64 s[0:1], s[26:27], exec
	s_and_b64 s[26:27], s[36:37], exec
	s_or_b64 s[26:27], s[0:1], s[26:27]
	s_andn2_b64 s[0:1], s[24:25], exec
	s_and_b64 s[24:25], s[34:35], exec
	s_or_b64 s[24:25], s[0:1], s[24:25]
	s_and_b64 s[36:37], s[38:39], exec
	v_mov_b32_e32 v12, v13
.LBB33_226:                             ;   in Loop: Header=BB33_7 Depth=1
	s_or_b64 exec, exec, s[28:29]
	s_orn2_b64 s[28:29], s[36:37], exec
.LBB33_227:                             ;   in Loop: Header=BB33_7 Depth=1
	s_or_b64 exec, exec, s[22:23]
	s_mov_b64 s[30:31], 0
                                        ; implicit-def: $sgpr0
	s_and_saveexec_b64 s[22:23], s[28:29]
	s_xor_b64 s[22:23], exec, s[22:23]
	s_cbranch_execz .LBB33_5
; %bb.228:                              ;   in Loop: Header=BB33_7 Depth=1
	v_and_b32_e32 v1, 7, v4
	v_cmp_eq_u32_e32 vcc, 0, v1
	s_mov_b64 s[20:21], -1
	s_mov_b64 s[28:29], -1
                                        ; implicit-def: $sgpr0
	s_and_saveexec_b64 s[30:31], vcc
	s_cbranch_execz .LBB33_4
; %bb.229:                              ;   in Loop: Header=BB33_7 Depth=1
	v_add_u32_e32 v1, -2, v34
	v_cmp_eq_u32_e32 vcc, 0, v34
	s_xor_b32 s0, s19, 1
	s_xor_b64 s[28:29], exec, -1
	s_orn2_b64 s[20:21], vcc, exec
	v_mov_b32_e32 v34, v1
	s_branch .LBB33_4
.LBB33_230:
	s_or_b64 exec, exec, s[84:85]
	s_xor_b64 s[8:9], s[90:91], -1
	s_xor_b64 s[0:1], s[86:87], -1
	;; [unrolled: 1-line block ×3, first 2 shown]
	s_mov_b64 s[4:5], 0
	s_and_saveexec_b64 s[2:3], s[0:1]
	s_xor_b64 s[2:3], exec, s[2:3]
	s_cbranch_execnz .LBB33_235
; %bb.231:
	s_andn2_saveexec_b64 s[0:1], s[2:3]
	s_cbranch_execnz .LBB33_255
.LBB33_232:
	s_or_b64 exec, exec, s[0:1]
	s_and_saveexec_b64 s[0:1], s[4:5]
.LBB33_233:
	; divergent unreachable
.LBB33_234:
	s_endpgm
.LBB33_235:
	s_and_saveexec_b64 s[0:1], s[8:9]
	s_xor_b64 s[4:5], exec, s[0:1]
	s_cbranch_execz .LBB33_253
; %bb.236:
	s_and_saveexec_b64 s[0:1], s[6:7]
	s_xor_b64 s[6:7], exec, s[0:1]
; %bb.237:
	v_xor_b32_e32 v37, 0xffff8000, v30
; %bb.238:
	s_or_b64 exec, exec, s[6:7]
	s_mov_b64 s[6:7], exec
	v_readlane_b32 s0, v48, 12
	v_readlane_b32 s1, v48, 13
	s_and_b64 s[0:1], s[6:7], s[0:1]
	v_readlane_b32 s19, v48, 20
	v_readlane_b32 s20, v48, 16
	;; [unrolled: 1-line block ×5, first 2 shown]
	s_mov_b64 exec, s[0:1]
; %bb.239:
	v_mov_b32_e32 v1, 0
	v_mov_b32_e32 v2, s60
	ds_write_b32 v1, v2 offset:4108
; %bb.240:
	s_or_b64 exec, exec, s[6:7]
	v_mov_b32_e32 v1, 0
	s_waitcnt lgkmcnt(0)
	s_barrier
	ds_read_b32 v1, v1 offset:4108
	s_waitcnt lgkmcnt(0)
	v_min_i32_e32 v1, s60, v1
	v_cmp_lt_i32_e32 vcc, v0, v1
	s_and_saveexec_b64 s[6:7], vcc
	s_cbranch_execz .LBB33_250
; %bb.241:
	s_mov_b64 s[8:9], 0
	v_mov_b32_e32 v3, s71
                                        ; implicit-def: $sgpr10_sgpr11
                                        ; implicit-def: $sgpr14_sgpr15
                                        ; implicit-def: $sgpr12_sgpr13
	s_branch .LBB33_243
.LBB33_242:                             ;   in Loop: Header=BB33_243 Depth=1
	s_or_b64 exec, exec, s[16:17]
	s_and_b64 s[0:1], exec, s[14:15]
	s_or_b64 s[8:9], s[0:1], s[8:9]
	s_andn2_b64 s[0:1], s[10:11], exec
	s_and_b64 s[10:11], s[12:13], exec
	s_or_b64 s[10:11], s[0:1], s[10:11]
	s_andn2_b64 exec, exec, s[8:9]
	s_cbranch_execz .LBB33_245
.LBB33_243:                             ; =>This Inner Loop Header: Depth=1
	v_ashrrev_i32_e32 v6, 31, v5
	v_lshlrev_b64 v[6:7], 1, v[5:6]
	v_mov_b32_e32 v2, v0
	v_add_co_u32_e32 v6, vcc, s62, v6
	v_addc_co_u32_e32 v7, vcc, v3, v7, vcc
	global_load_ushort v4, v[6:7], off
	s_or_b64 s[12:13], s[12:13], exec
	s_or_b64 s[14:15], s[14:15], exec
                                        ; implicit-def: $vgpr0
	s_waitcnt vmcnt(0)
	v_cmp_ne_u16_e32 vcc, v4, v37
	s_and_saveexec_b64 s[16:17], vcc
	s_cbranch_execz .LBB33_242
; %bb.244:                              ;   in Loop: Header=BB33_243 Depth=1
	v_add_u32_e32 v0, s70, v2
	v_cmp_ge_i32_e32 vcc, v0, v1
	s_andn2_b64 s[0:1], s[14:15], exec
	s_and_b64 s[14:15], vcc, exec
	v_add_u32_e32 v5, s18, v5
	s_andn2_b64 s[12:13], s[12:13], exec
	s_or_b64 s[14:15], s[0:1], s[14:15]
	s_branch .LBB33_242
.LBB33_245:
	s_or_b64 exec, exec, s[8:9]
	s_and_saveexec_b64 s[0:1], s[10:11]
	s_xor_b64 s[0:1], exec, s[0:1]
	s_cbranch_execz .LBB33_250
; %bb.246:
	s_mov_b64 s[8:9], exec
	s_brev_b32 s0, -2
.LBB33_247:                             ; =>This Inner Loop Header: Depth=1
	s_ff1_i32_b64 s1, s[8:9]
	v_readlane_b32 s12, v2, s1
	s_lshl_b64 s[10:11], 1, s1
	s_min_i32 s0, s0, s12
	s_andn2_b64 s[8:9], s[8:9], s[10:11]
	s_cmp_lg_u64 s[8:9], 0
	s_cbranch_scc1 .LBB33_247
; %bb.248:
	v_mbcnt_lo_u32_b32 v0, exec_lo, 0
	v_mbcnt_hi_u32_b32 v0, exec_hi, v0
	v_cmp_eq_u32_e32 vcc, 0, v0
	s_and_saveexec_b64 s[8:9], vcc
	s_xor_b64 s[8:9], exec, s[8:9]
; %bb.249:
	v_mov_b32_e32 v0, 0
	v_mov_b32_e32 v1, s0
	ds_min_i32 v0, v1 offset:4108
.LBB33_250:
	s_or_b64 exec, exec, s[6:7]
	s_waitcnt lgkmcnt(0)
	s_barrier
	s_mov_b64 s[6:7], exec
	v_readlane_b32 s0, v48, 12
	v_readlane_b32 s1, v48, 13
	s_and_b64 s[0:1], s[6:7], s[0:1]
	s_mov_b64 exec, s[0:1]
	s_cbranch_execz .LBB33_252
; %bb.251:
	v_readlane_b32 s10, v48, 8
	v_readlane_b32 s11, v48, 9
	s_mul_i32 s1, s11, s10
	v_readlane_b32 s0, v48, 15
	s_sub_i32 s1, s22, s1
	s_xor_b32 s0, s21, s0
	s_add_i32 s8, s11, 1
	s_sub_i32 s9, s1, s10
	s_cmp_ge_u32 s1, s10
	s_cselect_b32 s8, s8, s11
	s_cselect_b32 s1, s9, s1
	s_add_i32 s9, s8, 1
	s_cmp_ge_u32 s1, s10
	s_cselect_b32 s1, s9, s8
	s_xor_b32 s1, s1, s0
	s_sub_i32 s0, s1, s0
	s_mul_i32 s1, s0, s23
	v_readlane_b32 s8, v48, 6
	s_sub_i32 s1, s19, s1
	v_readlane_b32 s9, v48, 7
	v_readlane_b32 s11, v48, 10
	;; [unrolled: 1-line block ×3, first 2 shown]
	s_mul_i32 s1, s1, s9
	s_mul_i32 s0, s0, s8
	;; [unrolled: 1-line block ×3, first 2 shown]
	s_add_i32 s0, s0, s1
	v_readlane_b32 s1, v48, 17
	s_sub_i32 s8, s22, s8
	s_xor_b32 s1, s21, s1
	s_add_i32 s9, s12, 1
	s_sub_i32 s10, s8, s11
	s_cmp_ge_u32 s8, s11
	s_cselect_b32 s9, s9, s12
	s_cselect_b32 s8, s10, s8
	s_add_i32 s10, s9, 1
	s_cmp_ge_u32 s8, s11
	s_cselect_b32 s8, s10, s9
	s_xor_b32 s8, s8, s1
	s_sub_i32 s1, s8, s1
	s_mul_i32 s8, s1, s20
	v_readlane_b32 s10, v48, 2
	s_sub_i32 s8, s19, s8
	v_readlane_b32 s11, v48, 3
	s_mul_i32 s8, s8, s11
	s_mul_i32 s1, s1, s10
	s_add_i32 s8, s1, s8
	s_ashr_i32 s1, s0, 31
	v_mov_b32_e32 v2, 0
	s_lshl_b64 s[0:1], s[0:1], 1
	v_readlane_b32 s10, v48, 0
	ds_read_b32 v0, v2 offset:4108
	v_readlane_b32 s11, v48, 1
	s_add_u32 s0, s10, s0
	s_addc_u32 s1, s11, s1
	s_ashr_i32 s9, s8, 31
	s_lshl_b64 s[8:9], s[8:9], 3
	v_readlane_b32 s10, v48, 4
	v_readlane_b32 s11, v48, 5
	s_add_u32 s8, s10, s8
	s_addc_u32 s9, s11, s9
	s_waitcnt lgkmcnt(0)
	v_ashrrev_i32_e32 v1, 31, v0
	global_store_dwordx2 v2, v[0:1], s[8:9]
	global_store_short v2, v37, s[0:1]
.LBB33_252:
	s_or_b64 exec, exec, s[6:7]
.LBB33_253:
	s_or_saveexec_b64 s[0:1], s[4:5]
	s_mov_b64 s[4:5], 0
	s_xor_b64 exec, exec, s[0:1]
	s_cbranch_execnz .LBB33_256
.LBB33_254:
	s_or_b64 exec, exec, s[0:1]
	s_and_b64 s[4:5], s[4:5], exec
	s_andn2_saveexec_b64 s[0:1], s[2:3]
	s_cbranch_execz .LBB33_232
.LBB33_255:
	s_or_b64 s[4:5], s[4:5], exec
	s_trap 2
	s_or_b64 exec, exec, s[0:1]
	s_and_saveexec_b64 s[0:1], s[4:5]
	s_cbranch_execnz .LBB33_233
	s_branch .LBB33_234
.LBB33_256:
	s_mov_b64 s[4:5], exec
	s_trap 2
	s_branch .LBB33_254
	.section	.rodata,"a",@progbits
	.p2align	6, 0x0
	.amdhsa_kernel _ZN2at6native12_GLOBAL__N_114gatherKthValueIsiLi2EEEvNS_4cuda6detail10TensorInfoIKT_T0_EES8_S8_S8_S8_NS5_IS6_S8_EENS5_IlS8_EE
		.amdhsa_group_segment_fixed_size 4112
		.amdhsa_private_segment_fixed_size 0
		.amdhsa_kernarg_size 920
		.amdhsa_user_sgpr_count 6
		.amdhsa_user_sgpr_private_segment_buffer 1
		.amdhsa_user_sgpr_dispatch_ptr 0
		.amdhsa_user_sgpr_queue_ptr 0
		.amdhsa_user_sgpr_kernarg_segment_ptr 1
		.amdhsa_user_sgpr_dispatch_id 0
		.amdhsa_user_sgpr_flat_scratch_init 0
		.amdhsa_user_sgpr_private_segment_size 0
		.amdhsa_uses_dynamic_stack 0
		.amdhsa_system_sgpr_private_segment_wavefront_offset 0
		.amdhsa_system_sgpr_workgroup_id_x 1
		.amdhsa_system_sgpr_workgroup_id_y 1
		.amdhsa_system_sgpr_workgroup_id_z 1
		.amdhsa_system_sgpr_workgroup_info 0
		.amdhsa_system_vgpr_workitem_id 0
		.amdhsa_next_free_vgpr 49
		.amdhsa_next_free_sgpr 96
		.amdhsa_reserve_vcc 1
		.amdhsa_reserve_flat_scratch 0
		.amdhsa_float_round_mode_32 0
		.amdhsa_float_round_mode_16_64 0
		.amdhsa_float_denorm_mode_32 3
		.amdhsa_float_denorm_mode_16_64 3
		.amdhsa_dx10_clamp 1
		.amdhsa_ieee_mode 1
		.amdhsa_fp16_overflow 0
		.amdhsa_exception_fp_ieee_invalid_op 0
		.amdhsa_exception_fp_denorm_src 0
		.amdhsa_exception_fp_ieee_div_zero 0
		.amdhsa_exception_fp_ieee_overflow 0
		.amdhsa_exception_fp_ieee_underflow 0
		.amdhsa_exception_fp_ieee_inexact 0
		.amdhsa_exception_int_div_zero 0
	.end_amdhsa_kernel
	.section	.text._ZN2at6native12_GLOBAL__N_114gatherKthValueIsiLi2EEEvNS_4cuda6detail10TensorInfoIKT_T0_EES8_S8_S8_S8_NS5_IS6_S8_EENS5_IlS8_EE,"axG",@progbits,_ZN2at6native12_GLOBAL__N_114gatherKthValueIsiLi2EEEvNS_4cuda6detail10TensorInfoIKT_T0_EES8_S8_S8_S8_NS5_IS6_S8_EENS5_IlS8_EE,comdat
.Lfunc_end33:
	.size	_ZN2at6native12_GLOBAL__N_114gatherKthValueIsiLi2EEEvNS_4cuda6detail10TensorInfoIKT_T0_EES8_S8_S8_S8_NS5_IS6_S8_EENS5_IlS8_EE, .Lfunc_end33-_ZN2at6native12_GLOBAL__N_114gatherKthValueIsiLi2EEEvNS_4cuda6detail10TensorInfoIKT_T0_EES8_S8_S8_S8_NS5_IS6_S8_EENS5_IlS8_EE
                                        ; -- End function
	.set _ZN2at6native12_GLOBAL__N_114gatherKthValueIsiLi2EEEvNS_4cuda6detail10TensorInfoIKT_T0_EES8_S8_S8_S8_NS5_IS6_S8_EENS5_IlS8_EE.num_vgpr, 49
	.set _ZN2at6native12_GLOBAL__N_114gatherKthValueIsiLi2EEEvNS_4cuda6detail10TensorInfoIKT_T0_EES8_S8_S8_S8_NS5_IS6_S8_EENS5_IlS8_EE.num_agpr, 0
	.set _ZN2at6native12_GLOBAL__N_114gatherKthValueIsiLi2EEEvNS_4cuda6detail10TensorInfoIKT_T0_EES8_S8_S8_S8_NS5_IS6_S8_EENS5_IlS8_EE.numbered_sgpr, 96
	.set _ZN2at6native12_GLOBAL__N_114gatherKthValueIsiLi2EEEvNS_4cuda6detail10TensorInfoIKT_T0_EES8_S8_S8_S8_NS5_IS6_S8_EENS5_IlS8_EE.num_named_barrier, 0
	.set _ZN2at6native12_GLOBAL__N_114gatherKthValueIsiLi2EEEvNS_4cuda6detail10TensorInfoIKT_T0_EES8_S8_S8_S8_NS5_IS6_S8_EENS5_IlS8_EE.private_seg_size, 0
	.set _ZN2at6native12_GLOBAL__N_114gatherKthValueIsiLi2EEEvNS_4cuda6detail10TensorInfoIKT_T0_EES8_S8_S8_S8_NS5_IS6_S8_EENS5_IlS8_EE.uses_vcc, 1
	.set _ZN2at6native12_GLOBAL__N_114gatherKthValueIsiLi2EEEvNS_4cuda6detail10TensorInfoIKT_T0_EES8_S8_S8_S8_NS5_IS6_S8_EENS5_IlS8_EE.uses_flat_scratch, 0
	.set _ZN2at6native12_GLOBAL__N_114gatherKthValueIsiLi2EEEvNS_4cuda6detail10TensorInfoIKT_T0_EES8_S8_S8_S8_NS5_IS6_S8_EENS5_IlS8_EE.has_dyn_sized_stack, 0
	.set _ZN2at6native12_GLOBAL__N_114gatherKthValueIsiLi2EEEvNS_4cuda6detail10TensorInfoIKT_T0_EES8_S8_S8_S8_NS5_IS6_S8_EENS5_IlS8_EE.has_recursion, 0
	.set _ZN2at6native12_GLOBAL__N_114gatherKthValueIsiLi2EEEvNS_4cuda6detail10TensorInfoIKT_T0_EES8_S8_S8_S8_NS5_IS6_S8_EENS5_IlS8_EE.has_indirect_call, 0
	.section	.AMDGPU.csdata,"",@progbits
; Kernel info:
; codeLenInByte = 9820
; TotalNumSgprs: 100
; NumVgprs: 49
; ScratchSize: 0
; MemoryBound: 0
; FloatMode: 240
; IeeeMode: 1
; LDSByteSize: 4112 bytes/workgroup (compile time only)
; SGPRBlocks: 12
; VGPRBlocks: 12
; NumSGPRsForWavesPerEU: 100
; NumVGPRsForWavesPerEU: 49
; Occupancy: 4
; WaveLimiterHint : 1
; COMPUTE_PGM_RSRC2:SCRATCH_EN: 0
; COMPUTE_PGM_RSRC2:USER_SGPR: 6
; COMPUTE_PGM_RSRC2:TRAP_HANDLER: 0
; COMPUTE_PGM_RSRC2:TGID_X_EN: 1
; COMPUTE_PGM_RSRC2:TGID_Y_EN: 1
; COMPUTE_PGM_RSRC2:TGID_Z_EN: 1
; COMPUTE_PGM_RSRC2:TIDIG_COMP_CNT: 0
	.section	.text._ZN2at6native12_GLOBAL__N_114gatherKthValueIsiLi3EEEvNS_4cuda6detail10TensorInfoIKT_T0_EES8_S8_S8_S8_NS5_IS6_S8_EENS5_IlS8_EE,"axG",@progbits,_ZN2at6native12_GLOBAL__N_114gatherKthValueIsiLi3EEEvNS_4cuda6detail10TensorInfoIKT_T0_EES8_S8_S8_S8_NS5_IS6_S8_EENS5_IlS8_EE,comdat
	.globl	_ZN2at6native12_GLOBAL__N_114gatherKthValueIsiLi3EEEvNS_4cuda6detail10TensorInfoIKT_T0_EES8_S8_S8_S8_NS5_IS6_S8_EENS5_IlS8_EE ; -- Begin function _ZN2at6native12_GLOBAL__N_114gatherKthValueIsiLi3EEEvNS_4cuda6detail10TensorInfoIKT_T0_EES8_S8_S8_S8_NS5_IS6_S8_EENS5_IlS8_EE
	.p2align	8
	.type	_ZN2at6native12_GLOBAL__N_114gatherKthValueIsiLi3EEEvNS_4cuda6detail10TensorInfoIKT_T0_EES8_S8_S8_S8_NS5_IS6_S8_EENS5_IlS8_EE,@function
_ZN2at6native12_GLOBAL__N_114gatherKthValueIsiLi3EEEvNS_4cuda6detail10TensorInfoIKT_T0_EES8_S8_S8_S8_NS5_IS6_S8_EENS5_IlS8_EE: ; @_ZN2at6native12_GLOBAL__N_114gatherKthValueIsiLi3EEEvNS_4cuda6detail10TensorInfoIKT_T0_EES8_S8_S8_S8_NS5_IS6_S8_EENS5_IlS8_EE
; %bb.0:
	s_load_dwordx2 s[14:15], s[4:5], 0x298
	s_load_dwordx4 s[68:71], s[4:5], 0xd8
	s_add_u32 s12, s4, 0x298
	s_addc_u32 s13, s5, 0
	s_waitcnt lgkmcnt(0)
	s_mul_i32 s0, s15, s8
	s_add_i32 s0, s0, s7
	s_mul_i32 s0, s0, s14
	s_add_i32 s23, s0, s6
	s_cmp_ge_i32 s23, s70
	s_cbranch_scc1 .LBB34_234
; %bb.1:
	s_load_dwordx2 s[2:3], s[4:5], 0xc
	s_load_dwordx2 s[24:25], s[4:5], 0xf4
	s_ashr_i32 s8, s23, 31
	s_abs_i32 s9, s23
	s_load_dwordx4 s[28:31], s[4:5], 0x154
	s_waitcnt lgkmcnt(0)
	s_abs_i32 s0, s3
	v_cvt_f32_u32_e32 v1, s0
	s_ashr_i32 s1, s3, 31
	s_xor_b32 s7, s8, s1
	s_sub_i32 s1, 0, s0
	v_rcp_iflag_f32_e32 v1, v1
                                        ; implicit-def: $vgpr48 : SGPR spill to VGPR lane
                                        ; kill: killed $sgpr4 killed $sgpr5
	s_mov_b32 s88, 0
	v_writelane_b32 v48, s28, 0
	v_writelane_b32 v48, s29, 1
	v_mul_f32_e32 v1, 0x4f7ffffe, v1
	v_cvt_u32_f32_e32 v1, v1
	v_writelane_b32 v48, s30, 2
	v_writelane_b32 v48, s31, 3
	v_readfirstlane_b32 s10, v1
	s_mul_i32 s1, s1, s10
	s_mul_hi_u32 s1, s10, s1
	s_add_i32 s10, s10, s1
	s_mul_hi_u32 s1, s9, s10
	s_mul_i32 s10, s1, s0
	s_sub_i32 s10, s9, s10
	s_add_i32 s11, s1, 1
	s_sub_i32 s15, s10, s0
	s_cmp_ge_u32 s10, s0
	s_cselect_b32 s1, s11, s1
	s_cselect_b32 s10, s15, s10
	s_add_i32 s11, s1, 1
	s_cmp_ge_u32 s10, s0
	s_cselect_b32 s10, s11, s1
	s_abs_i32 s0, s2
	v_cvt_f32_u32_e32 v1, s0
	s_abs_i32 s16, s25
	v_cvt_f32_u32_e32 v2, s16
	s_xor_b32 s10, s10, s7
	v_rcp_iflag_f32_e32 v1, v1
	s_sub_i32 s17, 0, s0
	v_rcp_iflag_f32_e32 v2, v2
	s_sub_i32 s7, s10, s7
	v_mul_f32_e32 v1, 0x4f7ffffe, v1
	v_cvt_u32_f32_e32 v1, v1
	v_mul_f32_e32 v2, 0x4f7ffffe, v2
	v_cvt_u32_f32_e32 v2, v2
	s_ashr_i32 s11, s25, 31
	v_readfirstlane_b32 s10, v1
	s_mul_i32 s17, s17, s10
	s_mul_hi_u32 s17, s10, s17
	s_add_i32 s19, s10, s17
	s_sub_i32 s10, 0, s16
	v_readfirstlane_b32 s17, v2
	s_mul_i32 s10, s10, s17
	s_mul_hi_u32 s10, s17, s10
	s_add_i32 s17, s17, s10
	s_mul_hi_u32 s10, s9, s17
	s_mul_i32 s17, s10, s16
	s_sub_i32 s17, s9, s17
	s_ashr_i32 s1, s2, 31
	s_xor_b32 s11, s8, s11
	s_ashr_i32 s15, s7, 31
	s_abs_i32 s18, s7
	s_add_i32 s20, s10, 1
	s_sub_i32 s21, s17, s16
	s_cmp_ge_u32 s17, s16
	s_cselect_b32 s10, s20, s10
	s_cselect_b32 s17, s21, s17
	s_add_i32 s20, s10, 1
	s_cmp_ge_u32 s17, s16
	s_cselect_b32 s10, s20, s10
	s_abs_i32 s22, s24
	v_cvt_f32_u32_e32 v1, s22
	s_load_dwordx2 s[16:17], s[4:5], 0x0
	s_load_dwordx4 s[28:31], s[4:5], 0x22c
	s_load_dwordx2 s[26:27], s[4:5], 0x1cc
	s_load_dwordx2 s[20:21], s[4:5], 0x1c0
	s_xor_b32 s10, s10, s11
	v_rcp_iflag_f32_e32 v1, v1
	s_waitcnt lgkmcnt(0)
	v_writelane_b32 v48, s28, 4
	v_writelane_b32 v48, s29, 5
	;; [unrolled: 1-line block ×4, first 2 shown]
	s_sub_i32 s28, s10, s11
	v_mul_f32_e32 v1, 0x4f7ffffe, v1
	s_abs_i32 s10, s27
	v_cvt_u32_f32_e32 v1, v1
	v_cvt_f32_u32_e32 v2, s10
	v_writelane_b32 v48, s20, 8
	v_writelane_b32 v48, s21, 9
	v_readfirstlane_b32 s20, v1
	v_rcp_iflag_f32_e32 v1, v2
	s_sub_i32 s11, 0, s22
	s_mul_i32 s11, s11, s20
	s_mul_hi_u32 s11, s20, s11
	v_mul_f32_e32 v1, 0x4f7ffffe, v1
	v_cvt_u32_f32_e32 v1, v1
	s_add_i32 s20, s20, s11
	s_ashr_i32 s11, s27, 31
	s_xor_b32 s21, s8, s11
	s_sub_i32 s8, 0, s10
	v_readfirstlane_b32 s11, v1
	s_mul_i32 s8, s8, s11
	s_mul_hi_u32 s8, s11, s8
	s_add_i32 s11, s11, s8
	s_mul_hi_u32 s8, s9, s11
	s_mul_i32 s11, s8, s10
	s_sub_i32 s9, s9, s11
	s_abs_i32 s29, s28
	v_writelane_b32 v48, s22, 10
	s_add_i32 s11, s8, 1
	s_sub_i32 s22, s9, s10
	s_cmp_ge_u32 s9, s10
	s_cselect_b32 s8, s11, s8
	s_cselect_b32 s9, s22, s9
	s_add_i32 s11, s8, 1
	s_cmp_ge_u32 s9, s10
	s_cselect_b32 s22, s11, s8
	s_abs_i32 s30, s26
	v_cvt_f32_u32_e32 v1, s30
	s_load_dwordx2 s[8:9], s[4:5], 0xe8
	v_rcp_iflag_f32_e32 v1, v1
	s_waitcnt lgkmcnt(0)
	v_writelane_b32 v48, s8, 11
	v_writelane_b32 v48, s9, 12
	v_mul_f32_e32 v1, 0x4f7ffffe, v1
	v_cvt_u32_f32_e32 v1, v1
	s_load_dwordx4 s[8:11], s[4:5], 0x6c
	v_writelane_b32 v48, s29, 13
	s_mul_hi_u32 s4, s29, s20
	v_writelane_b32 v48, s4, 14
	s_xor_b32 s4, s22, s21
	s_waitcnt lgkmcnt(0)
	s_mul_hi_u32 s11, s18, s19
	s_sub_i32 s19, s4, s21
	s_sub_i32 s4, 0, s30
	v_readfirstlane_b32 s5, v1
	s_mul_i32 s4, s4, s5
	s_mul_hi_u32 s4, s5, s4
	s_abs_i32 s20, s19
	v_writelane_b32 v48, s30, 15
	s_add_i32 s5, s5, s4
	v_writelane_b32 v48, s20, 16
	s_mul_hi_u32 s4, s20, s5
	v_writelane_b32 v48, s4, 17
	v_cmp_eq_u32_e64 s[20:21], 0, v0
	s_mov_b64 s[4:5], exec
	v_writelane_b32 v48, s20, 18
	v_writelane_b32 v48, s21, 19
	s_and_b64 s[20:21], s[4:5], s[20:21]
	s_mov_b64 exec, s[20:21]
; %bb.2:
	v_mov_b32_e32 v1, 0
	v_mov_b32_e32 v2, s68
	;; [unrolled: 1-line block ×3, first 2 shown]
	ds_write_b96 v1, v[1:3] offset:4096
; %bb.3:
	s_or_b64 exec, exec, s[4:5]
	v_writelane_b32 v48, s28, 20
	s_ashr_i32 s4, s28, 31
	v_writelane_b32 v48, s4, 21
	v_writelane_b32 v48, s24, 22
	;; [unrolled: 1-line block ×3, first 2 shown]
	s_ashr_i32 s4, s24, 31
	v_writelane_b32 v48, s4, 24
	v_writelane_b32 v48, s19, 25
	s_ashr_i32 s4, s19, 31
	v_writelane_b32 v48, s4, 26
	v_writelane_b32 v48, s26, 27
	;; [unrolled: 1-line block ×3, first 2 shown]
	s_ashr_i32 s4, s26, 31
	v_writelane_b32 v48, s4, 29
	s_mul_i32 s3, s7, s3
	s_mul_i32 s4, s11, s0
	s_sub_i32 s3, s23, s3
	s_sub_i32 s4, s18, s4
	s_mul_i32 s3, s3, s10
	s_xor_b32 s1, s15, s1
	s_add_i32 s5, s11, 1
	s_sub_i32 s10, s4, s0
	s_cmp_ge_u32 s4, s0
	s_cselect_b32 s5, s5, s11
	s_cselect_b32 s4, s10, s4
	s_add_i32 s10, s5, 1
	s_cmp_ge_u32 s4, s0
	s_cselect_b32 s0, s10, s5
	s_xor_b32 s0, s0, s1
	s_sub_i32 s0, s0, s1
	s_mul_i32 s1, s0, s2
	s_sub_i32 s1, s7, s1
	s_mul_i32 s1, s1, s9
	s_add_i32 s1, s1, s3
	s_mul_i32 s0, s0, s8
	s_waitcnt lgkmcnt(0)
	s_barrier
	s_load_dword s2, s[12:13], 0xc
	v_mul_lo_u32 v5, s71, v0
	s_add_i32 s0, s1, s0
	s_ashr_i32 s1, s0, 31
	v_mov_b32_e32 v7, 0
	s_lshl_b64 s[0:1], s[0:1], 1
	v_mbcnt_lo_u32_b32 v1, -1, 0
	v_mov_b32_e32 v6, v7
	s_add_u32 s70, s16, s0
	v_mbcnt_hi_u32_b32 v17, -1, v1
	v_lshlrev_b64 v[1:2], 1, v[5:6]
	s_addc_u32 s77, s17, s1
	s_waitcnt lgkmcnt(0)
	s_and_b32 s76, s2, 0xffff
	v_cmp_gt_u32_e32 vcc, 64, v0
	v_cmp_gt_i32_e64 s[4:5], 4, v17
	s_and_b64 s[80:81], vcc, s[4:5]
	s_add_i32 s1, s76, -1
	v_mov_b32_e32 v20, s77
	v_add_co_u32_e32 v8, vcc, s70, v1
	s_lshl_b32 s33, s76, 2
	s_bfe_u32 s0, s2, 0xa0006
	s_add_i32 s91, s1, s68
	v_addc_co_u32_e32 v9, vcc, v20, v2, vcc
	v_lshlrev_b64 v[2:3], v17, -1
	v_writelane_b32 v48, s23, 30
	s_cmpk_gt_i32 s68, 0x600
	v_writelane_b32 v48, s1, 31
	s_cselect_b64 s[8:9], -1, 0
	v_not_b32_e32 v23, v2
	v_lshrrev_b32_e32 v2, 2, v0
	v_writelane_b32 v48, s8, 32
	v_and_b32_e32 v2, 0xf0, v2
	v_writelane_b32 v48, s9, 33
	v_cmp_gt_u32_e64 s[8:9], s68, v0
	s_cmp_gt_u32 s76, 63
	v_or_b32_e32 v24, 0xc00, v2
	v_cvt_f32_u32_e32 v2, s33
	v_writelane_b32 v48, s8, 34
	s_cselect_b64 s[84:85], -1, 0
	s_cmp_lt_u32 s6, s14
	v_writelane_b32 v48, s9, 35
	v_cmp_gt_i32_e64 s[8:9], s68, v0
	s_cselect_b32 s1, 12, 18
	v_writelane_b32 v48, s8, 36
	s_add_u32 s6, s12, s1
	v_writelane_b32 v48, s9, 37
	s_addc_u32 s7, s13, 0
	v_rcp_iflag_f32_e32 v2, v2
	v_writelane_b32 v48, s6, 38
	s_add_i32 s1, s0, -1
	v_writelane_b32 v48, s7, 39
	s_bfe_u32 s6, s76, 0x30006
	s_and_b32 s1, s1, 0xffff
	s_cmp_gt_u32 s1, 6
	s_cselect_b64 s[8:9], -1, 0
	v_mul_f32_e32 v2, 0x4f7ffffe, v2
	v_writelane_b32 v48, s8, 40
	s_and_b32 s89, s0, 0x3f8
	v_cvt_u32_f32_e32 v2, v2
	v_writelane_b32 v48, s9, 41
	s_cmp_lg_u32 s6, 0
	v_writelane_b32 v48, s6, 42
	s_cselect_b64 s[0:1], -1, 0
	v_writelane_b32 v48, s0, 43
	v_writelane_b32 v48, s1, 44
	s_sub_i32 s0, 0, s33
	v_readfirstlane_b32 s1, v2
	s_mul_i32 s0, s0, s1
	s_mul_hi_u32 s0, s1, s0
	s_add_i32 s8, s1, s0
	s_mul_hi_u32 s0, s68, s8
	s_mul_i32 s0, s0, s33
	s_sub_i32 s0, s68, s0
	s_sub_i32 s1, s0, s33
	s_cmp_ge_u32 s0, s33
	s_cselect_b32 s0, s1, s0
	s_sub_i32 s1, s0, s33
	s_cmp_ge_u32 s0, s33
	s_cselect_b32 s0, s1, s0
	s_sub_i32 s9, s68, s0
	v_add_u32_e32 v25, s9, v0
	v_cvt_f32_u32_e32 v4, s76
	v_mul_lo_u32 v2, v25, s71
	v_not_b32_e32 v22, v3
	s_sub_i32 s7, 0, s76
	v_rcp_iflag_f32_e32 v4, v4
	v_ashrrev_i32_e32 v3, 31, v2
	v_lshlrev_b64 v[2:3], 1, v[2:3]
	s_abs_i32 s6, s91
	v_add_co_u32_e32 v10, vcc, s70, v2
	v_mul_f32_e32 v2, 0x4f7ffffe, v4
	v_cvt_u32_f32_e32 v2, v2
	s_ashr_i32 s1, s91, 31
	v_lshlrev_b32_e32 v16, 2, v0
	v_lshlrev_b32_e32 v18, 1, v0
	v_readfirstlane_b32 s16, v2
	s_mul_i32 s7, s7, s16
	s_mul_hi_u32 s7, s16, s7
	s_add_i32 s7, s16, s7
	v_writelane_b32 v48, s7, 45
	s_mul_hi_u32 s7, s6, s7
	s_mul_i32 s7, s7, s76
	s_sub_i32 s6, s6, s7
	s_sub_i32 s7, s6, s76
	s_cmp_ge_u32 s6, s76
	s_cselect_b32 s6, s7, s6
	s_sub_i32 s7, s6, s76
	v_mul_lo_u32 v2, s71, v16
	s_cmp_ge_u32 s6, s76
	s_cselect_b32 s6, s7, s6
	s_xor_b32 s6, s6, s1
	s_sub_i32 s1, s1, s6
	v_add_u32_e32 v26, s71, v2
	v_or_b32_e32 v2, 2, v16
	s_add_i32 s91, s91, s1
	v_mul_lo_u32 v27, s71, v2
	v_or_b32_e32 v2, 3, v16
	s_add_i32 s1, s76, s68
	v_mul_lo_u32 v28, s71, v2
	v_add_u32_e32 v2, s1, v0
	v_subrev_u32_e32 v2, s0, v2
	v_mul_lo_u32 v31, s71, v2
	v_lshlrev_b32_e32 v1, 2, v17
	v_mov_b32_e32 v6, s77
	v_cmp_gt_i32_e64 s[6:7], s91, v0
	s_mul_i32 s18, s71, s76
	v_cmp_eq_u32_e64 s[2:3], 0, v17
	v_cmp_gt_u32_e64 s[4:5], 2, v0
	v_add_u32_e32 v19, 0xc00, v18
	v_and_b32_e32 v21, 0x100, v1
	v_cmp_gt_i32_e64 s[10:11], s9, v16
	v_cmp_gt_u32_e64 s[12:13], s68, v25
	v_addc_co_u32_e32 v11, vcc, v6, v3, vcc
	v_cmp_gt_i32_e64 s[14:15], s68, v25
	v_writelane_b32 v48, s6, 46
	s_lshl_b32 s86, s18, 2
	v_lshlrev_b32_e32 v29, 2, v5
	v_lshlrev_b32_e32 v32, 3, v0
	s_lshl_b32 s87, s76, 3
	s_lshl_b32 s16, s76, 1
	v_or_b32_e32 v33, 0xc00, v1
	s_mov_b64 s[92:93], 0
	v_mov_b32_e32 v34, 14
	v_mov_b32_e32 v38, s69
	s_mov_b32 s17, 0x8000
	v_mov_b32_e32 v35, 0x5040100
	v_mov_b32_e32 v37, 0
	;; [unrolled: 1-line block ×4, first 2 shown]
	v_writelane_b32 v48, s7, 47
                                        ; implicit-def: $sgpr94_sgpr95
                                        ; implicit-def: $sgpr78_sgpr79
                                        ; implicit-def: $sgpr74_sgpr75
                                        ; implicit-def: $sgpr62_sgpr63
                                        ; implicit-def: $sgpr64_sgpr65
                                        ; implicit-def: $sgpr60_sgpr61
	s_branch .LBB34_7
.LBB34_4:                               ;   in Loop: Header=BB34_7 Depth=1
	s_or_b64 exec, exec, s[30:31]
	s_and_b64 s[30:31], s[28:29], exec
	s_andn2_b64 s[26:27], s[26:27], exec
	s_andn2_b64 s[24:25], s[24:25], exec
	s_orn2_b64 s[20:21], s[20:21], exec
.LBB34_5:                               ;   in Loop: Header=BB34_7 Depth=1
	s_or_b64 exec, exec, s[22:23]
	s_andn2_b64 s[22:23], s[60:61], exec
	s_and_b64 s[28:29], s[30:31], exec
	s_or_b64 s[60:61], s[22:23], s[28:29]
	s_andn2_b64 s[22:23], s[64:65], exec
	s_and_b64 s[26:27], s[26:27], exec
	s_or_b64 s[64:65], s[22:23], s[26:27]
	;; [unrolled: 3-line block ×3, first 2 shown]
	s_orn2_b64 s[20:21], s[20:21], exec
.LBB34_6:                               ;   in Loop: Header=BB34_7 Depth=1
	s_or_b64 exec, exec, s[6:7]
	s_and_b64 s[6:7], exec, s[20:21]
	s_or_b64 s[92:93], s[6:7], s[92:93]
	s_andn2_b64 s[6:7], s[74:75], exec
	s_and_b64 s[20:21], s[60:61], exec
	s_or_b64 s[74:75], s[6:7], s[20:21]
	s_andn2_b64 s[6:7], s[78:79], exec
	s_and_b64 s[20:21], s[64:65], exec
	;; [unrolled: 3-line block ×3, first 2 shown]
	s_or_b64 s[94:95], s[6:7], s[20:21]
	s_mov_b32 s88, s0
	v_mov_b32_e32 v38, v12
	s_andn2_b64 exec, exec, s[92:93]
	s_cbranch_execz .LBB34_230
.LBB34_7:                               ; =>This Loop Header: Depth=1
                                        ;     Child Loop BB34_12 Depth 2
                                        ;     Child Loop BB34_27 Depth 2
	;; [unrolled: 1-line block ×16, first 2 shown]
	ds_read_b64 v[1:2], v7 offset:4096
	s_waitcnt lgkmcnt(0)
	v_readfirstlane_b32 s69, v1
	s_cmp_gt_i32 s69, 0
	s_cbranch_scc1 .LBB34_34
; %bb.8:                                ;   in Loop: Header=BB34_7 Depth=1
	v_readlane_b32 s0, v48, 32
	v_readlane_b32 s1, v48, 33
	s_and_b64 vcc, exec, s[0:1]
	s_cbranch_vccz .LBB34_20
; %bb.9:                                ;   in Loop: Header=BB34_7 Depth=1
	s_movk_i32 s0, 0x601
	v_cmp_gt_i32_e32 vcc, s0, v2
	s_mov_b64 s[20:21], 0
	s_mov_b64 s[6:7], 0
	s_cbranch_vccz .LBB34_21
; %bb.10:                               ;   in Loop: Header=BB34_7 Depth=1
	v_readlane_b32 s0, v48, 38
	v_readlane_b32 s1, v48, 39
	s_nop 4
	global_load_ushort v1, v7, s[0:1]
	global_load_ushort v3, v[8:9], off
	s_mov_b64 s[22:23], 0
	v_mov_b32_e32 v4, v0
	s_waitcnt vmcnt(1)
	v_add_u32_e32 v2, v0, v1
	v_mul_lo_u32 v6, s71, v2
	v_mul_lo_u32 v2, s71, v1
	s_branch .LBB34_12
.LBB34_11:                              ;   in Loop: Header=BB34_12 Depth=2
	s_or_b64 exec, exec, s[6:7]
	v_cmp_le_i32_e32 vcc, s68, v4
	v_add_u32_e32 v6, v6, v2
	s_or_b64 s[22:23], vcc, s[22:23]
	v_mov_b32_e32 v3, v12
	s_andn2_b64 exec, exec, s[22:23]
	s_cbranch_execz .LBB34_66
.LBB34_12:                              ;   Parent Loop BB34_7 Depth=1
                                        ; =>  This Inner Loop Header: Depth=2
	v_add_u32_e32 v4, v4, v1
	v_cmp_gt_u32_e32 vcc, s68, v4
	s_waitcnt lgkmcnt(0)
	v_mov_b32_e32 v13, 0
	v_mov_b32_e32 v12, 0
	s_and_saveexec_b64 s[6:7], vcc
	s_cbranch_execz .LBB34_14
; %bb.13:                               ;   in Loop: Header=BB34_12 Depth=2
	v_lshlrev_b64 v[14:15], 1, v[6:7]
	v_add_co_u32_e32 v14, vcc, s70, v14
	v_addc_co_u32_e32 v15, vcc, v20, v15, vcc
	global_load_ushort v12, v[14:15], off
.LBB34_14:                              ;   in Loop: Header=BB34_12 Depth=2
	s_or_b64 exec, exec, s[6:7]
	s_waitcnt vmcnt(0)
	v_add_u32_sdwa v14, sext(v3), s17 dst_sel:DWORD dst_unused:UNUSED_PAD src0_sel:WORD_0 src1_sel:DWORD
	v_and_b32_e32 v14, v14, v36
	v_cmp_eq_u32_e32 vcc, v14, v30
	s_cmp_lg_u64 vcc, 0
	s_cselect_b64 s[0:1], -1, 0
	s_and_b64 s[0:1], s[2:3], s[0:1]
	s_and_saveexec_b64 s[24:25], s[0:1]
	s_cbranch_execz .LBB34_18
; %bb.15:                               ;   in Loop: Header=BB34_12 Depth=2
	s_mov_b64 s[28:29], exec
	v_mbcnt_lo_u32_b32 v13, s28, 0
	v_mbcnt_hi_u32_b32 v13, s29, v13
	s_bcnt1_i32_b64 s0, vcc
	v_cmp_eq_u32_e64 s[6:7], 0, v13
                                        ; implicit-def: $vgpr14
	s_and_saveexec_b64 s[26:27], s[6:7]
; %bb.16:                               ;   in Loop: Header=BB34_12 Depth=2
	s_bcnt1_i32_b64 s1, s[28:29]
	s_mul_i32 s1, s0, s1
	v_mov_b32_e32 v14, s1
	ds_add_rtn_u32 v14, v7, v14 offset:4104
; %bb.17:                               ;   in Loop: Header=BB34_12 Depth=2
	s_or_b64 exec, exec, s[26:27]
	s_waitcnt lgkmcnt(0)
	v_readfirstlane_b32 s1, v14
	v_mov_b32_e32 v14, s1
	v_mad_u32_u24 v13, s0, v13, v14
.LBB34_18:                              ;   in Loop: Header=BB34_12 Depth=2
	s_or_b64 exec, exec, s[24:25]
	ds_bpermute_b32 v13, v21, v13
	s_and_saveexec_b64 s[6:7], vcc
	s_cbranch_execz .LBB34_11
; %bb.19:                               ;   in Loop: Header=BB34_12 Depth=2
	v_and_b32_e32 v15, vcc_lo, v23
	v_and_b32_e32 v14, vcc_hi, v22
	v_bcnt_u32_b32 v15, v15, 0
	v_bcnt_u32_b32 v14, v14, v15
	v_lshlrev_b32_e32 v14, 1, v14
	s_waitcnt lgkmcnt(0)
	v_lshl_add_u32 v13, v13, 1, v14
	ds_write_b16 v13, v3
	s_branch .LBB34_11
.LBB34_20:                              ;   in Loop: Header=BB34_7 Depth=1
	s_mov_b64 s[20:21], -1
	s_mov_b64 s[6:7], 0
.LBB34_21:                              ;   in Loop: Header=BB34_7 Depth=1
	s_and_b64 vcc, exec, s[20:21]
	s_cbranch_vccz .LBB34_32
.LBB34_22:                              ;   in Loop: Header=BB34_7 Depth=1
	v_mov_b32_e32 v1, 0
	s_mov_b64 s[6:7], exec
	v_readlane_b32 s0, v48, 34
	v_readlane_b32 s1, v48, 35
	s_and_b64 s[0:1], s[6:7], s[0:1]
	s_mov_b64 exec, s[0:1]
	s_cbranch_execz .LBB34_24
; %bb.23:                               ;   in Loop: Header=BB34_7 Depth=1
	global_load_ushort v1, v[8:9], off
.LBB34_24:                              ;   in Loop: Header=BB34_7 Depth=1
	s_or_b64 exec, exec, s[6:7]
	s_mov_b64 s[6:7], exec
	v_readlane_b32 s0, v48, 36
	v_readlane_b32 s1, v48, 37
	s_and_b64 s[0:1], s[6:7], s[0:1]
	s_mov_b64 exec, s[0:1]
	s_cbranch_execz .LBB34_29
; %bb.25:                               ;   in Loop: Header=BB34_7 Depth=1
	v_readlane_b32 s0, v48, 38
	v_readlane_b32 s1, v48, 39
	s_mov_b64 s[20:21], 0
	v_mov_b32_e32 v12, v18
	v_mov_b32_e32 v13, v0
	s_nop 1
	global_load_ushort v2, v7, s[0:1]
	s_waitcnt vmcnt(0)
	v_add_u32_e32 v4, v0, v2
	v_mul_lo_u32 v6, s71, v4
	v_mul_lo_u32 v4, s71, v2
	v_lshlrev_b32_e32 v3, 1, v2
	s_branch .LBB34_27
.LBB34_26:                              ;   in Loop: Header=BB34_27 Depth=2
	s_or_b64 exec, exec, s[22:23]
	v_cmp_le_i32_e32 vcc, s68, v13
	ds_write_b16 v12, v1
	v_add_u32_e32 v12, v12, v3
	v_add_u32_e32 v6, v6, v4
	s_or_b64 s[20:21], vcc, s[20:21]
	s_waitcnt vmcnt(0)
	v_mov_b32_e32 v1, v14
	s_andn2_b64 exec, exec, s[20:21]
	s_cbranch_execz .LBB34_29
.LBB34_27:                              ;   Parent Loop BB34_7 Depth=1
                                        ; =>  This Inner Loop Header: Depth=2
	v_add_u32_e32 v13, v13, v2
	v_cmp_gt_u32_e32 vcc, s68, v13
	v_mov_b32_e32 v14, 0
	s_and_saveexec_b64 s[22:23], vcc
	s_cbranch_execz .LBB34_26
; %bb.28:                               ;   in Loop: Header=BB34_27 Depth=2
	v_lshlrev_b64 v[14:15], 1, v[6:7]
	v_mov_b32_e32 v39, s77
	v_add_co_u32_e32 v14, vcc, s70, v14
	v_addc_co_u32_e32 v15, vcc, v39, v15, vcc
	global_load_ushort v14, v[14:15], off
	s_branch .LBB34_26
.LBB34_29:                              ;   in Loop: Header=BB34_7 Depth=1
	s_or_b64 exec, exec, s[6:7]
	s_waitcnt vmcnt(0) lgkmcnt(0)
	s_barrier
	s_mov_b64 s[6:7], exec
	v_readlane_b32 s0, v48, 18
	v_readlane_b32 s1, v48, 19
	s_and_b64 s[0:1], s[6:7], s[0:1]
	s_mov_b64 exec, s[0:1]
; %bb.30:                               ;   in Loop: Header=BB34_7 Depth=1
	v_mov_b32_e32 v1, s68
	ds_write_b32 v7, v1 offset:4096
; %bb.31:                               ;   in Loop: Header=BB34_7 Depth=1
	s_or_b64 exec, exec, s[6:7]
	s_mov_b64 s[6:7], -1
	s_waitcnt lgkmcnt(0)
	s_barrier
.LBB34_32:                              ;   in Loop: Header=BB34_7 Depth=1
	s_and_b64 vcc, exec, s[6:7]
	s_cbranch_vccz .LBB34_34
; %bb.33:                               ;   in Loop: Header=BB34_7 Depth=1
	ds_read_b32 v1, v7 offset:4096
	s_waitcnt lgkmcnt(0)
	v_readfirstlane_b32 s69, v1
.LBB34_34:                              ;   in Loop: Header=BB34_7 Depth=1
	s_cmp_lt_i32 s69, 1
	s_mov_b64 s[6:7], -1
                                        ; implicit-def: $vgpr1
	s_cbranch_scc1 .LBB34_44
; %bb.35:                               ;   in Loop: Header=BB34_7 Depth=1
	s_and_b64 vcc, exec, s[6:7]
	s_cbranch_vccnz .LBB34_57
.LBB34_36:                              ;   in Loop: Header=BB34_7 Depth=1
	s_lshl_b32 s0, s88, 6
	s_and_saveexec_b64 s[6:7], s[2:3]
.LBB34_37:                              ;   in Loop: Header=BB34_7 Depth=1
	v_lshl_add_u32 v6, s0, 2, v24
	ds_write_b128 v6, v[1:4]
.LBB34_38:                              ;   in Loop: Header=BB34_7 Depth=1
	s_or_b64 exec, exec, s[6:7]
	s_waitcnt vmcnt(0) lgkmcnt(0)
	s_barrier
	s_and_saveexec_b64 s[6:7], s[80:81]
	s_cbranch_execz .LBB34_74
; %bb.39:                               ;   in Loop: Header=BB34_7 Depth=1
	s_andn2_b64 vcc, exec, s[84:85]
	v_mov_b32_e32 v1, 0
	s_cbranch_vccnz .LBB34_73
; %bb.40:                               ;   in Loop: Header=BB34_7 Depth=1
	v_readlane_b32 s20, v48, 40
	v_readlane_b32 s21, v48, 41
	s_andn2_b64 vcc, exec, s[20:21]
	s_cbranch_vccnz .LBB34_69
; %bb.41:                               ;   in Loop: Header=BB34_7 Depth=1
	v_lshl_add_u32 v2, s88, 8, v33
	s_mov_b32 s1, 0
	v_mov_b32_e32 v1, 0
.LBB34_42:                              ;   Parent Loop BB34_7 Depth=1
                                        ; =>  This Inner Loop Header: Depth=2
	ds_read2_b32 v[3:4], v2 offset1:4
	ds_read2_b32 v[12:13], v2 offset0:8 offset1:12
	ds_read2_b32 v[14:15], v2 offset0:16 offset1:20
	;; [unrolled: 1-line block ×3, first 2 shown]
	s_add_i32 s1, s1, 8
	s_waitcnt lgkmcnt(3)
	v_add3_u32 v1, v3, v1, v4
	s_waitcnt lgkmcnt(2)
	v_add3_u32 v1, v12, v1, v13
	;; [unrolled: 2-line block ×3, first 2 shown]
	v_add_u32_e32 v2, 0x80, v2
	s_cmp_eq_u32 s89, s1
	s_waitcnt lgkmcnt(0)
	v_add3_u32 v1, v39, v1, v40
	s_cbranch_scc0 .LBB34_42
; %bb.43:                               ;   in Loop: Header=BB34_7 Depth=1
	s_mov_b32 s1, s89
	s_branch .LBB34_70
.LBB34_44:                              ;   in Loop: Header=BB34_7 Depth=1
	v_mov_b32_e32 v1, 0
	v_mov_b32_e32 v2, 0
	;; [unrolled: 1-line block ×4, first 2 shown]
	s_and_saveexec_b64 s[66:67], s[10:11]
	s_cbranch_execnz .LBB34_47
; %bb.45:                               ;   in Loop: Header=BB34_7 Depth=1
	s_or_b64 exec, exec, s[66:67]
	v_mov_b32_e32 v14, 0
	s_and_saveexec_b64 s[6:7], s[12:13]
	s_cbranch_execnz .LBB34_50
.LBB34_46:                              ;   in Loop: Header=BB34_7 Depth=1
	s_or_b64 exec, exec, s[6:7]
	s_and_saveexec_b64 s[20:21], s[14:15]
	s_cbranch_execnz .LBB34_51
	s_branch .LBB34_56
.LBB34_47:                              ;   in Loop: Header=BB34_7 Depth=1
	s_mov_b32 s19, 0
	s_mov_b64 s[72:73], 0
	s_mov_b32 s90, 0
	s_mov_b32 s0, 0
	;; [unrolled: 1-line block ×4, first 2 shown]
	v_mov_b32_e32 v6, v16
.LBB34_48:                              ;   Parent Loop BB34_7 Depth=1
                                        ; =>  This Inner Loop Header: Depth=2
	v_add_u32_e32 v1, s19, v29
	v_ashrrev_i32_e32 v2, 31, v1
	v_add_u32_e32 v3, s19, v26
	v_lshlrev_b64 v[1:2], 1, v[1:2]
	v_ashrrev_i32_e32 v4, 31, v3
	v_mov_b32_e32 v39, s77
	v_add_u32_e32 v12, s19, v27
	v_lshlrev_b64 v[3:4], 1, v[3:4]
	v_add_co_u32_e64 v1, s[6:7], s70, v1
	v_ashrrev_i32_e32 v13, 31, v12
	v_addc_co_u32_e64 v2, s[6:7], v39, v2, s[6:7]
	v_add_u32_e32 v14, s19, v28
	v_lshlrev_b64 v[12:13], 1, v[12:13]
	v_add_co_u32_e64 v3, s[6:7], s70, v3
	v_ashrrev_i32_e32 v15, 31, v14
	v_addc_co_u32_e64 v4, s[6:7], v39, v4, s[6:7]
	v_lshlrev_b64 v[14:15], 1, v[14:15]
	v_add_co_u32_e64 v12, s[6:7], s70, v12
	v_addc_co_u32_e64 v13, s[6:7], v39, v13, s[6:7]
	v_add_co_u32_e64 v14, s[6:7], s70, v14
	v_addc_co_u32_e64 v15, s[6:7], v39, v15, s[6:7]
	global_load_sshort v1, v[1:2], off
	s_nop 0
	global_load_sshort v2, v[3:4], off
	s_nop 0
	global_load_sshort v3, v[12:13], off
	global_load_sshort v4, v[14:15], off
	v_add_u32_e32 v6, s33, v6
	s_add_i32 s19, s19, s86
	v_cmp_le_i32_e32 vcc, s9, v6
	s_waitcnt vmcnt(3)
	v_add_u32_e32 v1, 0x8000, v1
	s_waitcnt vmcnt(2)
	v_add_u32_e32 v2, 0x8000, v2
	v_and_b32_e32 v12, v1, v36
	v_bfe_u32 v1, v1, v34, 2
	s_waitcnt vmcnt(1)
	v_add_u32_e32 v3, 0x8000, v3
	v_and_b32_e32 v13, v2, v36
	v_bfe_u32 v2, v2, v34, 2
	v_cmp_eq_u32_e64 s[6:7], v12, v30
	v_cmp_eq_u32_e64 s[26:27], 0, v1
	s_waitcnt vmcnt(0)
	v_add_u32_e32 v4, 0x8000, v4
	v_and_b32_e32 v14, v3, v36
	v_bfe_u32 v3, v3, v34, 2
	v_cmp_eq_u32_e64 s[20:21], v13, v30
	v_cmp_eq_u32_e64 s[28:29], 0, v2
	s_and_b64 s[26:27], s[6:7], s[26:27]
	v_and_b32_e32 v15, v4, v36
	v_bfe_u32 v4, v4, v34, 2
	v_cmp_eq_u32_e64 s[22:23], v14, v30
	v_cmp_eq_u32_e64 s[30:31], 0, v3
	v_cmp_eq_u32_e64 s[36:37], 1, v1
	v_cmp_eq_u32_e64 s[44:45], 2, v1
	v_cmp_eq_u32_e64 s[52:53], 3, v1
	v_cndmask_b32_e64 v1, 0, 1, s[26:27]
	s_and_b64 s[26:27], s[20:21], s[28:29]
	v_cmp_eq_u32_e64 s[24:25], v15, v30
	v_cmp_eq_u32_e64 s[34:35], 0, v4
	;; [unrolled: 1-line block ×5, first 2 shown]
	v_cndmask_b32_e64 v2, 0, 1, s[26:27]
	s_and_b64 s[26:27], s[22:23], s[30:31]
	v_cmp_eq_u32_e64 s[40:41], 1, v3
	v_cmp_eq_u32_e64 s[48:49], 2, v3
	v_cmp_eq_u32_e64 s[56:57], 3, v3
	v_cndmask_b32_e64 v3, 0, 1, s[26:27]
	s_and_b64 s[26:27], s[24:25], s[34:35]
	v_cmp_eq_u32_e64 s[42:43], 1, v4
	v_cmp_eq_u32_e64 s[50:51], 2, v4
	;; [unrolled: 1-line block ×3, first 2 shown]
	v_cndmask_b32_e64 v4, 0, 1, s[26:27]
	s_and_b64 s[26:27], s[6:7], s[36:37]
	v_cndmask_b32_e64 v12, 0, 1, s[26:27]
	s_and_b64 s[26:27], s[20:21], s[38:39]
	;; [unrolled: 2-line block ×5, first 2 shown]
	s_and_b64 s[6:7], s[6:7], s[52:53]
	v_cndmask_b32_e64 v39, 0, 1, s[26:27]
	s_and_b64 s[26:27], s[20:21], s[46:47]
	v_cndmask_b32_e64 v43, 0, 1, s[6:7]
	;; [unrolled: 2-line block ×7, first 2 shown]
	v_cndmask_b32_e64 v46, 0, 1, s[6:7]
	v_cmp_ne_u32_e64 s[6:7], 0, v1
	v_cmp_ne_u32_e64 s[20:21], 0, v2
	;; [unrolled: 1-line block ×11, first 2 shown]
	s_bcnt1_i32_b64 s6, s[6:7]
	s_bcnt1_i32_b64 s7, s[20:21]
	;; [unrolled: 1-line block ×8, first 2 shown]
	v_cmp_ne_u32_e64 s[34:35], 0, v15
	v_cmp_ne_u32_e64 s[40:41], 0, v41
	;; [unrolled: 1-line block ×3, first 2 shown]
	s_bcnt1_i32_b64 s23, s[28:29]
	s_bcnt1_i32_b64 s27, s[38:39]
	;; [unrolled: 1-line block ×3, first 2 shown]
	s_add_i32 s6, s82, s6
	s_add_i32 s1, s1, s22
	;; [unrolled: 1-line block ×4, first 2 shown]
	v_cmp_ne_u32_e64 s[42:43], 0, v42
	v_cmp_ne_u32_e64 s[50:51], 0, v46
	s_bcnt1_i32_b64 s25, s[34:35]
	s_bcnt1_i32_b64 s28, s[40:41]
	;; [unrolled: 1-line block ×3, first 2 shown]
	s_add_i32 s6, s6, s7
	s_add_i32 s1, s1, s23
	;; [unrolled: 1-line block ×4, first 2 shown]
	s_bcnt1_i32_b64 s29, s[42:43]
	s_bcnt1_i32_b64 s35, s[50:51]
	s_add_i32 s6, s6, s20
	s_add_i32 s1, s1, s24
	;; [unrolled: 1-line block ×8, first 2 shown]
	s_or_b64 s[72:73], vcc, s[72:73]
	v_mov_b32_e32 v1, s82
	v_mov_b32_e32 v2, s1
	;; [unrolled: 1-line block ×4, first 2 shown]
	s_andn2_b64 exec, exec, s[72:73]
	s_cbranch_execnz .LBB34_48
; %bb.49:                               ;   in Loop: Header=BB34_7 Depth=1
	s_or_b64 exec, exec, s[72:73]
	s_or_b64 exec, exec, s[66:67]
	v_mov_b32_e32 v14, 0
	s_and_saveexec_b64 s[6:7], s[12:13]
	s_cbranch_execz .LBB34_46
.LBB34_50:                              ;   in Loop: Header=BB34_7 Depth=1
	global_load_ushort v14, v[10:11], off
	s_or_b64 exec, exec, s[6:7]
	s_and_saveexec_b64 s[20:21], s[14:15]
	s_cbranch_execz .LBB34_56
.LBB34_51:                              ;   in Loop: Header=BB34_7 Depth=1
	s_mov_b64 s[22:23], 0
	v_mov_b32_e32 v12, v31
	v_mov_b32_e32 v6, v25
	s_branch .LBB34_53
.LBB34_52:                              ;   in Loop: Header=BB34_53 Depth=2
	s_or_b64 exec, exec, s[6:7]
	s_waitcnt vmcnt(0)
	v_add_u32_sdwa v14, sext(v14), s17 dst_sel:DWORD dst_unused:UNUSED_PAD src0_sel:WORD_0 src1_sel:DWORD
	v_and_b32_e32 v15, v14, v36
	v_bfe_u32 v14, v14, v34, 2
	v_cmp_eq_u32_e32 vcc, v15, v30
	v_cmp_eq_u32_e64 s[6:7], 0, v14
	s_and_b64 s[0:1], vcc, s[6:7]
	v_cndmask_b32_e64 v15, 0, 1, s[0:1]
	v_cmp_ne_u32_e64 s[6:7], 0, v15
	s_bcnt1_i32_b64 s0, s[6:7]
	v_cmp_eq_u32_e64 s[6:7], 1, v14
	v_add_u32_e32 v1, s0, v1
	s_and_b64 s[0:1], vcc, s[6:7]
	v_cndmask_b32_e64 v15, 0, 1, s[0:1]
	v_cmp_ne_u32_e64 s[6:7], 0, v15
	s_bcnt1_i32_b64 s0, s[6:7]
	v_cmp_eq_u32_e64 s[6:7], 2, v14
	v_add_u32_e32 v2, s0, v2
	;; [unrolled: 6-line block ×3, first 2 shown]
	s_and_b64 s[0:1], vcc, s[6:7]
	v_cndmask_b32_e64 v14, 0, 1, s[0:1]
	v_cmp_ne_u32_e32 vcc, 0, v14
	s_bcnt1_i32_b64 s0, vcc
	v_cmp_le_i32_e32 vcc, s68, v6
	v_add_u32_e32 v4, s0, v4
	v_add_u32_e32 v12, s18, v12
	s_or_b64 s[22:23], vcc, s[22:23]
	v_mov_b32_e32 v14, v13
	s_andn2_b64 exec, exec, s[22:23]
	s_cbranch_execz .LBB34_55
.LBB34_53:                              ;   Parent Loop BB34_7 Depth=1
                                        ; =>  This Inner Loop Header: Depth=2
	v_add_u32_e32 v6, s76, v6
	v_cmp_gt_u32_e32 vcc, s68, v6
	v_mov_b32_e32 v13, 0
	s_and_saveexec_b64 s[6:7], vcc
	s_cbranch_execz .LBB34_52
; %bb.54:                               ;   in Loop: Header=BB34_53 Depth=2
	v_ashrrev_i32_e32 v13, 31, v12
	v_lshlrev_b64 v[39:40], 1, v[12:13]
	v_mov_b32_e32 v13, s77
	v_add_co_u32_e32 v39, vcc, s70, v39
	v_addc_co_u32_e32 v40, vcc, v13, v40, vcc
	global_load_ushort v13, v[39:40], off
	s_branch .LBB34_52
.LBB34_55:                              ;   in Loop: Header=BB34_7 Depth=1
	s_or_b64 exec, exec, s[22:23]
.LBB34_56:                              ;   in Loop: Header=BB34_7 Depth=1
	s_or_b64 exec, exec, s[20:21]
	s_branch .LBB34_36
.LBB34_57:                              ;   in Loop: Header=BB34_7 Depth=1
	s_mul_hi_u32 s0, s69, s8
	s_mul_i32 s0, s0, s33
	s_sub_i32 s0, s69, s0
	s_sub_i32 s1, s0, s33
	s_cmp_ge_u32 s0, s33
	s_cselect_b32 s0, s1, s0
	s_sub_i32 s1, s0, s33
	s_cmp_ge_u32 s0, s33
	s_cselect_b32 s0, s1, s0
	s_sub_i32 s0, s69, s0
	v_cmp_gt_u32_e32 vcc, s0, v16
	v_mov_b32_e32 v1, 0
	v_mov_b32_e32 v2, 0
	;; [unrolled: 1-line block ×4, first 2 shown]
	s_and_saveexec_b64 s[66:67], vcc
	s_cbranch_execz .LBB34_61
; %bb.58:                               ;   in Loop: Header=BB34_7 Depth=1
	s_mov_b32 s1, 0
	s_mov_b64 s[72:73], 0
	v_mov_b32_e32 v6, v32
	s_mov_b32 s19, 0
	s_mov_b32 s82, 0
	s_mov_b32 s83, 0
	v_mov_b32_e32 v12, v16
.LBB34_59:                              ;   Parent Loop BB34_7 Depth=1
                                        ; =>  This Inner Loop Header: Depth=2
	ds_read_b64 v[1:2], v6
	v_add_u32_e32 v12, s33, v12
	v_cmp_le_i32_e32 vcc, s0, v12
	v_add_u32_e32 v6, s87, v6
	s_waitcnt lgkmcnt(0)
	v_add_u32_sdwa v3, sext(v1), s17 dst_sel:DWORD dst_unused:UNUSED_PAD src0_sel:WORD_0 src1_sel:DWORD
	v_add_u32_sdwa v1, sext(v1), s17 dst_sel:DWORD dst_unused:UNUSED_PAD src0_sel:WORD_1 src1_sel:DWORD
	v_and_b32_e32 v13, v3, v36
	v_bfe_u32 v3, v3, v34, 2
	v_add_u32_sdwa v4, sext(v2), s17 dst_sel:DWORD dst_unused:UNUSED_PAD src0_sel:WORD_0 src1_sel:DWORD
	s_waitcnt vmcnt(0)
	v_and_b32_e32 v14, v1, v36
	v_bfe_u32 v1, v1, v34, 2
	v_cmp_eq_u32_e64 s[6:7], v13, v30
	v_cmp_eq_u32_e64 s[26:27], 0, v3
	v_add_u32_sdwa v2, sext(v2), s17 dst_sel:DWORD dst_unused:UNUSED_PAD src0_sel:WORD_1 src1_sel:DWORD
	v_and_b32_e32 v15, v4, v36
	v_bfe_u32 v4, v4, v34, 2
	v_cmp_eq_u32_e64 s[20:21], v14, v30
	v_cmp_eq_u32_e64 s[28:29], 0, v1
	s_and_b64 s[26:27], s[6:7], s[26:27]
	v_and_b32_e32 v39, v2, v36
	v_bfe_u32 v2, v2, v34, 2
	v_cmp_eq_u32_e64 s[22:23], v15, v30
	v_cmp_eq_u32_e64 s[30:31], 0, v4
	;; [unrolled: 1-line block ×5, first 2 shown]
	v_cndmask_b32_e64 v1, 0, 1, s[26:27]
	s_and_b64 s[26:27], s[20:21], s[28:29]
	v_cmp_eq_u32_e64 s[24:25], v39, v30
	v_cmp_eq_u32_e64 s[34:35], 0, v2
	;; [unrolled: 1-line block ×5, first 2 shown]
	v_cndmask_b32_e64 v2, 0, 1, s[26:27]
	s_and_b64 s[26:27], s[22:23], s[30:31]
	v_cmp_eq_u32_e64 s[36:37], 1, v3
	v_cmp_eq_u32_e64 s[44:45], 2, v3
	;; [unrolled: 1-line block ×3, first 2 shown]
	v_cndmask_b32_e64 v3, 0, 1, s[26:27]
	s_and_b64 s[26:27], s[24:25], s[34:35]
	v_cmp_eq_u32_e64 s[40:41], 1, v4
	v_cmp_eq_u32_e64 s[48:49], 2, v4
	v_cmp_eq_u32_e64 s[56:57], 3, v4
	v_cndmask_b32_e64 v4, 0, 1, s[26:27]
	s_and_b64 s[26:27], s[6:7], s[36:37]
	v_cndmask_b32_e64 v13, 0, 1, s[26:27]
	s_and_b64 s[26:27], s[20:21], s[38:39]
	;; [unrolled: 2-line block ×5, first 2 shown]
	s_and_b64 s[6:7], s[6:7], s[52:53]
	v_cndmask_b32_e64 v40, 0, 1, s[26:27]
	s_and_b64 s[26:27], s[20:21], s[46:47]
	v_cndmask_b32_e64 v44, 0, 1, s[6:7]
	s_and_b64 s[6:7], s[20:21], s[54:55]
	v_cndmask_b32_e64 v41, 0, 1, s[26:27]
	s_and_b64 s[26:27], s[22:23], s[48:49]
	v_cndmask_b32_e64 v45, 0, 1, s[6:7]
	s_and_b64 s[6:7], s[22:23], s[56:57]
	v_cndmask_b32_e64 v42, 0, 1, s[26:27]
	s_and_b64 s[26:27], s[24:25], s[50:51]
	v_cndmask_b32_e64 v46, 0, 1, s[6:7]
	s_and_b64 s[6:7], s[24:25], s[58:59]
	v_cndmask_b32_e64 v43, 0, 1, s[26:27]
	v_cndmask_b32_e64 v47, 0, 1, s[6:7]
	v_cmp_ne_u32_e64 s[6:7], 0, v1
	v_cmp_ne_u32_e64 s[20:21], 0, v2
	;; [unrolled: 1-line block ×11, first 2 shown]
	s_bcnt1_i32_b64 s6, s[6:7]
	s_bcnt1_i32_b64 s7, s[20:21]
	;; [unrolled: 1-line block ×8, first 2 shown]
	v_cmp_ne_u32_e64 s[34:35], 0, v39
	v_cmp_ne_u32_e64 s[40:41], 0, v42
	;; [unrolled: 1-line block ×3, first 2 shown]
	s_bcnt1_i32_b64 s23, s[28:29]
	s_bcnt1_i32_b64 s27, s[38:39]
	;; [unrolled: 1-line block ×3, first 2 shown]
	s_add_i32 s6, s83, s6
	s_add_i32 s22, s82, s22
	;; [unrolled: 1-line block ×4, first 2 shown]
	v_cmp_ne_u32_e64 s[42:43], 0, v43
	v_cmp_ne_u32_e64 s[50:51], 0, v47
	s_bcnt1_i32_b64 s25, s[34:35]
	s_bcnt1_i32_b64 s28, s[40:41]
	;; [unrolled: 1-line block ×3, first 2 shown]
	s_add_i32 s6, s6, s7
	s_add_i32 s7, s22, s23
	;; [unrolled: 1-line block ×4, first 2 shown]
	s_bcnt1_i32_b64 s29, s[42:43]
	s_bcnt1_i32_b64 s35, s[50:51]
	s_add_i32 s6, s6, s20
	s_add_i32 s7, s7, s24
	;; [unrolled: 1-line block ×8, first 2 shown]
	s_or_b64 s[72:73], vcc, s[72:73]
	v_mov_b32_e32 v1, s83
	v_mov_b32_e32 v2, s82
	;; [unrolled: 1-line block ×4, first 2 shown]
	s_andn2_b64 exec, exec, s[72:73]
	s_cbranch_execnz .LBB34_59
; %bb.60:                               ;   in Loop: Header=BB34_7 Depth=1
	s_or_b64 exec, exec, s[72:73]
.LBB34_61:                              ;   in Loop: Header=BB34_7 Depth=1
	s_or_b64 exec, exec, s[66:67]
	v_add_u32_e32 v6, s0, v0
	v_cmp_gt_i32_e32 vcc, s69, v6
	s_and_saveexec_b64 s[28:29], vcc
	s_cbranch_execz .LBB34_65
; %bb.62:                               ;   in Loop: Header=BB34_7 Depth=1
	v_lshlrev_b32_e32 v12, 1, v6
	s_mov_b64 s[30:31], 0
.LBB34_63:                              ;   Parent Loop BB34_7 Depth=1
                                        ; =>  This Inner Loop Header: Depth=2
	ds_read_i16 v13, v12
	v_add_u32_e32 v6, s76, v6
	v_cmp_le_i32_e32 vcc, s69, v6
	v_add_u32_e32 v12, s16, v12
	s_waitcnt lgkmcnt(0)
	v_add_u32_e32 v13, 0x8000, v13
	s_waitcnt vmcnt(0)
	v_and_b32_e32 v14, v13, v36
	v_bfe_u32 v13, v13, v34, 2
	v_cmp_eq_u32_e64 s[6:7], v14, v30
	v_cmp_eq_u32_e64 s[20:21], 0, v13
	v_cmp_eq_u32_e64 s[22:23], 1, v13
	s_and_b64 s[0:1], s[6:7], s[20:21]
	v_cmp_eq_u32_e64 s[24:25], 2, v13
	v_cmp_eq_u32_e64 s[26:27], 3, v13
	v_cndmask_b32_e64 v13, 0, 1, s[0:1]
	s_and_b64 s[0:1], s[6:7], s[22:23]
	v_cndmask_b32_e64 v14, 0, 1, s[0:1]
	s_and_b64 s[0:1], s[6:7], s[24:25]
	;; [unrolled: 2-line block ×3, first 2 shown]
	v_cndmask_b32_e64 v39, 0, 1, s[0:1]
	v_cmp_ne_u32_e64 s[6:7], 0, v13
	v_cmp_ne_u32_e64 s[20:21], 0, v14
	;; [unrolled: 1-line block ×4, first 2 shown]
	s_bcnt1_i32_b64 s0, s[6:7]
	s_bcnt1_i32_b64 s1, s[20:21]
	;; [unrolled: 1-line block ×4, first 2 shown]
	v_add_u32_e32 v1, s0, v1
	v_add_u32_e32 v2, s1, v2
	;; [unrolled: 1-line block ×3, first 2 shown]
	s_or_b64 s[30:31], vcc, s[30:31]
	v_add_u32_e32 v4, s7, v4
	s_andn2_b64 exec, exec, s[30:31]
	s_cbranch_execnz .LBB34_63
; %bb.64:                               ;   in Loop: Header=BB34_7 Depth=1
	s_or_b64 exec, exec, s[30:31]
.LBB34_65:                              ;   in Loop: Header=BB34_7 Depth=1
	s_or_b64 exec, exec, s[28:29]
	s_lshl_b32 s0, s88, 6
	s_and_saveexec_b64 s[6:7], s[2:3]
	s_cbranch_execnz .LBB34_37
	s_branch .LBB34_38
.LBB34_66:                              ;   in Loop: Header=BB34_7 Depth=1
	s_or_b64 exec, exec, s[22:23]
	s_waitcnt lgkmcnt(0)
	s_barrier
	s_mov_b64 s[6:7], exec
	v_readlane_b32 s0, v48, 18
	v_readlane_b32 s1, v48, 19
	s_and_b64 s[0:1], s[6:7], s[0:1]
	s_mov_b64 exec, s[0:1]
	s_cbranch_execz .LBB34_68
; %bb.67:                               ;   in Loop: Header=BB34_7 Depth=1
	ds_read_b32 v1, v7 offset:4104
	s_waitcnt lgkmcnt(0)
	ds_write_b32 v7, v1 offset:4096
.LBB34_68:                              ;   in Loop: Header=BB34_7 Depth=1
	s_or_b64 exec, exec, s[6:7]
	s_waitcnt lgkmcnt(0)
	s_barrier
	s_mov_b64 s[6:7], -1
	s_and_b64 vcc, exec, s[20:21]
	s_cbranch_vccnz .LBB34_22
	s_branch .LBB34_32
.LBB34_69:                              ;   in Loop: Header=BB34_7 Depth=1
	v_mov_b32_e32 v1, 0
	s_mov_b32 s1, 0
.LBB34_70:                              ;   in Loop: Header=BB34_7 Depth=1
	v_readlane_b32 s20, v48, 43
	v_readlane_b32 s21, v48, 44
	s_andn2_b64 vcc, exec, s[20:21]
	s_cbranch_vccnz .LBB34_73
; %bb.71:                               ;   in Loop: Header=BB34_7 Depth=1
	s_lshl_b32 s19, s88, 8
	s_lshl_b32 s1, s1, 4
	s_add_i32 s19, s19, s1
	v_add_u32_e32 v2, s19, v33
	v_readlane_b32 s1, v48, 42
.LBB34_72:                              ;   Parent Loop BB34_7 Depth=1
                                        ; =>  This Inner Loop Header: Depth=2
	ds_read_b32 v3, v2
	s_add_i32 s1, s1, -1
	v_add_u32_e32 v2, 16, v2
	s_cmp_lg_u32 s1, 0
	s_waitcnt lgkmcnt(0)
	v_add_u32_e32 v1, v3, v1
	s_cbranch_scc1 .LBB34_72
.LBB34_73:                              ;   in Loop: Header=BB34_7 Depth=1
	v_add_lshl_u32 v2, s0, v17, 2
	ds_write_b32 v2, v1 offset:3072
.LBB34_74:                              ;   in Loop: Header=BB34_7 Depth=1
	s_or_b64 exec, exec, s[6:7]
	s_lshl_b32 s0, s0, 2
	v_mov_b32_e32 v1, s0
	s_waitcnt lgkmcnt(0)
	s_barrier
	ds_read_b128 v[1:4], v1 offset:3072
	v_cmp_eq_u32_e32 vcc, 1, v38
	s_mov_b64 s[20:21], -1
	s_mov_b64 s[28:29], -1
                                        ; implicit-def: $sgpr26_sgpr27
                                        ; implicit-def: $sgpr24_sgpr25
	s_waitcnt lgkmcnt(0)
	v_readfirstlane_b32 s42, v1
	s_cmp_eq_u32 s42, 1
	v_readfirstlane_b32 s54, v3
	v_lshlrev_b32_e64 v3, v34, 3
	s_cselect_b64 s[0:1], -1, 0
	v_readfirstlane_b32 s46, v2
	v_readfirstlane_b32 s69, v4
	v_not_b32_e32 v6, v3
	s_and_b64 s[22:23], s[0:1], vcc
	s_and_saveexec_b64 s[6:7], s[22:23]
	s_cbranch_execz .LBB34_100
; %bb.75:                               ;   in Loop: Header=BB34_7 Depth=1
	ds_read_b32 v1, v7 offset:4096
	s_waitcnt lgkmcnt(0)
	s_barrier
	v_readfirstlane_b32 s0, v1
	s_and_saveexec_b64 s[24:25], s[4:5]
; %bb.76:                               ;   in Loop: Header=BB34_7 Depth=1
	ds_write_b16 v19, v7
; %bb.77:                               ;   in Loop: Header=BB34_7 Depth=1
	s_or_b64 exec, exec, s[24:25]
	v_and_b32_e32 v30, v30, v6
	v_or_b32_e32 v36, v36, v3
	s_mov_b64 s[24:25], -1
	s_mov_b64 s[26:27], 0
	s_cmp_lt_i32 s0, 1
	s_mov_b64 s[28:29], 0
	s_mov_b64 s[30:31], -1
	s_waitcnt lgkmcnt(0)
	s_barrier
                                        ; implicit-def: $vgpr37
	s_cbranch_scc0 .LBB34_88
; %bb.78:                               ;   in Loop: Header=BB34_7 Depth=1
	s_mov_b64 s[30:31], 0
                                        ; implicit-def: $vgpr37
	s_mov_b64 s[34:35], exec
	v_readlane_b32 s36, v48, 46
	v_readlane_b32 s37, v48, 47
	s_and_b64 s[36:37], s[34:35], s[36:37]
	s_mov_b64 exec, s[36:37]
	s_cbranch_execz .LBB34_87
; %bb.79:                               ;   in Loop: Header=BB34_7 Depth=1
	v_mov_b32_e32 v1, v5
	v_mov_b32_e32 v4, v0
                                        ; implicit-def: $sgpr36_sgpr37
	s_branch .LBB34_82
.LBB34_80:                              ;   in Loop: Header=BB34_82 Depth=2
	s_or_b64 exec, exec, s[38:39]
	s_waitcnt lgkmcnt(0)
	s_barrier
	ds_read_b32 v2, v7 offset:3072
	s_mov_b64 s[38:39], -1
	s_waitcnt lgkmcnt(0)
	s_barrier
	v_cmp_ne_u32_sdwa s[40:41], v2, v7 src0_sel:WORD_0 src1_sel:DWORD
	s_and_b64 vcc, exec, s[40:41]
	s_mov_b64 s[40:41], -1
	s_cbranch_vccz .LBB34_85
.LBB34_81:                              ;   in Loop: Header=BB34_82 Depth=2
	s_and_b64 s[38:39], exec, s[38:39]
	s_or_b64 s[28:29], s[38:39], s[28:29]
	s_andn2_b64 s[36:37], s[36:37], exec
	s_and_b64 s[38:39], s[40:41], exec
	s_or_b64 s[36:37], s[36:37], s[38:39]
	s_andn2_b64 exec, exec, s[28:29]
	s_cbranch_execz .LBB34_86
.LBB34_82:                              ;   Parent Loop BB34_7 Depth=1
                                        ; =>  This Inner Loop Header: Depth=2
	v_cmp_gt_i32_e32 vcc, s68, v4
	s_and_saveexec_b64 s[38:39], vcc
	s_cbranch_execz .LBB34_80
; %bb.83:                               ;   in Loop: Header=BB34_82 Depth=2
	v_ashrrev_i32_e32 v2, 31, v1
	v_lshlrev_b64 v[12:13], 1, v[1:2]
	v_mov_b32_e32 v2, s77
	v_add_co_u32_e32 v12, vcc, s70, v12
	v_addc_co_u32_e32 v13, vcc, v2, v13, vcc
	global_load_ushort v2, v[12:13], off
	s_waitcnt vmcnt(0)
	v_add_u32_sdwa v12, sext(v2), s17 dst_sel:DWORD dst_unused:UNUSED_PAD src0_sel:WORD_0 src1_sel:DWORD
	v_and_b32_e32 v12, v12, v36
	v_cmp_eq_u32_e32 vcc, v12, v30
	s_and_b64 exec, exec, vcc
	s_cbranch_execz .LBB34_80
; %bb.84:                               ;   in Loop: Header=BB34_82 Depth=2
	v_perm_b32 v2, v2, 1, v35
	ds_write_b32 v7, v2 offset:3072
	s_branch .LBB34_80
.LBB34_85:                              ;   in Loop: Header=BB34_82 Depth=2
	v_add_u32_e32 v4, s76, v4
	v_cmp_le_i32_e32 vcc, s91, v4
	v_add_u32_e32 v1, s18, v1
	s_mov_b64 s[40:41], 0
	s_orn2_b64 s[38:39], vcc, exec
	s_branch .LBB34_81
.LBB34_86:                              ;   in Loop: Header=BB34_7 Depth=1
	s_or_b64 exec, exec, s[28:29]
	v_lshrrev_b32_e32 v37, 16, v2
	s_and_b64 s[28:29], s[36:37], exec
.LBB34_87:                              ;   in Loop: Header=BB34_7 Depth=1
	s_or_b64 exec, exec, s[34:35]
.LBB34_88:                              ;   in Loop: Header=BB34_7 Depth=1
	s_and_b64 vcc, exec, s[30:31]
	s_cbranch_vccz .LBB34_99
; %bb.89:                               ;   in Loop: Header=BB34_7 Depth=1
	v_readlane_b32 s1, v48, 31
	s_add_i32 s1, s0, s1
	s_abs_i32 s24, s1
	v_readlane_b32 s25, v48, 45
	s_mul_hi_u32 s25, s24, s25
	s_mul_i32 s25, s25, s76
	s_sub_i32 s24, s24, s25
	s_ashr_i32 s19, s1, 31
	s_sub_i32 s25, s24, s76
	s_cmp_ge_u32 s24, s76
	s_cselect_b32 s24, s25, s24
	s_sub_i32 s25, s24, s76
	s_cmp_ge_u32 s24, s76
	s_cselect_b32 s24, s25, s24
	s_xor_b32 s24, s24, s19
	s_sub_i32 s19, s19, s24
	s_add_i32 s1, s1, s19
	v_cmp_gt_i32_e32 vcc, s1, v0
                                        ; implicit-def: $vgpr37
	s_and_saveexec_b64 s[24:25], vcc
	s_cbranch_execz .LBB34_98
; %bb.90:                               ;   in Loop: Header=BB34_7 Depth=1
	s_mov_b64 s[26:27], 0
	v_mov_b32_e32 v1, v18
	v_mov_b32_e32 v2, v0
                                        ; implicit-def: $sgpr30_sgpr31
	s_branch .LBB34_93
.LBB34_91:                              ;   in Loop: Header=BB34_93 Depth=2
	s_or_b64 exec, exec, s[34:35]
	s_waitcnt lgkmcnt(0)
	s_barrier
	ds_read_b32 v4, v7 offset:3072
	s_mov_b64 s[34:35], -1
	s_waitcnt lgkmcnt(0)
	s_barrier
	v_cmp_ne_u32_sdwa s[36:37], v4, v7 src0_sel:WORD_0 src1_sel:DWORD
	s_and_b64 vcc, exec, s[36:37]
	s_mov_b64 s[36:37], -1
	s_cbranch_vccz .LBB34_96
.LBB34_92:                              ;   in Loop: Header=BB34_93 Depth=2
	s_and_b64 s[34:35], exec, s[34:35]
	s_or_b64 s[26:27], s[34:35], s[26:27]
	s_andn2_b64 s[30:31], s[30:31], exec
	s_and_b64 s[34:35], s[36:37], exec
	s_or_b64 s[30:31], s[30:31], s[34:35]
	s_andn2_b64 exec, exec, s[26:27]
	s_cbranch_execz .LBB34_97
.LBB34_93:                              ;   Parent Loop BB34_7 Depth=1
                                        ; =>  This Inner Loop Header: Depth=2
	v_cmp_gt_i32_e32 vcc, s0, v2
	s_and_saveexec_b64 s[34:35], vcc
	s_cbranch_execz .LBB34_91
; %bb.94:                               ;   in Loop: Header=BB34_93 Depth=2
	ds_read_u16 v4, v1
	s_waitcnt lgkmcnt(0)
	v_add_u32_sdwa v12, sext(v4), s17 dst_sel:DWORD dst_unused:UNUSED_PAD src0_sel:WORD_0 src1_sel:DWORD
	v_and_b32_e32 v12, v12, v36
	v_cmp_eq_u32_e32 vcc, v12, v30
	s_and_b64 exec, exec, vcc
	s_cbranch_execz .LBB34_91
; %bb.95:                               ;   in Loop: Header=BB34_93 Depth=2
	v_perm_b32 v4, v4, 1, v35
	ds_write_b32 v7, v4 offset:3072
	s_branch .LBB34_91
.LBB34_96:                              ;   in Loop: Header=BB34_93 Depth=2
	v_add_u32_e32 v2, s76, v2
	v_cmp_le_i32_e32 vcc, s1, v2
	v_add_u32_e32 v1, s16, v1
	s_mov_b64 s[36:37], 0
	s_orn2_b64 s[34:35], vcc, exec
	s_branch .LBB34_92
.LBB34_97:                              ;   in Loop: Header=BB34_7 Depth=1
	s_or_b64 exec, exec, s[26:27]
	s_andn2_b64 s[0:1], s[28:29], exec
	s_and_b64 s[26:27], s[30:31], exec
	v_lshrrev_b32_e32 v37, 16, v4
	s_or_b64 s[28:29], s[0:1], s[26:27]
.LBB34_98:                              ;   in Loop: Header=BB34_7 Depth=1
	s_or_b64 exec, exec, s[24:25]
	s_mov_b64 s[24:25], 0
	s_mov_b64 s[26:27], -1
.LBB34_99:                              ;   in Loop: Header=BB34_7 Depth=1
	s_orn2_b64 s[28:29], s[28:29], exec
.LBB34_100:                             ;   in Loop: Header=BB34_7 Depth=1
	s_or_b64 exec, exec, s[6:7]
	s_andn2_b64 s[6:7], s[64:65], exec
	s_and_b64 s[26:27], s[26:27], exec
	s_or_b64 s[64:65], s[6:7], s[26:27]
	s_andn2_b64 s[6:7], s[62:63], exec
	s_and_b64 s[24:25], s[24:25], exec
	v_readfirstlane_b32 s0, v0
	s_andn2_b64 s[60:61], s[60:61], exec
	s_or_b64 s[62:63], s[6:7], s[24:25]
                                        ; implicit-def: $vgpr12
	s_and_saveexec_b64 s[6:7], s[28:29]
	s_cbranch_execz .LBB34_6
; %bb.101:                              ;   in Loop: Header=BB34_7 Depth=1
	s_xor_b64 s[0:1], s[22:23], -1
	s_mov_b64 s[22:23], 0
	v_mov_b32_e32 v12, 1
	v_mov_b32_e32 v4, 1
	s_and_saveexec_b64 s[20:21], s[0:1]
	s_cbranch_execz .LBB34_110
; %bb.102:                              ;   in Loop: Header=BB34_7 Depth=1
	v_cmp_ge_i32_e32 vcc, s42, v38
	s_and_saveexec_b64 s[0:1], vcc
	s_xor_b64 s[22:23], exec, s[0:1]
	s_cbranch_execz .LBB34_107
; %bb.103:                              ;   in Loop: Header=BB34_7 Depth=1
	ds_read_b32 v1, v7 offset:4096
	v_and_b32_e32 v30, v30, v6
	v_or_b32_e32 v36, v36, v3
	s_waitcnt lgkmcnt(0)
	v_cmp_ne_u32_e32 vcc, 0, v1
	s_cbranch_vccnz .LBB34_107
; %bb.104:                              ;   in Loop: Header=BB34_7 Depth=1
	s_mov_b64 s[24:25], exec
	v_readlane_b32 s0, v48, 18
	v_readlane_b32 s1, v48, 19
	s_and_b64 s[0:1], s[24:25], s[0:1]
	s_mov_b64 exec, s[0:1]
; %bb.105:                              ;   in Loop: Header=BB34_7 Depth=1
	v_mov_b32_e32 v1, s42
	ds_write_b32 v7, v1 offset:4100
; %bb.106:                              ;   in Loop: Header=BB34_7 Depth=1
	s_or_b64 exec, exec, s[24:25]
	s_waitcnt lgkmcnt(0)
	s_barrier
.LBB34_107:                             ;   in Loop: Header=BB34_7 Depth=1
	s_or_saveexec_b64 s[22:23], s[22:23]
	s_mov_b64 s[24:25], 0
	v_mov_b32_e32 v4, 8
	s_xor_b64 exec, exec, s[22:23]
; %bb.108:                              ;   in Loop: Header=BB34_7 Depth=1
	s_mov_b64 s[24:25], exec
	v_subrev_u32_e32 v38, s42, v38
	v_mov_b32_e32 v4, 0
; %bb.109:                              ;   in Loop: Header=BB34_7 Depth=1
	s_or_b64 exec, exec, s[22:23]
	s_and_b64 s[22:23], s[24:25], exec
	v_mov_b32_e32 v12, v38
.LBB34_110:                             ;   in Loop: Header=BB34_7 Depth=1
	s_or_b64 exec, exec, s[20:21]
	s_mov_b64 s[20:21], -1
	s_mov_b64 s[28:29], -1
                                        ; implicit-def: $sgpr24_sgpr25
                                        ; implicit-def: $sgpr26_sgpr27
	s_and_saveexec_b64 s[0:1], s[22:23]
	s_xor_b64 s[22:23], exec, s[0:1]
	s_cbranch_execz .LBB34_227
; %bb.111:                              ;   in Loop: Header=BB34_7 Depth=1
	s_cmp_eq_u32 s46, 1
	s_cselect_b64 s[0:1], -1, 0
	v_cmp_eq_u32_e32 vcc, 1, v12
	s_and_b64 s[30:31], s[0:1], vcc
	s_mov_b64 s[34:35], -1
                                        ; implicit-def: $sgpr26_sgpr27
                                        ; implicit-def: $sgpr24_sgpr25
	s_and_saveexec_b64 s[28:29], s[30:31]
	s_cbranch_execz .LBB34_137
; %bb.112:                              ;   in Loop: Header=BB34_7 Depth=1
	ds_read_b32 v1, v7 offset:4096
	s_waitcnt lgkmcnt(0)
	s_barrier
	v_readfirstlane_b32 s0, v1
	s_and_saveexec_b64 s[24:25], s[4:5]
; %bb.113:                              ;   in Loop: Header=BB34_7 Depth=1
	ds_write_b16 v19, v7
; %bb.114:                              ;   in Loop: Header=BB34_7 Depth=1
	s_or_b64 exec, exec, s[24:25]
	v_and_b32_e32 v1, v30, v6
	v_lshl_or_b32 v30, 1, v34, v1
	v_or_b32_e32 v36, v36, v3
	s_mov_b64 s[24:25], -1
	s_mov_b64 s[26:27], 0
	s_cmp_gt_i32 s0, 0
	s_mov_b64 s[34:35], 0
	s_mov_b64 s[36:37], -1
	s_waitcnt lgkmcnt(0)
	s_barrier
                                        ; implicit-def: $vgpr37
	s_cbranch_scc1 .LBB34_125
; %bb.115:                              ;   in Loop: Header=BB34_7 Depth=1
	s_mov_b64 s[36:37], 0
                                        ; implicit-def: $vgpr37
	s_mov_b64 s[38:39], exec
	v_readlane_b32 s40, v48, 46
	v_readlane_b32 s41, v48, 47
	s_and_b64 s[40:41], s[38:39], s[40:41]
	s_mov_b64 exec, s[40:41]
	s_cbranch_execz .LBB34_124
; %bb.116:                              ;   in Loop: Header=BB34_7 Depth=1
	v_mov_b32_e32 v1, v5
	v_mov_b32_e32 v13, v0
                                        ; implicit-def: $sgpr40_sgpr41
	s_branch .LBB34_119
.LBB34_117:                             ;   in Loop: Header=BB34_119 Depth=2
	s_or_b64 exec, exec, s[42:43]
	s_waitcnt lgkmcnt(0)
	s_barrier
	ds_read_b32 v2, v7 offset:3072
	s_mov_b64 s[42:43], -1
	s_waitcnt lgkmcnt(0)
	s_barrier
	v_cmp_ne_u32_sdwa s[44:45], v2, v7 src0_sel:WORD_0 src1_sel:DWORD
	s_and_b64 vcc, exec, s[44:45]
	s_mov_b64 s[44:45], -1
	s_cbranch_vccz .LBB34_122
.LBB34_118:                             ;   in Loop: Header=BB34_119 Depth=2
	s_and_b64 s[42:43], exec, s[42:43]
	s_or_b64 s[34:35], s[42:43], s[34:35]
	s_andn2_b64 s[40:41], s[40:41], exec
	s_and_b64 s[42:43], s[44:45], exec
	s_or_b64 s[40:41], s[40:41], s[42:43]
	s_andn2_b64 exec, exec, s[34:35]
	s_cbranch_execz .LBB34_123
.LBB34_119:                             ;   Parent Loop BB34_7 Depth=1
                                        ; =>  This Inner Loop Header: Depth=2
	v_cmp_gt_i32_e32 vcc, s68, v13
	s_and_saveexec_b64 s[42:43], vcc
	s_cbranch_execz .LBB34_117
; %bb.120:                              ;   in Loop: Header=BB34_119 Depth=2
	v_ashrrev_i32_e32 v2, 31, v1
	v_lshlrev_b64 v[14:15], 1, v[1:2]
	v_mov_b32_e32 v2, s77
	v_add_co_u32_e32 v14, vcc, s70, v14
	v_addc_co_u32_e32 v15, vcc, v2, v15, vcc
	global_load_ushort v2, v[14:15], off
	s_waitcnt vmcnt(0)
	v_add_u32_sdwa v14, sext(v2), s17 dst_sel:DWORD dst_unused:UNUSED_PAD src0_sel:WORD_0 src1_sel:DWORD
	v_and_b32_e32 v14, v14, v36
	v_cmp_eq_u32_e32 vcc, v14, v30
	s_and_b64 exec, exec, vcc
	s_cbranch_execz .LBB34_117
; %bb.121:                              ;   in Loop: Header=BB34_119 Depth=2
	v_perm_b32 v2, v2, 1, v35
	ds_write_b32 v7, v2 offset:3072
	s_branch .LBB34_117
.LBB34_122:                             ;   in Loop: Header=BB34_119 Depth=2
	v_add_u32_e32 v13, s76, v13
	v_cmp_le_i32_e32 vcc, s91, v13
	v_add_u32_e32 v1, s18, v1
	s_mov_b64 s[44:45], 0
	s_orn2_b64 s[42:43], vcc, exec
	s_branch .LBB34_118
.LBB34_123:                             ;   in Loop: Header=BB34_7 Depth=1
	s_or_b64 exec, exec, s[34:35]
	v_lshrrev_b32_e32 v37, 16, v2
	s_and_b64 s[34:35], s[40:41], exec
.LBB34_124:                             ;   in Loop: Header=BB34_7 Depth=1
	s_or_b64 exec, exec, s[38:39]
.LBB34_125:                             ;   in Loop: Header=BB34_7 Depth=1
	s_and_b64 vcc, exec, s[36:37]
	s_cbranch_vccz .LBB34_136
; %bb.126:                              ;   in Loop: Header=BB34_7 Depth=1
	v_readlane_b32 s1, v48, 31
	s_add_i32 s1, s0, s1
	s_abs_i32 s24, s1
	v_readlane_b32 s25, v48, 45
	s_mul_hi_u32 s25, s24, s25
	s_mul_i32 s25, s25, s76
	s_sub_i32 s24, s24, s25
	s_ashr_i32 s19, s1, 31
	s_sub_i32 s25, s24, s76
	s_cmp_ge_u32 s24, s76
	s_cselect_b32 s24, s25, s24
	s_sub_i32 s25, s24, s76
	s_cmp_ge_u32 s24, s76
	s_cselect_b32 s24, s25, s24
	s_xor_b32 s24, s24, s19
	s_sub_i32 s19, s19, s24
	s_add_i32 s1, s1, s19
	v_cmp_gt_i32_e32 vcc, s1, v0
                                        ; implicit-def: $vgpr37
	s_and_saveexec_b64 s[24:25], vcc
	s_cbranch_execz .LBB34_135
; %bb.127:                              ;   in Loop: Header=BB34_7 Depth=1
	s_mov_b64 s[26:27], 0
	v_mov_b32_e32 v1, v18
	v_mov_b32_e32 v2, v0
                                        ; implicit-def: $sgpr36_sgpr37
	s_branch .LBB34_130
.LBB34_128:                             ;   in Loop: Header=BB34_130 Depth=2
	s_or_b64 exec, exec, s[38:39]
	s_waitcnt lgkmcnt(0)
	s_barrier
	ds_read_b32 v13, v7 offset:3072
	s_mov_b64 s[38:39], -1
	s_waitcnt lgkmcnt(0)
	s_barrier
	v_cmp_eq_u32_sdwa s[40:41], v13, v7 src0_sel:WORD_0 src1_sel:DWORD
	s_and_b64 vcc, exec, s[40:41]
	s_mov_b64 s[40:41], -1
	s_cbranch_vccnz .LBB34_133
.LBB34_129:                             ;   in Loop: Header=BB34_130 Depth=2
	s_and_b64 s[38:39], exec, s[38:39]
	s_or_b64 s[26:27], s[38:39], s[26:27]
	s_andn2_b64 s[36:37], s[36:37], exec
	s_and_b64 s[38:39], s[40:41], exec
	s_or_b64 s[36:37], s[36:37], s[38:39]
	s_andn2_b64 exec, exec, s[26:27]
	s_cbranch_execz .LBB34_134
.LBB34_130:                             ;   Parent Loop BB34_7 Depth=1
                                        ; =>  This Inner Loop Header: Depth=2
	v_cmp_gt_i32_e32 vcc, s0, v2
	s_and_saveexec_b64 s[38:39], vcc
	s_cbranch_execz .LBB34_128
; %bb.131:                              ;   in Loop: Header=BB34_130 Depth=2
	ds_read_u16 v13, v1
	s_waitcnt lgkmcnt(0)
	v_add_u32_sdwa v14, sext(v13), s17 dst_sel:DWORD dst_unused:UNUSED_PAD src0_sel:WORD_0 src1_sel:DWORD
	v_and_b32_e32 v14, v14, v36
	v_cmp_eq_u32_e32 vcc, v14, v30
	s_and_b64 exec, exec, vcc
	s_cbranch_execz .LBB34_128
; %bb.132:                              ;   in Loop: Header=BB34_130 Depth=2
	v_perm_b32 v13, v13, 1, v35
	ds_write_b32 v7, v13 offset:3072
	s_branch .LBB34_128
.LBB34_133:                             ;   in Loop: Header=BB34_130 Depth=2
	v_add_u32_e32 v2, s76, v2
	v_cmp_le_i32_e32 vcc, s1, v2
	v_add_u32_e32 v1, s16, v1
	s_mov_b64 s[40:41], 0
	s_orn2_b64 s[38:39], vcc, exec
	s_branch .LBB34_129
.LBB34_134:                             ;   in Loop: Header=BB34_7 Depth=1
	s_or_b64 exec, exec, s[26:27]
	s_andn2_b64 s[0:1], s[34:35], exec
	s_and_b64 s[26:27], s[36:37], exec
	v_lshrrev_b32_e32 v37, 16, v13
	s_or_b64 s[34:35], s[0:1], s[26:27]
.LBB34_135:                             ;   in Loop: Header=BB34_7 Depth=1
	s_or_b64 exec, exec, s[24:25]
	s_mov_b64 s[24:25], 0
	s_mov_b64 s[26:27], -1
.LBB34_136:                             ;   in Loop: Header=BB34_7 Depth=1
	s_orn2_b64 s[34:35], s[34:35], exec
.LBB34_137:                             ;   in Loop: Header=BB34_7 Depth=1
	s_or_b64 exec, exec, s[28:29]
	s_mov_b64 s[36:37], 0
	s_and_saveexec_b64 s[28:29], s[34:35]
	s_cbranch_execz .LBB34_226
; %bb.138:                              ;   in Loop: Header=BB34_7 Depth=1
	s_xor_b64 s[0:1], s[30:31], -1
	s_mov_b64 s[40:41], 0
	v_mov_b32_e32 v13, 1
	v_mov_b32_e32 v4, 1
	s_and_saveexec_b64 s[30:31], s[0:1]
	s_cbranch_execz .LBB34_147
; %bb.139:                              ;   in Loop: Header=BB34_7 Depth=1
	v_cmp_ge_i32_e32 vcc, s46, v12
	s_and_saveexec_b64 s[0:1], vcc
	s_xor_b64 s[34:35], exec, s[0:1]
	s_cbranch_execz .LBB34_144
; %bb.140:                              ;   in Loop: Header=BB34_7 Depth=1
	ds_read_b32 v1, v7 offset:4096
	v_and_b32_e32 v2, v30, v6
	v_lshl_or_b32 v30, 1, v34, v2
	v_or_b32_e32 v36, v36, v3
	s_waitcnt lgkmcnt(0)
	v_cmp_ne_u32_e32 vcc, 0, v1
	s_cbranch_vccnz .LBB34_144
; %bb.141:                              ;   in Loop: Header=BB34_7 Depth=1
	s_mov_b64 s[36:37], exec
	v_readlane_b32 s0, v48, 18
	v_readlane_b32 s1, v48, 19
	s_and_b64 s[0:1], s[36:37], s[0:1]
	s_mov_b64 exec, s[0:1]
; %bb.142:                              ;   in Loop: Header=BB34_7 Depth=1
	v_mov_b32_e32 v1, s46
	ds_write_b32 v7, v1 offset:4100
; %bb.143:                              ;   in Loop: Header=BB34_7 Depth=1
	s_or_b64 exec, exec, s[36:37]
	s_waitcnt lgkmcnt(0)
	s_barrier
.LBB34_144:                             ;   in Loop: Header=BB34_7 Depth=1
	s_or_saveexec_b64 s[34:35], s[34:35]
	s_mov_b64 s[36:37], 0
	v_mov_b32_e32 v4, 8
	s_xor_b64 exec, exec, s[34:35]
; %bb.145:                              ;   in Loop: Header=BB34_7 Depth=1
	s_mov_b64 s[36:37], exec
	v_subrev_u32_e32 v12, s46, v12
	v_mov_b32_e32 v4, 0
; %bb.146:                              ;   in Loop: Header=BB34_7 Depth=1
	s_or_b64 exec, exec, s[34:35]
	s_and_b64 s[40:41], s[36:37], exec
	v_mov_b32_e32 v13, v12
.LBB34_147:                             ;   in Loop: Header=BB34_7 Depth=1
	s_or_b64 exec, exec, s[30:31]
	s_mov_b64 s[38:39], -1
                                        ; implicit-def: $sgpr34_sgpr35
                                        ; implicit-def: $sgpr36_sgpr37
	s_and_saveexec_b64 s[30:31], s[40:41]
	s_cbranch_execz .LBB34_225
; %bb.148:                              ;   in Loop: Header=BB34_7 Depth=1
	s_cmp_eq_u32 s54, 1
	s_cselect_b64 s[0:1], -1, 0
	v_cmp_eq_u32_e32 vcc, 1, v13
	s_and_b64 s[40:41], s[0:1], vcc
	s_mov_b64 s[42:43], -1
                                        ; implicit-def: $sgpr36_sgpr37
                                        ; implicit-def: $sgpr34_sgpr35
	s_and_saveexec_b64 s[38:39], s[40:41]
	s_cbranch_execz .LBB34_174
; %bb.149:                              ;   in Loop: Header=BB34_7 Depth=1
	ds_read_b32 v1, v7 offset:4096
	s_waitcnt lgkmcnt(0)
	s_barrier
	v_readfirstlane_b32 s0, v1
	s_and_saveexec_b64 s[34:35], s[4:5]
; %bb.150:                              ;   in Loop: Header=BB34_7 Depth=1
	ds_write_b16 v19, v7
; %bb.151:                              ;   in Loop: Header=BB34_7 Depth=1
	s_or_b64 exec, exec, s[34:35]
	v_and_b32_e32 v1, v30, v6
	v_lshl_or_b32 v30, 2, v34, v1
	v_or_b32_e32 v36, v36, v3
	s_mov_b64 s[34:35], -1
	s_mov_b64 s[36:37], 0
	s_cmp_gt_i32 s0, 0
	s_mov_b64 s[42:43], 0
	s_mov_b64 s[44:45], -1
	s_waitcnt lgkmcnt(0)
	s_barrier
                                        ; implicit-def: $vgpr37
	s_cbranch_scc1 .LBB34_162
; %bb.152:                              ;   in Loop: Header=BB34_7 Depth=1
	s_mov_b64 s[44:45], 0
                                        ; implicit-def: $vgpr37
	s_mov_b64 s[46:47], exec
	v_readlane_b32 s48, v48, 46
	v_readlane_b32 s49, v48, 47
	s_and_b64 s[48:49], s[46:47], s[48:49]
	s_mov_b64 exec, s[48:49]
	s_cbranch_execz .LBB34_161
; %bb.153:                              ;   in Loop: Header=BB34_7 Depth=1
	v_mov_b32_e32 v1, v5
	v_mov_b32_e32 v12, v0
                                        ; implicit-def: $sgpr48_sgpr49
	s_branch .LBB34_156
.LBB34_154:                             ;   in Loop: Header=BB34_156 Depth=2
	s_or_b64 exec, exec, s[50:51]
	s_waitcnt lgkmcnt(0)
	s_barrier
	ds_read_b32 v2, v7 offset:3072
	s_mov_b64 s[50:51], -1
	s_waitcnt lgkmcnt(0)
	s_barrier
	v_cmp_ne_u32_sdwa s[52:53], v2, v7 src0_sel:WORD_0 src1_sel:DWORD
	s_and_b64 vcc, exec, s[52:53]
	s_mov_b64 s[52:53], -1
	s_cbranch_vccz .LBB34_159
.LBB34_155:                             ;   in Loop: Header=BB34_156 Depth=2
	s_and_b64 s[50:51], exec, s[50:51]
	s_or_b64 s[42:43], s[50:51], s[42:43]
	s_andn2_b64 s[48:49], s[48:49], exec
	s_and_b64 s[50:51], s[52:53], exec
	s_or_b64 s[48:49], s[48:49], s[50:51]
	s_andn2_b64 exec, exec, s[42:43]
	s_cbranch_execz .LBB34_160
.LBB34_156:                             ;   Parent Loop BB34_7 Depth=1
                                        ; =>  This Inner Loop Header: Depth=2
	v_cmp_gt_i32_e32 vcc, s68, v12
	s_and_saveexec_b64 s[50:51], vcc
	s_cbranch_execz .LBB34_154
; %bb.157:                              ;   in Loop: Header=BB34_156 Depth=2
	v_ashrrev_i32_e32 v2, 31, v1
	v_lshlrev_b64 v[14:15], 1, v[1:2]
	v_mov_b32_e32 v2, s77
	v_add_co_u32_e32 v14, vcc, s70, v14
	v_addc_co_u32_e32 v15, vcc, v2, v15, vcc
	global_load_ushort v2, v[14:15], off
	s_waitcnt vmcnt(0)
	v_add_u32_sdwa v14, sext(v2), s17 dst_sel:DWORD dst_unused:UNUSED_PAD src0_sel:WORD_0 src1_sel:DWORD
	v_and_b32_e32 v14, v14, v36
	v_cmp_eq_u32_e32 vcc, v14, v30
	s_and_b64 exec, exec, vcc
	s_cbranch_execz .LBB34_154
; %bb.158:                              ;   in Loop: Header=BB34_156 Depth=2
	v_perm_b32 v2, v2, 1, v35
	ds_write_b32 v7, v2 offset:3072
	s_branch .LBB34_154
.LBB34_159:                             ;   in Loop: Header=BB34_156 Depth=2
	v_add_u32_e32 v12, s76, v12
	v_cmp_le_i32_e32 vcc, s91, v12
	v_add_u32_e32 v1, s18, v1
	s_mov_b64 s[52:53], 0
	s_orn2_b64 s[50:51], vcc, exec
	s_branch .LBB34_155
.LBB34_160:                             ;   in Loop: Header=BB34_7 Depth=1
	s_or_b64 exec, exec, s[42:43]
	v_lshrrev_b32_e32 v37, 16, v2
	s_and_b64 s[42:43], s[48:49], exec
.LBB34_161:                             ;   in Loop: Header=BB34_7 Depth=1
	s_or_b64 exec, exec, s[46:47]
.LBB34_162:                             ;   in Loop: Header=BB34_7 Depth=1
	s_and_b64 vcc, exec, s[44:45]
	s_cbranch_vccz .LBB34_173
; %bb.163:                              ;   in Loop: Header=BB34_7 Depth=1
	v_readlane_b32 s1, v48, 31
	s_add_i32 s1, s0, s1
	s_abs_i32 s34, s1
	v_readlane_b32 s35, v48, 45
	s_mul_hi_u32 s35, s34, s35
	s_mul_i32 s35, s35, s76
	s_sub_i32 s34, s34, s35
	s_ashr_i32 s19, s1, 31
	s_sub_i32 s35, s34, s76
	s_cmp_ge_u32 s34, s76
	s_cselect_b32 s34, s35, s34
	s_sub_i32 s35, s34, s76
	s_cmp_ge_u32 s34, s76
	s_cselect_b32 s34, s35, s34
	s_xor_b32 s34, s34, s19
	s_sub_i32 s19, s19, s34
	s_add_i32 s1, s1, s19
	v_cmp_gt_i32_e32 vcc, s1, v0
                                        ; implicit-def: $vgpr37
	s_and_saveexec_b64 s[34:35], vcc
	s_cbranch_execz .LBB34_172
; %bb.164:                              ;   in Loop: Header=BB34_7 Depth=1
	s_mov_b64 s[36:37], 0
	v_mov_b32_e32 v1, v18
	v_mov_b32_e32 v2, v0
                                        ; implicit-def: $sgpr44_sgpr45
	s_branch .LBB34_167
.LBB34_165:                             ;   in Loop: Header=BB34_167 Depth=2
	s_or_b64 exec, exec, s[46:47]
	s_waitcnt lgkmcnt(0)
	s_barrier
	ds_read_b32 v12, v7 offset:3072
	s_mov_b64 s[46:47], -1
	s_waitcnt lgkmcnt(0)
	s_barrier
	v_cmp_eq_u32_sdwa s[48:49], v12, v7 src0_sel:WORD_0 src1_sel:DWORD
	s_and_b64 vcc, exec, s[48:49]
	s_mov_b64 s[48:49], -1
	s_cbranch_vccnz .LBB34_170
.LBB34_166:                             ;   in Loop: Header=BB34_167 Depth=2
	s_and_b64 s[46:47], exec, s[46:47]
	s_or_b64 s[36:37], s[46:47], s[36:37]
	s_andn2_b64 s[44:45], s[44:45], exec
	s_and_b64 s[46:47], s[48:49], exec
	s_or_b64 s[44:45], s[44:45], s[46:47]
	s_andn2_b64 exec, exec, s[36:37]
	s_cbranch_execz .LBB34_171
.LBB34_167:                             ;   Parent Loop BB34_7 Depth=1
                                        ; =>  This Inner Loop Header: Depth=2
	v_cmp_gt_i32_e32 vcc, s0, v2
	s_and_saveexec_b64 s[46:47], vcc
	s_cbranch_execz .LBB34_165
; %bb.168:                              ;   in Loop: Header=BB34_167 Depth=2
	ds_read_u16 v12, v1
	s_waitcnt lgkmcnt(0)
	v_add_u32_sdwa v14, sext(v12), s17 dst_sel:DWORD dst_unused:UNUSED_PAD src0_sel:WORD_0 src1_sel:DWORD
	v_and_b32_e32 v14, v14, v36
	v_cmp_eq_u32_e32 vcc, v14, v30
	s_and_b64 exec, exec, vcc
	s_cbranch_execz .LBB34_165
; %bb.169:                              ;   in Loop: Header=BB34_167 Depth=2
	v_perm_b32 v12, v12, 1, v35
	ds_write_b32 v7, v12 offset:3072
	s_branch .LBB34_165
.LBB34_170:                             ;   in Loop: Header=BB34_167 Depth=2
	v_add_u32_e32 v2, s76, v2
	v_cmp_le_i32_e32 vcc, s1, v2
	v_add_u32_e32 v1, s16, v1
	s_mov_b64 s[48:49], 0
	s_orn2_b64 s[46:47], vcc, exec
	s_branch .LBB34_166
.LBB34_171:                             ;   in Loop: Header=BB34_7 Depth=1
	s_or_b64 exec, exec, s[36:37]
	s_andn2_b64 s[0:1], s[42:43], exec
	s_and_b64 s[36:37], s[44:45], exec
	v_lshrrev_b32_e32 v37, 16, v12
	s_or_b64 s[42:43], s[0:1], s[36:37]
.LBB34_172:                             ;   in Loop: Header=BB34_7 Depth=1
	s_or_b64 exec, exec, s[34:35]
	s_mov_b64 s[34:35], 0
	s_mov_b64 s[36:37], -1
.LBB34_173:                             ;   in Loop: Header=BB34_7 Depth=1
	s_orn2_b64 s[42:43], s[42:43], exec
.LBB34_174:                             ;   in Loop: Header=BB34_7 Depth=1
	s_or_b64 exec, exec, s[38:39]
	s_mov_b64 s[44:45], 0
	s_and_saveexec_b64 s[38:39], s[42:43]
	s_cbranch_execz .LBB34_224
; %bb.175:                              ;   in Loop: Header=BB34_7 Depth=1
	s_xor_b64 s[0:1], s[40:41], -1
	s_mov_b64 s[48:49], 0
	v_mov_b32_e32 v12, 1
	v_mov_b32_e32 v4, 1
	s_and_saveexec_b64 s[40:41], s[0:1]
	s_cbranch_execz .LBB34_184
; %bb.176:                              ;   in Loop: Header=BB34_7 Depth=1
	v_cmp_ge_i32_e32 vcc, s54, v13
	s_and_saveexec_b64 s[0:1], vcc
	s_xor_b64 s[42:43], exec, s[0:1]
	s_cbranch_execz .LBB34_181
; %bb.177:                              ;   in Loop: Header=BB34_7 Depth=1
	ds_read_b32 v1, v7 offset:4096
	v_and_b32_e32 v2, v30, v6
	v_lshl_or_b32 v30, 2, v34, v2
	v_or_b32_e32 v36, v36, v3
	s_waitcnt lgkmcnt(0)
	v_cmp_ne_u32_e32 vcc, 0, v1
	s_cbranch_vccnz .LBB34_181
; %bb.178:                              ;   in Loop: Header=BB34_7 Depth=1
	s_mov_b64 s[44:45], exec
	v_readlane_b32 s0, v48, 18
	v_readlane_b32 s1, v48, 19
	s_and_b64 s[0:1], s[44:45], s[0:1]
	s_mov_b64 exec, s[0:1]
; %bb.179:                              ;   in Loop: Header=BB34_7 Depth=1
	v_mov_b32_e32 v1, s54
	ds_write_b32 v7, v1 offset:4100
; %bb.180:                              ;   in Loop: Header=BB34_7 Depth=1
	s_or_b64 exec, exec, s[44:45]
	s_waitcnt lgkmcnt(0)
	s_barrier
.LBB34_181:                             ;   in Loop: Header=BB34_7 Depth=1
	s_or_saveexec_b64 s[42:43], s[42:43]
	s_mov_b64 s[44:45], 0
	v_mov_b32_e32 v4, 8
	s_xor_b64 exec, exec, s[42:43]
; %bb.182:                              ;   in Loop: Header=BB34_7 Depth=1
	s_mov_b64 s[44:45], exec
	v_subrev_u32_e32 v13, s54, v13
	v_mov_b32_e32 v4, 0
; %bb.183:                              ;   in Loop: Header=BB34_7 Depth=1
	s_or_b64 exec, exec, s[42:43]
	s_and_b64 s[48:49], s[44:45], exec
	v_mov_b32_e32 v12, v13
.LBB34_184:                             ;   in Loop: Header=BB34_7 Depth=1
	s_or_b64 exec, exec, s[40:41]
	s_mov_b64 s[42:43], -1
                                        ; implicit-def: $sgpr46_sgpr47
                                        ; implicit-def: $sgpr44_sgpr45
	s_and_saveexec_b64 s[40:41], s[48:49]
	s_cbranch_execz .LBB34_223
; %bb.185:                              ;   in Loop: Header=BB34_7 Depth=1
	s_cmp_eq_u32 s69, 1
	s_cselect_b64 s[0:1], -1, 0
	v_cmp_eq_u32_e32 vcc, 1, v12
	s_and_b64 s[42:43], s[0:1], vcc
	s_mov_b64 s[50:51], -1
                                        ; implicit-def: $sgpr46_sgpr47
                                        ; implicit-def: $sgpr44_sgpr45
	s_and_saveexec_b64 s[48:49], s[42:43]
	s_cbranch_execz .LBB34_211
; %bb.186:                              ;   in Loop: Header=BB34_7 Depth=1
	ds_read_b32 v1, v7 offset:4096
	s_waitcnt lgkmcnt(0)
	s_barrier
	v_readfirstlane_b32 s0, v1
	s_and_saveexec_b64 s[44:45], s[4:5]
; %bb.187:                              ;   in Loop: Header=BB34_7 Depth=1
	ds_write_b16 v19, v7
; %bb.188:                              ;   in Loop: Header=BB34_7 Depth=1
	s_or_b64 exec, exec, s[44:45]
	v_or_b32_e32 v30, v30, v3
	v_or_b32_e32 v36, v36, v3
	s_mov_b64 s[44:45], -1
	s_mov_b64 s[46:47], 0
	s_cmp_gt_i32 s0, 0
	s_mov_b64 s[50:51], 0
	s_mov_b64 s[52:53], -1
	s_waitcnt lgkmcnt(0)
	s_barrier
                                        ; implicit-def: $vgpr37
	s_cbranch_scc1 .LBB34_199
; %bb.189:                              ;   in Loop: Header=BB34_7 Depth=1
	s_mov_b64 s[52:53], 0
                                        ; implicit-def: $vgpr37
	s_mov_b64 s[54:55], exec
	v_readlane_b32 s56, v48, 46
	v_readlane_b32 s57, v48, 47
	s_and_b64 s[56:57], s[54:55], s[56:57]
	s_mov_b64 exec, s[56:57]
	s_cbranch_execz .LBB34_198
; %bb.190:                              ;   in Loop: Header=BB34_7 Depth=1
	v_mov_b32_e32 v1, v5
	v_mov_b32_e32 v6, v0
                                        ; implicit-def: $sgpr56_sgpr57
	s_branch .LBB34_193
.LBB34_191:                             ;   in Loop: Header=BB34_193 Depth=2
	s_or_b64 exec, exec, s[58:59]
	s_waitcnt lgkmcnt(0)
	s_barrier
	ds_read_b32 v2, v7 offset:3072
	s_mov_b64 s[58:59], -1
	s_waitcnt lgkmcnt(0)
	s_barrier
	v_cmp_ne_u32_sdwa s[66:67], v2, v7 src0_sel:WORD_0 src1_sel:DWORD
	s_and_b64 vcc, exec, s[66:67]
	s_mov_b64 s[66:67], -1
	s_cbranch_vccz .LBB34_196
.LBB34_192:                             ;   in Loop: Header=BB34_193 Depth=2
	s_and_b64 s[58:59], exec, s[58:59]
	s_or_b64 s[50:51], s[58:59], s[50:51]
	s_andn2_b64 s[56:57], s[56:57], exec
	s_and_b64 s[58:59], s[66:67], exec
	s_or_b64 s[56:57], s[56:57], s[58:59]
	s_andn2_b64 exec, exec, s[50:51]
	s_cbranch_execz .LBB34_197
.LBB34_193:                             ;   Parent Loop BB34_7 Depth=1
                                        ; =>  This Inner Loop Header: Depth=2
	v_cmp_gt_i32_e32 vcc, s68, v6
	s_and_saveexec_b64 s[58:59], vcc
	s_cbranch_execz .LBB34_191
; %bb.194:                              ;   in Loop: Header=BB34_193 Depth=2
	v_ashrrev_i32_e32 v2, 31, v1
	v_lshlrev_b64 v[13:14], 1, v[1:2]
	v_mov_b32_e32 v2, s77
	v_add_co_u32_e32 v13, vcc, s70, v13
	v_addc_co_u32_e32 v14, vcc, v2, v14, vcc
	global_load_ushort v2, v[13:14], off
	s_waitcnt vmcnt(0)
	v_add_u32_sdwa v13, sext(v2), s17 dst_sel:DWORD dst_unused:UNUSED_PAD src0_sel:WORD_0 src1_sel:DWORD
	v_and_b32_e32 v13, v13, v36
	v_cmp_eq_u32_e32 vcc, v13, v30
	s_and_b64 exec, exec, vcc
	s_cbranch_execz .LBB34_191
; %bb.195:                              ;   in Loop: Header=BB34_193 Depth=2
	v_perm_b32 v2, v2, 1, v35
	ds_write_b32 v7, v2 offset:3072
	s_branch .LBB34_191
.LBB34_196:                             ;   in Loop: Header=BB34_193 Depth=2
	v_add_u32_e32 v6, s76, v6
	v_cmp_le_i32_e32 vcc, s91, v6
	v_add_u32_e32 v1, s18, v1
	s_mov_b64 s[66:67], 0
	s_orn2_b64 s[58:59], vcc, exec
	s_branch .LBB34_192
.LBB34_197:                             ;   in Loop: Header=BB34_7 Depth=1
	s_or_b64 exec, exec, s[50:51]
	v_lshrrev_b32_e32 v37, 16, v2
	s_and_b64 s[50:51], s[56:57], exec
.LBB34_198:                             ;   in Loop: Header=BB34_7 Depth=1
	s_or_b64 exec, exec, s[54:55]
.LBB34_199:                             ;   in Loop: Header=BB34_7 Depth=1
	s_and_b64 vcc, exec, s[52:53]
	s_cbranch_vccz .LBB34_210
; %bb.200:                              ;   in Loop: Header=BB34_7 Depth=1
	v_readlane_b32 s1, v48, 31
	s_add_i32 s1, s0, s1
	s_abs_i32 s44, s1
	v_readlane_b32 s45, v48, 45
	s_mul_hi_u32 s45, s44, s45
	s_mul_i32 s45, s45, s76
	s_sub_i32 s44, s44, s45
	s_ashr_i32 s19, s1, 31
	s_sub_i32 s45, s44, s76
	s_cmp_ge_u32 s44, s76
	s_cselect_b32 s44, s45, s44
	s_sub_i32 s45, s44, s76
	s_cmp_ge_u32 s44, s76
	s_cselect_b32 s44, s45, s44
	s_xor_b32 s44, s44, s19
	s_sub_i32 s19, s19, s44
	s_add_i32 s1, s1, s19
	v_cmp_gt_i32_e32 vcc, s1, v0
                                        ; implicit-def: $vgpr37
	s_and_saveexec_b64 s[44:45], vcc
	s_cbranch_execz .LBB34_209
; %bb.201:                              ;   in Loop: Header=BB34_7 Depth=1
	s_mov_b64 s[46:47], 0
	v_mov_b32_e32 v1, v18
	v_mov_b32_e32 v2, v0
                                        ; implicit-def: $sgpr52_sgpr53
	s_branch .LBB34_204
.LBB34_202:                             ;   in Loop: Header=BB34_204 Depth=2
	s_or_b64 exec, exec, s[54:55]
	s_waitcnt lgkmcnt(0)
	s_barrier
	ds_read_b32 v6, v7 offset:3072
	s_mov_b64 s[54:55], -1
	s_waitcnt lgkmcnt(0)
	s_barrier
	v_cmp_eq_u32_sdwa s[56:57], v6, v7 src0_sel:WORD_0 src1_sel:DWORD
	s_and_b64 vcc, exec, s[56:57]
	s_mov_b64 s[56:57], -1
	s_cbranch_vccnz .LBB34_207
.LBB34_203:                             ;   in Loop: Header=BB34_204 Depth=2
	s_and_b64 s[54:55], exec, s[54:55]
	s_or_b64 s[46:47], s[54:55], s[46:47]
	s_andn2_b64 s[52:53], s[52:53], exec
	s_and_b64 s[54:55], s[56:57], exec
	s_or_b64 s[52:53], s[52:53], s[54:55]
	s_andn2_b64 exec, exec, s[46:47]
	s_cbranch_execz .LBB34_208
.LBB34_204:                             ;   Parent Loop BB34_7 Depth=1
                                        ; =>  This Inner Loop Header: Depth=2
	v_cmp_gt_i32_e32 vcc, s0, v2
	s_and_saveexec_b64 s[54:55], vcc
	s_cbranch_execz .LBB34_202
; %bb.205:                              ;   in Loop: Header=BB34_204 Depth=2
	ds_read_u16 v6, v1
	s_waitcnt lgkmcnt(0)
	v_add_u32_sdwa v13, sext(v6), s17 dst_sel:DWORD dst_unused:UNUSED_PAD src0_sel:WORD_0 src1_sel:DWORD
	v_and_b32_e32 v13, v13, v36
	v_cmp_eq_u32_e32 vcc, v13, v30
	s_and_b64 exec, exec, vcc
	s_cbranch_execz .LBB34_202
; %bb.206:                              ;   in Loop: Header=BB34_204 Depth=2
	v_perm_b32 v6, v6, 1, v35
	ds_write_b32 v7, v6 offset:3072
	s_branch .LBB34_202
.LBB34_207:                             ;   in Loop: Header=BB34_204 Depth=2
	v_add_u32_e32 v2, s76, v2
	v_cmp_le_i32_e32 vcc, s1, v2
	v_add_u32_e32 v1, s16, v1
	s_mov_b64 s[56:57], 0
	s_orn2_b64 s[54:55], vcc, exec
	s_branch .LBB34_203
.LBB34_208:                             ;   in Loop: Header=BB34_7 Depth=1
	s_or_b64 exec, exec, s[46:47]
	s_andn2_b64 s[0:1], s[50:51], exec
	s_and_b64 s[46:47], s[52:53], exec
	v_lshrrev_b32_e32 v37, 16, v6
	s_or_b64 s[50:51], s[0:1], s[46:47]
.LBB34_209:                             ;   in Loop: Header=BB34_7 Depth=1
	s_or_b64 exec, exec, s[44:45]
	s_mov_b64 s[44:45], 0
	s_mov_b64 s[46:47], -1
.LBB34_210:                             ;   in Loop: Header=BB34_7 Depth=1
	s_orn2_b64 s[50:51], s[50:51], exec
.LBB34_211:                             ;   in Loop: Header=BB34_7 Depth=1
	s_or_b64 exec, exec, s[48:49]
	s_mov_b64 s[52:53], 0
	s_and_saveexec_b64 s[48:49], s[50:51]
	s_cbranch_execz .LBB34_222
; %bb.212:                              ;   in Loop: Header=BB34_7 Depth=1
	s_xor_b64 s[0:1], s[42:43], -1
	v_mov_b32_e32 v4, 1
	v_mov_b32_e32 v1, 1
	s_and_saveexec_b64 s[42:43], s[0:1]
	s_cbranch_execz .LBB34_221
; %bb.213:                              ;   in Loop: Header=BB34_7 Depth=1
	v_cmp_ge_i32_e32 vcc, s69, v12
	s_and_saveexec_b64 s[0:1], vcc
	s_xor_b64 s[50:51], exec, s[0:1]
	s_cbranch_execz .LBB34_218
; %bb.214:                              ;   in Loop: Header=BB34_7 Depth=1
	ds_read_b32 v1, v7 offset:4096
	v_or_b32_e32 v30, v30, v3
	v_or_b32_e32 v36, v36, v3
	s_waitcnt lgkmcnt(0)
	v_cmp_ne_u32_e32 vcc, 0, v1
	s_cbranch_vccnz .LBB34_218
; %bb.215:                              ;   in Loop: Header=BB34_7 Depth=1
	s_mov_b64 s[52:53], exec
	v_readlane_b32 s0, v48, 18
	v_readlane_b32 s1, v48, 19
	s_and_b64 s[0:1], s[52:53], s[0:1]
	s_mov_b64 exec, s[0:1]
; %bb.216:                              ;   in Loop: Header=BB34_7 Depth=1
	v_mov_b32_e32 v1, s69
	ds_write_b32 v7, v1 offset:4100
; %bb.217:                              ;   in Loop: Header=BB34_7 Depth=1
	s_or_b64 exec, exec, s[52:53]
	s_waitcnt lgkmcnt(0)
	s_barrier
.LBB34_218:                             ;   in Loop: Header=BB34_7 Depth=1
	s_andn2_saveexec_b64 s[50:51], s[50:51]
; %bb.219:                              ;   in Loop: Header=BB34_7 Depth=1
	v_subrev_u32_e32 v12, s69, v12
; %bb.220:                              ;   in Loop: Header=BB34_7 Depth=1
	s_or_b64 exec, exec, s[50:51]
	v_mov_b32_e32 v4, 8
	v_mov_b32_e32 v1, v12
.LBB34_221:                             ;   in Loop: Header=BB34_7 Depth=1
	s_or_b64 exec, exec, s[42:43]
	s_mov_b64 s[52:53], exec
	v_mov_b32_e32 v12, v1
.LBB34_222:                             ;   in Loop: Header=BB34_7 Depth=1
	s_or_b64 exec, exec, s[48:49]
	s_orn2_b64 s[42:43], s[52:53], exec
.LBB34_223:                             ;   in Loop: Header=BB34_7 Depth=1
	s_or_b64 exec, exec, s[40:41]
	s_andn2_b64 s[0:1], s[36:37], exec
	s_and_b64 s[36:37], s[46:47], exec
	s_or_b64 s[36:37], s[0:1], s[36:37]
	s_andn2_b64 s[0:1], s[34:35], exec
	s_and_b64 s[34:35], s[44:45], exec
	s_or_b64 s[34:35], s[0:1], s[34:35]
	s_and_b64 s[44:45], s[42:43], exec
	v_mov_b32_e32 v13, v12
.LBB34_224:                             ;   in Loop: Header=BB34_7 Depth=1
	s_or_b64 exec, exec, s[38:39]
	s_orn2_b64 s[38:39], s[44:45], exec
.LBB34_225:                             ;   in Loop: Header=BB34_7 Depth=1
	s_or_b64 exec, exec, s[30:31]
	s_andn2_b64 s[0:1], s[26:27], exec
	s_and_b64 s[26:27], s[36:37], exec
	s_or_b64 s[26:27], s[0:1], s[26:27]
	s_andn2_b64 s[0:1], s[24:25], exec
	s_and_b64 s[24:25], s[34:35], exec
	s_or_b64 s[24:25], s[0:1], s[24:25]
	s_and_b64 s[36:37], s[38:39], exec
	v_mov_b32_e32 v12, v13
.LBB34_226:                             ;   in Loop: Header=BB34_7 Depth=1
	s_or_b64 exec, exec, s[28:29]
	s_orn2_b64 s[28:29], s[36:37], exec
.LBB34_227:                             ;   in Loop: Header=BB34_7 Depth=1
	s_or_b64 exec, exec, s[22:23]
	s_mov_b64 s[30:31], 0
                                        ; implicit-def: $sgpr0
	s_and_saveexec_b64 s[22:23], s[28:29]
	s_xor_b64 s[22:23], exec, s[22:23]
	s_cbranch_execz .LBB34_5
; %bb.228:                              ;   in Loop: Header=BB34_7 Depth=1
	v_and_b32_e32 v1, 7, v4
	v_cmp_eq_u32_e32 vcc, 0, v1
	s_mov_b64 s[20:21], -1
	s_mov_b64 s[28:29], -1
                                        ; implicit-def: $sgpr0
	s_and_saveexec_b64 s[30:31], vcc
	s_cbranch_execz .LBB34_4
; %bb.229:                              ;   in Loop: Header=BB34_7 Depth=1
	v_add_u32_e32 v1, -2, v34
	v_cmp_eq_u32_e32 vcc, 0, v34
	s_xor_b32 s0, s88, 1
	s_xor_b64 s[28:29], exec, -1
	s_orn2_b64 s[20:21], vcc, exec
	v_mov_b32_e32 v34, v1
	s_branch .LBB34_4
.LBB34_230:
	s_or_b64 exec, exec, s[92:93]
	s_xor_b64 s[8:9], s[78:79], -1
	s_xor_b64 s[0:1], s[94:95], -1
	;; [unrolled: 1-line block ×3, first 2 shown]
	s_mov_b64 s[4:5], 0
	s_and_saveexec_b64 s[2:3], s[0:1]
	s_xor_b64 s[2:3], exec, s[2:3]
	s_cbranch_execnz .LBB34_235
; %bb.231:
	s_andn2_saveexec_b64 s[0:1], s[2:3]
	s_cbranch_execnz .LBB34_255
.LBB34_232:
	s_or_b64 exec, exec, s[0:1]
	s_and_saveexec_b64 s[0:1], s[4:5]
.LBB34_233:
	; divergent unreachable
.LBB34_234:
	s_endpgm
.LBB34_235:
	s_and_saveexec_b64 s[0:1], s[8:9]
	s_xor_b64 s[4:5], exec, s[0:1]
	s_cbranch_execz .LBB34_253
; %bb.236:
	s_and_saveexec_b64 s[0:1], s[6:7]
	s_xor_b64 s[6:7], exec, s[0:1]
; %bb.237:
	v_xor_b32_e32 v37, 0xffff8000, v30
; %bb.238:
	s_or_b64 exec, exec, s[6:7]
	s_mov_b64 s[6:7], exec
	v_readlane_b32 s0, v48, 18
	v_readlane_b32 s1, v48, 19
	;; [unrolled: 1-line block ×4, first 2 shown]
	s_and_b64 s[0:1], s[6:7], s[0:1]
	v_readlane_b32 s19, v48, 30
	v_readlane_b32 s21, v48, 23
	;; [unrolled: 1-line block ×5, first 2 shown]
	s_mov_b64 exec, s[0:1]
; %bb.239:
	v_mov_b32_e32 v1, 0
	v_mov_b32_e32 v2, s68
	ds_write_b32 v1, v2 offset:4108
; %bb.240:
	s_or_b64 exec, exec, s[6:7]
	v_mov_b32_e32 v1, 0
	s_waitcnt lgkmcnt(0)
	s_barrier
	ds_read_b32 v1, v1 offset:4108
	s_waitcnt lgkmcnt(0)
	v_min_i32_e32 v1, s68, v1
	v_cmp_lt_i32_e32 vcc, v0, v1
	s_and_saveexec_b64 s[6:7], vcc
	s_cbranch_execz .LBB34_250
; %bb.241:
	s_mov_b64 s[8:9], 0
	v_mov_b32_e32 v3, s77
                                        ; implicit-def: $sgpr10_sgpr11
                                        ; implicit-def: $sgpr14_sgpr15
                                        ; implicit-def: $sgpr12_sgpr13
	s_branch .LBB34_243
.LBB34_242:                             ;   in Loop: Header=BB34_243 Depth=1
	s_or_b64 exec, exec, s[16:17]
	s_and_b64 s[0:1], exec, s[14:15]
	s_or_b64 s[8:9], s[0:1], s[8:9]
	s_andn2_b64 s[0:1], s[10:11], exec
	s_and_b64 s[10:11], s[12:13], exec
	s_or_b64 s[10:11], s[0:1], s[10:11]
	s_andn2_b64 exec, exec, s[8:9]
	s_cbranch_execz .LBB34_245
.LBB34_243:                             ; =>This Inner Loop Header: Depth=1
	v_ashrrev_i32_e32 v6, 31, v5
	v_lshlrev_b64 v[6:7], 1, v[5:6]
	v_mov_b32_e32 v2, v0
	v_add_co_u32_e32 v6, vcc, s70, v6
	v_addc_co_u32_e32 v7, vcc, v3, v7, vcc
	global_load_ushort v4, v[6:7], off
	s_or_b64 s[12:13], s[12:13], exec
	s_or_b64 s[14:15], s[14:15], exec
                                        ; implicit-def: $vgpr0
	s_waitcnt vmcnt(0)
	v_cmp_ne_u16_e32 vcc, v4, v37
	s_and_saveexec_b64 s[16:17], vcc
	s_cbranch_execz .LBB34_242
; %bb.244:                              ;   in Loop: Header=BB34_243 Depth=1
	v_add_u32_e32 v0, s76, v2
	v_cmp_ge_i32_e32 vcc, v0, v1
	s_andn2_b64 s[0:1], s[14:15], exec
	s_and_b64 s[14:15], vcc, exec
	v_add_u32_e32 v5, s18, v5
	s_andn2_b64 s[12:13], s[12:13], exec
	s_or_b64 s[14:15], s[0:1], s[14:15]
	s_branch .LBB34_242
.LBB34_245:
	s_or_b64 exec, exec, s[8:9]
	s_and_saveexec_b64 s[0:1], s[10:11]
	s_xor_b64 s[0:1], exec, s[0:1]
	s_cbranch_execz .LBB34_250
; %bb.246:
	s_mov_b64 s[8:9], exec
	s_brev_b32 s0, -2
.LBB34_247:                             ; =>This Inner Loop Header: Depth=1
	s_ff1_i32_b64 s1, s[8:9]
	v_readlane_b32 s12, v2, s1
	s_lshl_b64 s[10:11], 1, s1
	s_min_i32 s0, s0, s12
	s_andn2_b64 s[8:9], s[8:9], s[10:11]
	s_cmp_lg_u64 s[8:9], 0
	s_cbranch_scc1 .LBB34_247
; %bb.248:
	v_mbcnt_lo_u32_b32 v0, exec_lo, 0
	v_mbcnt_hi_u32_b32 v0, exec_hi, v0
	v_cmp_eq_u32_e32 vcc, 0, v0
	s_and_saveexec_b64 s[8:9], vcc
	s_xor_b64 s[8:9], exec, s[8:9]
; %bb.249:
	v_mov_b32_e32 v0, 0
	v_mov_b32_e32 v1, s0
	ds_min_i32 v0, v1 offset:4108
.LBB34_250:
	s_or_b64 exec, exec, s[6:7]
	s_waitcnt lgkmcnt(0)
	s_barrier
	s_mov_b64 s[6:7], exec
	v_readlane_b32 s0, v48, 18
	v_readlane_b32 s1, v48, 19
	s_and_b64 s[0:1], s[6:7], s[0:1]
	s_mov_b64 exec, s[0:1]
	s_cbranch_execz .LBB34_252
; %bb.251:
	v_readlane_b32 s8, v48, 0
	s_mul_i32 s0, s24, s21
	v_readlane_b32 s10, v48, 2
	s_sub_i32 s0, s19, s0
	v_readlane_b32 s9, v48, 1
	v_readlane_b32 s11, v48, 3
	s_mov_b32 s14, s10
	s_mov_b64 s[12:13], s[8:9]
	s_mul_i32 s0, s0, s14
	v_readlane_b32 s1, v48, 21
	v_readlane_b32 s8, v48, 24
	;; [unrolled: 1-line block ×4, first 2 shown]
	s_xor_b32 s1, s1, s8
	s_mul_i32 s8, s14, s11
	v_readlane_b32 s9, v48, 13
	s_sub_i32 s8, s9, s8
	s_add_i32 s9, s14, 1
	s_sub_i32 s10, s8, s11
	s_cmp_ge_u32 s8, s11
	s_cselect_b32 s9, s9, s14
	s_cselect_b32 s8, s10, s8
	s_add_i32 s10, s9, 1
	s_cmp_ge_u32 s8, s11
	s_cselect_b32 s8, s10, s9
	s_xor_b32 s8, s8, s1
	s_sub_i32 s1, s8, s1
	s_mul_i32 s8, s1, s20
	s_sub_i32 s8, s24, s8
	s_mul_i32 s8, s8, s13
	s_add_i32 s0, s8, s0
	s_mul_i32 s1, s1, s12
	v_readlane_b32 s8, v48, 4
	s_add_i32 s0, s0, s1
	s_mul_i32 s1, s25, s23
	v_readlane_b32 s10, v48, 6
	s_sub_i32 s1, s19, s1
	v_readlane_b32 s9, v48, 5
	s_mov_b32 s14, s10
	s_mov_b64 s[12:13], s[8:9]
	s_mul_i32 s1, s1, s14
	v_readlane_b32 s8, v48, 26
	v_readlane_b32 s9, v48, 29
	v_readlane_b32 s14, v48, 15
	v_readlane_b32 s15, v48, 17
	s_xor_b32 s8, s8, s9
	s_mul_i32 s9, s15, s14
	v_readlane_b32 s10, v48, 16
	v_readlane_b32 s11, v48, 7
	s_sub_i32 s9, s10, s9
	s_add_i32 s10, s15, 1
	s_sub_i32 s11, s9, s14
	s_cmp_ge_u32 s9, s14
	s_cselect_b32 s10, s10, s15
	s_cselect_b32 s9, s11, s9
	s_add_i32 s11, s10, 1
	s_cmp_ge_u32 s9, s14
	s_cselect_b32 s9, s11, s10
	s_xor_b32 s9, s9, s8
	s_sub_i32 s8, s9, s8
	s_mul_i32 s9, s8, s22
	s_sub_i32 s9, s25, s9
	s_mul_i32 s9, s9, s13
	s_add_i32 s1, s9, s1
	s_mul_i32 s8, s8, s12
	s_add_i32 s8, s1, s8
	s_ashr_i32 s1, s0, 31
	v_mov_b32_e32 v2, 0
	s_lshl_b64 s[0:1], s[0:1], 1
	v_readlane_b32 s10, v48, 11
	ds_read_b32 v0, v2 offset:4108
	v_readlane_b32 s11, v48, 12
	s_add_u32 s0, s10, s0
	s_addc_u32 s1, s11, s1
	s_ashr_i32 s9, s8, 31
	s_lshl_b64 s[8:9], s[8:9], 3
	v_readlane_b32 s10, v48, 8
	v_readlane_b32 s11, v48, 9
	s_add_u32 s8, s10, s8
	s_addc_u32 s9, s11, s9
	s_waitcnt lgkmcnt(0)
	v_ashrrev_i32_e32 v1, 31, v0
	global_store_dwordx2 v2, v[0:1], s[8:9]
	global_store_short v2, v37, s[0:1]
.LBB34_252:
	s_or_b64 exec, exec, s[6:7]
.LBB34_253:
	s_or_saveexec_b64 s[0:1], s[4:5]
	s_mov_b64 s[4:5], 0
	s_xor_b64 exec, exec, s[0:1]
	s_cbranch_execnz .LBB34_256
.LBB34_254:
	s_or_b64 exec, exec, s[0:1]
	s_and_b64 s[4:5], s[4:5], exec
	s_andn2_saveexec_b64 s[0:1], s[2:3]
	s_cbranch_execz .LBB34_232
.LBB34_255:
	s_or_b64 s[4:5], s[4:5], exec
	s_trap 2
	s_or_b64 exec, exec, s[0:1]
	s_and_saveexec_b64 s[0:1], s[4:5]
	s_cbranch_execnz .LBB34_233
	s_branch .LBB34_234
.LBB34_256:
	s_mov_b64 s[4:5], exec
	s_trap 2
	s_branch .LBB34_254
	.section	.rodata,"a",@progbits
	.p2align	6, 0x0
	.amdhsa_kernel _ZN2at6native12_GLOBAL__N_114gatherKthValueIsiLi3EEEvNS_4cuda6detail10TensorInfoIKT_T0_EES8_S8_S8_S8_NS5_IS6_S8_EENS5_IlS8_EE
		.amdhsa_group_segment_fixed_size 4112
		.amdhsa_private_segment_fixed_size 0
		.amdhsa_kernarg_size 920
		.amdhsa_user_sgpr_count 6
		.amdhsa_user_sgpr_private_segment_buffer 1
		.amdhsa_user_sgpr_dispatch_ptr 0
		.amdhsa_user_sgpr_queue_ptr 0
		.amdhsa_user_sgpr_kernarg_segment_ptr 1
		.amdhsa_user_sgpr_dispatch_id 0
		.amdhsa_user_sgpr_flat_scratch_init 0
		.amdhsa_user_sgpr_private_segment_size 0
		.amdhsa_uses_dynamic_stack 0
		.amdhsa_system_sgpr_private_segment_wavefront_offset 0
		.amdhsa_system_sgpr_workgroup_id_x 1
		.amdhsa_system_sgpr_workgroup_id_y 1
		.amdhsa_system_sgpr_workgroup_id_z 1
		.amdhsa_system_sgpr_workgroup_info 0
		.amdhsa_system_vgpr_workitem_id 0
		.amdhsa_next_free_vgpr 49
		.amdhsa_next_free_sgpr 96
		.amdhsa_reserve_vcc 1
		.amdhsa_reserve_flat_scratch 0
		.amdhsa_float_round_mode_32 0
		.amdhsa_float_round_mode_16_64 0
		.amdhsa_float_denorm_mode_32 3
		.amdhsa_float_denorm_mode_16_64 3
		.amdhsa_dx10_clamp 1
		.amdhsa_ieee_mode 1
		.amdhsa_fp16_overflow 0
		.amdhsa_exception_fp_ieee_invalid_op 0
		.amdhsa_exception_fp_denorm_src 0
		.amdhsa_exception_fp_ieee_div_zero 0
		.amdhsa_exception_fp_ieee_overflow 0
		.amdhsa_exception_fp_ieee_underflow 0
		.amdhsa_exception_fp_ieee_inexact 0
		.amdhsa_exception_int_div_zero 0
	.end_amdhsa_kernel
	.section	.text._ZN2at6native12_GLOBAL__N_114gatherKthValueIsiLi3EEEvNS_4cuda6detail10TensorInfoIKT_T0_EES8_S8_S8_S8_NS5_IS6_S8_EENS5_IlS8_EE,"axG",@progbits,_ZN2at6native12_GLOBAL__N_114gatherKthValueIsiLi3EEEvNS_4cuda6detail10TensorInfoIKT_T0_EES8_S8_S8_S8_NS5_IS6_S8_EENS5_IlS8_EE,comdat
.Lfunc_end34:
	.size	_ZN2at6native12_GLOBAL__N_114gatherKthValueIsiLi3EEEvNS_4cuda6detail10TensorInfoIKT_T0_EES8_S8_S8_S8_NS5_IS6_S8_EENS5_IlS8_EE, .Lfunc_end34-_ZN2at6native12_GLOBAL__N_114gatherKthValueIsiLi3EEEvNS_4cuda6detail10TensorInfoIKT_T0_EES8_S8_S8_S8_NS5_IS6_S8_EENS5_IlS8_EE
                                        ; -- End function
	.set _ZN2at6native12_GLOBAL__N_114gatherKthValueIsiLi3EEEvNS_4cuda6detail10TensorInfoIKT_T0_EES8_S8_S8_S8_NS5_IS6_S8_EENS5_IlS8_EE.num_vgpr, 49
	.set _ZN2at6native12_GLOBAL__N_114gatherKthValueIsiLi3EEEvNS_4cuda6detail10TensorInfoIKT_T0_EES8_S8_S8_S8_NS5_IS6_S8_EENS5_IlS8_EE.num_agpr, 0
	.set _ZN2at6native12_GLOBAL__N_114gatherKthValueIsiLi3EEEvNS_4cuda6detail10TensorInfoIKT_T0_EES8_S8_S8_S8_NS5_IS6_S8_EENS5_IlS8_EE.numbered_sgpr, 96
	.set _ZN2at6native12_GLOBAL__N_114gatherKthValueIsiLi3EEEvNS_4cuda6detail10TensorInfoIKT_T0_EES8_S8_S8_S8_NS5_IS6_S8_EENS5_IlS8_EE.num_named_barrier, 0
	.set _ZN2at6native12_GLOBAL__N_114gatherKthValueIsiLi3EEEvNS_4cuda6detail10TensorInfoIKT_T0_EES8_S8_S8_S8_NS5_IS6_S8_EENS5_IlS8_EE.private_seg_size, 0
	.set _ZN2at6native12_GLOBAL__N_114gatherKthValueIsiLi3EEEvNS_4cuda6detail10TensorInfoIKT_T0_EES8_S8_S8_S8_NS5_IS6_S8_EENS5_IlS8_EE.uses_vcc, 1
	.set _ZN2at6native12_GLOBAL__N_114gatherKthValueIsiLi3EEEvNS_4cuda6detail10TensorInfoIKT_T0_EES8_S8_S8_S8_NS5_IS6_S8_EENS5_IlS8_EE.uses_flat_scratch, 0
	.set _ZN2at6native12_GLOBAL__N_114gatherKthValueIsiLi3EEEvNS_4cuda6detail10TensorInfoIKT_T0_EES8_S8_S8_S8_NS5_IS6_S8_EENS5_IlS8_EE.has_dyn_sized_stack, 0
	.set _ZN2at6native12_GLOBAL__N_114gatherKthValueIsiLi3EEEvNS_4cuda6detail10TensorInfoIKT_T0_EES8_S8_S8_S8_NS5_IS6_S8_EENS5_IlS8_EE.has_recursion, 0
	.set _ZN2at6native12_GLOBAL__N_114gatherKthValueIsiLi3EEEvNS_4cuda6detail10TensorInfoIKT_T0_EES8_S8_S8_S8_NS5_IS6_S8_EENS5_IlS8_EE.has_indirect_call, 0
	.section	.AMDGPU.csdata,"",@progbits
; Kernel info:
; codeLenInByte = 10380
; TotalNumSgprs: 100
; NumVgprs: 49
; ScratchSize: 0
; MemoryBound: 0
; FloatMode: 240
; IeeeMode: 1
; LDSByteSize: 4112 bytes/workgroup (compile time only)
; SGPRBlocks: 12
; VGPRBlocks: 12
; NumSGPRsForWavesPerEU: 100
; NumVGPRsForWavesPerEU: 49
; Occupancy: 4
; WaveLimiterHint : 1
; COMPUTE_PGM_RSRC2:SCRATCH_EN: 0
; COMPUTE_PGM_RSRC2:USER_SGPR: 6
; COMPUTE_PGM_RSRC2:TRAP_HANDLER: 0
; COMPUTE_PGM_RSRC2:TGID_X_EN: 1
; COMPUTE_PGM_RSRC2:TGID_Y_EN: 1
; COMPUTE_PGM_RSRC2:TGID_Z_EN: 1
; COMPUTE_PGM_RSRC2:TIDIG_COMP_CNT: 0
	.section	.text._ZN2at6native12_GLOBAL__N_114gatherKthValueIsiLin1EEEvNS_4cuda6detail10TensorInfoIKT_T0_EES8_S8_S8_S8_NS5_IS6_S8_EENS5_IlS8_EE,"axG",@progbits,_ZN2at6native12_GLOBAL__N_114gatherKthValueIsiLin1EEEvNS_4cuda6detail10TensorInfoIKT_T0_EES8_S8_S8_S8_NS5_IS6_S8_EENS5_IlS8_EE,comdat
	.globl	_ZN2at6native12_GLOBAL__N_114gatherKthValueIsiLin1EEEvNS_4cuda6detail10TensorInfoIKT_T0_EES8_S8_S8_S8_NS5_IS6_S8_EENS5_IlS8_EE ; -- Begin function _ZN2at6native12_GLOBAL__N_114gatherKthValueIsiLin1EEEvNS_4cuda6detail10TensorInfoIKT_T0_EES8_S8_S8_S8_NS5_IS6_S8_EENS5_IlS8_EE
	.p2align	8
	.type	_ZN2at6native12_GLOBAL__N_114gatherKthValueIsiLin1EEEvNS_4cuda6detail10TensorInfoIKT_T0_EES8_S8_S8_S8_NS5_IS6_S8_EENS5_IlS8_EE,@function
_ZN2at6native12_GLOBAL__N_114gatherKthValueIsiLin1EEEvNS_4cuda6detail10TensorInfoIKT_T0_EES8_S8_S8_S8_NS5_IS6_S8_EENS5_IlS8_EE: ; @_ZN2at6native12_GLOBAL__N_114gatherKthValueIsiLin1EEEvNS_4cuda6detail10TensorInfoIKT_T0_EES8_S8_S8_S8_NS5_IS6_S8_EENS5_IlS8_EE
; %bb.0:
	s_load_dwordx2 s[12:13], s[4:5], 0x298
	s_load_dwordx4 s[60:63], s[4:5], 0xd8
	s_add_u32 s10, s4, 0x298
	s_addc_u32 s11, s5, 0
	s_waitcnt lgkmcnt(0)
	s_mul_i32 s0, s13, s8
	s_add_i32 s0, s0, s7
	s_mul_i32 s0, s0, s12
	s_add_i32 s33, s0, s6
	s_cmp_ge_i32 s33, s62
	s_cbranch_scc1 .LBB35_243
; %bb.1:
	s_load_dword s0, s[4:5], 0xd0
	s_mov_b32 s3, 0
	s_mov_b32 s2, s33
	s_waitcnt lgkmcnt(0)
	s_cmp_lt_i32 s0, 2
	s_cbranch_scc1 .LBB35_4
; %bb.2:
	s_add_i32 s2, s0, -1
	s_add_i32 s7, s0, 1
	s_lshl_b64 s[0:1], s[2:3], 2
	s_add_u32 s0, s4, s0
	s_addc_u32 s1, s5, s1
	s_add_u32 s0, s0, 8
	s_addc_u32 s1, s1, 0
	s_mov_b32 s2, s33
.LBB35_3:                               ; =>This Inner Loop Header: Depth=1
	s_load_dword s8, s[0:1], 0x0
	s_load_dword s13, s[0:1], 0x64
	s_mov_b32 s9, s2
	s_abs_i32 s2, s2
	s_waitcnt lgkmcnt(0)
	s_abs_i32 s15, s8
	v_cvt_f32_u32_e32 v1, s15
	s_sub_i32 s16, 0, s15
	s_xor_b32 s14, s9, s8
	s_ashr_i32 s14, s14, 31
	v_rcp_iflag_f32_e32 v1, v1
	v_mul_f32_e32 v1, 0x4f7ffffe, v1
	v_cvt_u32_f32_e32 v1, v1
	v_readfirstlane_b32 s17, v1
	s_mul_i32 s16, s16, s17
	s_mul_hi_u32 s16, s17, s16
	s_add_i32 s17, s17, s16
	s_mul_hi_u32 s16, s2, s17
	s_mul_i32 s17, s16, s15
	s_sub_i32 s2, s2, s17
	s_add_i32 s18, s16, 1
	s_sub_i32 s17, s2, s15
	s_cmp_ge_u32 s2, s15
	s_cselect_b32 s16, s18, s16
	s_cselect_b32 s2, s17, s2
	s_add_i32 s17, s16, 1
	s_cmp_ge_u32 s2, s15
	s_cselect_b32 s2, s17, s16
	s_xor_b32 s2, s2, s14
	s_sub_i32 s2, s2, s14
	s_mul_i32 s8, s2, s8
	s_sub_i32 s8, s9, s8
	s_mul_i32 s8, s13, s8
	s_add_i32 s7, s7, -1
	s_add_i32 s3, s8, s3
	s_add_u32 s0, s0, -4
	s_addc_u32 s1, s1, -1
	s_cmp_gt_u32 s7, 2
	s_cbranch_scc1 .LBB35_3
.LBB35_4:
	s_load_dword s8, s[4:5], 0x1b8
	s_add_u32 s0, s4, 0xe8
	s_addc_u32 s1, s5, 0
	s_mov_b32 s65, 0
	s_mov_b32 s62, s33
	s_waitcnt lgkmcnt(0)
	s_cmp_lt_i32 s8, 2
	s_cbranch_scc1 .LBB35_7
; %bb.5:
	s_add_i32 s64, s8, -1
	s_add_i32 s7, s8, 1
	s_lshl_b64 s[8:9], s[64:65], 2
	s_add_u32 s8, s0, s8
	s_addc_u32 s9, s1, s9
	s_add_u32 s8, s8, 8
	s_addc_u32 s9, s9, 0
	s_mov_b32 s62, s33
.LBB35_6:                               ; =>This Inner Loop Header: Depth=1
	s_load_dword s13, s[8:9], 0x0
	s_load_dword s15, s[8:9], 0x64
	s_abs_i32 s16, s62
	s_mov_b32 s14, s62
	s_waitcnt lgkmcnt(0)
	s_abs_i32 s18, s13
	v_cvt_f32_u32_e32 v1, s18
	s_sub_i32 s19, 0, s18
	s_xor_b32 s17, s62, s13
	s_ashr_i32 s17, s17, 31
	v_rcp_iflag_f32_e32 v1, v1
	v_mul_f32_e32 v1, 0x4f7ffffe, v1
	v_cvt_u32_f32_e32 v1, v1
	v_readfirstlane_b32 s20, v1
	s_mul_i32 s19, s19, s20
	s_mul_hi_u32 s19, s20, s19
	s_add_i32 s20, s20, s19
	s_mul_hi_u32 s19, s16, s20
	s_mul_i32 s20, s19, s18
	s_sub_i32 s16, s16, s20
	s_add_i32 s21, s19, 1
	s_sub_i32 s20, s16, s18
	s_cmp_ge_u32 s16, s18
	s_cselect_b32 s19, s21, s19
	s_cselect_b32 s16, s20, s16
	s_add_i32 s20, s19, 1
	s_cmp_ge_u32 s16, s18
	s_cselect_b32 s16, s20, s19
	s_xor_b32 s16, s16, s17
	s_sub_i32 s62, s16, s17
	s_mul_i32 s13, s62, s13
	s_sub_i32 s13, s14, s13
	s_mul_i32 s13, s15, s13
	s_add_i32 s7, s7, -1
	s_add_i32 s65, s13, s65
	s_add_u32 s8, s8, -4
	s_addc_u32 s9, s9, -1
	s_cmp_gt_u32 s7, 2
	s_cbranch_scc1 .LBB35_6
.LBB35_7:
	s_load_dword s7, s[4:5], 0x6c
	s_load_dword s14, s[4:5], 0x290
	s_add_u32 s8, s4, 0x1c0
	s_addc_u32 s9, s5, 0
	s_mov_b32 s67, 0
	s_waitcnt lgkmcnt(0)
	s_cmp_lt_i32 s14, 2
	s_cbranch_scc1 .LBB35_10
; %bb.8:
	s_add_i32 s66, s14, -1
	s_add_i32 s13, s14, 1
	s_lshl_b64 s[14:15], s[66:67], 2
	s_add_u32 s8, s8, s14
	s_addc_u32 s9, s9, s15
	s_add_u32 s8, s8, 8
	s_addc_u32 s9, s9, 0
.LBB35_9:                               ; =>This Inner Loop Header: Depth=1
	s_load_dword s14, s[8:9], 0x0
	s_load_dword s16, s[8:9], 0x64
	s_abs_i32 s17, s33
	s_mov_b32 s15, s33
	s_waitcnt lgkmcnt(0)
	s_abs_i32 s19, s14
	v_cvt_f32_u32_e32 v1, s19
	s_sub_i32 s20, 0, s19
	s_xor_b32 s18, s33, s14
	s_ashr_i32 s18, s18, 31
	v_rcp_iflag_f32_e32 v1, v1
	v_mul_f32_e32 v1, 0x4f7ffffe, v1
	v_cvt_u32_f32_e32 v1, v1
	v_readfirstlane_b32 s21, v1
	s_mul_i32 s20, s20, s21
	s_mul_hi_u32 s20, s21, s20
	s_add_i32 s21, s21, s20
	s_mul_hi_u32 s20, s17, s21
	s_mul_i32 s21, s20, s19
	s_sub_i32 s17, s17, s21
	s_add_i32 s22, s20, 1
	s_sub_i32 s21, s17, s19
	s_cmp_ge_u32 s17, s19
	s_cselect_b32 s20, s22, s20
	s_cselect_b32 s17, s21, s17
	s_add_i32 s21, s20, 1
	s_cmp_ge_u32 s17, s19
	s_cselect_b32 s17, s21, s20
	s_xor_b32 s17, s17, s18
	s_sub_i32 s33, s17, s18
	s_mul_i32 s14, s33, s14
	s_sub_i32 s14, s15, s14
	s_mul_i32 s14, s16, s14
	s_add_i32 s13, s13, -1
	s_add_i32 s67, s14, s67
	s_add_u32 s8, s8, -4
	s_addc_u32 s9, s9, -1
	s_cmp_gt_u32 s13, 2
	s_cbranch_scc1 .LBB35_9
.LBB35_10:
	s_load_dword s0, s[0:1], 0x6c
                                        ; implicit-def: $vgpr48 : SGPR spill to VGPR lane
	s_mov_b32 s78, 0
	s_waitcnt lgkmcnt(0)
	v_writelane_b32 v48, s0, 0
	s_load_dwordx2 s[8:9], s[4:5], 0x0
	s_load_dwordx2 s[0:1], s[4:5], 0xe8
	s_waitcnt lgkmcnt(0)
	v_writelane_b32 v48, s0, 1
	v_writelane_b32 v48, s1, 2
	s_load_dwordx2 s[0:1], s[4:5], 0x1c0
	s_waitcnt lgkmcnt(0)
	v_writelane_b32 v48, s0, 3
	v_writelane_b32 v48, s1, 4
	v_cmp_eq_u32_e64 s[0:1], 0, v0
	s_mov_b64 s[14:15], exec
	v_writelane_b32 v48, s0, 5
	v_writelane_b32 v48, s1, 6
	s_and_b64 s[0:1], s[14:15], s[0:1]
	s_mov_b64 exec, s[0:1]
; %bb.11:
	v_mov_b32_e32 v1, 0
	v_mov_b32_e32 v2, s60
	;; [unrolled: 1-line block ×3, first 2 shown]
	ds_write_b96 v1, v[1:3] offset:4096
; %bb.12:
	s_or_b64 exec, exec, s[14:15]
	s_load_dword s0, s[4:5], 0x22c
	s_waitcnt lgkmcnt(0)
	s_barrier
	v_mul_lo_u32 v5, s63, v0
	v_writelane_b32 v48, s0, 7
	s_mul_i32 s0, s7, s2
	s_load_dword s2, s[10:11], 0xc
	s_add_i32 s0, s0, s3
	s_ashr_i32 s1, s0, 31
	s_lshl_b64 s[0:1], s[0:1], 1
	s_add_u32 s64, s8, s0
	v_mbcnt_lo_u32_b32 v1, -1, 0
	s_addc_u32 s80, s9, s1
	s_waitcnt lgkmcnt(0)
	s_and_b32 s66, s2, 0xffff
	v_mbcnt_hi_u32_b32 v17, -1, v1
	v_mov_b32_e32 v7, 0
	v_cmp_gt_u32_e32 vcc, 64, v0
	v_cmp_gt_i32_e64 s[4:5], 4, v17
	s_add_i32 s1, s66, -1
	v_mov_b32_e32 v6, v7
	s_lshl_b32 s81, s66, 2
	s_bfe_u32 s0, s2, 0xa0006
	s_and_b64 s[72:73], vcc, s[4:5]
	s_add_i32 s17, s1, s60
	v_lshlrev_b64 v[1:2], 1, v[5:6]
	s_cmpk_gt_i32 s60, 0x600
	v_writelane_b32 v48, s1, 8
	s_cselect_b64 s[8:9], -1, 0
	v_mov_b32_e32 v20, s80
	v_add_co_u32_e32 v8, vcc, s64, v1
	v_writelane_b32 v48, s8, 9
	v_addc_co_u32_e32 v9, vcc, v20, v2, vcc
	v_lshlrev_b64 v[2:3], v17, -1
	v_writelane_b32 v48, s9, 10
	v_cmp_gt_u32_e64 s[8:9], s60, v0
	v_writelane_b32 v48, s8, 11
	v_not_b32_e32 v23, v2
	v_lshrrev_b32_e32 v2, 2, v0
	v_writelane_b32 v48, s9, 12
	v_cmp_gt_i32_e64 s[8:9], s60, v0
	v_and_b32_e32 v2, 0xf0, v2
	v_writelane_b32 v48, s8, 13
	s_cmp_gt_u32 s66, 63
	v_or_b32_e32 v24, 0xc00, v2
	v_cvt_f32_u32_e32 v2, s81
	v_writelane_b32 v48, s9, 14
	s_cselect_b64 s[8:9], -1, 0
	s_cmp_lt_u32 s6, s12
	s_cselect_b32 s1, 12, 18
	v_writelane_b32 v48, s8, 15
	s_add_u32 s6, s10, s1
	v_writelane_b32 v48, s9, 16
	s_addc_u32 s7, s11, 0
	v_rcp_iflag_f32_e32 v2, v2
	v_writelane_b32 v48, s6, 17
	s_add_i32 s1, s0, -1
	v_writelane_b32 v48, s7, 18
	s_bfe_u32 s6, s66, 0x30006
	s_and_b32 s1, s1, 0xffff
	s_cmp_gt_u32 s1, 6
	s_cselect_b64 s[8:9], -1, 0
	v_mul_f32_e32 v2, 0x4f7ffffe, v2
	v_writelane_b32 v48, s8, 19
	s_and_b32 s79, s0, 0x3f8
	v_cvt_u32_f32_e32 v2, v2
	v_writelane_b32 v48, s9, 20
	s_cmp_lg_u32 s6, 0
	v_writelane_b32 v48, s6, 21
	s_cselect_b64 s[0:1], -1, 0
	v_writelane_b32 v48, s0, 22
	v_writelane_b32 v48, s1, 23
	s_sub_i32 s0, 0, s81
	v_readfirstlane_b32 s1, v2
	s_mul_i32 s0, s0, s1
	s_mul_hi_u32 s0, s1, s0
	s_add_i32 s8, s1, s0
	s_mul_hi_u32 s0, s60, s8
	s_mul_i32 s0, s0, s81
	s_sub_i32 s0, s60, s0
	s_sub_i32 s1, s0, s81
	s_cmp_ge_u32 s0, s81
	s_cselect_b32 s0, s1, s0
	s_sub_i32 s1, s0, s81
	s_cmp_ge_u32 s0, s81
	s_cselect_b32 s0, s1, s0
	s_sub_i32 s9, s60, s0
	v_add_u32_e32 v25, s9, v0
	v_cvt_f32_u32_e32 v4, s66
	v_mul_lo_u32 v2, v25, s63
	v_not_b32_e32 v22, v3
	v_lshlrev_b32_e32 v16, 2, v0
	v_rcp_iflag_f32_e32 v4, v4
	v_ashrrev_i32_e32 v3, 31, v2
	v_lshlrev_b64 v[2:3], 1, v[2:3]
	v_cmp_gt_i32_e64 s[6:7], s9, v16
	v_add_co_u32_e32 v10, vcc, s64, v2
	v_mul_f32_e32 v2, 0x4f7ffffe, v4
	v_cvt_u32_f32_e32 v2, v2
	v_writelane_b32 v48, s6, 24
	v_writelane_b32 v48, s7, 25
	s_sub_i32 s7, 0, s66
	v_readfirstlane_b32 s10, v2
	s_mul_i32 s7, s7, s10
	s_mul_hi_u32 s7, s10, s7
	s_abs_i32 s6, s17
	s_add_i32 s7, s10, s7
	v_writelane_b32 v48, s7, 26
	s_mul_hi_u32 s7, s6, s7
	s_mul_i32 s7, s7, s66
	s_sub_i32 s6, s6, s7
	s_ashr_i32 s1, s17, 31
	s_sub_i32 s7, s6, s66
	s_cmp_ge_u32 s6, s66
	s_cselect_b32 s6, s7, s6
	s_sub_i32 s7, s6, s66
	v_mul_lo_u32 v2, s63, v16
	s_cmp_ge_u32 s6, s66
	s_cselect_b32 s6, s7, s6
	s_xor_b32 s6, s6, s1
	s_sub_i32 s1, s1, s6
	v_add_u32_e32 v26, s63, v2
	v_or_b32_e32 v2, 2, v16
	s_add_i32 s17, s17, s1
	v_mul_lo_u32 v27, s63, v2
	v_or_b32_e32 v2, 3, v16
	s_add_i32 s1, s66, s60
	v_mul_lo_u32 v28, s63, v2
	v_add_u32_e32 v2, s1, v0
	v_subrev_u32_e32 v2, s0, v2
	v_mul_lo_u32 v31, s63, v2
	v_lshlrev_b32_e32 v18, 1, v0
	v_lshlrev_b32_e32 v1, 2, v17
	v_mov_b32_e32 v6, s80
	v_cmp_gt_i32_e64 s[6:7], s17, v0
	s_mul_i32 s82, s63, s66
	v_cmp_eq_u32_e64 s[2:3], 0, v17
	v_cmp_gt_u32_e64 s[4:5], 2, v0
	v_add_u32_e32 v19, 0xc00, v18
	v_and_b32_e32 v21, 0x100, v1
	v_cmp_gt_u32_e64 s[12:13], s60, v25
	v_addc_co_u32_e32 v11, vcc, v6, v3, vcc
	v_cmp_gt_i32_e64 s[14:15], s60, v25
	v_writelane_b32 v48, s6, 27
	s_lshl_b32 s83, s82, 2
	v_lshlrev_b32_e32 v29, 2, v5
	v_lshlrev_b32_e32 v32, 3, v0
	s_lshl_b32 s16, s66, 3
	s_lshl_b32 s0, s66, 1
	v_or_b32_e32 v33, 0xc00, v1
	s_mov_b64 s[84:85], 0
	v_mov_b32_e32 v34, 14
	v_mov_b32_e32 v38, s61
	s_mov_b32 s1, 0x8000
	v_mov_b32_e32 v35, 0x5040100
	v_mov_b32_e32 v37, 0
	;; [unrolled: 1-line block ×4, first 2 shown]
	v_writelane_b32 v48, s7, 28
                                        ; implicit-def: $sgpr86_sgpr87
                                        ; implicit-def: $sgpr90_sgpr91
                                        ; implicit-def: $sgpr88_sgpr89
                                        ; implicit-def: $sgpr94_sgpr95
                                        ; implicit-def: $sgpr68_sgpr69
                                        ; implicit-def: $sgpr92_sgpr93
	s_branch .LBB35_16
.LBB35_13:                              ;   in Loop: Header=BB35_16 Depth=1
	s_or_b64 exec, exec, s[28:29]
	s_and_b64 s[22:23], s[22:23], exec
	s_andn2_b64 s[26:27], s[26:27], exec
	s_andn2_b64 s[24:25], s[24:25], exec
	s_orn2_b64 s[20:21], s[20:21], exec
.LBB35_14:                              ;   in Loop: Header=BB35_16 Depth=1
	s_or_b64 exec, exec, s[18:19]
	s_andn2_b64 s[18:19], s[92:93], exec
	s_and_b64 s[22:23], s[22:23], exec
	s_or_b64 s[92:93], s[18:19], s[22:23]
	s_andn2_b64 s[18:19], s[68:69], exec
	s_and_b64 s[22:23], s[26:27], exec
	s_or_b64 s[68:69], s[18:19], s[22:23]
	s_andn2_b64 s[18:19], s[94:95], exec
	s_and_b64 s[22:23], s[24:25], exec
	s_or_b64 s[94:95], s[18:19], s[22:23]
	s_orn2_b64 s[20:21], s[20:21], exec
.LBB35_15:                              ;   in Loop: Header=BB35_16 Depth=1
	s_or_b64 exec, exec, s[6:7]
	s_and_b64 s[6:7], exec, s[20:21]
	s_or_b64 s[84:85], s[6:7], s[84:85]
	s_andn2_b64 s[6:7], s[88:89], exec
	s_and_b64 s[18:19], s[92:93], exec
	s_or_b64 s[88:89], s[6:7], s[18:19]
	s_andn2_b64 s[6:7], s[90:91], exec
	s_and_b64 s[18:19], s[68:69], exec
	;; [unrolled: 3-line block ×3, first 2 shown]
	s_or_b64 s[86:87], s[6:7], s[18:19]
	s_mov_b32 s78, s10
	v_mov_b32_e32 v38, v12
	s_andn2_b64 exec, exec, s[84:85]
	s_cbranch_execz .LBB35_239
.LBB35_16:                              ; =>This Loop Header: Depth=1
                                        ;     Child Loop BB35_21 Depth 2
                                        ;     Child Loop BB35_36 Depth 2
	;; [unrolled: 1-line block ×16, first 2 shown]
	ds_read_b64 v[1:2], v7 offset:4096
	s_waitcnt lgkmcnt(0)
	v_readfirstlane_b32 s61, v1
	s_cmp_gt_i32 s61, 0
	s_cbranch_scc1 .LBB35_43
; %bb.17:                               ;   in Loop: Header=BB35_16 Depth=1
	v_readlane_b32 s6, v48, 9
	v_readlane_b32 s7, v48, 10
	s_and_b64 vcc, exec, s[6:7]
	s_cbranch_vccz .LBB35_29
; %bb.18:                               ;   in Loop: Header=BB35_16 Depth=1
	s_movk_i32 s6, 0x601
	v_cmp_gt_i32_e32 vcc, s6, v2
	s_mov_b64 s[18:19], 0
	s_mov_b64 s[6:7], 0
	s_cbranch_vccz .LBB35_30
; %bb.19:                               ;   in Loop: Header=BB35_16 Depth=1
	v_readlane_b32 s6, v48, 17
	v_readlane_b32 s7, v48, 18
	s_nop 4
	global_load_ushort v1, v7, s[6:7]
	global_load_ushort v3, v[8:9], off
	s_mov_b64 s[20:21], 0
	v_mov_b32_e32 v4, v0
	s_waitcnt vmcnt(1)
	v_add_u32_e32 v2, v0, v1
	v_mul_lo_u32 v6, s63, v2
	v_mul_lo_u32 v2, s63, v1
	s_branch .LBB35_21
.LBB35_20:                              ;   in Loop: Header=BB35_21 Depth=2
	s_or_b64 exec, exec, s[6:7]
	v_cmp_le_i32_e32 vcc, s60, v4
	v_add_u32_e32 v6, v6, v2
	s_or_b64 s[20:21], vcc, s[20:21]
	v_mov_b32_e32 v3, v12
	s_andn2_b64 exec, exec, s[20:21]
	s_cbranch_execz .LBB35_75
.LBB35_21:                              ;   Parent Loop BB35_16 Depth=1
                                        ; =>  This Inner Loop Header: Depth=2
	v_add_u32_e32 v4, v4, v1
	v_cmp_gt_u32_e32 vcc, s60, v4
	s_waitcnt lgkmcnt(0)
	v_mov_b32_e32 v13, 0
	v_mov_b32_e32 v12, 0
	s_and_saveexec_b64 s[6:7], vcc
	s_cbranch_execz .LBB35_23
; %bb.22:                               ;   in Loop: Header=BB35_21 Depth=2
	v_lshlrev_b64 v[14:15], 1, v[6:7]
	v_add_co_u32_e32 v14, vcc, s64, v14
	v_addc_co_u32_e32 v15, vcc, v20, v15, vcc
	global_load_ushort v12, v[14:15], off
.LBB35_23:                              ;   in Loop: Header=BB35_21 Depth=2
	s_or_b64 exec, exec, s[6:7]
	s_waitcnt vmcnt(0)
	v_add_u32_sdwa v14, sext(v3), s1 dst_sel:DWORD dst_unused:UNUSED_PAD src0_sel:WORD_0 src1_sel:DWORD
	v_and_b32_e32 v14, v14, v36
	v_cmp_eq_u32_e32 vcc, v14, v30
	s_cmp_lg_u64 vcc, 0
	s_cselect_b64 s[6:7], -1, 0
	s_and_b64 s[6:7], s[2:3], s[6:7]
	s_and_saveexec_b64 s[22:23], s[6:7]
	s_cbranch_execz .LBB35_27
; %bb.24:                               ;   in Loop: Header=BB35_21 Depth=2
	s_mov_b64 s[26:27], exec
	v_mbcnt_lo_u32_b32 v13, s26, 0
	v_mbcnt_hi_u32_b32 v13, s27, v13
	s_bcnt1_i32_b64 s10, vcc
	v_cmp_eq_u32_e64 s[6:7], 0, v13
                                        ; implicit-def: $vgpr14
	s_and_saveexec_b64 s[24:25], s[6:7]
; %bb.25:                               ;   in Loop: Header=BB35_21 Depth=2
	s_bcnt1_i32_b64 s6, s[26:27]
	s_mul_i32 s6, s10, s6
	v_mov_b32_e32 v14, s6
	ds_add_rtn_u32 v14, v7, v14 offset:4104
; %bb.26:                               ;   in Loop: Header=BB35_21 Depth=2
	s_or_b64 exec, exec, s[24:25]
	s_waitcnt lgkmcnt(0)
	v_readfirstlane_b32 s6, v14
	v_mov_b32_e32 v14, s6
	v_mad_u32_u24 v13, s10, v13, v14
.LBB35_27:                              ;   in Loop: Header=BB35_21 Depth=2
	s_or_b64 exec, exec, s[22:23]
	ds_bpermute_b32 v13, v21, v13
	s_and_saveexec_b64 s[6:7], vcc
	s_cbranch_execz .LBB35_20
; %bb.28:                               ;   in Loop: Header=BB35_21 Depth=2
	v_and_b32_e32 v15, vcc_lo, v23
	v_and_b32_e32 v14, vcc_hi, v22
	v_bcnt_u32_b32 v15, v15, 0
	v_bcnt_u32_b32 v14, v14, v15
	v_lshlrev_b32_e32 v14, 1, v14
	s_waitcnt lgkmcnt(0)
	v_lshl_add_u32 v13, v13, 1, v14
	ds_write_b16 v13, v3
	s_branch .LBB35_20
.LBB35_29:                              ;   in Loop: Header=BB35_16 Depth=1
	s_mov_b64 s[18:19], -1
	s_mov_b64 s[6:7], 0
.LBB35_30:                              ;   in Loop: Header=BB35_16 Depth=1
	s_and_b64 vcc, exec, s[18:19]
	s_cbranch_vccz .LBB35_41
.LBB35_31:                              ;   in Loop: Header=BB35_16 Depth=1
	v_mov_b32_e32 v1, 0
	s_mov_b64 s[6:7], exec
	v_readlane_b32 s10, v48, 11
	v_readlane_b32 s11, v48, 12
	s_and_b64 s[10:11], s[6:7], s[10:11]
	s_mov_b64 exec, s[10:11]
	s_cbranch_execz .LBB35_33
; %bb.32:                               ;   in Loop: Header=BB35_16 Depth=1
	global_load_ushort v1, v[8:9], off
.LBB35_33:                              ;   in Loop: Header=BB35_16 Depth=1
	s_or_b64 exec, exec, s[6:7]
	s_mov_b64 s[6:7], exec
	v_readlane_b32 s10, v48, 13
	v_readlane_b32 s11, v48, 14
	s_and_b64 s[10:11], s[6:7], s[10:11]
	s_mov_b64 exec, s[10:11]
	s_cbranch_execz .LBB35_38
; %bb.34:                               ;   in Loop: Header=BB35_16 Depth=1
	v_readlane_b32 s10, v48, 17
	v_readlane_b32 s11, v48, 18
	s_mov_b64 s[18:19], 0
	v_mov_b32_e32 v12, v18
	v_mov_b32_e32 v13, v0
	s_nop 1
	global_load_ushort v2, v7, s[10:11]
	s_waitcnt vmcnt(0)
	v_add_u32_e32 v4, v0, v2
	v_mul_lo_u32 v6, s63, v4
	v_mul_lo_u32 v4, s63, v2
	v_lshlrev_b32_e32 v3, 1, v2
	s_branch .LBB35_36
.LBB35_35:                              ;   in Loop: Header=BB35_36 Depth=2
	s_or_b64 exec, exec, s[20:21]
	v_cmp_le_i32_e32 vcc, s60, v13
	ds_write_b16 v12, v1
	v_add_u32_e32 v12, v12, v3
	v_add_u32_e32 v6, v6, v4
	s_or_b64 s[18:19], vcc, s[18:19]
	s_waitcnt vmcnt(0)
	v_mov_b32_e32 v1, v14
	s_andn2_b64 exec, exec, s[18:19]
	s_cbranch_execz .LBB35_38
.LBB35_36:                              ;   Parent Loop BB35_16 Depth=1
                                        ; =>  This Inner Loop Header: Depth=2
	v_add_u32_e32 v13, v13, v2
	v_cmp_gt_u32_e32 vcc, s60, v13
	v_mov_b32_e32 v14, 0
	s_and_saveexec_b64 s[20:21], vcc
	s_cbranch_execz .LBB35_35
; %bb.37:                               ;   in Loop: Header=BB35_36 Depth=2
	v_lshlrev_b64 v[14:15], 1, v[6:7]
	v_mov_b32_e32 v39, s80
	v_add_co_u32_e32 v14, vcc, s64, v14
	v_addc_co_u32_e32 v15, vcc, v39, v15, vcc
	global_load_ushort v14, v[14:15], off
	s_branch .LBB35_35
.LBB35_38:                              ;   in Loop: Header=BB35_16 Depth=1
	s_or_b64 exec, exec, s[6:7]
	s_waitcnt vmcnt(0) lgkmcnt(0)
	s_barrier
	s_mov_b64 s[6:7], exec
	v_readlane_b32 s10, v48, 5
	v_readlane_b32 s11, v48, 6
	s_and_b64 s[10:11], s[6:7], s[10:11]
	s_mov_b64 exec, s[10:11]
; %bb.39:                               ;   in Loop: Header=BB35_16 Depth=1
	v_mov_b32_e32 v1, s60
	ds_write_b32 v7, v1 offset:4096
; %bb.40:                               ;   in Loop: Header=BB35_16 Depth=1
	s_or_b64 exec, exec, s[6:7]
	s_mov_b64 s[6:7], -1
	s_waitcnt lgkmcnt(0)
	s_barrier
.LBB35_41:                              ;   in Loop: Header=BB35_16 Depth=1
	s_and_b64 vcc, exec, s[6:7]
	s_cbranch_vccz .LBB35_43
; %bb.42:                               ;   in Loop: Header=BB35_16 Depth=1
	ds_read_b32 v1, v7 offset:4096
	s_waitcnt lgkmcnt(0)
	v_readfirstlane_b32 s61, v1
.LBB35_43:                              ;   in Loop: Header=BB35_16 Depth=1
	s_cmp_lt_i32 s61, 1
	s_mov_b64 s[6:7], -1
                                        ; implicit-def: $vgpr1
	s_cbranch_scc1 .LBB35_53
; %bb.44:                               ;   in Loop: Header=BB35_16 Depth=1
	s_and_b64 vcc, exec, s[6:7]
	s_cbranch_vccnz .LBB35_66
.LBB35_45:                              ;   in Loop: Header=BB35_16 Depth=1
	s_lshl_b32 s10, s78, 6
	s_and_saveexec_b64 s[6:7], s[2:3]
.LBB35_46:                              ;   in Loop: Header=BB35_16 Depth=1
	v_lshl_add_u32 v6, s10, 2, v24
	ds_write_b128 v6, v[1:4]
.LBB35_47:                              ;   in Loop: Header=BB35_16 Depth=1
	s_or_b64 exec, exec, s[6:7]
	s_waitcnt vmcnt(0) lgkmcnt(0)
	s_barrier
	s_and_saveexec_b64 s[6:7], s[72:73]
	s_cbranch_execz .LBB35_83
; %bb.48:                               ;   in Loop: Header=BB35_16 Depth=1
	v_readlane_b32 s18, v48, 15
	v_readlane_b32 s19, v48, 16
	s_andn2_b64 vcc, exec, s[18:19]
	v_mov_b32_e32 v1, 0
	s_cbranch_vccnz .LBB35_82
; %bb.49:                               ;   in Loop: Header=BB35_16 Depth=1
	v_readlane_b32 s18, v48, 19
	v_readlane_b32 s19, v48, 20
	s_andn2_b64 vcc, exec, s[18:19]
	s_cbranch_vccnz .LBB35_78
; %bb.50:                               ;   in Loop: Header=BB35_16 Depth=1
	v_lshl_add_u32 v2, s78, 8, v33
	s_mov_b32 s11, 0
	v_mov_b32_e32 v1, 0
.LBB35_51:                              ;   Parent Loop BB35_16 Depth=1
                                        ; =>  This Inner Loop Header: Depth=2
	ds_read2_b32 v[3:4], v2 offset1:4
	ds_read2_b32 v[12:13], v2 offset0:8 offset1:12
	ds_read2_b32 v[14:15], v2 offset0:16 offset1:20
	;; [unrolled: 1-line block ×3, first 2 shown]
	s_add_i32 s11, s11, 8
	s_waitcnt lgkmcnt(3)
	v_add3_u32 v1, v3, v1, v4
	s_waitcnt lgkmcnt(2)
	v_add3_u32 v1, v12, v1, v13
	;; [unrolled: 2-line block ×3, first 2 shown]
	v_add_u32_e32 v2, 0x80, v2
	s_cmp_eq_u32 s79, s11
	s_waitcnt lgkmcnt(0)
	v_add3_u32 v1, v39, v1, v40
	s_cbranch_scc0 .LBB35_51
; %bb.52:                               ;   in Loop: Header=BB35_16 Depth=1
	s_mov_b32 s11, s79
	s_branch .LBB35_79
.LBB35_53:                              ;   in Loop: Header=BB35_16 Depth=1
	v_mov_b32_e32 v1, 0
	v_mov_b32_e32 v2, 0
	;; [unrolled: 1-line block ×4, first 2 shown]
	s_mov_b64 s[70:71], exec
	v_readlane_b32 s6, v48, 24
	v_readlane_b32 s7, v48, 25
	s_and_b64 s[6:7], s[70:71], s[6:7]
	s_mov_b64 exec, s[6:7]
	s_cbranch_execnz .LBB35_56
; %bb.54:                               ;   in Loop: Header=BB35_16 Depth=1
	s_or_b64 exec, exec, s[70:71]
	v_mov_b32_e32 v14, 0
	s_and_saveexec_b64 s[6:7], s[12:13]
	s_cbranch_execnz .LBB35_59
.LBB35_55:                              ;   in Loop: Header=BB35_16 Depth=1
	s_or_b64 exec, exec, s[6:7]
	s_and_saveexec_b64 s[18:19], s[14:15]
	s_cbranch_execnz .LBB35_60
	s_branch .LBB35_65
.LBB35_56:                              ;   in Loop: Header=BB35_16 Depth=1
	s_mov_b32 s74, 0
	s_mov_b64 s[18:19], 0
	s_mov_b32 s75, 0
	s_mov_b32 s76, 0
	;; [unrolled: 1-line block ×4, first 2 shown]
	v_mov_b32_e32 v6, v16
.LBB35_57:                              ;   Parent Loop BB35_16 Depth=1
                                        ; =>  This Inner Loop Header: Depth=2
	v_add_u32_e32 v1, s74, v29
	v_ashrrev_i32_e32 v2, 31, v1
	v_add_u32_e32 v3, s74, v26
	v_lshlrev_b64 v[1:2], 1, v[1:2]
	v_ashrrev_i32_e32 v4, 31, v3
	v_mov_b32_e32 v39, s80
	v_add_u32_e32 v12, s74, v27
	v_lshlrev_b64 v[3:4], 1, v[3:4]
	v_add_co_u32_e64 v1, s[6:7], s64, v1
	v_ashrrev_i32_e32 v13, 31, v12
	v_addc_co_u32_e64 v2, s[6:7], v39, v2, s[6:7]
	v_add_u32_e32 v14, s74, v28
	v_lshlrev_b64 v[12:13], 1, v[12:13]
	v_add_co_u32_e64 v3, s[6:7], s64, v3
	v_ashrrev_i32_e32 v15, 31, v14
	v_addc_co_u32_e64 v4, s[6:7], v39, v4, s[6:7]
	v_lshlrev_b64 v[14:15], 1, v[14:15]
	v_add_co_u32_e64 v12, s[6:7], s64, v12
	v_addc_co_u32_e64 v13, s[6:7], v39, v13, s[6:7]
	v_add_co_u32_e64 v14, s[6:7], s64, v14
	v_addc_co_u32_e64 v15, s[6:7], v39, v15, s[6:7]
	global_load_sshort v1, v[1:2], off
	s_nop 0
	global_load_sshort v2, v[3:4], off
	s_nop 0
	global_load_sshort v3, v[12:13], off
	global_load_sshort v4, v[14:15], off
	v_add_u32_e32 v6, s81, v6
	s_add_i32 s74, s74, s83
	v_cmp_le_i32_e32 vcc, s9, v6
	s_waitcnt vmcnt(3)
	v_add_u32_e32 v1, 0x8000, v1
	s_waitcnt vmcnt(2)
	v_add_u32_e32 v2, 0x8000, v2
	v_and_b32_e32 v12, v1, v36
	v_bfe_u32 v1, v1, v34, 2
	s_waitcnt vmcnt(1)
	v_add_u32_e32 v3, 0x8000, v3
	v_and_b32_e32 v13, v2, v36
	v_bfe_u32 v2, v2, v34, 2
	v_cmp_eq_u32_e64 s[6:7], v12, v30
	v_cmp_eq_u32_e64 s[26:27], 0, v1
	s_waitcnt vmcnt(0)
	v_add_u32_e32 v4, 0x8000, v4
	v_and_b32_e32 v14, v3, v36
	v_bfe_u32 v3, v3, v34, 2
	v_cmp_eq_u32_e64 s[20:21], v13, v30
	v_cmp_eq_u32_e64 s[28:29], 0, v2
	s_and_b64 s[26:27], s[6:7], s[26:27]
	v_and_b32_e32 v15, v4, v36
	v_bfe_u32 v4, v4, v34, 2
	v_cmp_eq_u32_e64 s[22:23], v14, v30
	v_cmp_eq_u32_e64 s[30:31], 0, v3
	;; [unrolled: 1-line block ×5, first 2 shown]
	v_cndmask_b32_e64 v1, 0, 1, s[26:27]
	s_and_b64 s[26:27], s[20:21], s[28:29]
	v_cmp_eq_u32_e64 s[24:25], v15, v30
	v_cmp_eq_u32_e64 s[34:35], 0, v4
	;; [unrolled: 1-line block ×5, first 2 shown]
	v_cndmask_b32_e64 v2, 0, 1, s[26:27]
	s_and_b64 s[26:27], s[22:23], s[30:31]
	v_cmp_eq_u32_e64 s[40:41], 1, v3
	v_cmp_eq_u32_e64 s[48:49], 2, v3
	;; [unrolled: 1-line block ×3, first 2 shown]
	v_cndmask_b32_e64 v3, 0, 1, s[26:27]
	s_and_b64 s[26:27], s[24:25], s[34:35]
	v_cmp_eq_u32_e64 s[42:43], 1, v4
	v_cmp_eq_u32_e64 s[50:51], 2, v4
	;; [unrolled: 1-line block ×3, first 2 shown]
	v_cndmask_b32_e64 v4, 0, 1, s[26:27]
	s_and_b64 s[26:27], s[6:7], s[36:37]
	v_cndmask_b32_e64 v12, 0, 1, s[26:27]
	s_and_b64 s[26:27], s[20:21], s[38:39]
	;; [unrolled: 2-line block ×5, first 2 shown]
	s_and_b64 s[6:7], s[6:7], s[52:53]
	v_cndmask_b32_e64 v39, 0, 1, s[26:27]
	s_and_b64 s[26:27], s[20:21], s[46:47]
	v_cndmask_b32_e64 v43, 0, 1, s[6:7]
	;; [unrolled: 2-line block ×7, first 2 shown]
	v_cndmask_b32_e64 v46, 0, 1, s[6:7]
	v_cmp_ne_u32_e64 s[6:7], 0, v1
	v_cmp_ne_u32_e64 s[20:21], 0, v2
	;; [unrolled: 1-line block ×11, first 2 shown]
	s_bcnt1_i32_b64 s6, s[6:7]
	s_bcnt1_i32_b64 s7, s[20:21]
	;; [unrolled: 1-line block ×8, first 2 shown]
	v_cmp_ne_u32_e64 s[40:41], 0, v41
	v_cmp_ne_u32_e64 s[48:49], 0, v45
	s_bcnt1_i32_b64 s23, s[30:31]
	s_bcnt1_i32_b64 s26, s[38:39]
	s_bcnt1_i32_b64 s30, s[46:47]
	s_add_i32 s6, s10, s6
	s_add_i32 s10, s77, s21
	;; [unrolled: 1-line block ×4, first 2 shown]
	v_cmp_ne_u32_e64 s[34:35], 0, v15
	v_cmp_ne_u32_e64 s[42:43], 0, v42
	;; [unrolled: 1-line block ×3, first 2 shown]
	s_bcnt1_i32_b64 s27, s[40:41]
	s_bcnt1_i32_b64 s31, s[48:49]
	s_add_i32 s6, s6, s7
	s_add_i32 s7, s10, s22
	;; [unrolled: 1-line block ×4, first 2 shown]
	s_bcnt1_i32_b64 s24, s[34:35]
	s_bcnt1_i32_b64 s28, s[42:43]
	;; [unrolled: 1-line block ×3, first 2 shown]
	s_add_i32 s6, s6, s11
	s_add_i32 s7, s7, s23
	;; [unrolled: 1-line block ×8, first 2 shown]
	s_or_b64 s[18:19], vcc, s[18:19]
	v_mov_b32_e32 v1, s10
	v_mov_b32_e32 v2, s77
	;; [unrolled: 1-line block ×4, first 2 shown]
	s_andn2_b64 exec, exec, s[18:19]
	s_cbranch_execnz .LBB35_57
; %bb.58:                               ;   in Loop: Header=BB35_16 Depth=1
	s_or_b64 exec, exec, s[18:19]
	s_or_b64 exec, exec, s[70:71]
	v_mov_b32_e32 v14, 0
	s_and_saveexec_b64 s[6:7], s[12:13]
	s_cbranch_execz .LBB35_55
.LBB35_59:                              ;   in Loop: Header=BB35_16 Depth=1
	global_load_ushort v14, v[10:11], off
	s_or_b64 exec, exec, s[6:7]
	s_and_saveexec_b64 s[18:19], s[14:15]
	s_cbranch_execz .LBB35_65
.LBB35_60:                              ;   in Loop: Header=BB35_16 Depth=1
	s_mov_b64 s[20:21], 0
	v_mov_b32_e32 v12, v31
	v_mov_b32_e32 v6, v25
	s_branch .LBB35_62
.LBB35_61:                              ;   in Loop: Header=BB35_62 Depth=2
	s_or_b64 exec, exec, s[6:7]
	s_waitcnt vmcnt(0)
	v_add_u32_sdwa v14, sext(v14), s1 dst_sel:DWORD dst_unused:UNUSED_PAD src0_sel:WORD_0 src1_sel:DWORD
	v_and_b32_e32 v15, v14, v36
	v_bfe_u32 v14, v14, v34, 2
	v_cmp_eq_u32_e32 vcc, v15, v30
	v_cmp_eq_u32_e64 s[6:7], 0, v14
	s_and_b64 s[6:7], vcc, s[6:7]
	v_cndmask_b32_e64 v15, 0, 1, s[6:7]
	v_cmp_ne_u32_e64 s[6:7], 0, v15
	s_bcnt1_i32_b64 s6, s[6:7]
	v_add_u32_e32 v1, s6, v1
	v_cmp_eq_u32_e64 s[6:7], 1, v14
	s_and_b64 s[6:7], vcc, s[6:7]
	v_cndmask_b32_e64 v15, 0, 1, s[6:7]
	v_cmp_ne_u32_e64 s[6:7], 0, v15
	s_bcnt1_i32_b64 s6, s[6:7]
	v_add_u32_e32 v2, s6, v2
	;; [unrolled: 6-line block ×3, first 2 shown]
	v_cmp_eq_u32_e64 s[6:7], 3, v14
	s_and_b64 s[6:7], vcc, s[6:7]
	v_cndmask_b32_e64 v14, 0, 1, s[6:7]
	v_cmp_ne_u32_e32 vcc, 0, v14
	s_bcnt1_i32_b64 s6, vcc
	v_cmp_le_i32_e32 vcc, s60, v6
	v_add_u32_e32 v4, s6, v4
	v_add_u32_e32 v12, s82, v12
	s_or_b64 s[20:21], vcc, s[20:21]
	v_mov_b32_e32 v14, v13
	s_andn2_b64 exec, exec, s[20:21]
	s_cbranch_execz .LBB35_64
.LBB35_62:                              ;   Parent Loop BB35_16 Depth=1
                                        ; =>  This Inner Loop Header: Depth=2
	v_add_u32_e32 v6, s66, v6
	v_cmp_gt_u32_e32 vcc, s60, v6
	v_mov_b32_e32 v13, 0
	s_and_saveexec_b64 s[6:7], vcc
	s_cbranch_execz .LBB35_61
; %bb.63:                               ;   in Loop: Header=BB35_62 Depth=2
	v_ashrrev_i32_e32 v13, 31, v12
	v_lshlrev_b64 v[39:40], 1, v[12:13]
	v_mov_b32_e32 v13, s80
	v_add_co_u32_e32 v39, vcc, s64, v39
	v_addc_co_u32_e32 v40, vcc, v13, v40, vcc
	global_load_ushort v13, v[39:40], off
	s_branch .LBB35_61
.LBB35_64:                              ;   in Loop: Header=BB35_16 Depth=1
	s_or_b64 exec, exec, s[20:21]
.LBB35_65:                              ;   in Loop: Header=BB35_16 Depth=1
	s_or_b64 exec, exec, s[18:19]
	s_branch .LBB35_45
.LBB35_66:                              ;   in Loop: Header=BB35_16 Depth=1
	s_mul_hi_u32 s6, s61, s8
	s_mul_i32 s6, s6, s81
	s_sub_i32 s6, s61, s6
	s_sub_i32 s7, s6, s81
	s_cmp_ge_u32 s6, s81
	s_cselect_b32 s6, s7, s6
	s_sub_i32 s7, s6, s81
	s_cmp_ge_u32 s6, s81
	s_cselect_b32 s6, s7, s6
	s_sub_i32 s10, s61, s6
	v_cmp_gt_u32_e32 vcc, s10, v16
	v_mov_b32_e32 v1, 0
	v_mov_b32_e32 v2, 0
	;; [unrolled: 1-line block ×4, first 2 shown]
	s_and_saveexec_b64 s[18:19], vcc
	s_cbranch_execz .LBB35_70
; %bb.67:                               ;   in Loop: Header=BB35_16 Depth=1
	s_mov_b32 s11, 0
	s_mov_b64 s[70:71], 0
	v_mov_b32_e32 v6, v32
	s_mov_b32 s74, 0
	s_mov_b32 s75, 0
	;; [unrolled: 1-line block ×3, first 2 shown]
	v_mov_b32_e32 v12, v16
.LBB35_68:                              ;   Parent Loop BB35_16 Depth=1
                                        ; =>  This Inner Loop Header: Depth=2
	ds_read_b64 v[1:2], v6
	v_add_u32_e32 v12, s81, v12
	v_cmp_le_i32_e32 vcc, s10, v12
	v_add_u32_e32 v6, s16, v6
	s_waitcnt lgkmcnt(0)
	v_add_u32_sdwa v3, sext(v1), s1 dst_sel:DWORD dst_unused:UNUSED_PAD src0_sel:WORD_0 src1_sel:DWORD
	v_add_u32_sdwa v1, sext(v1), s1 dst_sel:DWORD dst_unused:UNUSED_PAD src0_sel:WORD_1 src1_sel:DWORD
	v_and_b32_e32 v13, v3, v36
	v_bfe_u32 v3, v3, v34, 2
	v_add_u32_sdwa v4, sext(v2), s1 dst_sel:DWORD dst_unused:UNUSED_PAD src0_sel:WORD_0 src1_sel:DWORD
	s_waitcnt vmcnt(0)
	v_and_b32_e32 v14, v1, v36
	v_bfe_u32 v1, v1, v34, 2
	v_cmp_eq_u32_e64 s[6:7], v13, v30
	v_cmp_eq_u32_e64 s[26:27], 0, v3
	v_add_u32_sdwa v2, sext(v2), s1 dst_sel:DWORD dst_unused:UNUSED_PAD src0_sel:WORD_1 src1_sel:DWORD
	v_and_b32_e32 v15, v4, v36
	v_bfe_u32 v4, v4, v34, 2
	v_cmp_eq_u32_e64 s[20:21], v14, v30
	v_cmp_eq_u32_e64 s[28:29], 0, v1
	s_and_b64 s[26:27], s[6:7], s[26:27]
	v_and_b32_e32 v39, v2, v36
	v_bfe_u32 v2, v2, v34, 2
	v_cmp_eq_u32_e64 s[22:23], v15, v30
	v_cmp_eq_u32_e64 s[30:31], 0, v4
	;; [unrolled: 1-line block ×5, first 2 shown]
	v_cndmask_b32_e64 v1, 0, 1, s[26:27]
	s_and_b64 s[26:27], s[20:21], s[28:29]
	v_cmp_eq_u32_e64 s[24:25], v39, v30
	v_cmp_eq_u32_e64 s[34:35], 0, v2
	;; [unrolled: 1-line block ×5, first 2 shown]
	v_cndmask_b32_e64 v2, 0, 1, s[26:27]
	s_and_b64 s[26:27], s[22:23], s[30:31]
	v_cmp_eq_u32_e64 s[36:37], 1, v3
	v_cmp_eq_u32_e64 s[44:45], 2, v3
	;; [unrolled: 1-line block ×3, first 2 shown]
	v_cndmask_b32_e64 v3, 0, 1, s[26:27]
	s_and_b64 s[26:27], s[24:25], s[34:35]
	v_cmp_eq_u32_e64 s[40:41], 1, v4
	v_cmp_eq_u32_e64 s[48:49], 2, v4
	;; [unrolled: 1-line block ×3, first 2 shown]
	v_cndmask_b32_e64 v4, 0, 1, s[26:27]
	s_and_b64 s[26:27], s[6:7], s[36:37]
	v_cndmask_b32_e64 v13, 0, 1, s[26:27]
	s_and_b64 s[26:27], s[20:21], s[38:39]
	;; [unrolled: 2-line block ×5, first 2 shown]
	s_and_b64 s[6:7], s[6:7], s[52:53]
	v_cndmask_b32_e64 v40, 0, 1, s[26:27]
	s_and_b64 s[26:27], s[20:21], s[46:47]
	v_cndmask_b32_e64 v44, 0, 1, s[6:7]
	;; [unrolled: 2-line block ×7, first 2 shown]
	v_cndmask_b32_e64 v47, 0, 1, s[6:7]
	v_cmp_ne_u32_e64 s[6:7], 0, v1
	v_cmp_ne_u32_e64 s[20:21], 0, v2
	;; [unrolled: 1-line block ×11, first 2 shown]
	s_bcnt1_i32_b64 s6, s[6:7]
	s_bcnt1_i32_b64 s7, s[20:21]
	;; [unrolled: 1-line block ×8, first 2 shown]
	v_cmp_ne_u32_e64 s[34:35], 0, v39
	v_cmp_ne_u32_e64 s[40:41], 0, v42
	;; [unrolled: 1-line block ×3, first 2 shown]
	s_bcnt1_i32_b64 s23, s[28:29]
	s_bcnt1_i32_b64 s27, s[38:39]
	;; [unrolled: 1-line block ×3, first 2 shown]
	s_add_i32 s6, s76, s6
	s_add_i32 s22, s75, s22
	;; [unrolled: 1-line block ×4, first 2 shown]
	v_cmp_ne_u32_e64 s[42:43], 0, v43
	v_cmp_ne_u32_e64 s[50:51], 0, v47
	s_bcnt1_i32_b64 s25, s[34:35]
	s_bcnt1_i32_b64 s28, s[40:41]
	;; [unrolled: 1-line block ×3, first 2 shown]
	s_add_i32 s6, s6, s7
	s_add_i32 s7, s22, s23
	;; [unrolled: 1-line block ×4, first 2 shown]
	s_bcnt1_i32_b64 s29, s[42:43]
	s_bcnt1_i32_b64 s35, s[50:51]
	s_add_i32 s6, s6, s20
	s_add_i32 s7, s7, s24
	;; [unrolled: 1-line block ×8, first 2 shown]
	s_or_b64 s[70:71], vcc, s[70:71]
	v_mov_b32_e32 v1, s76
	v_mov_b32_e32 v2, s75
	;; [unrolled: 1-line block ×4, first 2 shown]
	s_andn2_b64 exec, exec, s[70:71]
	s_cbranch_execnz .LBB35_68
; %bb.69:                               ;   in Loop: Header=BB35_16 Depth=1
	s_or_b64 exec, exec, s[70:71]
.LBB35_70:                              ;   in Loop: Header=BB35_16 Depth=1
	s_or_b64 exec, exec, s[18:19]
	v_add_u32_e32 v6, s10, v0
	v_cmp_gt_i32_e32 vcc, s61, v6
	s_and_saveexec_b64 s[18:19], vcc
	s_cbranch_execz .LBB35_74
; %bb.71:                               ;   in Loop: Header=BB35_16 Depth=1
	v_lshlrev_b32_e32 v12, 1, v6
	s_mov_b64 s[28:29], 0
.LBB35_72:                              ;   Parent Loop BB35_16 Depth=1
                                        ; =>  This Inner Loop Header: Depth=2
	ds_read_i16 v13, v12
	v_add_u32_e32 v6, s66, v6
	v_cmp_le_i32_e32 vcc, s61, v6
	v_add_u32_e32 v12, s0, v12
	s_waitcnt lgkmcnt(0)
	v_add_u32_e32 v13, 0x8000, v13
	s_waitcnt vmcnt(0)
	v_and_b32_e32 v14, v13, v36
	v_bfe_u32 v13, v13, v34, 2
	v_cmp_eq_u32_e64 s[6:7], v14, v30
	v_cmp_eq_u32_e64 s[20:21], 0, v13
	;; [unrolled: 1-line block ×3, first 2 shown]
	s_and_b64 s[10:11], s[6:7], s[20:21]
	v_cmp_eq_u32_e64 s[24:25], 2, v13
	v_cmp_eq_u32_e64 s[26:27], 3, v13
	v_cndmask_b32_e64 v13, 0, 1, s[10:11]
	s_and_b64 s[10:11], s[6:7], s[22:23]
	v_cndmask_b32_e64 v14, 0, 1, s[10:11]
	s_and_b64 s[10:11], s[6:7], s[24:25]
	s_and_b64 s[6:7], s[6:7], s[26:27]
	v_cndmask_b32_e64 v15, 0, 1, s[10:11]
	v_cndmask_b32_e64 v39, 0, 1, s[6:7]
	v_cmp_ne_u32_e64 s[6:7], 0, v13
	v_cmp_ne_u32_e64 s[20:21], 0, v14
	v_cmp_ne_u32_e64 s[22:23], 0, v15
	v_cmp_ne_u32_e64 s[24:25], 0, v39
	s_bcnt1_i32_b64 s6, s[6:7]
	s_bcnt1_i32_b64 s7, s[20:21]
	;; [unrolled: 1-line block ×4, first 2 shown]
	v_add_u32_e32 v1, s6, v1
	v_add_u32_e32 v2, s7, v2
	;; [unrolled: 1-line block ×3, first 2 shown]
	s_or_b64 s[28:29], vcc, s[28:29]
	v_add_u32_e32 v4, s11, v4
	s_andn2_b64 exec, exec, s[28:29]
	s_cbranch_execnz .LBB35_72
; %bb.73:                               ;   in Loop: Header=BB35_16 Depth=1
	s_or_b64 exec, exec, s[28:29]
.LBB35_74:                              ;   in Loop: Header=BB35_16 Depth=1
	s_or_b64 exec, exec, s[18:19]
	s_lshl_b32 s10, s78, 6
	s_and_saveexec_b64 s[6:7], s[2:3]
	s_cbranch_execnz .LBB35_46
	s_branch .LBB35_47
.LBB35_75:                              ;   in Loop: Header=BB35_16 Depth=1
	s_or_b64 exec, exec, s[20:21]
	s_waitcnt lgkmcnt(0)
	s_barrier
	s_mov_b64 s[6:7], exec
	v_readlane_b32 s10, v48, 5
	v_readlane_b32 s11, v48, 6
	s_and_b64 s[10:11], s[6:7], s[10:11]
	s_mov_b64 exec, s[10:11]
	s_cbranch_execz .LBB35_77
; %bb.76:                               ;   in Loop: Header=BB35_16 Depth=1
	ds_read_b32 v1, v7 offset:4104
	s_waitcnt lgkmcnt(0)
	ds_write_b32 v7, v1 offset:4096
.LBB35_77:                              ;   in Loop: Header=BB35_16 Depth=1
	s_or_b64 exec, exec, s[6:7]
	s_waitcnt lgkmcnt(0)
	s_barrier
	s_mov_b64 s[6:7], -1
	s_and_b64 vcc, exec, s[18:19]
	s_cbranch_vccnz .LBB35_31
	s_branch .LBB35_41
.LBB35_78:                              ;   in Loop: Header=BB35_16 Depth=1
	v_mov_b32_e32 v1, 0
	s_mov_b32 s11, 0
.LBB35_79:                              ;   in Loop: Header=BB35_16 Depth=1
	v_readlane_b32 s18, v48, 22
	v_readlane_b32 s19, v48, 23
	s_andn2_b64 vcc, exec, s[18:19]
	s_cbranch_vccnz .LBB35_82
; %bb.80:                               ;   in Loop: Header=BB35_16 Depth=1
	s_lshl_b32 s18, s78, 8
	s_lshl_b32 s11, s11, 4
	s_add_i32 s18, s18, s11
	v_add_u32_e32 v2, s18, v33
	v_readlane_b32 s11, v48, 21
.LBB35_81:                              ;   Parent Loop BB35_16 Depth=1
                                        ; =>  This Inner Loop Header: Depth=2
	ds_read_b32 v3, v2
	s_add_i32 s11, s11, -1
	v_add_u32_e32 v2, 16, v2
	s_cmp_lg_u32 s11, 0
	s_waitcnt lgkmcnt(0)
	v_add_u32_e32 v1, v3, v1
	s_cbranch_scc1 .LBB35_81
.LBB35_82:                              ;   in Loop: Header=BB35_16 Depth=1
	v_add_lshl_u32 v2, s10, v17, 2
	ds_write_b32 v2, v1 offset:3072
.LBB35_83:                              ;   in Loop: Header=BB35_16 Depth=1
	s_or_b64 exec, exec, s[6:7]
	s_lshl_b32 s6, s10, 2
	v_mov_b32_e32 v1, s6
	s_waitcnt lgkmcnt(0)
	s_barrier
	ds_read_b128 v[1:4], v1 offset:3072
	v_cmp_eq_u32_e32 vcc, 1, v38
	s_mov_b64 s[20:21], -1
	s_mov_b64 s[26:27], -1
                                        ; implicit-def: $sgpr24_sgpr25
                                        ; implicit-def: $sgpr22_sgpr23
	s_waitcnt lgkmcnt(0)
	v_readfirstlane_b32 s40, v1
	s_cmp_eq_u32 s40, 1
	v_readfirstlane_b32 s52, v3
	v_lshlrev_b32_e64 v3, v34, 3
	s_cselect_b64 s[6:7], -1, 0
	v_readfirstlane_b32 s44, v2
	v_readfirstlane_b32 s61, v4
	v_not_b32_e32 v6, v3
	s_and_b64 s[18:19], s[6:7], vcc
	s_and_saveexec_b64 s[6:7], s[18:19]
	s_cbranch_execz .LBB35_109
; %bb.84:                               ;   in Loop: Header=BB35_16 Depth=1
	ds_read_b32 v1, v7 offset:4096
	s_waitcnt lgkmcnt(0)
	s_barrier
	v_readfirstlane_b32 s10, v1
	s_and_saveexec_b64 s[22:23], s[4:5]
; %bb.85:                               ;   in Loop: Header=BB35_16 Depth=1
	ds_write_b16 v19, v7
; %bb.86:                               ;   in Loop: Header=BB35_16 Depth=1
	s_or_b64 exec, exec, s[22:23]
	v_and_b32_e32 v30, v30, v6
	v_or_b32_e32 v36, v36, v3
	s_mov_b64 s[22:23], -1
	s_mov_b64 s[24:25], 0
	s_cmp_lt_i32 s10, 1
	s_mov_b64 s[26:27], 0
	s_mov_b64 s[28:29], -1
	s_waitcnt lgkmcnt(0)
	s_barrier
                                        ; implicit-def: $vgpr37
	s_cbranch_scc0 .LBB35_97
; %bb.87:                               ;   in Loop: Header=BB35_16 Depth=1
	s_mov_b64 s[28:29], 0
                                        ; implicit-def: $vgpr37
	s_mov_b64 s[30:31], exec
	v_readlane_b32 s34, v48, 27
	v_readlane_b32 s35, v48, 28
	s_and_b64 s[34:35], s[30:31], s[34:35]
	s_mov_b64 exec, s[34:35]
	s_cbranch_execz .LBB35_96
; %bb.88:                               ;   in Loop: Header=BB35_16 Depth=1
	v_mov_b32_e32 v1, v5
	v_mov_b32_e32 v4, v0
                                        ; implicit-def: $sgpr34_sgpr35
	s_branch .LBB35_91
.LBB35_89:                              ;   in Loop: Header=BB35_91 Depth=2
	s_or_b64 exec, exec, s[36:37]
	s_waitcnt lgkmcnt(0)
	s_barrier
	ds_read_b32 v2, v7 offset:3072
	s_mov_b64 s[36:37], -1
	s_waitcnt lgkmcnt(0)
	s_barrier
	v_cmp_ne_u32_sdwa s[38:39], v2, v7 src0_sel:WORD_0 src1_sel:DWORD
	s_and_b64 vcc, exec, s[38:39]
	s_mov_b64 s[38:39], -1
	s_cbranch_vccz .LBB35_94
.LBB35_90:                              ;   in Loop: Header=BB35_91 Depth=2
	s_and_b64 s[36:37], exec, s[36:37]
	s_or_b64 s[26:27], s[36:37], s[26:27]
	s_andn2_b64 s[34:35], s[34:35], exec
	s_and_b64 s[36:37], s[38:39], exec
	s_or_b64 s[34:35], s[34:35], s[36:37]
	s_andn2_b64 exec, exec, s[26:27]
	s_cbranch_execz .LBB35_95
.LBB35_91:                              ;   Parent Loop BB35_16 Depth=1
                                        ; =>  This Inner Loop Header: Depth=2
	v_cmp_gt_i32_e32 vcc, s60, v4
	s_and_saveexec_b64 s[36:37], vcc
	s_cbranch_execz .LBB35_89
; %bb.92:                               ;   in Loop: Header=BB35_91 Depth=2
	v_ashrrev_i32_e32 v2, 31, v1
	v_lshlrev_b64 v[12:13], 1, v[1:2]
	v_mov_b32_e32 v2, s80
	v_add_co_u32_e32 v12, vcc, s64, v12
	v_addc_co_u32_e32 v13, vcc, v2, v13, vcc
	global_load_ushort v2, v[12:13], off
	s_waitcnt vmcnt(0)
	v_add_u32_sdwa v12, sext(v2), s1 dst_sel:DWORD dst_unused:UNUSED_PAD src0_sel:WORD_0 src1_sel:DWORD
	v_and_b32_e32 v12, v12, v36
	v_cmp_eq_u32_e32 vcc, v12, v30
	s_and_b64 exec, exec, vcc
	s_cbranch_execz .LBB35_89
; %bb.93:                               ;   in Loop: Header=BB35_91 Depth=2
	v_perm_b32 v2, v2, 1, v35
	ds_write_b32 v7, v2 offset:3072
	s_branch .LBB35_89
.LBB35_94:                              ;   in Loop: Header=BB35_91 Depth=2
	v_add_u32_e32 v4, s66, v4
	v_cmp_le_i32_e32 vcc, s17, v4
	v_add_u32_e32 v1, s82, v1
	s_mov_b64 s[38:39], 0
	s_orn2_b64 s[36:37], vcc, exec
	s_branch .LBB35_90
.LBB35_95:                              ;   in Loop: Header=BB35_16 Depth=1
	s_or_b64 exec, exec, s[26:27]
	v_lshrrev_b32_e32 v37, 16, v2
	s_and_b64 s[26:27], s[34:35], exec
.LBB35_96:                              ;   in Loop: Header=BB35_16 Depth=1
	s_or_b64 exec, exec, s[30:31]
.LBB35_97:                              ;   in Loop: Header=BB35_16 Depth=1
	s_and_b64 vcc, exec, s[28:29]
	s_cbranch_vccz .LBB35_108
; %bb.98:                               ;   in Loop: Header=BB35_16 Depth=1
	v_readlane_b32 s11, v48, 8
	s_add_i32 s11, s10, s11
	s_abs_i32 s23, s11
	v_readlane_b32 s24, v48, 26
	s_mul_hi_u32 s24, s23, s24
	s_mul_i32 s24, s24, s66
	s_sub_i32 s23, s23, s24
	s_ashr_i32 s22, s11, 31
	s_sub_i32 s24, s23, s66
	s_cmp_ge_u32 s23, s66
	s_cselect_b32 s23, s24, s23
	s_sub_i32 s24, s23, s66
	s_cmp_ge_u32 s23, s66
	s_cselect_b32 s23, s24, s23
	s_xor_b32 s23, s23, s22
	s_sub_i32 s22, s22, s23
	s_add_i32 s11, s11, s22
	v_cmp_gt_i32_e32 vcc, s11, v0
                                        ; implicit-def: $vgpr37
	s_and_saveexec_b64 s[22:23], vcc
	s_cbranch_execz .LBB35_107
; %bb.99:                               ;   in Loop: Header=BB35_16 Depth=1
	s_mov_b64 s[24:25], 0
	v_mov_b32_e32 v1, v18
	v_mov_b32_e32 v2, v0
                                        ; implicit-def: $sgpr28_sgpr29
	s_branch .LBB35_102
.LBB35_100:                             ;   in Loop: Header=BB35_102 Depth=2
	s_or_b64 exec, exec, s[30:31]
	s_waitcnt lgkmcnt(0)
	s_barrier
	ds_read_b32 v4, v7 offset:3072
	s_mov_b64 s[30:31], -1
	s_waitcnt lgkmcnt(0)
	s_barrier
	v_cmp_ne_u32_sdwa s[34:35], v4, v7 src0_sel:WORD_0 src1_sel:DWORD
	s_and_b64 vcc, exec, s[34:35]
	s_mov_b64 s[34:35], -1
	s_cbranch_vccz .LBB35_105
.LBB35_101:                             ;   in Loop: Header=BB35_102 Depth=2
	s_and_b64 s[30:31], exec, s[30:31]
	s_or_b64 s[24:25], s[30:31], s[24:25]
	s_andn2_b64 s[28:29], s[28:29], exec
	s_and_b64 s[30:31], s[34:35], exec
	s_or_b64 s[28:29], s[28:29], s[30:31]
	s_andn2_b64 exec, exec, s[24:25]
	s_cbranch_execz .LBB35_106
.LBB35_102:                             ;   Parent Loop BB35_16 Depth=1
                                        ; =>  This Inner Loop Header: Depth=2
	v_cmp_gt_i32_e32 vcc, s10, v2
	s_and_saveexec_b64 s[30:31], vcc
	s_cbranch_execz .LBB35_100
; %bb.103:                              ;   in Loop: Header=BB35_102 Depth=2
	ds_read_u16 v4, v1
	s_waitcnt lgkmcnt(0)
	v_add_u32_sdwa v12, sext(v4), s1 dst_sel:DWORD dst_unused:UNUSED_PAD src0_sel:WORD_0 src1_sel:DWORD
	v_and_b32_e32 v12, v12, v36
	v_cmp_eq_u32_e32 vcc, v12, v30
	s_and_b64 exec, exec, vcc
	s_cbranch_execz .LBB35_100
; %bb.104:                              ;   in Loop: Header=BB35_102 Depth=2
	v_perm_b32 v4, v4, 1, v35
	ds_write_b32 v7, v4 offset:3072
	s_branch .LBB35_100
.LBB35_105:                             ;   in Loop: Header=BB35_102 Depth=2
	v_add_u32_e32 v2, s66, v2
	v_cmp_le_i32_e32 vcc, s11, v2
	v_add_u32_e32 v1, s0, v1
	s_mov_b64 s[34:35], 0
	s_orn2_b64 s[30:31], vcc, exec
	s_branch .LBB35_101
.LBB35_106:                             ;   in Loop: Header=BB35_16 Depth=1
	s_or_b64 exec, exec, s[24:25]
	s_andn2_b64 s[10:11], s[26:27], exec
	s_and_b64 s[24:25], s[28:29], exec
	v_lshrrev_b32_e32 v37, 16, v4
	s_or_b64 s[26:27], s[10:11], s[24:25]
.LBB35_107:                             ;   in Loop: Header=BB35_16 Depth=1
	s_or_b64 exec, exec, s[22:23]
	s_mov_b64 s[22:23], 0
	s_mov_b64 s[24:25], -1
.LBB35_108:                             ;   in Loop: Header=BB35_16 Depth=1
	s_orn2_b64 s[26:27], s[26:27], exec
.LBB35_109:                             ;   in Loop: Header=BB35_16 Depth=1
	s_or_b64 exec, exec, s[6:7]
	s_andn2_b64 s[6:7], s[68:69], exec
	s_and_b64 s[24:25], s[24:25], exec
	s_or_b64 s[68:69], s[6:7], s[24:25]
	s_andn2_b64 s[6:7], s[94:95], exec
	s_and_b64 s[22:23], s[22:23], exec
	v_readfirstlane_b32 s10, v0
	s_andn2_b64 s[92:93], s[92:93], exec
	s_or_b64 s[94:95], s[6:7], s[22:23]
                                        ; implicit-def: $vgpr12
	s_and_saveexec_b64 s[6:7], s[26:27]
	s_cbranch_execz .LBB35_15
; %bb.110:                              ;   in Loop: Header=BB35_16 Depth=1
	s_xor_b64 s[10:11], s[18:19], -1
	s_mov_b64 s[22:23], 0
	v_mov_b32_e32 v12, 1
	v_mov_b32_e32 v4, 1
	s_and_saveexec_b64 s[18:19], s[10:11]
	s_cbranch_execz .LBB35_119
; %bb.111:                              ;   in Loop: Header=BB35_16 Depth=1
	v_cmp_ge_i32_e32 vcc, s40, v38
	s_and_saveexec_b64 s[10:11], vcc
	s_xor_b64 s[20:21], exec, s[10:11]
	s_cbranch_execz .LBB35_116
; %bb.112:                              ;   in Loop: Header=BB35_16 Depth=1
	ds_read_b32 v1, v7 offset:4096
	v_and_b32_e32 v30, v30, v6
	v_or_b32_e32 v36, v36, v3
	s_waitcnt lgkmcnt(0)
	v_cmp_ne_u32_e32 vcc, 0, v1
	s_cbranch_vccnz .LBB35_116
; %bb.113:                              ;   in Loop: Header=BB35_16 Depth=1
	s_mov_b64 s[22:23], exec
	v_readlane_b32 s10, v48, 5
	v_readlane_b32 s11, v48, 6
	s_and_b64 s[10:11], s[22:23], s[10:11]
	s_mov_b64 exec, s[10:11]
; %bb.114:                              ;   in Loop: Header=BB35_16 Depth=1
	v_mov_b32_e32 v1, s40
	ds_write_b32 v7, v1 offset:4100
; %bb.115:                              ;   in Loop: Header=BB35_16 Depth=1
	s_or_b64 exec, exec, s[22:23]
	s_waitcnt lgkmcnt(0)
	s_barrier
.LBB35_116:                             ;   in Loop: Header=BB35_16 Depth=1
	s_or_saveexec_b64 s[20:21], s[20:21]
	s_mov_b64 s[22:23], 0
	v_mov_b32_e32 v4, 8
	s_xor_b64 exec, exec, s[20:21]
; %bb.117:                              ;   in Loop: Header=BB35_16 Depth=1
	s_mov_b64 s[22:23], exec
	v_subrev_u32_e32 v38, s40, v38
	v_mov_b32_e32 v4, 0
; %bb.118:                              ;   in Loop: Header=BB35_16 Depth=1
	s_or_b64 exec, exec, s[20:21]
	s_and_b64 s[22:23], s[22:23], exec
	v_mov_b32_e32 v12, v38
.LBB35_119:                             ;   in Loop: Header=BB35_16 Depth=1
	s_or_b64 exec, exec, s[18:19]
	s_mov_b64 s[20:21], -1
	s_mov_b64 s[18:19], -1
                                        ; implicit-def: $sgpr24_sgpr25
                                        ; implicit-def: $sgpr26_sgpr27
	s_and_saveexec_b64 s[10:11], s[22:23]
	s_xor_b64 s[22:23], exec, s[10:11]
	s_cbranch_execz .LBB35_236
; %bb.120:                              ;   in Loop: Header=BB35_16 Depth=1
	s_cmp_eq_u32 s44, 1
	s_cselect_b64 s[10:11], -1, 0
	v_cmp_eq_u32_e32 vcc, 1, v12
	s_and_b64 s[18:19], s[10:11], vcc
	s_mov_b64 s[30:31], -1
                                        ; implicit-def: $sgpr26_sgpr27
                                        ; implicit-def: $sgpr24_sgpr25
	s_and_saveexec_b64 s[28:29], s[18:19]
	s_cbranch_execz .LBB35_146
; %bb.121:                              ;   in Loop: Header=BB35_16 Depth=1
	ds_read_b32 v1, v7 offset:4096
	s_waitcnt lgkmcnt(0)
	s_barrier
	v_readfirstlane_b32 s10, v1
	s_and_saveexec_b64 s[24:25], s[4:5]
; %bb.122:                              ;   in Loop: Header=BB35_16 Depth=1
	ds_write_b16 v19, v7
; %bb.123:                              ;   in Loop: Header=BB35_16 Depth=1
	s_or_b64 exec, exec, s[24:25]
	v_and_b32_e32 v1, v30, v6
	v_lshl_or_b32 v30, 1, v34, v1
	v_or_b32_e32 v36, v36, v3
	s_mov_b64 s[24:25], -1
	s_mov_b64 s[26:27], 0
	s_cmp_gt_i32 s10, 0
	s_mov_b64 s[30:31], 0
	s_mov_b64 s[34:35], -1
	s_waitcnt lgkmcnt(0)
	s_barrier
                                        ; implicit-def: $vgpr37
	s_cbranch_scc1 .LBB35_134
; %bb.124:                              ;   in Loop: Header=BB35_16 Depth=1
	s_mov_b64 s[34:35], 0
                                        ; implicit-def: $vgpr37
	s_mov_b64 s[36:37], exec
	v_readlane_b32 s38, v48, 27
	v_readlane_b32 s39, v48, 28
	s_and_b64 s[38:39], s[36:37], s[38:39]
	s_mov_b64 exec, s[38:39]
	s_cbranch_execz .LBB35_133
; %bb.125:                              ;   in Loop: Header=BB35_16 Depth=1
	v_mov_b32_e32 v1, v5
	v_mov_b32_e32 v13, v0
                                        ; implicit-def: $sgpr38_sgpr39
	s_branch .LBB35_128
.LBB35_126:                             ;   in Loop: Header=BB35_128 Depth=2
	s_or_b64 exec, exec, s[40:41]
	s_waitcnt lgkmcnt(0)
	s_barrier
	ds_read_b32 v2, v7 offset:3072
	s_mov_b64 s[40:41], -1
	s_waitcnt lgkmcnt(0)
	s_barrier
	v_cmp_ne_u32_sdwa s[42:43], v2, v7 src0_sel:WORD_0 src1_sel:DWORD
	s_and_b64 vcc, exec, s[42:43]
	s_mov_b64 s[42:43], -1
	s_cbranch_vccz .LBB35_131
.LBB35_127:                             ;   in Loop: Header=BB35_128 Depth=2
	s_and_b64 s[40:41], exec, s[40:41]
	s_or_b64 s[30:31], s[40:41], s[30:31]
	s_andn2_b64 s[38:39], s[38:39], exec
	s_and_b64 s[40:41], s[42:43], exec
	s_or_b64 s[38:39], s[38:39], s[40:41]
	s_andn2_b64 exec, exec, s[30:31]
	s_cbranch_execz .LBB35_132
.LBB35_128:                             ;   Parent Loop BB35_16 Depth=1
                                        ; =>  This Inner Loop Header: Depth=2
	v_cmp_gt_i32_e32 vcc, s60, v13
	s_and_saveexec_b64 s[40:41], vcc
	s_cbranch_execz .LBB35_126
; %bb.129:                              ;   in Loop: Header=BB35_128 Depth=2
	v_ashrrev_i32_e32 v2, 31, v1
	v_lshlrev_b64 v[14:15], 1, v[1:2]
	v_mov_b32_e32 v2, s80
	v_add_co_u32_e32 v14, vcc, s64, v14
	v_addc_co_u32_e32 v15, vcc, v2, v15, vcc
	global_load_ushort v2, v[14:15], off
	s_waitcnt vmcnt(0)
	v_add_u32_sdwa v14, sext(v2), s1 dst_sel:DWORD dst_unused:UNUSED_PAD src0_sel:WORD_0 src1_sel:DWORD
	v_and_b32_e32 v14, v14, v36
	v_cmp_eq_u32_e32 vcc, v14, v30
	s_and_b64 exec, exec, vcc
	s_cbranch_execz .LBB35_126
; %bb.130:                              ;   in Loop: Header=BB35_128 Depth=2
	v_perm_b32 v2, v2, 1, v35
	ds_write_b32 v7, v2 offset:3072
	s_branch .LBB35_126
.LBB35_131:                             ;   in Loop: Header=BB35_128 Depth=2
	v_add_u32_e32 v13, s66, v13
	v_cmp_le_i32_e32 vcc, s17, v13
	v_add_u32_e32 v1, s82, v1
	s_mov_b64 s[42:43], 0
	s_orn2_b64 s[40:41], vcc, exec
	s_branch .LBB35_127
.LBB35_132:                             ;   in Loop: Header=BB35_16 Depth=1
	s_or_b64 exec, exec, s[30:31]
	v_lshrrev_b32_e32 v37, 16, v2
	s_and_b64 s[30:31], s[38:39], exec
.LBB35_133:                             ;   in Loop: Header=BB35_16 Depth=1
	s_or_b64 exec, exec, s[36:37]
.LBB35_134:                             ;   in Loop: Header=BB35_16 Depth=1
	s_and_b64 vcc, exec, s[34:35]
	s_cbranch_vccz .LBB35_145
; %bb.135:                              ;   in Loop: Header=BB35_16 Depth=1
	v_readlane_b32 s11, v48, 8
	s_add_i32 s11, s10, s11
	s_abs_i32 s25, s11
	v_readlane_b32 s26, v48, 26
	s_mul_hi_u32 s26, s25, s26
	s_mul_i32 s26, s26, s66
	s_sub_i32 s25, s25, s26
	s_ashr_i32 s24, s11, 31
	s_sub_i32 s26, s25, s66
	s_cmp_ge_u32 s25, s66
	s_cselect_b32 s25, s26, s25
	s_sub_i32 s26, s25, s66
	s_cmp_ge_u32 s25, s66
	s_cselect_b32 s25, s26, s25
	s_xor_b32 s25, s25, s24
	s_sub_i32 s24, s24, s25
	s_add_i32 s11, s11, s24
	v_cmp_gt_i32_e32 vcc, s11, v0
                                        ; implicit-def: $vgpr37
	s_and_saveexec_b64 s[24:25], vcc
	s_cbranch_execz .LBB35_144
; %bb.136:                              ;   in Loop: Header=BB35_16 Depth=1
	s_mov_b64 s[26:27], 0
	v_mov_b32_e32 v1, v18
	v_mov_b32_e32 v2, v0
                                        ; implicit-def: $sgpr34_sgpr35
	s_branch .LBB35_139
.LBB35_137:                             ;   in Loop: Header=BB35_139 Depth=2
	s_or_b64 exec, exec, s[36:37]
	s_waitcnt lgkmcnt(0)
	s_barrier
	ds_read_b32 v13, v7 offset:3072
	s_mov_b64 s[36:37], -1
	s_waitcnt lgkmcnt(0)
	s_barrier
	v_cmp_eq_u32_sdwa s[38:39], v13, v7 src0_sel:WORD_0 src1_sel:DWORD
	s_and_b64 vcc, exec, s[38:39]
	s_mov_b64 s[38:39], -1
	s_cbranch_vccnz .LBB35_142
.LBB35_138:                             ;   in Loop: Header=BB35_139 Depth=2
	s_and_b64 s[36:37], exec, s[36:37]
	s_or_b64 s[26:27], s[36:37], s[26:27]
	s_andn2_b64 s[34:35], s[34:35], exec
	s_and_b64 s[36:37], s[38:39], exec
	s_or_b64 s[34:35], s[34:35], s[36:37]
	s_andn2_b64 exec, exec, s[26:27]
	s_cbranch_execz .LBB35_143
.LBB35_139:                             ;   Parent Loop BB35_16 Depth=1
                                        ; =>  This Inner Loop Header: Depth=2
	v_cmp_gt_i32_e32 vcc, s10, v2
	s_and_saveexec_b64 s[36:37], vcc
	s_cbranch_execz .LBB35_137
; %bb.140:                              ;   in Loop: Header=BB35_139 Depth=2
	ds_read_u16 v13, v1
	s_waitcnt lgkmcnt(0)
	v_add_u32_sdwa v14, sext(v13), s1 dst_sel:DWORD dst_unused:UNUSED_PAD src0_sel:WORD_0 src1_sel:DWORD
	v_and_b32_e32 v14, v14, v36
	v_cmp_eq_u32_e32 vcc, v14, v30
	s_and_b64 exec, exec, vcc
	s_cbranch_execz .LBB35_137
; %bb.141:                              ;   in Loop: Header=BB35_139 Depth=2
	v_perm_b32 v13, v13, 1, v35
	ds_write_b32 v7, v13 offset:3072
	s_branch .LBB35_137
.LBB35_142:                             ;   in Loop: Header=BB35_139 Depth=2
	v_add_u32_e32 v2, s66, v2
	v_cmp_le_i32_e32 vcc, s11, v2
	v_add_u32_e32 v1, s0, v1
	s_mov_b64 s[38:39], 0
	s_orn2_b64 s[36:37], vcc, exec
	s_branch .LBB35_138
.LBB35_143:                             ;   in Loop: Header=BB35_16 Depth=1
	s_or_b64 exec, exec, s[26:27]
	s_andn2_b64 s[10:11], s[30:31], exec
	s_and_b64 s[26:27], s[34:35], exec
	v_lshrrev_b32_e32 v37, 16, v13
	s_or_b64 s[30:31], s[10:11], s[26:27]
.LBB35_144:                             ;   in Loop: Header=BB35_16 Depth=1
	s_or_b64 exec, exec, s[24:25]
	s_mov_b64 s[24:25], 0
	s_mov_b64 s[26:27], -1
.LBB35_145:                             ;   in Loop: Header=BB35_16 Depth=1
	s_orn2_b64 s[30:31], s[30:31], exec
.LBB35_146:                             ;   in Loop: Header=BB35_16 Depth=1
	s_or_b64 exec, exec, s[28:29]
	s_mov_b64 s[34:35], 0
	s_and_saveexec_b64 s[28:29], s[30:31]
	s_cbranch_execz .LBB35_235
; %bb.147:                              ;   in Loop: Header=BB35_16 Depth=1
	s_xor_b64 s[10:11], s[18:19], -1
	s_mov_b64 s[38:39], 0
	v_mov_b32_e32 v13, 1
	v_mov_b32_e32 v4, 1
	s_and_saveexec_b64 s[18:19], s[10:11]
	s_cbranch_execz .LBB35_156
; %bb.148:                              ;   in Loop: Header=BB35_16 Depth=1
	v_cmp_ge_i32_e32 vcc, s44, v12
	s_and_saveexec_b64 s[10:11], vcc
	s_xor_b64 s[30:31], exec, s[10:11]
	s_cbranch_execz .LBB35_153
; %bb.149:                              ;   in Loop: Header=BB35_16 Depth=1
	ds_read_b32 v1, v7 offset:4096
	v_and_b32_e32 v2, v30, v6
	v_lshl_or_b32 v30, 1, v34, v2
	v_or_b32_e32 v36, v36, v3
	s_waitcnt lgkmcnt(0)
	v_cmp_ne_u32_e32 vcc, 0, v1
	s_cbranch_vccnz .LBB35_153
; %bb.150:                              ;   in Loop: Header=BB35_16 Depth=1
	s_mov_b64 s[34:35], exec
	v_readlane_b32 s10, v48, 5
	v_readlane_b32 s11, v48, 6
	s_and_b64 s[10:11], s[34:35], s[10:11]
	s_mov_b64 exec, s[10:11]
; %bb.151:                              ;   in Loop: Header=BB35_16 Depth=1
	v_mov_b32_e32 v1, s44
	ds_write_b32 v7, v1 offset:4100
; %bb.152:                              ;   in Loop: Header=BB35_16 Depth=1
	s_or_b64 exec, exec, s[34:35]
	s_waitcnt lgkmcnt(0)
	s_barrier
.LBB35_153:                             ;   in Loop: Header=BB35_16 Depth=1
	s_or_saveexec_b64 s[30:31], s[30:31]
	s_mov_b64 s[34:35], 0
	v_mov_b32_e32 v4, 8
	s_xor_b64 exec, exec, s[30:31]
; %bb.154:                              ;   in Loop: Header=BB35_16 Depth=1
	s_mov_b64 s[34:35], exec
	v_subrev_u32_e32 v12, s44, v12
	v_mov_b32_e32 v4, 0
; %bb.155:                              ;   in Loop: Header=BB35_16 Depth=1
	s_or_b64 exec, exec, s[30:31]
	s_and_b64 s[38:39], s[34:35], exec
	v_mov_b32_e32 v13, v12
.LBB35_156:                             ;   in Loop: Header=BB35_16 Depth=1
	s_or_b64 exec, exec, s[18:19]
	s_mov_b64 s[18:19], -1
                                        ; implicit-def: $sgpr34_sgpr35
                                        ; implicit-def: $sgpr36_sgpr37
	s_and_saveexec_b64 s[30:31], s[38:39]
	s_cbranch_execz .LBB35_234
; %bb.157:                              ;   in Loop: Header=BB35_16 Depth=1
	s_cmp_eq_u32 s52, 1
	s_cselect_b64 s[10:11], -1, 0
	v_cmp_eq_u32_e32 vcc, 1, v13
	s_and_b64 s[18:19], s[10:11], vcc
	s_mov_b64 s[40:41], -1
                                        ; implicit-def: $sgpr36_sgpr37
                                        ; implicit-def: $sgpr34_sgpr35
	s_and_saveexec_b64 s[38:39], s[18:19]
	s_cbranch_execz .LBB35_183
; %bb.158:                              ;   in Loop: Header=BB35_16 Depth=1
	ds_read_b32 v1, v7 offset:4096
	s_waitcnt lgkmcnt(0)
	s_barrier
	v_readfirstlane_b32 s10, v1
	s_and_saveexec_b64 s[34:35], s[4:5]
; %bb.159:                              ;   in Loop: Header=BB35_16 Depth=1
	ds_write_b16 v19, v7
; %bb.160:                              ;   in Loop: Header=BB35_16 Depth=1
	s_or_b64 exec, exec, s[34:35]
	v_and_b32_e32 v1, v30, v6
	v_lshl_or_b32 v30, 2, v34, v1
	v_or_b32_e32 v36, v36, v3
	s_mov_b64 s[34:35], -1
	s_mov_b64 s[36:37], 0
	s_cmp_gt_i32 s10, 0
	s_mov_b64 s[40:41], 0
	s_mov_b64 s[42:43], -1
	s_waitcnt lgkmcnt(0)
	s_barrier
                                        ; implicit-def: $vgpr37
	s_cbranch_scc1 .LBB35_171
; %bb.161:                              ;   in Loop: Header=BB35_16 Depth=1
	s_mov_b64 s[42:43], 0
                                        ; implicit-def: $vgpr37
	s_mov_b64 s[44:45], exec
	v_readlane_b32 s46, v48, 27
	v_readlane_b32 s47, v48, 28
	s_and_b64 s[46:47], s[44:45], s[46:47]
	s_mov_b64 exec, s[46:47]
	s_cbranch_execz .LBB35_170
; %bb.162:                              ;   in Loop: Header=BB35_16 Depth=1
	v_mov_b32_e32 v1, v5
	v_mov_b32_e32 v12, v0
                                        ; implicit-def: $sgpr46_sgpr47
	s_branch .LBB35_165
.LBB35_163:                             ;   in Loop: Header=BB35_165 Depth=2
	s_or_b64 exec, exec, s[48:49]
	s_waitcnt lgkmcnt(0)
	s_barrier
	ds_read_b32 v2, v7 offset:3072
	s_mov_b64 s[48:49], -1
	s_waitcnt lgkmcnt(0)
	s_barrier
	v_cmp_ne_u32_sdwa s[50:51], v2, v7 src0_sel:WORD_0 src1_sel:DWORD
	s_and_b64 vcc, exec, s[50:51]
	s_mov_b64 s[50:51], -1
	s_cbranch_vccz .LBB35_168
.LBB35_164:                             ;   in Loop: Header=BB35_165 Depth=2
	s_and_b64 s[48:49], exec, s[48:49]
	s_or_b64 s[40:41], s[48:49], s[40:41]
	s_andn2_b64 s[46:47], s[46:47], exec
	s_and_b64 s[48:49], s[50:51], exec
	s_or_b64 s[46:47], s[46:47], s[48:49]
	s_andn2_b64 exec, exec, s[40:41]
	s_cbranch_execz .LBB35_169
.LBB35_165:                             ;   Parent Loop BB35_16 Depth=1
                                        ; =>  This Inner Loop Header: Depth=2
	v_cmp_gt_i32_e32 vcc, s60, v12
	s_and_saveexec_b64 s[48:49], vcc
	s_cbranch_execz .LBB35_163
; %bb.166:                              ;   in Loop: Header=BB35_165 Depth=2
	v_ashrrev_i32_e32 v2, 31, v1
	v_lshlrev_b64 v[14:15], 1, v[1:2]
	v_mov_b32_e32 v2, s80
	v_add_co_u32_e32 v14, vcc, s64, v14
	v_addc_co_u32_e32 v15, vcc, v2, v15, vcc
	global_load_ushort v2, v[14:15], off
	s_waitcnt vmcnt(0)
	v_add_u32_sdwa v14, sext(v2), s1 dst_sel:DWORD dst_unused:UNUSED_PAD src0_sel:WORD_0 src1_sel:DWORD
	v_and_b32_e32 v14, v14, v36
	v_cmp_eq_u32_e32 vcc, v14, v30
	s_and_b64 exec, exec, vcc
	s_cbranch_execz .LBB35_163
; %bb.167:                              ;   in Loop: Header=BB35_165 Depth=2
	v_perm_b32 v2, v2, 1, v35
	ds_write_b32 v7, v2 offset:3072
	s_branch .LBB35_163
.LBB35_168:                             ;   in Loop: Header=BB35_165 Depth=2
	v_add_u32_e32 v12, s66, v12
	v_cmp_le_i32_e32 vcc, s17, v12
	v_add_u32_e32 v1, s82, v1
	s_mov_b64 s[50:51], 0
	s_orn2_b64 s[48:49], vcc, exec
	s_branch .LBB35_164
.LBB35_169:                             ;   in Loop: Header=BB35_16 Depth=1
	s_or_b64 exec, exec, s[40:41]
	v_lshrrev_b32_e32 v37, 16, v2
	s_and_b64 s[40:41], s[46:47], exec
.LBB35_170:                             ;   in Loop: Header=BB35_16 Depth=1
	s_or_b64 exec, exec, s[44:45]
.LBB35_171:                             ;   in Loop: Header=BB35_16 Depth=1
	s_and_b64 vcc, exec, s[42:43]
	s_cbranch_vccz .LBB35_182
; %bb.172:                              ;   in Loop: Header=BB35_16 Depth=1
	v_readlane_b32 s11, v48, 8
	s_add_i32 s11, s10, s11
	s_abs_i32 s35, s11
	v_readlane_b32 s36, v48, 26
	s_mul_hi_u32 s36, s35, s36
	s_mul_i32 s36, s36, s66
	s_sub_i32 s35, s35, s36
	s_ashr_i32 s34, s11, 31
	s_sub_i32 s36, s35, s66
	s_cmp_ge_u32 s35, s66
	s_cselect_b32 s35, s36, s35
	s_sub_i32 s36, s35, s66
	s_cmp_ge_u32 s35, s66
	s_cselect_b32 s35, s36, s35
	s_xor_b32 s35, s35, s34
	s_sub_i32 s34, s34, s35
	s_add_i32 s11, s11, s34
	v_cmp_gt_i32_e32 vcc, s11, v0
                                        ; implicit-def: $vgpr37
	s_and_saveexec_b64 s[34:35], vcc
	s_cbranch_execz .LBB35_181
; %bb.173:                              ;   in Loop: Header=BB35_16 Depth=1
	s_mov_b64 s[36:37], 0
	v_mov_b32_e32 v1, v18
	v_mov_b32_e32 v2, v0
                                        ; implicit-def: $sgpr42_sgpr43
	s_branch .LBB35_176
.LBB35_174:                             ;   in Loop: Header=BB35_176 Depth=2
	s_or_b64 exec, exec, s[44:45]
	s_waitcnt lgkmcnt(0)
	s_barrier
	ds_read_b32 v12, v7 offset:3072
	s_mov_b64 s[44:45], -1
	s_waitcnt lgkmcnt(0)
	s_barrier
	v_cmp_eq_u32_sdwa s[46:47], v12, v7 src0_sel:WORD_0 src1_sel:DWORD
	s_and_b64 vcc, exec, s[46:47]
	s_mov_b64 s[46:47], -1
	s_cbranch_vccnz .LBB35_179
.LBB35_175:                             ;   in Loop: Header=BB35_176 Depth=2
	s_and_b64 s[44:45], exec, s[44:45]
	s_or_b64 s[36:37], s[44:45], s[36:37]
	s_andn2_b64 s[42:43], s[42:43], exec
	s_and_b64 s[44:45], s[46:47], exec
	s_or_b64 s[42:43], s[42:43], s[44:45]
	s_andn2_b64 exec, exec, s[36:37]
	s_cbranch_execz .LBB35_180
.LBB35_176:                             ;   Parent Loop BB35_16 Depth=1
                                        ; =>  This Inner Loop Header: Depth=2
	v_cmp_gt_i32_e32 vcc, s10, v2
	s_and_saveexec_b64 s[44:45], vcc
	s_cbranch_execz .LBB35_174
; %bb.177:                              ;   in Loop: Header=BB35_176 Depth=2
	ds_read_u16 v12, v1
	s_waitcnt lgkmcnt(0)
	v_add_u32_sdwa v14, sext(v12), s1 dst_sel:DWORD dst_unused:UNUSED_PAD src0_sel:WORD_0 src1_sel:DWORD
	v_and_b32_e32 v14, v14, v36
	v_cmp_eq_u32_e32 vcc, v14, v30
	s_and_b64 exec, exec, vcc
	s_cbranch_execz .LBB35_174
; %bb.178:                              ;   in Loop: Header=BB35_176 Depth=2
	v_perm_b32 v12, v12, 1, v35
	ds_write_b32 v7, v12 offset:3072
	s_branch .LBB35_174
.LBB35_179:                             ;   in Loop: Header=BB35_176 Depth=2
	v_add_u32_e32 v2, s66, v2
	v_cmp_le_i32_e32 vcc, s11, v2
	v_add_u32_e32 v1, s0, v1
	s_mov_b64 s[46:47], 0
	s_orn2_b64 s[44:45], vcc, exec
	s_branch .LBB35_175
.LBB35_180:                             ;   in Loop: Header=BB35_16 Depth=1
	s_or_b64 exec, exec, s[36:37]
	s_andn2_b64 s[10:11], s[40:41], exec
	s_and_b64 s[36:37], s[42:43], exec
	v_lshrrev_b32_e32 v37, 16, v12
	s_or_b64 s[40:41], s[10:11], s[36:37]
.LBB35_181:                             ;   in Loop: Header=BB35_16 Depth=1
	s_or_b64 exec, exec, s[34:35]
	s_mov_b64 s[34:35], 0
	s_mov_b64 s[36:37], -1
.LBB35_182:                             ;   in Loop: Header=BB35_16 Depth=1
	s_orn2_b64 s[40:41], s[40:41], exec
.LBB35_183:                             ;   in Loop: Header=BB35_16 Depth=1
	s_or_b64 exec, exec, s[38:39]
	s_mov_b64 s[42:43], 0
	s_and_saveexec_b64 s[38:39], s[40:41]
	s_cbranch_execz .LBB35_233
; %bb.184:                              ;   in Loop: Header=BB35_16 Depth=1
	s_xor_b64 s[10:11], s[18:19], -1
	s_mov_b64 s[46:47], 0
	v_mov_b32_e32 v12, 1
	v_mov_b32_e32 v4, 1
	s_and_saveexec_b64 s[18:19], s[10:11]
	s_cbranch_execz .LBB35_193
; %bb.185:                              ;   in Loop: Header=BB35_16 Depth=1
	v_cmp_ge_i32_e32 vcc, s52, v13
	s_and_saveexec_b64 s[10:11], vcc
	s_xor_b64 s[40:41], exec, s[10:11]
	s_cbranch_execz .LBB35_190
; %bb.186:                              ;   in Loop: Header=BB35_16 Depth=1
	ds_read_b32 v1, v7 offset:4096
	v_and_b32_e32 v2, v30, v6
	v_lshl_or_b32 v30, 2, v34, v2
	v_or_b32_e32 v36, v36, v3
	s_waitcnt lgkmcnt(0)
	v_cmp_ne_u32_e32 vcc, 0, v1
	s_cbranch_vccnz .LBB35_190
; %bb.187:                              ;   in Loop: Header=BB35_16 Depth=1
	s_mov_b64 s[42:43], exec
	v_readlane_b32 s10, v48, 5
	v_readlane_b32 s11, v48, 6
	s_and_b64 s[10:11], s[42:43], s[10:11]
	s_mov_b64 exec, s[10:11]
; %bb.188:                              ;   in Loop: Header=BB35_16 Depth=1
	v_mov_b32_e32 v1, s52
	ds_write_b32 v7, v1 offset:4100
; %bb.189:                              ;   in Loop: Header=BB35_16 Depth=1
	s_or_b64 exec, exec, s[42:43]
	s_waitcnt lgkmcnt(0)
	s_barrier
.LBB35_190:                             ;   in Loop: Header=BB35_16 Depth=1
	s_or_saveexec_b64 s[40:41], s[40:41]
	s_mov_b64 s[42:43], 0
	v_mov_b32_e32 v4, 8
	s_xor_b64 exec, exec, s[40:41]
; %bb.191:                              ;   in Loop: Header=BB35_16 Depth=1
	s_mov_b64 s[42:43], exec
	v_subrev_u32_e32 v13, s52, v13
	v_mov_b32_e32 v4, 0
; %bb.192:                              ;   in Loop: Header=BB35_16 Depth=1
	s_or_b64 exec, exec, s[40:41]
	s_and_b64 s[46:47], s[42:43], exec
	v_mov_b32_e32 v12, v13
.LBB35_193:                             ;   in Loop: Header=BB35_16 Depth=1
	s_or_b64 exec, exec, s[18:19]
	s_mov_b64 s[18:19], -1
                                        ; implicit-def: $sgpr44_sgpr45
                                        ; implicit-def: $sgpr42_sgpr43
	s_and_saveexec_b64 s[40:41], s[46:47]
	s_cbranch_execz .LBB35_232
; %bb.194:                              ;   in Loop: Header=BB35_16 Depth=1
	s_cmp_eq_u32 s61, 1
	s_cselect_b64 s[10:11], -1, 0
	v_cmp_eq_u32_e32 vcc, 1, v12
	s_and_b64 s[18:19], s[10:11], vcc
	s_mov_b64 s[48:49], -1
                                        ; implicit-def: $sgpr44_sgpr45
                                        ; implicit-def: $sgpr42_sgpr43
	s_and_saveexec_b64 s[46:47], s[18:19]
	s_cbranch_execz .LBB35_220
; %bb.195:                              ;   in Loop: Header=BB35_16 Depth=1
	ds_read_b32 v1, v7 offset:4096
	s_waitcnt lgkmcnt(0)
	s_barrier
	v_readfirstlane_b32 s10, v1
	s_and_saveexec_b64 s[42:43], s[4:5]
; %bb.196:                              ;   in Loop: Header=BB35_16 Depth=1
	ds_write_b16 v19, v7
; %bb.197:                              ;   in Loop: Header=BB35_16 Depth=1
	s_or_b64 exec, exec, s[42:43]
	v_or_b32_e32 v30, v30, v3
	v_or_b32_e32 v36, v36, v3
	s_mov_b64 s[42:43], -1
	s_mov_b64 s[44:45], 0
	s_cmp_gt_i32 s10, 0
	s_mov_b64 s[48:49], 0
	s_mov_b64 s[50:51], -1
	s_waitcnt lgkmcnt(0)
	s_barrier
                                        ; implicit-def: $vgpr37
	s_cbranch_scc1 .LBB35_208
; %bb.198:                              ;   in Loop: Header=BB35_16 Depth=1
	s_mov_b64 s[50:51], 0
                                        ; implicit-def: $vgpr37
	s_mov_b64 s[52:53], exec
	v_readlane_b32 s54, v48, 27
	v_readlane_b32 s55, v48, 28
	s_and_b64 s[54:55], s[52:53], s[54:55]
	s_mov_b64 exec, s[54:55]
	s_cbranch_execz .LBB35_207
; %bb.199:                              ;   in Loop: Header=BB35_16 Depth=1
	v_mov_b32_e32 v1, v5
	v_mov_b32_e32 v6, v0
                                        ; implicit-def: $sgpr54_sgpr55
	s_branch .LBB35_202
.LBB35_200:                             ;   in Loop: Header=BB35_202 Depth=2
	s_or_b64 exec, exec, s[56:57]
	s_waitcnt lgkmcnt(0)
	s_barrier
	ds_read_b32 v2, v7 offset:3072
	s_mov_b64 s[56:57], -1
	s_waitcnt lgkmcnt(0)
	s_barrier
	v_cmp_ne_u32_sdwa s[58:59], v2, v7 src0_sel:WORD_0 src1_sel:DWORD
	s_and_b64 vcc, exec, s[58:59]
	s_mov_b64 s[58:59], -1
	s_cbranch_vccz .LBB35_205
.LBB35_201:                             ;   in Loop: Header=BB35_202 Depth=2
	s_and_b64 s[56:57], exec, s[56:57]
	s_or_b64 s[48:49], s[56:57], s[48:49]
	s_andn2_b64 s[54:55], s[54:55], exec
	s_and_b64 s[56:57], s[58:59], exec
	s_or_b64 s[54:55], s[54:55], s[56:57]
	s_andn2_b64 exec, exec, s[48:49]
	s_cbranch_execz .LBB35_206
.LBB35_202:                             ;   Parent Loop BB35_16 Depth=1
                                        ; =>  This Inner Loop Header: Depth=2
	v_cmp_gt_i32_e32 vcc, s60, v6
	s_and_saveexec_b64 s[56:57], vcc
	s_cbranch_execz .LBB35_200
; %bb.203:                              ;   in Loop: Header=BB35_202 Depth=2
	v_ashrrev_i32_e32 v2, 31, v1
	v_lshlrev_b64 v[13:14], 1, v[1:2]
	v_mov_b32_e32 v2, s80
	v_add_co_u32_e32 v13, vcc, s64, v13
	v_addc_co_u32_e32 v14, vcc, v2, v14, vcc
	global_load_ushort v2, v[13:14], off
	s_waitcnt vmcnt(0)
	v_add_u32_sdwa v13, sext(v2), s1 dst_sel:DWORD dst_unused:UNUSED_PAD src0_sel:WORD_0 src1_sel:DWORD
	v_and_b32_e32 v13, v13, v36
	v_cmp_eq_u32_e32 vcc, v13, v30
	s_and_b64 exec, exec, vcc
	s_cbranch_execz .LBB35_200
; %bb.204:                              ;   in Loop: Header=BB35_202 Depth=2
	v_perm_b32 v2, v2, 1, v35
	ds_write_b32 v7, v2 offset:3072
	s_branch .LBB35_200
.LBB35_205:                             ;   in Loop: Header=BB35_202 Depth=2
	v_add_u32_e32 v6, s66, v6
	v_cmp_le_i32_e32 vcc, s17, v6
	v_add_u32_e32 v1, s82, v1
	s_mov_b64 s[58:59], 0
	s_orn2_b64 s[56:57], vcc, exec
	s_branch .LBB35_201
.LBB35_206:                             ;   in Loop: Header=BB35_16 Depth=1
	s_or_b64 exec, exec, s[48:49]
	v_lshrrev_b32_e32 v37, 16, v2
	s_and_b64 s[48:49], s[54:55], exec
.LBB35_207:                             ;   in Loop: Header=BB35_16 Depth=1
	s_or_b64 exec, exec, s[52:53]
.LBB35_208:                             ;   in Loop: Header=BB35_16 Depth=1
	s_and_b64 vcc, exec, s[50:51]
	s_cbranch_vccz .LBB35_219
; %bb.209:                              ;   in Loop: Header=BB35_16 Depth=1
	v_readlane_b32 s11, v48, 8
	s_add_i32 s11, s10, s11
	s_abs_i32 s43, s11
	v_readlane_b32 s44, v48, 26
	s_mul_hi_u32 s44, s43, s44
	s_mul_i32 s44, s44, s66
	s_sub_i32 s43, s43, s44
	s_ashr_i32 s42, s11, 31
	s_sub_i32 s44, s43, s66
	s_cmp_ge_u32 s43, s66
	s_cselect_b32 s43, s44, s43
	s_sub_i32 s44, s43, s66
	s_cmp_ge_u32 s43, s66
	s_cselect_b32 s43, s44, s43
	s_xor_b32 s43, s43, s42
	s_sub_i32 s42, s42, s43
	s_add_i32 s11, s11, s42
	v_cmp_gt_i32_e32 vcc, s11, v0
                                        ; implicit-def: $vgpr37
	s_and_saveexec_b64 s[42:43], vcc
	s_cbranch_execz .LBB35_218
; %bb.210:                              ;   in Loop: Header=BB35_16 Depth=1
	s_mov_b64 s[44:45], 0
	v_mov_b32_e32 v1, v18
	v_mov_b32_e32 v2, v0
                                        ; implicit-def: $sgpr50_sgpr51
	s_branch .LBB35_213
.LBB35_211:                             ;   in Loop: Header=BB35_213 Depth=2
	s_or_b64 exec, exec, s[52:53]
	s_waitcnt lgkmcnt(0)
	s_barrier
	ds_read_b32 v6, v7 offset:3072
	s_mov_b64 s[52:53], -1
	s_waitcnt lgkmcnt(0)
	s_barrier
	v_cmp_eq_u32_sdwa s[54:55], v6, v7 src0_sel:WORD_0 src1_sel:DWORD
	s_and_b64 vcc, exec, s[54:55]
	s_mov_b64 s[54:55], -1
	s_cbranch_vccnz .LBB35_216
.LBB35_212:                             ;   in Loop: Header=BB35_213 Depth=2
	s_and_b64 s[52:53], exec, s[52:53]
	s_or_b64 s[44:45], s[52:53], s[44:45]
	s_andn2_b64 s[50:51], s[50:51], exec
	s_and_b64 s[52:53], s[54:55], exec
	s_or_b64 s[50:51], s[50:51], s[52:53]
	s_andn2_b64 exec, exec, s[44:45]
	s_cbranch_execz .LBB35_217
.LBB35_213:                             ;   Parent Loop BB35_16 Depth=1
                                        ; =>  This Inner Loop Header: Depth=2
	v_cmp_gt_i32_e32 vcc, s10, v2
	s_and_saveexec_b64 s[52:53], vcc
	s_cbranch_execz .LBB35_211
; %bb.214:                              ;   in Loop: Header=BB35_213 Depth=2
	ds_read_u16 v6, v1
	s_waitcnt lgkmcnt(0)
	v_add_u32_sdwa v13, sext(v6), s1 dst_sel:DWORD dst_unused:UNUSED_PAD src0_sel:WORD_0 src1_sel:DWORD
	v_and_b32_e32 v13, v13, v36
	v_cmp_eq_u32_e32 vcc, v13, v30
	s_and_b64 exec, exec, vcc
	s_cbranch_execz .LBB35_211
; %bb.215:                              ;   in Loop: Header=BB35_213 Depth=2
	v_perm_b32 v6, v6, 1, v35
	ds_write_b32 v7, v6 offset:3072
	s_branch .LBB35_211
.LBB35_216:                             ;   in Loop: Header=BB35_213 Depth=2
	v_add_u32_e32 v2, s66, v2
	v_cmp_le_i32_e32 vcc, s11, v2
	v_add_u32_e32 v1, s0, v1
	s_mov_b64 s[54:55], 0
	s_orn2_b64 s[52:53], vcc, exec
	s_branch .LBB35_212
.LBB35_217:                             ;   in Loop: Header=BB35_16 Depth=1
	s_or_b64 exec, exec, s[44:45]
	s_andn2_b64 s[10:11], s[48:49], exec
	s_and_b64 s[44:45], s[50:51], exec
	v_lshrrev_b32_e32 v37, 16, v6
	s_or_b64 s[48:49], s[10:11], s[44:45]
.LBB35_218:                             ;   in Loop: Header=BB35_16 Depth=1
	s_or_b64 exec, exec, s[42:43]
	s_mov_b64 s[42:43], 0
	s_mov_b64 s[44:45], -1
.LBB35_219:                             ;   in Loop: Header=BB35_16 Depth=1
	s_orn2_b64 s[48:49], s[48:49], exec
.LBB35_220:                             ;   in Loop: Header=BB35_16 Depth=1
	s_or_b64 exec, exec, s[46:47]
	s_mov_b64 s[50:51], 0
	s_and_saveexec_b64 s[46:47], s[48:49]
	s_cbranch_execz .LBB35_231
; %bb.221:                              ;   in Loop: Header=BB35_16 Depth=1
	s_xor_b64 s[10:11], s[18:19], -1
	v_mov_b32_e32 v4, 1
	v_mov_b32_e32 v1, 1
	s_and_saveexec_b64 s[18:19], s[10:11]
	s_cbranch_execz .LBB35_230
; %bb.222:                              ;   in Loop: Header=BB35_16 Depth=1
	v_cmp_ge_i32_e32 vcc, s61, v12
	s_and_saveexec_b64 s[10:11], vcc
	s_xor_b64 s[48:49], exec, s[10:11]
	s_cbranch_execz .LBB35_227
; %bb.223:                              ;   in Loop: Header=BB35_16 Depth=1
	ds_read_b32 v1, v7 offset:4096
	v_or_b32_e32 v30, v30, v3
	v_or_b32_e32 v36, v36, v3
	s_waitcnt lgkmcnt(0)
	v_cmp_ne_u32_e32 vcc, 0, v1
	s_cbranch_vccnz .LBB35_227
; %bb.224:                              ;   in Loop: Header=BB35_16 Depth=1
	s_mov_b64 s[50:51], exec
	v_readlane_b32 s10, v48, 5
	v_readlane_b32 s11, v48, 6
	s_and_b64 s[10:11], s[50:51], s[10:11]
	s_mov_b64 exec, s[10:11]
; %bb.225:                              ;   in Loop: Header=BB35_16 Depth=1
	v_mov_b32_e32 v1, s61
	ds_write_b32 v7, v1 offset:4100
; %bb.226:                              ;   in Loop: Header=BB35_16 Depth=1
	s_or_b64 exec, exec, s[50:51]
	s_waitcnt lgkmcnt(0)
	s_barrier
.LBB35_227:                             ;   in Loop: Header=BB35_16 Depth=1
	s_andn2_saveexec_b64 s[48:49], s[48:49]
; %bb.228:                              ;   in Loop: Header=BB35_16 Depth=1
	v_subrev_u32_e32 v12, s61, v12
; %bb.229:                              ;   in Loop: Header=BB35_16 Depth=1
	s_or_b64 exec, exec, s[48:49]
	v_mov_b32_e32 v4, 8
	v_mov_b32_e32 v1, v12
.LBB35_230:                             ;   in Loop: Header=BB35_16 Depth=1
	s_or_b64 exec, exec, s[18:19]
	s_mov_b64 s[50:51], exec
	v_mov_b32_e32 v12, v1
.LBB35_231:                             ;   in Loop: Header=BB35_16 Depth=1
	s_or_b64 exec, exec, s[46:47]
	s_orn2_b64 s[18:19], s[50:51], exec
.LBB35_232:                             ;   in Loop: Header=BB35_16 Depth=1
	s_or_b64 exec, exec, s[40:41]
	s_andn2_b64 s[10:11], s[36:37], exec
	s_and_b64 s[36:37], s[44:45], exec
	s_or_b64 s[36:37], s[10:11], s[36:37]
	s_andn2_b64 s[10:11], s[34:35], exec
	s_and_b64 s[34:35], s[42:43], exec
	s_or_b64 s[34:35], s[10:11], s[34:35]
	s_and_b64 s[42:43], s[18:19], exec
	v_mov_b32_e32 v13, v12
.LBB35_233:                             ;   in Loop: Header=BB35_16 Depth=1
	s_or_b64 exec, exec, s[38:39]
	s_orn2_b64 s[18:19], s[42:43], exec
.LBB35_234:                             ;   in Loop: Header=BB35_16 Depth=1
	s_or_b64 exec, exec, s[30:31]
	s_andn2_b64 s[10:11], s[26:27], exec
	s_and_b64 s[26:27], s[36:37], exec
	s_or_b64 s[26:27], s[10:11], s[26:27]
	s_andn2_b64 s[10:11], s[24:25], exec
	s_and_b64 s[24:25], s[34:35], exec
	s_or_b64 s[24:25], s[10:11], s[24:25]
	s_and_b64 s[34:35], s[18:19], exec
	v_mov_b32_e32 v12, v13
.LBB35_235:                             ;   in Loop: Header=BB35_16 Depth=1
	s_or_b64 exec, exec, s[28:29]
	s_orn2_b64 s[18:19], s[34:35], exec
.LBB35_236:                             ;   in Loop: Header=BB35_16 Depth=1
	s_or_b64 exec, exec, s[22:23]
	s_mov_b64 s[22:23], 0
                                        ; implicit-def: $sgpr10
	s_and_saveexec_b64 s[28:29], s[18:19]
	s_xor_b64 s[18:19], exec, s[28:29]
	s_cbranch_execz .LBB35_14
; %bb.237:                              ;   in Loop: Header=BB35_16 Depth=1
	v_and_b32_e32 v1, 7, v4
	v_cmp_eq_u32_e32 vcc, 0, v1
	s_mov_b64 s[20:21], -1
	s_mov_b64 s[22:23], -1
                                        ; implicit-def: $sgpr10
	s_and_saveexec_b64 s[28:29], vcc
	s_cbranch_execz .LBB35_13
; %bb.238:                              ;   in Loop: Header=BB35_16 Depth=1
	v_add_u32_e32 v1, -2, v34
	v_cmp_eq_u32_e32 vcc, 0, v34
	s_xor_b32 s10, s78, 1
	s_xor_b64 s[22:23], exec, -1
	s_orn2_b64 s[20:21], vcc, exec
	v_mov_b32_e32 v34, v1
	s_branch .LBB35_13
.LBB35_239:
	s_or_b64 exec, exec, s[84:85]
	s_xor_b64 s[8:9], s[90:91], -1
	s_xor_b64 s[0:1], s[86:87], -1
	;; [unrolled: 1-line block ×3, first 2 shown]
	s_mov_b64 s[4:5], 0
	s_and_saveexec_b64 s[2:3], s[0:1]
	s_xor_b64 s[2:3], exec, s[2:3]
	s_cbranch_execnz .LBB35_244
; %bb.240:
	s_andn2_saveexec_b64 s[0:1], s[2:3]
	s_cbranch_execnz .LBB35_264
.LBB35_241:
	s_or_b64 exec, exec, s[0:1]
	s_and_saveexec_b64 s[0:1], s[4:5]
.LBB35_242:
	; divergent unreachable
.LBB35_243:
	s_endpgm
.LBB35_244:
	s_and_saveexec_b64 s[0:1], s[8:9]
	s_xor_b64 s[4:5], exec, s[0:1]
	s_cbranch_execz .LBB35_262
; %bb.245:
	s_and_saveexec_b64 s[0:1], s[6:7]
	s_xor_b64 s[6:7], exec, s[0:1]
; %bb.246:
	v_xor_b32_e32 v37, 0xffff8000, v30
; %bb.247:
	s_or_b64 exec, exec, s[6:7]
	s_mov_b64 s[6:7], exec
	v_readlane_b32 s0, v48, 5
	v_readlane_b32 s1, v48, 6
	s_and_b64 s[0:1], s[6:7], s[0:1]
	s_mov_b64 exec, s[0:1]
; %bb.248:
	v_mov_b32_e32 v1, 0
	v_mov_b32_e32 v2, s60
	ds_write_b32 v1, v2 offset:4108
; %bb.249:
	s_or_b64 exec, exec, s[6:7]
	v_mov_b32_e32 v1, 0
	s_waitcnt lgkmcnt(0)
	s_barrier
	ds_read_b32 v1, v1 offset:4108
	s_waitcnt lgkmcnt(0)
	v_min_i32_e32 v1, s60, v1
	v_cmp_lt_i32_e32 vcc, v0, v1
	s_and_saveexec_b64 s[6:7], vcc
	s_cbranch_execz .LBB35_259
; %bb.250:
	s_mov_b64 s[8:9], 0
	v_mov_b32_e32 v3, s80
                                        ; implicit-def: $sgpr10_sgpr11
                                        ; implicit-def: $sgpr14_sgpr15
                                        ; implicit-def: $sgpr12_sgpr13
	s_branch .LBB35_252
.LBB35_251:                             ;   in Loop: Header=BB35_252 Depth=1
	s_or_b64 exec, exec, s[16:17]
	s_and_b64 s[0:1], exec, s[14:15]
	s_or_b64 s[8:9], s[0:1], s[8:9]
	s_andn2_b64 s[0:1], s[10:11], exec
	s_and_b64 s[10:11], s[12:13], exec
	s_or_b64 s[10:11], s[0:1], s[10:11]
	s_andn2_b64 exec, exec, s[8:9]
	s_cbranch_execz .LBB35_254
.LBB35_252:                             ; =>This Inner Loop Header: Depth=1
	v_ashrrev_i32_e32 v6, 31, v5
	v_lshlrev_b64 v[6:7], 1, v[5:6]
	v_mov_b32_e32 v2, v0
	v_add_co_u32_e32 v6, vcc, s64, v6
	v_addc_co_u32_e32 v7, vcc, v3, v7, vcc
	global_load_ushort v4, v[6:7], off
	s_or_b64 s[12:13], s[12:13], exec
	s_or_b64 s[14:15], s[14:15], exec
                                        ; implicit-def: $vgpr0
	s_waitcnt vmcnt(0)
	v_cmp_ne_u16_e32 vcc, v4, v37
	s_and_saveexec_b64 s[16:17], vcc
	s_cbranch_execz .LBB35_251
; %bb.253:                              ;   in Loop: Header=BB35_252 Depth=1
	v_add_u32_e32 v0, s66, v2
	v_cmp_ge_i32_e32 vcc, v0, v1
	s_andn2_b64 s[0:1], s[14:15], exec
	s_and_b64 s[14:15], vcc, exec
	v_add_u32_e32 v5, s82, v5
	s_andn2_b64 s[12:13], s[12:13], exec
	s_or_b64 s[14:15], s[0:1], s[14:15]
	s_branch .LBB35_251
.LBB35_254:
	s_or_b64 exec, exec, s[8:9]
	s_and_saveexec_b64 s[0:1], s[10:11]
	s_xor_b64 s[0:1], exec, s[0:1]
	s_cbranch_execz .LBB35_259
; %bb.255:
	s_mov_b64 s[8:9], exec
	s_brev_b32 s0, -2
.LBB35_256:                             ; =>This Inner Loop Header: Depth=1
	s_ff1_i32_b64 s1, s[8:9]
	v_readlane_b32 s12, v2, s1
	s_lshl_b64 s[10:11], 1, s1
	s_min_i32 s0, s0, s12
	s_andn2_b64 s[8:9], s[8:9], s[10:11]
	s_cmp_lg_u64 s[8:9], 0
	s_cbranch_scc1 .LBB35_256
; %bb.257:
	v_mbcnt_lo_u32_b32 v0, exec_lo, 0
	v_mbcnt_hi_u32_b32 v0, exec_hi, v0
	v_cmp_eq_u32_e32 vcc, 0, v0
	s_and_saveexec_b64 s[8:9], vcc
	s_xor_b64 s[8:9], exec, s[8:9]
; %bb.258:
	v_mov_b32_e32 v0, 0
	v_mov_b32_e32 v1, s0
	ds_min_i32 v0, v1 offset:4108
.LBB35_259:
	s_or_b64 exec, exec, s[6:7]
	s_waitcnt lgkmcnt(0)
	s_barrier
	s_mov_b64 s[6:7], exec
	v_readlane_b32 s0, v48, 5
	v_readlane_b32 s1, v48, 6
	s_and_b64 s[0:1], s[6:7], s[0:1]
	s_mov_b64 exec, s[0:1]
	s_cbranch_execz .LBB35_261
; %bb.260:
	v_readlane_b32 s0, v48, 0
	s_mul_i32 s0, s0, s62
	v_readlane_b32 s1, v48, 7
	s_add_i32 s0, s0, s65
	s_mul_i32 s1, s1, s33
	s_add_i32 s8, s1, s67
	s_ashr_i32 s1, s0, 31
	v_mov_b32_e32 v2, 0
	s_lshl_b64 s[0:1], s[0:1], 1
	v_readlane_b32 s10, v48, 1
	ds_read_b32 v0, v2 offset:4108
	v_readlane_b32 s11, v48, 2
	s_add_u32 s0, s10, s0
	s_addc_u32 s1, s11, s1
	s_ashr_i32 s9, s8, 31
	s_lshl_b64 s[8:9], s[8:9], 3
	v_readlane_b32 s10, v48, 3
	v_readlane_b32 s11, v48, 4
	s_add_u32 s8, s10, s8
	s_addc_u32 s9, s11, s9
	s_waitcnt lgkmcnt(0)
	v_ashrrev_i32_e32 v1, 31, v0
	global_store_dwordx2 v2, v[0:1], s[8:9]
	global_store_short v2, v37, s[0:1]
.LBB35_261:
	s_or_b64 exec, exec, s[6:7]
.LBB35_262:
	s_or_saveexec_b64 s[0:1], s[4:5]
	s_mov_b64 s[4:5], 0
	s_xor_b64 exec, exec, s[0:1]
	s_cbranch_execnz .LBB35_265
.LBB35_263:
	s_or_b64 exec, exec, s[0:1]
	s_and_b64 s[4:5], s[4:5], exec
	s_andn2_saveexec_b64 s[0:1], s[2:3]
	s_cbranch_execz .LBB35_241
.LBB35_264:
	s_or_b64 s[4:5], s[4:5], exec
	s_trap 2
	s_or_b64 exec, exec, s[0:1]
	s_and_saveexec_b64 s[0:1], s[4:5]
	s_cbranch_execnz .LBB35_242
	s_branch .LBB35_243
.LBB35_265:
	s_mov_b64 s[4:5], exec
	s_trap 2
	s_branch .LBB35_263
	.section	.rodata,"a",@progbits
	.p2align	6, 0x0
	.amdhsa_kernel _ZN2at6native12_GLOBAL__N_114gatherKthValueIsiLin1EEEvNS_4cuda6detail10TensorInfoIKT_T0_EES8_S8_S8_S8_NS5_IS6_S8_EENS5_IlS8_EE
		.amdhsa_group_segment_fixed_size 4112
		.amdhsa_private_segment_fixed_size 0
		.amdhsa_kernarg_size 920
		.amdhsa_user_sgpr_count 6
		.amdhsa_user_sgpr_private_segment_buffer 1
		.amdhsa_user_sgpr_dispatch_ptr 0
		.amdhsa_user_sgpr_queue_ptr 0
		.amdhsa_user_sgpr_kernarg_segment_ptr 1
		.amdhsa_user_sgpr_dispatch_id 0
		.amdhsa_user_sgpr_flat_scratch_init 0
		.amdhsa_user_sgpr_private_segment_size 0
		.amdhsa_uses_dynamic_stack 0
		.amdhsa_system_sgpr_private_segment_wavefront_offset 0
		.amdhsa_system_sgpr_workgroup_id_x 1
		.amdhsa_system_sgpr_workgroup_id_y 1
		.amdhsa_system_sgpr_workgroup_id_z 1
		.amdhsa_system_sgpr_workgroup_info 0
		.amdhsa_system_vgpr_workitem_id 0
		.amdhsa_next_free_vgpr 49
		.amdhsa_next_free_sgpr 96
		.amdhsa_reserve_vcc 1
		.amdhsa_reserve_flat_scratch 0
		.amdhsa_float_round_mode_32 0
		.amdhsa_float_round_mode_16_64 0
		.amdhsa_float_denorm_mode_32 3
		.amdhsa_float_denorm_mode_16_64 3
		.amdhsa_dx10_clamp 1
		.amdhsa_ieee_mode 1
		.amdhsa_fp16_overflow 0
		.amdhsa_exception_fp_ieee_invalid_op 0
		.amdhsa_exception_fp_denorm_src 0
		.amdhsa_exception_fp_ieee_div_zero 0
		.amdhsa_exception_fp_ieee_overflow 0
		.amdhsa_exception_fp_ieee_underflow 0
		.amdhsa_exception_fp_ieee_inexact 0
		.amdhsa_exception_int_div_zero 0
	.end_amdhsa_kernel
	.section	.text._ZN2at6native12_GLOBAL__N_114gatherKthValueIsiLin1EEEvNS_4cuda6detail10TensorInfoIKT_T0_EES8_S8_S8_S8_NS5_IS6_S8_EENS5_IlS8_EE,"axG",@progbits,_ZN2at6native12_GLOBAL__N_114gatherKthValueIsiLin1EEEvNS_4cuda6detail10TensorInfoIKT_T0_EES8_S8_S8_S8_NS5_IS6_S8_EENS5_IlS8_EE,comdat
.Lfunc_end35:
	.size	_ZN2at6native12_GLOBAL__N_114gatherKthValueIsiLin1EEEvNS_4cuda6detail10TensorInfoIKT_T0_EES8_S8_S8_S8_NS5_IS6_S8_EENS5_IlS8_EE, .Lfunc_end35-_ZN2at6native12_GLOBAL__N_114gatherKthValueIsiLin1EEEvNS_4cuda6detail10TensorInfoIKT_T0_EES8_S8_S8_S8_NS5_IS6_S8_EENS5_IlS8_EE
                                        ; -- End function
	.set _ZN2at6native12_GLOBAL__N_114gatherKthValueIsiLin1EEEvNS_4cuda6detail10TensorInfoIKT_T0_EES8_S8_S8_S8_NS5_IS6_S8_EENS5_IlS8_EE.num_vgpr, 49
	.set _ZN2at6native12_GLOBAL__N_114gatherKthValueIsiLin1EEEvNS_4cuda6detail10TensorInfoIKT_T0_EES8_S8_S8_S8_NS5_IS6_S8_EENS5_IlS8_EE.num_agpr, 0
	.set _ZN2at6native12_GLOBAL__N_114gatherKthValueIsiLin1EEEvNS_4cuda6detail10TensorInfoIKT_T0_EES8_S8_S8_S8_NS5_IS6_S8_EENS5_IlS8_EE.numbered_sgpr, 96
	.set _ZN2at6native12_GLOBAL__N_114gatherKthValueIsiLin1EEEvNS_4cuda6detail10TensorInfoIKT_T0_EES8_S8_S8_S8_NS5_IS6_S8_EENS5_IlS8_EE.num_named_barrier, 0
	.set _ZN2at6native12_GLOBAL__N_114gatherKthValueIsiLin1EEEvNS_4cuda6detail10TensorInfoIKT_T0_EES8_S8_S8_S8_NS5_IS6_S8_EENS5_IlS8_EE.private_seg_size, 0
	.set _ZN2at6native12_GLOBAL__N_114gatherKthValueIsiLin1EEEvNS_4cuda6detail10TensorInfoIKT_T0_EES8_S8_S8_S8_NS5_IS6_S8_EENS5_IlS8_EE.uses_vcc, 1
	.set _ZN2at6native12_GLOBAL__N_114gatherKthValueIsiLin1EEEvNS_4cuda6detail10TensorInfoIKT_T0_EES8_S8_S8_S8_NS5_IS6_S8_EENS5_IlS8_EE.uses_flat_scratch, 0
	.set _ZN2at6native12_GLOBAL__N_114gatherKthValueIsiLin1EEEvNS_4cuda6detail10TensorInfoIKT_T0_EES8_S8_S8_S8_NS5_IS6_S8_EENS5_IlS8_EE.has_dyn_sized_stack, 0
	.set _ZN2at6native12_GLOBAL__N_114gatherKthValueIsiLin1EEEvNS_4cuda6detail10TensorInfoIKT_T0_EES8_S8_S8_S8_NS5_IS6_S8_EENS5_IlS8_EE.has_recursion, 0
	.set _ZN2at6native12_GLOBAL__N_114gatherKthValueIsiLin1EEEvNS_4cuda6detail10TensorInfoIKT_T0_EES8_S8_S8_S8_NS5_IS6_S8_EENS5_IlS8_EE.has_indirect_call, 0
	.section	.AMDGPU.csdata,"",@progbits
; Kernel info:
; codeLenInByte = 10000
; TotalNumSgprs: 100
; NumVgprs: 49
; ScratchSize: 0
; MemoryBound: 0
; FloatMode: 240
; IeeeMode: 1
; LDSByteSize: 4112 bytes/workgroup (compile time only)
; SGPRBlocks: 12
; VGPRBlocks: 12
; NumSGPRsForWavesPerEU: 100
; NumVGPRsForWavesPerEU: 49
; Occupancy: 4
; WaveLimiterHint : 1
; COMPUTE_PGM_RSRC2:SCRATCH_EN: 0
; COMPUTE_PGM_RSRC2:USER_SGPR: 6
; COMPUTE_PGM_RSRC2:TRAP_HANDLER: 0
; COMPUTE_PGM_RSRC2:TGID_X_EN: 1
; COMPUTE_PGM_RSRC2:TGID_Y_EN: 1
; COMPUTE_PGM_RSRC2:TGID_Z_EN: 1
; COMPUTE_PGM_RSRC2:TIDIG_COMP_CNT: 0
	.section	.text._ZN2at6native12_GLOBAL__N_114gatherKthValueIslLi1EEEvNS_4cuda6detail10TensorInfoIKT_T0_EES8_S8_S8_S8_NS5_IS6_S8_EENS5_IlS8_EE,"axG",@progbits,_ZN2at6native12_GLOBAL__N_114gatherKthValueIslLi1EEEvNS_4cuda6detail10TensorInfoIKT_T0_EES8_S8_S8_S8_NS5_IS6_S8_EENS5_IlS8_EE,comdat
	.globl	_ZN2at6native12_GLOBAL__N_114gatherKthValueIslLi1EEEvNS_4cuda6detail10TensorInfoIKT_T0_EES8_S8_S8_S8_NS5_IS6_S8_EENS5_IlS8_EE ; -- Begin function _ZN2at6native12_GLOBAL__N_114gatherKthValueIslLi1EEEvNS_4cuda6detail10TensorInfoIKT_T0_EES8_S8_S8_S8_NS5_IS6_S8_EENS5_IlS8_EE
	.p2align	8
	.type	_ZN2at6native12_GLOBAL__N_114gatherKthValueIslLi1EEEvNS_4cuda6detail10TensorInfoIKT_T0_EES8_S8_S8_S8_NS5_IS6_S8_EENS5_IlS8_EE,@function
_ZN2at6native12_GLOBAL__N_114gatherKthValueIslLi1EEEvNS_4cuda6detail10TensorInfoIKT_T0_EES8_S8_S8_S8_NS5_IS6_S8_EENS5_IlS8_EE: ; @_ZN2at6native12_GLOBAL__N_114gatherKthValueIslLi1EEEvNS_4cuda6detail10TensorInfoIKT_T0_EES8_S8_S8_S8_NS5_IS6_S8_EENS5_IlS8_EE
; %bb.0:
	s_load_dwordx2 s[18:19], s[4:5], 0x500
	s_load_dwordx8 s[24:31], s[4:5], 0x1a0
	s_add_u32 s14, s4, 0x500
	s_addc_u32 s15, s5, 0
	s_mov_b32 s11, 0
	s_waitcnt lgkmcnt(0)
	s_mul_i32 s0, s19, s8
	s_add_i32 s0, s0, s7
	s_mul_i32 s0, s0, s18
	s_add_i32 s10, s0, s6
	v_mov_b32_e32 v1, s10
	v_mov_b32_e32 v2, s11
	v_cmp_le_i64_e32 vcc, s[28:29], v[1:2]
	s_cbranch_vccnz .LBB36_274
; %bb.1:
	s_load_dwordx2 s[0:1], s[4:5], 0x430
                                        ; implicit-def: $vgpr56 : SGPR spill to VGPR lane
	s_waitcnt lgkmcnt(0)
	v_writelane_b32 v56, s0, 0
	v_writelane_b32 v56, s1, 1
	s_load_dwordx2 s[94:95], s[4:5], 0x360
	s_load_dwordx2 s[0:1], s[4:5], 0x290
	;; [unrolled: 1-line block ×4, first 2 shown]
	s_waitcnt lgkmcnt(0)
	v_writelane_b32 v56, s0, 2
	v_writelane_b32 v56, s1, 3
	s_load_dwordx2 s[0:1], s[4:5], 0x1c0
	s_waitcnt lgkmcnt(0)
	v_writelane_b32 v56, s0, 4
	v_writelane_b32 v56, s1, 5
	v_cmp_eq_u32_e64 s[0:1], 0, v0
	s_mov_b64 s[4:5], exec
	v_writelane_b32 v56, s0, 6
	v_writelane_b32 v56, s1, 7
	s_and_b64 s[0:1], s[4:5], s[0:1]
	s_mov_b64 exec, s[0:1]
	s_cbranch_execz .LBB36_3
; %bb.2:
	v_mov_b32_e32 v1, 0
	v_mov_b32_e32 v3, s24
	;; [unrolled: 1-line block ×4, first 2 shown]
	ds_write_b32 v1, v1 offset:5136
	ds_write_b128 v1, v[1:4] offset:5120
.LBB36_3:
	s_or_b64 exec, exec, s[4:5]
	s_mul_i32 s0, s9, s10
	s_mul_hi_u32 s1, s8, s10
	s_add_i32 s1, s1, s0
	s_mov_b32 s0, s10
	v_writelane_b32 v56, s0, 8
	v_writelane_b32 v56, s1, 9
	s_mul_i32 s0, s8, s10
	s_lshl_b64 s[0:1], s[0:1], 1
	s_add_u32 s42, s2, s0
	s_addc_u32 s43, s3, s1
	v_mad_u64_u32 v[4:5], s[0:1], s30, v0, 0
	v_mbcnt_lo_u32_b32 v1, -1, 0
	v_cmp_gt_u32_e64 s[0:1], 2, v0
	v_mbcnt_hi_u32_b32 v30, -1, v1
	v_writelane_b32 v56, s0, 10
	v_mov_b32_e32 v1, v5
	v_writelane_b32 v56, s1, 11
	v_mad_u64_u32 v[5:6], s[0:1], s31, v0, v[1:2]
	v_mov_b32_e32 v6, 0x600
	v_mov_b32_e32 v7, 0
	v_cmp_gt_i64_e64 s[0:1], s[24:25], v[6:7]
	v_lshlrev_b64 v[6:7], 1, v[4:5]
	v_cmp_gt_u32_e32 vcc, 64, v0
	v_cmp_gt_i32_e64 s[2:3], 4, v30
	s_and_b64 s[48:49], vcc, s[2:3]
	v_mov_b32_e32 v2, s43
	v_add_co_u32_e32 v12, vcc, s42, v6
	v_mov_b32_e32 v3, 0
	v_addc_co_u32_e32 v13, vcc, v2, v7, vcc
	v_lshlrev_b64 v[6:7], v30, -1
	v_add_u32_e32 v2, 2, v0
	v_cmp_gt_i64_e32 vcc, s[24:25], v[2:3]
	v_not_b32_e32 v31, v7
	v_mov_b32_e32 v7, s25
	v_mov_b32_e32 v1, v3
	v_writelane_b32 v56, s0, 12
	v_cndmask_b32_e32 v8, 0, v7, vcc
	v_mov_b32_e32 v7, s24
	v_writelane_b32 v56, s1, 13
	v_cmp_gt_i64_e64 s[0:1], s[24:25], v[0:1]
	v_cndmask_b32_e32 v2, v2, v7, vcc
	v_not_b32_e32 v7, v0
	v_add_co_u32_e32 v7, vcc, v2, v7
	v_writelane_b32 v56, s0, 14
	v_addc_co_u32_e32 v8, vcc, -1, v8, vcc
	v_writelane_b32 v56, s1, 15
	v_cmp_lt_u64_e64 s[0:1], 1, v[7:8]
	v_and_b32_e32 v14, -2, v7
	v_writelane_b32 v56, s0, 16
	v_mov_b32_e32 v15, v8
	v_writelane_b32 v56, s1, 17
	v_cmp_ne_u64_e64 s[0:1], v[7:8], v[14:15]
	v_lshlrev_b32_e32 v32, 3, v0
	v_writelane_b32 v56, s0, 18
	v_or_b32_e32 v7, 6, v32
	v_writelane_b32 v56, s1, 19
	v_mad_u64_u32 v[16:17], s[0:1], s30, v7, 0
	v_or_b32_e32 v9, 4, v32
	v_mad_u64_u32 v[18:19], s[0:1], s30, v9, 0
	v_mov_b32_e32 v2, v17
	v_mad_u64_u32 v[7:8], s[0:1], s31, v7, v[2:3]
	v_mov_b32_e32 v2, v19
	v_mad_u64_u32 v[8:9], s[0:1], s31, v9, v[2:3]
	v_or_b32_e32 v9, 2, v32
	v_mad_u64_u32 v[19:20], s[0:1], s30, v9, 0
	v_not_b32_e32 v33, v6
	v_mov_b32_e32 v34, v7
	v_mov_b32_e32 v2, v20
	v_mad_u64_u32 v[6:7], s[0:1], s31, v9, v[2:3]
	s_waitcnt lgkmcnt(0)
	s_barrier
	s_load_dword s0, s[14:15], 0xc
	v_lshlrev_b32_e32 v2, 2, v30
	v_and_b32_e32 v37, 0x100, v2
	v_lshrrev_b32_e32 v2, 1, v0
	v_and_b32_e32 v2, 0x1e0, v2
	s_waitcnt lgkmcnt(0)
	s_and_b32 s33, s0, 0xffff
	s_bfe_u32 s1, s0, 0xa0006
	s_cmp_gt_u32 s33, 63
	s_cselect_b64 s[2:3], -1, 0
	v_writelane_b32 v56, s2, 20
	s_add_u32 s0, s33, -1
	v_writelane_b32 v56, s3, 21
	s_addc_u32 s2, 0, -1
	s_add_u32 s35, s0, s24
	s_addc_u32 s53, s2, s25
	s_cmp_lt_u32 s6, s18
	v_writelane_b32 v56, s0, 22
	s_cselect_b32 s0, 12, 18
	s_add_u32 s54, s14, s0
	v_writelane_b32 v56, s2, 23
	s_addc_u32 s55, s15, 0
	s_add_i32 s2, s1, -1
	s_bfe_u32 s3, s33, 0x30006
	s_and_b32 s2, s2, 0xffff
	s_cmp_gt_u32 s2, 6
	s_cselect_b64 s[6:7], -1, 0
	v_writelane_b32 v56, s6, 24
	s_and_b32 s1, s1, 0x3f8
	v_writelane_b32 v56, s7, 25
	s_cmp_lg_u32 s3, 0
	v_writelane_b32 v56, s3, 26
	s_cselect_b64 s[2:3], -1, 0
	v_writelane_b32 v56, s2, 27
	v_or_b32_e32 v38, 0xc00, v2
	v_writelane_b32 v56, s3, 28
	v_mov_b32_e32 v2, s25
	v_add_co_u32_e32 v39, vcc, s24, v0
	s_mul_i32 s2, s31, s33
	s_mul_hi_u32 s3, s30, s33
	v_lshlrev_b64 v[22:23], 3, v[4:5]
	v_addc_co_u32_e32 v40, vcc, 0, v2, vcc
	v_mov_b32_e32 v2, 0xc00
	s_add_i32 s3, s3, s2
	s_mul_i32 s2, s30, s33
	v_lshlrev_b32_e32 v43, 1, v0
	v_mov_b32_e32 v24, s26
	s_mov_b32 s45, 0
	v_cmp_eq_u32_e64 s[4:5], 0, v30
	v_mov_b32_e32 v35, v8
	v_lshlrev_b32_e32 v20, 2, v0
	v_mov_b32_e32 v21, v3
	v_mov_b32_e32 v36, v6
	s_mov_b32 s34, s30
	s_mov_b32 s0, s31
	s_lshl_b64 s[60:61], s[30:31], 1
	s_lshl_b64 s[62:63], s[30:31], 3
	v_lshl_or_b32 v41, v30, 3, v2
	s_lshl_b64 s[46:47], s[2:3], 1
	s_lshl_b32 s8, s33, 1
	s_mov_b32 s50, 14
	s_mov_b64 s[64:65], 0
	s_mov_b32 s9, 0x8000
	s_mov_b32 s51, 0
	v_add_u32_e32 v44, 0xc00, v43
	v_mov_b32_e32 v45, 0x5040100
	v_mov_b32_e32 v47, 0
	;; [unrolled: 1-line block ×4, first 2 shown]
	v_add_co_u32_e32 v17, vcc, v14, v0
	v_mov_b32_e32 v25, s27
                                        ; implicit-def: $sgpr66_sgpr67
                                        ; implicit-def: $sgpr70_sgpr71
                                        ; implicit-def: $sgpr68_sgpr69
                                        ; implicit-def: $sgpr74_sgpr75
                                        ; implicit-def: $sgpr76_sgpr77
                                        ; implicit-def: $sgpr72_sgpr73
	s_branch .LBB36_7
.LBB36_4:                               ;   in Loop: Header=BB36_7 Depth=1
	s_or_b64 exec, exec, s[20:21]
	s_and_b64 s[12:13], s[12:13], exec
	s_andn2_b64 s[78:79], s[78:79], exec
	s_andn2_b64 s[6:7], s[6:7], exec
	s_orn2_b64 s[20:21], s[14:15], exec
.LBB36_5:                               ;   in Loop: Header=BB36_7 Depth=1
	s_or_b64 exec, exec, s[10:11]
	s_andn2_b64 s[2:3], s[72:73], exec
	s_and_b64 s[10:11], s[12:13], exec
	s_or_b64 s[72:73], s[2:3], s[10:11]
	s_andn2_b64 s[2:3], s[76:77], exec
	s_and_b64 s[10:11], s[78:79], exec
	s_or_b64 s[76:77], s[2:3], s[10:11]
	;; [unrolled: 3-line block ×3, first 2 shown]
	s_orn2_b64 s[6:7], s[20:21], exec
.LBB36_6:                               ;   in Loop: Header=BB36_7 Depth=1
	s_or_b64 exec, exec, s[18:19]
	s_and_b64 s[2:3], exec, s[6:7]
	s_or_b64 s[64:65], s[2:3], s[64:65]
	s_andn2_b64 s[2:3], s[68:69], exec
	s_and_b64 s[6:7], s[72:73], exec
	s_or_b64 s[68:69], s[2:3], s[6:7]
	s_andn2_b64 s[2:3], s[70:71], exec
	s_and_b64 s[6:7], s[76:77], exec
	;; [unrolled: 3-line block ×3, first 2 shown]
	v_mov_b32_e32 v25, v9
	s_or_b64 s[66:67], s[2:3], s[6:7]
	v_mov_b32_e32 v24, v8
	s_andn2_b64 exec, exec, s[64:65]
	s_cbranch_execz .LBB36_270
.LBB36_7:                               ; =>This Loop Header: Depth=1
                                        ;     Child Loop BB36_12 Depth 2
                                        ;     Child Loop BB36_26 Depth 2
	;; [unrolled: 1-line block ×17, first 2 shown]
	ds_read_b128 v[4:7], v3 offset:5120
	s_waitcnt lgkmcnt(0)
	v_readfirstlane_b32 s23, v5
	v_readfirstlane_b32 s22, v4
	v_cmp_gt_i64_e64 s[2:3], s[22:23], 0
	s_and_b64 vcc, exec, s[2:3]
	s_cbranch_vccnz .LBB36_39
; %bb.8:                                ;   in Loop: Header=BB36_7 Depth=1
	v_readlane_b32 s2, v56, 12
	v_readlane_b32 s3, v56, 13
	s_and_b64 vcc, exec, s[2:3]
	s_cbranch_vccz .LBB36_20
; %bb.9:                                ;   in Loop: Header=BB36_7 Depth=1
	s_mov_b64 s[2:3], 0x601
	v_cmp_gt_i64_e32 vcc, s[2:3], v[6:7]
	s_mov_b64 s[18:19], 0
	s_mov_b64 s[6:7], 0
	s_cbranch_vccz .LBB36_21
; %bb.10:                               ;   in Loop: Header=BB36_7 Depth=1
	global_load_ushort v6, v3, s[54:55]
	global_load_ushort v2, v[12:13], off
	v_mov_b32_e32 v4, s42
	v_mov_b32_e32 v5, s43
	s_mov_b64 s[20:21], 0
	s_waitcnt vmcnt(1)
	v_and_b32_e32 v8, 0xffff, v6
	v_readfirstlane_b32 s6, v6
	v_add_co_u32_e32 v6, vcc, v0, v8
	v_addc_co_u32_e64 v7, s[2:3], 0, 0, vcc
	v_mul_lo_u32 v7, s60, v7
	v_mul_lo_u32 v9, s61, v6
	v_mad_u64_u32 v[4:5], s[2:3], s60, v6, v[4:5]
	s_and_b32 s6, 0xffff, s6
	s_mul_i32 s2, s61, s6
	s_mul_hi_u32 s3, s60, s6
	v_add3_u32 v5, v9, v5, v7
	v_mov_b32_e32 v7, v1
	s_mul_i32 s16, s60, s6
	s_add_i32 s17, s3, s2
	v_mov_b32_e32 v6, v0
	s_branch .LBB36_12
.LBB36_11:                              ;   in Loop: Header=BB36_12 Depth=2
	s_or_b64 exec, exec, s[2:3]
	v_mov_b32_e32 v2, s17
	v_add_co_u32_e32 v4, vcc, s16, v4
	v_addc_co_u32_e32 v5, vcc, v5, v2, vcc
	v_mov_b32_e32 v2, v9
	s_andn2_b64 exec, exec, s[20:21]
	s_cbranch_execz .LBB36_73
.LBB36_12:                              ;   Parent Loop BB36_7 Depth=1
                                        ; =>  This Inner Loop Header: Depth=2
	v_add_co_u32_e32 v6, vcc, v6, v8
	v_addc_co_u32_e32 v7, vcc, 0, v7, vcc
	v_cmp_gt_i64_e64 s[6:7], s[24:25], v[6:7]
	v_cmp_le_i64_e32 vcc, s[24:25], v[6:7]
	s_waitcnt lgkmcnt(0)
	v_mov_b32_e32 v10, 0
	v_mov_b32_e32 v9, 0
	s_and_saveexec_b64 s[2:3], s[6:7]
	s_cbranch_execz .LBB36_14
; %bb.13:                               ;   in Loop: Header=BB36_12 Depth=2
	global_load_ushort v9, v[4:5], off
.LBB36_14:                              ;   in Loop: Header=BB36_12 Depth=2
	s_or_b64 exec, exec, s[2:3]
	s_waitcnt vmcnt(0)
	v_add_u32_sdwa v11, sext(v2), s9 dst_sel:DWORD dst_unused:UNUSED_PAD src0_sel:WORD_0 src1_sel:DWORD
	v_and_b32_e32 v11, v11, v46
	v_cmp_eq_u32_e64 s[14:15], v11, v42
	s_cmp_lg_u64 s[14:15], 0
	s_cselect_b64 s[2:3], -1, 0
	s_and_b64 s[2:3], s[4:5], s[2:3]
	s_and_saveexec_b64 s[10:11], s[2:3]
	s_cbranch_execz .LBB36_18
; %bb.15:                               ;   in Loop: Header=BB36_12 Depth=2
	s_mov_b64 s[12:13], exec
	v_mbcnt_lo_u32_b32 v10, s12, 0
	v_mbcnt_hi_u32_b32 v10, s13, v10
	s_bcnt1_i32_b64 s23, s[14:15]
	v_cmp_eq_u32_e64 s[6:7], 0, v10
                                        ; implicit-def: $vgpr11
	s_and_saveexec_b64 s[2:3], s[6:7]
; %bb.16:                               ;   in Loop: Header=BB36_12 Depth=2
	s_bcnt1_i32_b64 s6, s[12:13]
	s_mul_i32 s6, s23, s6
	v_mov_b32_e32 v11, s6
	ds_add_rtn_u32 v11, v3, v11 offset:5136
; %bb.17:                               ;   in Loop: Header=BB36_12 Depth=2
	s_or_b64 exec, exec, s[2:3]
	s_waitcnt lgkmcnt(0)
	v_readfirstlane_b32 s2, v11
	v_mov_b32_e32 v11, s2
	v_mad_u32_u24 v10, s23, v10, v11
.LBB36_18:                              ;   in Loop: Header=BB36_12 Depth=2
	s_or_b64 exec, exec, s[10:11]
	ds_bpermute_b32 v10, v37, v10
	s_and_b64 s[2:3], exec, vcc
	s_or_b64 s[20:21], s[2:3], s[20:21]
	s_and_saveexec_b64 s[2:3], s[14:15]
	s_cbranch_execz .LBB36_11
; %bb.19:                               ;   in Loop: Header=BB36_12 Depth=2
	v_and_b32_e32 v26, s14, v33
	v_and_b32_e32 v11, s15, v31
	v_bcnt_u32_b32 v26, v26, 0
	v_bcnt_u32_b32 v11, v11, v26
	v_lshlrev_b32_e32 v11, 1, v11
	s_waitcnt lgkmcnt(0)
	v_lshl_add_u32 v10, v10, 1, v11
	ds_write_b16 v10, v2
	s_branch .LBB36_11
.LBB36_20:                              ;   in Loop: Header=BB36_7 Depth=1
	s_mov_b64 s[18:19], -1
	s_mov_b64 s[6:7], 0
.LBB36_21:                              ;   in Loop: Header=BB36_7 Depth=1
	s_and_b64 vcc, exec, s[18:19]
	s_cbranch_vccz .LBB36_37
.LBB36_22:                              ;   in Loop: Header=BB36_7 Depth=1
	s_mov_b64 s[14:15], exec
	v_readlane_b32 s2, v56, 14
	v_readlane_b32 s3, v56, 15
	s_and_b64 s[2:3], s[14:15], s[2:3]
	s_mov_b64 exec, s[2:3]
	s_cbranch_execz .LBB36_34
; %bb.23:                               ;   in Loop: Header=BB36_7 Depth=1
	global_load_ushort v2, v3, s[54:55]
	global_load_ushort v11, v[12:13], off
	v_mov_b32_e32 v6, v0
	s_waitcnt vmcnt(1)
	v_readfirstlane_b32 s2, v2
	v_add_u32_sdwa v2, v2, v0 dst_sel:DWORD dst_unused:UNUSED_PAD src0_sel:WORD_0 src1_sel:DWORD
	v_cmp_gt_i64_e32 vcc, s[24:25], v[2:3]
	s_and_saveexec_b64 s[18:19], vcc
	s_cbranch_execz .LBB36_33
; %bb.24:                               ;   in Loop: Header=BB36_7 Depth=1
	s_and_b32 s2, s2, 0xffff
	s_cmp_eq_u32 s2, 1
	v_readlane_b32 s10, v56, 16
                                        ; implicit-def: $vgpr6_vgpr7
	s_cselect_b64 s[6:7], -1, 0
	v_readlane_b32 s11, v56, 17
	v_mov_b32_e32 v8, v1
	v_mov_b32_e32 v5, v3
	s_and_b64 s[10:11], s[10:11], s[6:7]
	s_mov_b64 s[12:13], -1
	v_mov_b32_e32 v7, v0
	v_mov_b32_e32 v4, v2
	s_and_saveexec_b64 s[6:7], s[10:11]
	s_cbranch_execz .LBB36_28
; %bb.25:                               ;   in Loop: Header=BB36_7 Depth=1
	v_add_co_u32_e32 v4, vcc, 1, v2
	v_addc_co_u32_e64 v5, s[10:11], 0, 0, vcc
	v_mov_b32_e32 v8, v14
	v_mov_b32_e32 v7, v5
	s_waitcnt vmcnt(0)
	v_lshlrev_b32_e32 v26, 16, v11
	s_mov_b64 s[10:11], 0
	v_mov_b32_e32 v9, v15
	v_mov_b32_e32 v10, v43
	;; [unrolled: 1-line block ×5, first 2 shown]
.LBB36_26:                              ;   Parent Loop BB36_7 Depth=1
                                        ; =>  This Inner Loop Header: Depth=2
	v_mul_lo_u32 v50, v5, s34
	v_mul_lo_u32 v51, v4, s0
	v_mad_u64_u32 v[48:49], s[12:13], v4, s34, 0
	v_mul_lo_u32 v11, v7, s30
	v_mul_lo_u32 v29, v6, s31
	v_mad_u64_u32 v[27:28], s[12:13], v6, s30, 0
	v_add3_u32 v49, v49, v51, v50
	v_lshlrev_b64 v[48:49], 1, v[48:49]
	v_add3_u32 v28, v28, v29, v11
	v_mov_b32_e32 v52, s43
	v_lshlrev_b64 v[27:28], 1, v[27:28]
	v_add_co_u32_e32 v48, vcc, s42, v48
	v_addc_co_u32_e32 v49, vcc, v52, v49, vcc
	v_mov_b32_e32 v53, s43
	v_add_co_u32_e32 v27, vcc, s42, v27
	v_addc_co_u32_e32 v28, vcc, v53, v28, vcc
	global_load_ushort v29, v[48:49], off
	global_load_ushort v11, v[27:28], off
	v_add_co_u32_e32 v6, vcc, 2, v6
	v_addc_co_u32_e32 v7, vcc, 0, v7, vcc
	v_add_co_u32_e32 v4, vcc, 2, v4
	v_addc_co_u32_e32 v5, vcc, 0, v5, vcc
	v_add_co_u32_e32 v8, vcc, -2, v8
	v_addc_co_u32_e32 v9, vcc, -1, v9, vcc
	s_mov_b32 s3, 0x5040100
	v_cmp_eq_u64_e32 vcc, 0, v[8:9]
	s_or_b64 s[10:11], vcc, s[10:11]
	s_waitcnt vmcnt(1)
	v_alignbit_b32 v26, v29, v26, 16
	s_waitcnt vmcnt(0)
	v_perm_b32 v27, v11, v29, s3
	ds_write_b32 v10, v26
	v_add_u32_e32 v10, 4, v10
	v_mov_b32_e32 v26, v27
	s_andn2_b64 exec, exec, s[10:11]
	s_cbranch_execnz .LBB36_26
; %bb.27:                               ;   in Loop: Header=BB36_7 Depth=1
	s_or_b64 exec, exec, s[10:11]
	v_readlane_b32 s10, v56, 18
	v_add_co_u32_e32 v4, vcc, v2, v14
	v_readlane_b32 s11, v56, 19
	v_addc_co_u32_e32 v5, vcc, 0, v15, vcc
	v_add_co_u32_e32 v6, vcc, -1, v4
	s_orn2_b64 s[12:13], s[10:11], exec
	v_mov_b32_e32 v7, v17
	v_mov_b32_e32 v8, v18
.LBB36_28:                              ;   in Loop: Header=BB36_7 Depth=1
	s_or_b64 exec, exec, s[6:7]
	s_and_saveexec_b64 s[10:11], s[12:13]
	s_cbranch_execz .LBB36_32
; %bb.29:                               ;   in Loop: Header=BB36_7 Depth=1
	v_mov_b32_e32 v8, s42
	v_mov_b32_e32 v9, s43
	v_mad_u64_u32 v[9:10], s[6:7], s60, v4, v[8:9]
	v_mul_lo_u32 v2, s60, v5
	v_mul_lo_u32 v6, s61, v4
	s_mul_i32 s6, s61, s2
	s_mul_hi_u32 s7, s60, s2
	s_mov_b64 s[12:13], 0
	s_sub_u32 s3, 0, s2
	v_add3_u32 v10, v6, v10, v2
	s_add_i32 s16, s7, s6
	s_mul_i32 s17, s60, s2
.LBB36_30:                              ;   Parent Loop BB36_7 Depth=1
                                        ; =>  This Inner Loop Header: Depth=2
	global_load_ushort v2, v[9:10], off
	v_mov_b32_e32 v27, v5
	v_mov_b32_e32 v26, v4
	v_lshlrev_b32_e32 v4, 1, v7
	v_mov_b32_e32 v6, s16
	v_add_co_u32_e32 v9, vcc, s17, v9
	s_waitcnt vmcnt(1)
	ds_write_b16 v4, v11
	v_add_co_u32_e64 v4, s[6:7], s2, v26
	v_addc_co_u32_e64 v5, s[6:7], 0, v27, s[6:7]
	v_addc_co_u32_e32 v10, vcc, v10, v6, vcc
	v_cmp_le_i64_e32 vcc, s[24:25], v[4:5]
	v_mov_b32_e32 v7, v26
	v_add_co_u32_e64 v6, s[6:7], s3, v4
	s_or_b64 s[12:13], vcc, s[12:13]
	v_mov_b32_e32 v8, v27
	s_waitcnt vmcnt(0)
	v_mov_b32_e32 v11, v2
	s_andn2_b64 exec, exec, s[12:13]
	s_cbranch_execnz .LBB36_30
; %bb.31:                               ;   in Loop: Header=BB36_7 Depth=1
	s_or_b64 exec, exec, s[12:13]
	v_mov_b32_e32 v11, v2
.LBB36_32:                              ;   in Loop: Header=BB36_7 Depth=1
	s_or_b64 exec, exec, s[10:11]
.LBB36_33:                              ;   in Loop: Header=BB36_7 Depth=1
	s_or_b64 exec, exec, s[18:19]
	v_lshlrev_b32_e32 v2, 1, v6
	s_waitcnt vmcnt(0)
	ds_write_b16 v2, v11
.LBB36_34:                              ;   in Loop: Header=BB36_7 Depth=1
	s_or_b64 exec, exec, s[14:15]
	s_waitcnt lgkmcnt(0)
	s_barrier
	s_mov_b64 s[2:3], exec
	v_readlane_b32 s6, v56, 6
	v_readlane_b32 s7, v56, 7
	s_and_b64 s[6:7], s[2:3], s[6:7]
	s_mov_b64 exec, s[6:7]
; %bb.35:                               ;   in Loop: Header=BB36_7 Depth=1
	v_mov_b32_e32 v4, s24
	v_mov_b32_e32 v5, s25
	ds_write_b64 v3, v[4:5] offset:5120
; %bb.36:                               ;   in Loop: Header=BB36_7 Depth=1
	s_or_b64 exec, exec, s[2:3]
	s_mov_b64 s[6:7], -1
	s_waitcnt lgkmcnt(0)
	s_barrier
.LBB36_37:                              ;   in Loop: Header=BB36_7 Depth=1
	s_and_b64 vcc, exec, s[6:7]
	s_cbranch_vccz .LBB36_39
; %bb.38:                               ;   in Loop: Header=BB36_7 Depth=1
	ds_read_b64 v[4:5], v3 offset:5120
	s_waitcnt lgkmcnt(0)
	v_readfirstlane_b32 s22, v4
.LBB36_39:                              ;   in Loop: Header=BB36_7 Depth=1
	s_cmp_lt_i32 s22, 1
	s_mov_b64 s[6:7], -1
                                        ; implicit-def: $vgpr4_vgpr5
                                        ; implicit-def: $vgpr8_vgpr9
	s_cbranch_scc1 .LBB36_49
; %bb.40:                               ;   in Loop: Header=BB36_7 Depth=1
	s_and_b64 vcc, exec, s[6:7]
	s_cbranch_vccnz .LBB36_63
.LBB36_41:                              ;   in Loop: Header=BB36_7 Depth=1
	s_lshl_b32 s2, s51, 6
	s_and_saveexec_b64 s[6:7], s[4:5]
	s_cbranch_execz .LBB36_43
.LBB36_42:                              ;   in Loop: Header=BB36_7 Depth=1
	v_lshl_add_u32 v2, s2, 3, v38
	ds_write_b128 v2, v[4:7]
	ds_write_b128 v2, v[8:11] offset:16
.LBB36_43:                              ;   in Loop: Header=BB36_7 Depth=1
	s_or_b64 exec, exec, s[6:7]
	s_waitcnt lgkmcnt(0)
	s_barrier
	s_and_saveexec_b64 s[6:7], s[48:49]
	s_cbranch_execz .LBB36_81
; %bb.44:                               ;   in Loop: Header=BB36_7 Depth=1
	v_readlane_b32 s10, v56, 20
	v_mov_b32_e32 v4, 0
	v_readlane_b32 s11, v56, 21
	v_mov_b32_e32 v5, 0
	s_andn2_b64 vcc, exec, s[10:11]
	s_cbranch_vccnz .LBB36_80
; %bb.45:                               ;   in Loop: Header=BB36_7 Depth=1
	v_readlane_b32 s10, v56, 24
	v_readlane_b32 s11, v56, 25
	s_andn2_b64 vcc, exec, s[10:11]
	s_cbranch_vccnz .LBB36_76
; %bb.46:                               ;   in Loop: Header=BB36_7 Depth=1
	v_mov_b32_e32 v4, 0
	v_lshl_add_u32 v2, s51, 9, v41
	v_mov_b32_e32 v5, 0
	s_mov_b32 s3, 0
.LBB36_47:                              ;   Parent Loop BB36_7 Depth=1
                                        ; =>  This Inner Loop Header: Depth=2
	ds_read2_b64 v[6:9], v2 offset1:4
	ds_read2_b64 v[26:29], v2 offset0:8 offset1:12
	ds_read2_b64 v[48:51], v2 offset0:16 offset1:20
	;; [unrolled: 1-line block ×3, first 2 shown]
	s_add_i32 s3, s3, 8
	s_waitcnt lgkmcnt(3)
	v_add_co_u32_e32 v4, vcc, v6, v4
	v_addc_co_u32_e32 v5, vcc, v7, v5, vcc
	v_add_co_u32_e32 v4, vcc, v8, v4
	v_addc_co_u32_e32 v5, vcc, v9, v5, vcc
	s_waitcnt lgkmcnt(2)
	v_add_co_u32_e32 v4, vcc, v26, v4
	v_addc_co_u32_e32 v5, vcc, v27, v5, vcc
	v_add_co_u32_e32 v4, vcc, v28, v4
	v_addc_co_u32_e32 v5, vcc, v29, v5, vcc
	;; [unrolled: 5-line block ×3, first 2 shown]
	s_waitcnt lgkmcnt(0)
	v_add_co_u32_e32 v4, vcc, v52, v4
	v_addc_co_u32_e32 v5, vcc, v53, v5, vcc
	v_add_co_u32_e32 v4, vcc, v54, v4
	v_add_u32_e32 v2, 0x100, v2
	s_cmp_eq_u32 s1, s3
	v_addc_co_u32_e32 v5, vcc, v55, v5, vcc
	s_cbranch_scc0 .LBB36_47
; %bb.48:                               ;   in Loop: Header=BB36_7 Depth=1
	s_mov_b32 s3, s1
	s_branch .LBB36_77
.LBB36_49:                              ;   in Loop: Header=BB36_7 Depth=1
	global_load_ushort v2, v3, s[54:55]
	s_mov_b32 s2, s45
	s_waitcnt vmcnt(0)
	v_readfirstlane_b32 s3, v2
	s_and_b32 s10, s3, 0xffff
	s_lshl_b32 s11, s10, 2
	s_mov_b32 s3, s25
	s_cmp_lg_u64 s[2:3], 0
	s_cbranch_scc0 .LBB36_72
; %bb.50:                               ;   in Loop: Header=BB36_7 Depth=1
	s_add_u32 s2, s11, 0
	s_addc_u32 s3, 0, 0
	s_xor_b64 s[6:7], s[2:3], 0
	v_cvt_f32_u32_e32 v2, s6
	v_cvt_f32_u32_e32 v4, s7
	s_sub_u32 s12, 0, s6
	s_subb_u32 s13, 0, s7
	v_mac_f32_e32 v2, 0x4f800000, v4
	v_rcp_f32_e32 v2, v2
	v_mul_f32_e32 v2, 0x5f7ffffc, v2
	v_mul_f32_e32 v4, 0x2f800000, v2
	v_trunc_f32_e32 v4, v4
	v_mac_f32_e32 v2, 0xcf800000, v4
	v_cvt_u32_f32_e32 v4, v4
	v_cvt_u32_f32_e32 v2, v2
	v_readfirstlane_b32 s14, v4
	v_readfirstlane_b32 s2, v2
	s_mul_i32 s3, s12, s14
	s_mul_hi_u32 s16, s12, s2
	s_mul_i32 s15, s13, s2
	s_add_i32 s3, s16, s3
	s_mul_i32 s17, s12, s2
	s_add_i32 s3, s3, s15
	s_mul_i32 s16, s2, s3
	s_mul_hi_u32 s18, s2, s17
	s_mul_hi_u32 s15, s2, s3
	s_add_u32 s16, s18, s16
	s_addc_u32 s15, 0, s15
	s_mul_hi_u32 s19, s14, s17
	s_mul_i32 s17, s14, s17
	s_add_u32 s16, s16, s17
	s_mul_hi_u32 s18, s14, s3
	s_addc_u32 s15, s15, s19
	s_addc_u32 s16, s18, 0
	s_mul_i32 s3, s14, s3
	s_add_u32 s3, s15, s3
	s_addc_u32 s15, 0, s16
	s_add_u32 s16, s2, s3
	s_cselect_b64 s[2:3], -1, 0
	s_cmp_lg_u64 s[2:3], 0
	s_addc_u32 s14, s14, s15
	s_mul_i32 s2, s12, s14
	s_mul_hi_u32 s3, s12, s16
	s_add_i32 s2, s3, s2
	s_mul_i32 s13, s13, s16
	s_add_i32 s2, s2, s13
	s_mul_i32 s12, s12, s16
	s_mul_hi_u32 s13, s14, s12
	s_mul_i32 s15, s14, s12
	s_mul_i32 s18, s16, s2
	s_mul_hi_u32 s12, s16, s12
	s_mul_hi_u32 s17, s16, s2
	s_add_u32 s12, s12, s18
	s_addc_u32 s17, 0, s17
	s_add_u32 s12, s12, s15
	s_mul_hi_u32 s3, s14, s2
	s_addc_u32 s12, s17, s13
	s_addc_u32 s3, s3, 0
	s_mul_i32 s2, s14, s2
	s_add_u32 s2, s12, s2
	s_addc_u32 s12, 0, s3
	s_add_u32 s15, s16, s2
	s_cselect_b64 s[2:3], -1, 0
	s_cmp_lg_u64 s[2:3], 0
	s_addc_u32 s14, s14, s12
	s_ashr_i32 s2, s25, 31
	s_add_u32 s12, s24, s2
	s_mov_b32 s3, s2
	s_addc_u32 s13, s25, s2
	s_xor_b64 s[12:13], s[12:13], s[2:3]
	s_mul_i32 s17, s12, s14
	s_mul_hi_u32 s18, s12, s15
	s_mul_hi_u32 s16, s12, s14
	s_add_u32 s17, s18, s17
	s_addc_u32 s16, 0, s16
	s_mul_hi_u32 s19, s13, s15
	s_mul_i32 s15, s13, s15
	s_add_u32 s15, s17, s15
	s_mul_hi_u32 s18, s13, s14
	s_addc_u32 s15, s16, s19
	s_addc_u32 s16, s18, 0
	s_mul_i32 s14, s13, s14
	s_add_u32 s14, s15, s14
	s_addc_u32 s15, 0, s16
	s_mul_i32 s15, s6, s15
	s_mul_hi_u32 s16, s6, s14
	s_add_i32 s15, s16, s15
	s_mul_i32 s16, s7, s14
	s_add_i32 s18, s15, s16
	s_sub_i32 s16, s13, s18
	s_mul_i32 s14, s6, s14
	s_sub_u32 s12, s12, s14
	s_cselect_b64 s[14:15], -1, 0
	s_cmp_lg_u64 s[14:15], 0
	s_subb_u32 s19, s16, s7
	s_sub_u32 s20, s12, s6
	s_cselect_b64 s[16:17], -1, 0
	s_cmp_lg_u64 s[16:17], 0
	s_subb_u32 s21, s19, 0
	s_cmp_ge_u32 s21, s7
	s_cselect_b32 s23, -1, 0
	s_cmp_ge_u32 s20, s6
	s_cselect_b32 s26, -1, 0
	s_cmp_eq_u32 s21, s7
	s_cselect_b32 s23, s26, s23
	s_cmp_lg_u64 s[16:17], 0
	s_subb_u32 s19, s19, s7
	s_sub_u32 s26, s20, s6
	s_cselect_b64 s[16:17], -1, 0
	s_cmp_lg_u64 s[16:17], 0
	s_subb_u32 s16, s19, 0
	s_cmp_lg_u32 s23, 0
	s_cselect_b32 s17, s26, s20
	s_cselect_b32 s16, s16, s21
	s_cmp_lg_u64 s[14:15], 0
	s_subb_u32 s13, s13, s18
	s_cmp_ge_u32 s13, s7
	s_cselect_b32 s14, -1, 0
	s_cmp_ge_u32 s12, s6
	s_cselect_b32 s6, -1, 0
	s_cmp_eq_u32 s13, s7
	s_cselect_b32 s6, s6, s14
	s_cmp_lg_u32 s6, 0
	s_cselect_b32 s7, s16, s13
	s_cselect_b32 s6, s17, s12
	s_xor_b64 s[6:7], s[6:7], s[2:3]
	s_sub_u32 s26, s6, s2
	s_subb_u32 s27, s7, s2
	s_cbranch_execnz .LBB36_52
.LBB36_51:                              ;   in Loop: Header=BB36_7 Depth=1
	v_cvt_f32_u32_e32 v2, s11
	s_sub_i32 s2, 0, s11
	v_rcp_iflag_f32_e32 v2, v2
	v_mul_f32_e32 v2, 0x4f7ffffe, v2
	v_cvt_u32_f32_e32 v2, v2
	v_readfirstlane_b32 s3, v2
	s_mul_i32 s2, s2, s3
	s_mul_hi_u32 s2, s3, s2
	s_add_i32 s3, s3, s2
	s_mul_hi_u32 s2, s24, s3
	s_mul_i32 s2, s2, s11
	s_sub_i32 s2, s24, s2
	s_sub_i32 s3, s2, s11
	s_cmp_ge_u32 s2, s11
	s_cselect_b32 s2, s3, s2
	s_sub_i32 s3, s2, s11
	s_cmp_ge_u32 s2, s11
	s_cselect_b32 s44, s3, s2
	s_mov_b64 s[26:27], s[44:45]
.LBB36_52:                              ;   in Loop: Header=BB36_7 Depth=1
	s_sub_u32 s78, s24, s26
	s_subb_u32 s79, s25, s27
	v_cmp_gt_i64_e32 vcc, s[78:79], v[20:21]
	v_mov_b32_e32 v4, 0
	v_mov_b32_e32 v6, 0
	;; [unrolled: 1-line block ×8, first 2 shown]
	s_and_saveexec_b64 s[80:81], vcc
	s_cbranch_execz .LBB36_56
; %bb.53:                               ;   in Loop: Header=BB36_7 Depth=1
	s_mul_i32 s2, s63, s10
	s_mul_hi_u32 s3, s62, s10
	v_mov_b32_e32 v27, v21
	s_add_i32 s2, s3, s2
	s_mov_b64 s[82:83], 0
	s_mov_b64 s[84:85], s[42:43]
	;; [unrolled: 1-line block ×6, first 2 shown]
	v_mov_b32_e32 v26, v20
.LBB36_54:                              ;   Parent Loop BB36_7 Depth=1
                                        ; =>  This Inner Loop Header: Depth=2
	v_add_co_u32_e32 v4, vcc, s84, v22
	v_mov_b32_e32 v2, s85
	v_addc_co_u32_e32 v5, vcc, v2, v23, vcc
	global_load_sshort v6, v[4:5], off
	v_add_co_u32_e32 v4, vcc, s84, v19
	v_addc_co_u32_e32 v5, vcc, v2, v36, vcc
	global_load_sshort v7, v[4:5], off
	v_add_co_u32_e32 v4, vcc, s84, v18
	;; [unrolled: 3-line block ×3, first 2 shown]
	v_addc_co_u32_e32 v5, vcc, v2, v34, vcc
	global_load_sshort v2, v[4:5], off
	s_waitcnt vmcnt(3)
	v_add_u32_e32 v4, 0x8000, v6
	s_waitcnt vmcnt(2)
	v_add_u32_e32 v5, 0x8000, v7
	v_and_b32_e32 v7, v4, v46
	v_bfe_u32 v4, v4, s50, 2
	v_cmp_eq_u32_e32 vcc, v7, v42
	v_and_b32_e32 v7, v5, v46
	s_waitcnt vmcnt(1)
	v_add_u32_e32 v6, 0x8000, v8
	v_bfe_u32 v5, v5, s50, 2
	v_cmp_eq_u32_e64 s[20:21], 0, v4
	v_cmp_eq_u32_e64 s[6:7], v7, v42
	v_and_b32_e32 v7, v6, v46
	s_waitcnt vmcnt(0)
	v_add_u32_e32 v2, 0x8000, v2
	v_bfe_u32 v6, v6, s50, 2
	s_and_b64 s[12:13], vcc, s[20:21]
	v_cmp_eq_u32_e64 s[20:21], 0, v5
	v_cmp_eq_u32_e64 s[14:15], v7, v42
	v_and_b32_e32 v7, v2, v46
	v_bfe_u32 v2, v2, s50, 2
	s_and_b64 s[16:17], s[6:7], s[20:21]
	v_cmp_eq_u32_e64 s[20:21], 0, v6
	v_cmp_eq_u32_e64 s[18:19], v7, v42
	s_and_b64 s[28:29], s[14:15], s[20:21]
	v_cmp_eq_u32_e64 s[20:21], 0, v2
	v_cndmask_b32_e64 v7, 0, 1, s[12:13]
	s_and_b64 s[36:37], s[18:19], s[20:21]
	v_cmp_ne_u32_e64 s[20:21], 0, v7
	v_cndmask_b32_e64 v7, 0, 1, s[16:17]
	s_bcnt1_i32_b64 s3, s[20:21]
	v_cmp_ne_u32_e64 s[20:21], 0, v7
	v_cndmask_b32_e64 v7, 0, 1, s[28:29]
	s_bcnt1_i32_b64 s12, s[20:21]
	;; [unrolled: 3-line block ×3, first 2 shown]
	v_cmp_ne_u32_e64 s[20:21], 0, v7
	s_bcnt1_i32_b64 s16, s[20:21]
	s_add_u32 s3, s3, s92
	s_addc_u32 s17, 0, s93
	s_add_u32 s3, s3, s12
	s_addc_u32 s12, s17, 0
	s_add_u32 s3, s3, s13
	s_addc_u32 s12, s12, 0
	s_add_u32 s92, s3, s16
	v_cmp_eq_u32_e64 s[20:21], 1, v4
	s_addc_u32 s93, s12, 0
	s_and_b64 s[12:13], vcc, s[20:21]
	v_cmp_eq_u32_e64 s[20:21], 1, v5
	s_and_b64 s[16:17], s[6:7], s[20:21]
	v_cmp_eq_u32_e64 s[20:21], 1, v6
	s_and_b64 s[28:29], s[14:15], s[20:21]
	v_cmp_eq_u32_e64 s[20:21], 1, v2
	v_cndmask_b32_e64 v7, 0, 1, s[12:13]
	s_and_b64 s[36:37], s[18:19], s[20:21]
	v_cmp_ne_u32_e64 s[20:21], 0, v7
	v_cndmask_b32_e64 v7, 0, 1, s[16:17]
	s_bcnt1_i32_b64 s3, s[20:21]
	v_cmp_ne_u32_e64 s[20:21], 0, v7
	v_cndmask_b32_e64 v7, 0, 1, s[28:29]
	s_bcnt1_i32_b64 s12, s[20:21]
	;; [unrolled: 3-line block ×3, first 2 shown]
	v_cmp_ne_u32_e64 s[20:21], 0, v7
	s_bcnt1_i32_b64 s16, s[20:21]
	s_add_u32 s3, s3, s90
	s_addc_u32 s17, 0, s91
	s_add_u32 s3, s3, s12
	s_addc_u32 s12, s17, 0
	;; [unrolled: 2-line block ×3, first 2 shown]
	s_add_u32 s90, s3, s16
	v_cmp_eq_u32_e64 s[20:21], 2, v4
	s_addc_u32 s91, s12, 0
	s_and_b64 s[12:13], vcc, s[20:21]
	v_cmp_eq_u32_e64 s[20:21], 2, v5
	s_and_b64 s[16:17], s[6:7], s[20:21]
	v_cmp_eq_u32_e64 s[20:21], 2, v6
	s_and_b64 s[28:29], s[14:15], s[20:21]
	v_cmp_eq_u32_e64 s[20:21], 2, v2
	v_cndmask_b32_e64 v7, 0, 1, s[12:13]
	s_and_b64 s[36:37], s[18:19], s[20:21]
	v_cmp_ne_u32_e64 s[20:21], 0, v7
	v_cndmask_b32_e64 v7, 0, 1, s[16:17]
	s_bcnt1_i32_b64 s3, s[20:21]
	v_cmp_ne_u32_e64 s[20:21], 0, v7
	v_cndmask_b32_e64 v7, 0, 1, s[28:29]
	s_bcnt1_i32_b64 s12, s[20:21]
	;; [unrolled: 3-line block ×3, first 2 shown]
	v_cmp_ne_u32_e64 s[20:21], 0, v7
	s_bcnt1_i32_b64 s16, s[20:21]
	s_add_u32 s3, s3, s88
	s_addc_u32 s17, 0, s89
	s_add_u32 s3, s3, s12
	s_addc_u32 s12, s17, 0
	;; [unrolled: 2-line block ×3, first 2 shown]
	s_add_u32 s88, s3, s16
	v_cmp_eq_u32_e64 s[20:21], 3, v4
	s_addc_u32 s89, s12, 0
	s_and_b64 s[12:13], vcc, s[20:21]
	v_cmp_eq_u32_e32 vcc, 3, v5
	s_and_b64 s[6:7], s[6:7], vcc
	v_cmp_eq_u32_e32 vcc, 3, v6
	s_and_b64 s[14:15], s[14:15], vcc
	v_cmp_eq_u32_e32 vcc, 3, v2
	v_cndmask_b32_e64 v2, 0, 1, s[12:13]
	s_and_b64 s[16:17], s[18:19], vcc
	v_cmp_ne_u32_e32 vcc, 0, v2
	v_cndmask_b32_e64 v2, 0, 1, s[6:7]
	s_bcnt1_i32_b64 s3, vcc
	v_cmp_ne_u32_e32 vcc, 0, v2
	v_cndmask_b32_e64 v2, 0, 1, s[14:15]
	s_bcnt1_i32_b64 s6, vcc
	;; [unrolled: 3-line block ×3, first 2 shown]
	v_cmp_ne_u32_e32 vcc, 0, v2
	s_bcnt1_i32_b64 s12, vcc
	s_add_u32 s3, s3, s86
	s_addc_u32 s13, 0, s87
	s_add_u32 s3, s3, s6
	s_addc_u32 s6, s13, 0
	;; [unrolled: 2-line block ×3, first 2 shown]
	s_add_u32 s86, s3, s12
	v_add_co_u32_e32 v26, vcc, s11, v26
	s_addc_u32 s87, s6, 0
	v_addc_co_u32_e32 v27, vcc, 0, v27, vcc
	s_mul_i32 s3, s62, s10
	s_add_u32 s84, s84, s3
	v_cmp_le_i64_e32 vcc, s[78:79], v[26:27]
	s_addc_u32 s85, s85, s2
	v_mov_b32_e32 v4, s92
	v_mov_b32_e32 v6, s90
	v_mov_b32_e32 v8, s88
	v_mov_b32_e32 v10, s86
	s_or_b64 s[82:83], vcc, s[82:83]
	v_mov_b32_e32 v5, s93
	v_mov_b32_e32 v7, s91
	;; [unrolled: 1-line block ×4, first 2 shown]
	s_andn2_b64 exec, exec, s[82:83]
	s_cbranch_execnz .LBB36_54
; %bb.55:                               ;   in Loop: Header=BB36_7 Depth=1
	s_or_b64 exec, exec, s[82:83]
.LBB36_56:                              ;   in Loop: Header=BB36_7 Depth=1
	s_or_b64 exec, exec, s[80:81]
	v_mov_b32_e32 v2, s79
	v_add_co_u32_e32 v26, vcc, s78, v0
	v_addc_co_u32_e32 v27, vcc, 0, v2, vcc
	v_cmp_gt_i64_e32 vcc, s[24:25], v[26:27]
	s_and_saveexec_b64 s[14:15], vcc
	s_cbranch_execz .LBB36_62
; %bb.57:                               ;   in Loop: Header=BB36_7 Depth=1
	v_mul_lo_u32 v2, v27, s30
	v_mul_lo_u32 v48, v26, s31
	v_mad_u64_u32 v[28:29], s[2:3], v26, s30, 0
	s_mul_i32 s16, s60, s10
	s_mov_b64 s[12:13], 0
	v_add3_u32 v29, v29, v48, v2
	v_lshlrev_b64 v[28:29], 1, v[28:29]
	v_mov_b32_e32 v2, s43
	v_add_co_u32_e32 v28, vcc, s42, v28
	v_addc_co_u32_e32 v29, vcc, v2, v29, vcc
	global_load_ushort v2, v[28:29], off
	v_add_co_u32_e32 v28, vcc, s10, v39
	v_addc_co_u32_e32 v29, vcc, 0, v40, vcc
	v_mov_b32_e32 v48, s27
	v_subrev_co_u32_e32 v49, vcc, s26, v28
	v_subb_co_u32_e32 v28, vcc, v29, v48, vcc
	v_mul_lo_u32 v48, s60, v28
	v_mov_b32_e32 v28, s42
	v_mov_b32_e32 v29, s43
	v_mul_lo_u32 v50, s61, v49
	v_mad_u64_u32 v[28:29], s[2:3], s60, v49, v[28:29]
	s_mul_i32 s2, s61, s10
	s_mul_hi_u32 s3, s60, s10
	v_add3_u32 v29, v50, v29, v48
	s_add_i32 s11, s3, s2
	s_branch .LBB36_59
.LBB36_58:                              ;   in Loop: Header=BB36_59 Depth=2
	s_or_b64 exec, exec, s[2:3]
	s_waitcnt vmcnt(0)
	v_add_u32_sdwa v2, sext(v2), s9 dst_sel:DWORD dst_unused:UNUSED_PAD src0_sel:WORD_0 src1_sel:DWORD
	s_and_b64 s[2:3], exec, vcc
	v_and_b32_e32 v49, v2, v46
	v_bfe_u32 v2, v2, s50, 2
	s_or_b64 s[12:13], s[2:3], s[12:13]
	v_cmp_eq_u32_e32 vcc, v49, v42
	v_cmp_eq_u32_e64 s[6:7], 0, v2
	s_and_b64 s[2:3], vcc, s[6:7]
	v_cndmask_b32_e64 v49, 0, 1, s[2:3]
	v_cmp_ne_u32_e64 s[6:7], 0, v49
	s_bcnt1_i32_b64 s2, s[6:7]
	v_add_co_u32_e64 v4, s[6:7], s2, v4
	v_addc_co_u32_e64 v5, s[6:7], 0, v5, s[6:7]
	v_cmp_eq_u32_e64 s[6:7], 1, v2
	s_and_b64 s[2:3], vcc, s[6:7]
	v_cndmask_b32_e64 v49, 0, 1, s[2:3]
	v_cmp_ne_u32_e64 s[6:7], 0, v49
	s_bcnt1_i32_b64 s2, s[6:7]
	v_add_co_u32_e64 v6, s[6:7], s2, v6
	v_addc_co_u32_e64 v7, s[6:7], 0, v7, s[6:7]
	;; [unrolled: 7-line block ×3, first 2 shown]
	v_cmp_eq_u32_e64 s[6:7], 3, v2
	s_and_b64 s[2:3], vcc, s[6:7]
	v_cndmask_b32_e64 v2, 0, 1, s[2:3]
	v_cmp_ne_u32_e32 vcc, 0, v2
	s_bcnt1_i32_b64 s2, vcc
	v_add_co_u32_e32 v10, vcc, s2, v10
	v_addc_co_u32_e32 v11, vcc, 0, v11, vcc
	v_mov_b32_e32 v2, s11
	v_add_co_u32_e32 v28, vcc, s16, v28
	v_addc_co_u32_e32 v29, vcc, v29, v2, vcc
	v_mov_b32_e32 v2, v48
	s_andn2_b64 exec, exec, s[12:13]
	s_cbranch_execz .LBB36_61
.LBB36_59:                              ;   Parent Loop BB36_7 Depth=1
                                        ; =>  This Inner Loop Header: Depth=2
	v_add_co_u32_e32 v26, vcc, s10, v26
	v_addc_co_u32_e32 v27, vcc, 0, v27, vcc
	v_cmp_gt_i64_e64 s[6:7], s[24:25], v[26:27]
	v_cmp_le_i64_e32 vcc, s[24:25], v[26:27]
	v_mov_b32_e32 v48, 0
	s_and_saveexec_b64 s[2:3], s[6:7]
	s_cbranch_execz .LBB36_58
; %bb.60:                               ;   in Loop: Header=BB36_59 Depth=2
	global_load_ushort v48, v[28:29], off
	s_branch .LBB36_58
.LBB36_61:                              ;   in Loop: Header=BB36_7 Depth=1
	s_or_b64 exec, exec, s[12:13]
.LBB36_62:                              ;   in Loop: Header=BB36_7 Depth=1
	s_or_b64 exec, exec, s[14:15]
	s_branch .LBB36_41
.LBB36_63:                              ;   in Loop: Header=BB36_7 Depth=1
	global_load_ushort v2, v3, s[54:55]
	v_mov_b32_e32 v8, 0
	v_mov_b32_e32 v9, 0
	s_waitcnt vmcnt(0)
	v_readfirstlane_b32 s2, v2
	s_and_b32 s2, 0xffff, s2
	s_lshl_b32 s3, s2, 2
	v_cvt_f32_u32_e32 v4, s3
	s_sub_i32 s6, 0, s3
	v_rcp_iflag_f32_e32 v6, v4
	v_mov_b32_e32 v4, 0
	v_mov_b32_e32 v5, 0
	v_mul_f32_e32 v6, 0x4f7ffffe, v6
	v_cvt_u32_f32_e32 v10, v6
	v_mov_b32_e32 v6, 0
	v_mov_b32_e32 v7, 0
	v_readfirstlane_b32 s7, v10
	s_mul_i32 s6, s6, s7
	s_mul_hi_u32 s6, s7, s6
	s_add_i32 s7, s7, s6
	s_mul_hi_u32 s6, s22, s7
	s_mul_i32 s7, s6, s3
	s_sub_i32 s7, s22, s7
	s_add_i32 s10, s6, 1
	s_sub_i32 s11, s7, s3
	s_cmp_ge_u32 s7, s3
	s_cselect_b32 s6, s10, s6
	s_cselect_b32 s7, s11, s7
	s_add_i32 s10, s6, 1
	s_cmp_ge_u32 s7, s3
	s_cselect_b32 s6, s10, s6
	s_mul_hi_u32 s27, s2, s6
	s_mul_i32 s26, s2, s6
	s_lshl_b64 s[78:79], s[26:27], 2
	v_cmp_gt_u64_e32 vcc, s[78:79], v[20:21]
	v_mov_b32_e32 v10, 0
	v_mov_b32_e32 v11, 0
	s_and_saveexec_b64 s[80:81], vcc
	s_cbranch_execz .LBB36_67
; %bb.64:                               ;   in Loop: Header=BB36_7 Depth=1
	v_mov_b32_e32 v27, v21
	s_lshl_b32 s10, s2, 3
	s_mov_b64 s[82:83], 0
	v_mov_b32_e32 v28, v32
	s_mov_b64 s[84:85], 0
	s_mov_b64 s[86:87], 0
	;; [unrolled: 1-line block ×4, first 2 shown]
	v_mov_b32_e32 v26, v20
.LBB36_65:                              ;   Parent Loop BB36_7 Depth=1
                                        ; =>  This Inner Loop Header: Depth=2
	ds_read_b64 v[4:5], v28
	v_add_u32_e32 v28, s10, v28
	s_waitcnt lgkmcnt(0)
	v_add_u32_sdwa v6, sext(v4), s9 dst_sel:DWORD dst_unused:UNUSED_PAD src0_sel:WORD_0 src1_sel:DWORD
	v_add_u32_sdwa v4, sext(v4), s9 dst_sel:DWORD dst_unused:UNUSED_PAD src0_sel:WORD_1 src1_sel:DWORD
	v_and_b32_e32 v8, v6, v46
	v_bfe_u32 v6, v6, s50, 2
	v_add_u32_sdwa v7, sext(v5), s9 dst_sel:DWORD dst_unused:UNUSED_PAD src0_sel:WORD_0 src1_sel:DWORD
	v_cmp_eq_u32_e32 vcc, v8, v42
	v_and_b32_e32 v8, v4, v46
	v_bfe_u32 v4, v4, s50, 2
	v_cmp_eq_u32_e64 s[20:21], 0, v6
	v_add_u32_sdwa v5, sext(v5), s9 dst_sel:DWORD dst_unused:UNUSED_PAD src0_sel:WORD_1 src1_sel:DWORD
	v_cmp_eq_u32_e64 s[6:7], v8, v42
	v_and_b32_e32 v8, v7, v46
	v_bfe_u32 v7, v7, s50, 2
	s_and_b64 s[12:13], vcc, s[20:21]
	v_cmp_eq_u32_e64 s[20:21], 0, v4
	v_cmp_eq_u32_e64 s[14:15], v8, v42
	v_and_b32_e32 v8, v5, v46
	v_bfe_u32 v5, v5, s50, 2
	s_and_b64 s[16:17], s[6:7], s[20:21]
	v_cmp_eq_u32_e64 s[20:21], 0, v7
	v_cmp_eq_u32_e64 s[18:19], v8, v42
	s_and_b64 s[28:29], s[14:15], s[20:21]
	v_cmp_eq_u32_e64 s[20:21], 0, v5
	v_cndmask_b32_e64 v8, 0, 1, s[12:13]
	s_and_b64 s[36:37], s[18:19], s[20:21]
	v_cmp_ne_u32_e64 s[20:21], 0, v8
	v_cndmask_b32_e64 v8, 0, 1, s[16:17]
	s_bcnt1_i32_b64 s11, s[20:21]
	v_cmp_ne_u32_e64 s[20:21], 0, v8
	v_cndmask_b32_e64 v8, 0, 1, s[28:29]
	s_bcnt1_i32_b64 s12, s[20:21]
	;; [unrolled: 3-line block ×3, first 2 shown]
	v_cmp_ne_u32_e64 s[20:21], 0, v8
	s_bcnt1_i32_b64 s16, s[20:21]
	s_add_u32 s11, s11, s90
	s_addc_u32 s17, 0, s91
	s_add_u32 s11, s11, s12
	s_addc_u32 s12, s17, 0
	;; [unrolled: 2-line block ×3, first 2 shown]
	s_add_u32 s90, s11, s16
	v_cmp_eq_u32_e64 s[20:21], 1, v6
	s_addc_u32 s91, s12, 0
	s_and_b64 s[12:13], vcc, s[20:21]
	v_cmp_eq_u32_e64 s[20:21], 1, v4
	s_and_b64 s[16:17], s[6:7], s[20:21]
	v_cmp_eq_u32_e64 s[20:21], 1, v7
	s_and_b64 s[28:29], s[14:15], s[20:21]
	v_cmp_eq_u32_e64 s[20:21], 1, v5
	v_cndmask_b32_e64 v8, 0, 1, s[12:13]
	s_and_b64 s[36:37], s[18:19], s[20:21]
	v_cmp_ne_u32_e64 s[20:21], 0, v8
	v_cndmask_b32_e64 v8, 0, 1, s[16:17]
	s_bcnt1_i32_b64 s11, s[20:21]
	v_cmp_ne_u32_e64 s[20:21], 0, v8
	v_cndmask_b32_e64 v8, 0, 1, s[28:29]
	s_bcnt1_i32_b64 s12, s[20:21]
	;; [unrolled: 3-line block ×3, first 2 shown]
	v_cmp_ne_u32_e64 s[20:21], 0, v8
	s_bcnt1_i32_b64 s16, s[20:21]
	s_add_u32 s11, s11, s88
	s_addc_u32 s17, 0, s89
	s_add_u32 s11, s11, s12
	s_addc_u32 s12, s17, 0
	;; [unrolled: 2-line block ×3, first 2 shown]
	s_add_u32 s88, s11, s16
	v_cmp_eq_u32_e64 s[20:21], 2, v6
	s_addc_u32 s89, s12, 0
	s_and_b64 s[12:13], vcc, s[20:21]
	v_cmp_eq_u32_e64 s[20:21], 2, v4
	s_and_b64 s[16:17], s[6:7], s[20:21]
	v_cmp_eq_u32_e64 s[20:21], 2, v7
	s_and_b64 s[28:29], s[14:15], s[20:21]
	v_cmp_eq_u32_e64 s[20:21], 2, v5
	v_cndmask_b32_e64 v8, 0, 1, s[12:13]
	s_and_b64 s[36:37], s[18:19], s[20:21]
	v_cmp_ne_u32_e64 s[20:21], 0, v8
	v_cndmask_b32_e64 v8, 0, 1, s[16:17]
	s_bcnt1_i32_b64 s11, s[20:21]
	v_cmp_ne_u32_e64 s[20:21], 0, v8
	v_cndmask_b32_e64 v8, 0, 1, s[28:29]
	s_bcnt1_i32_b64 s12, s[20:21]
	;; [unrolled: 3-line block ×3, first 2 shown]
	v_cmp_ne_u32_e64 s[20:21], 0, v8
	s_bcnt1_i32_b64 s16, s[20:21]
	s_add_u32 s11, s11, s86
	s_addc_u32 s17, 0, s87
	s_add_u32 s11, s11, s12
	s_addc_u32 s12, s17, 0
	;; [unrolled: 2-line block ×3, first 2 shown]
	s_add_u32 s86, s11, s16
	v_cmp_eq_u32_e64 s[20:21], 3, v6
	s_addc_u32 s87, s12, 0
	s_and_b64 s[12:13], vcc, s[20:21]
	v_cmp_eq_u32_e32 vcc, 3, v4
	s_and_b64 s[6:7], s[6:7], vcc
	v_cmp_eq_u32_e32 vcc, 3, v7
	s_and_b64 s[14:15], s[14:15], vcc
	v_cmp_eq_u32_e32 vcc, 3, v5
	v_cndmask_b32_e64 v4, 0, 1, s[12:13]
	s_and_b64 s[16:17], s[18:19], vcc
	v_cmp_ne_u32_e32 vcc, 0, v4
	v_cndmask_b32_e64 v4, 0, 1, s[6:7]
	s_bcnt1_i32_b64 s11, vcc
	v_cmp_ne_u32_e32 vcc, 0, v4
	v_cndmask_b32_e64 v4, 0, 1, s[14:15]
	s_bcnt1_i32_b64 s6, vcc
	;; [unrolled: 3-line block ×3, first 2 shown]
	v_cmp_ne_u32_e32 vcc, 0, v4
	s_bcnt1_i32_b64 s12, vcc
	s_add_u32 s11, s11, s84
	s_addc_u32 s13, 0, s85
	s_add_u32 s6, s11, s6
	s_addc_u32 s11, s13, 0
	s_add_u32 s6, s6, s7
	v_add_co_u32_e32 v26, vcc, s3, v26
	s_addc_u32 s7, s11, 0
	v_addc_co_u32_e32 v27, vcc, 0, v27, vcc
	s_add_u32 s84, s6, s12
	v_cmp_le_u64_e32 vcc, s[78:79], v[26:27]
	s_addc_u32 s85, s7, 0
	v_mov_b32_e32 v4, s90
	v_mov_b32_e32 v6, s88
	;; [unrolled: 1-line block ×4, first 2 shown]
	s_or_b64 s[82:83], vcc, s[82:83]
	v_mov_b32_e32 v5, s91
	v_mov_b32_e32 v7, s89
	v_mov_b32_e32 v9, s87
	v_mov_b32_e32 v11, s85
	s_andn2_b64 exec, exec, s[82:83]
	s_cbranch_execnz .LBB36_65
; %bb.66:                               ;   in Loop: Header=BB36_7 Depth=1
	s_or_b64 exec, exec, s[82:83]
.LBB36_67:                              ;   in Loop: Header=BB36_7 Depth=1
	s_or_b64 exec, exec, s[80:81]
	v_mov_b32_e32 v27, s79
	v_add_co_u32_e32 v26, vcc, s78, v0
	s_and_b32 s44, s22, 0x7fffffff
	v_addc_co_u32_e32 v27, vcc, 0, v27, vcc
	v_cmp_gt_u64_e32 vcc, s[44:45], v[26:27]
	s_and_saveexec_b64 s[28:29], vcc
	s_cbranch_execz .LBB36_71
; %bb.68:                               ;   in Loop: Header=BB36_7 Depth=1
	v_lshl_add_u32 v28, s26, 3, v43
	s_lshl_b32 s2, s2, 1
	s_mov_b64 s[26:27], 0
.LBB36_69:                              ;   Parent Loop BB36_7 Depth=1
                                        ; =>  This Inner Loop Header: Depth=2
	ds_read_i16 v29, v28
	v_add_co_u32_sdwa v26, vcc, v26, v2 dst_sel:DWORD dst_unused:UNUSED_PAD src0_sel:DWORD src1_sel:WORD_0
	v_addc_co_u32_e32 v27, vcc, 0, v27, vcc
	s_waitcnt lgkmcnt(0)
	v_add_u32_e32 v29, 0x8000, v29
	v_and_b32_e32 v48, v29, v46
	v_bfe_u32 v29, v29, s50, 2
	v_cmp_eq_u32_e64 s[6:7], v48, v42
	v_cmp_eq_u32_e64 s[14:15], 0, v29
	;; [unrolled: 1-line block ×3, first 2 shown]
	s_and_b64 s[10:11], s[6:7], s[14:15]
	v_cmp_eq_u32_e64 s[20:21], 2, v29
	v_cmp_eq_u32_e64 s[22:23], 3, v29
	v_cndmask_b32_e64 v29, 0, 1, s[10:11]
	s_and_b64 s[10:11], s[6:7], s[18:19]
	v_cndmask_b32_e64 v48, 0, 1, s[10:11]
	s_and_b64 s[10:11], s[6:7], s[20:21]
	s_and_b64 s[6:7], s[6:7], s[22:23]
	v_cndmask_b32_e64 v50, 0, 1, s[6:7]
	v_cmp_ne_u32_e64 s[6:7], 0, v29
	s_bcnt1_i32_b64 s3, s[6:7]
	v_cmp_ne_u32_e64 s[14:15], 0, v48
	v_add_co_u32_e64 v4, s[6:7], s3, v4
	v_cndmask_b32_e64 v49, 0, 1, s[10:11]
	s_bcnt1_i32_b64 s10, s[14:15]
	v_addc_co_u32_e64 v5, s[6:7], 0, v5, s[6:7]
	v_cmp_le_u64_e32 vcc, s[44:45], v[26:27]
	v_cmp_ne_u32_e64 s[18:19], 0, v49
	v_cmp_ne_u32_e64 s[20:21], 0, v50
	v_add_co_u32_e64 v6, s[6:7], s10, v6
	s_bcnt1_i32_b64 s11, s[18:19]
	s_bcnt1_i32_b64 s12, s[20:21]
	v_addc_co_u32_e64 v7, s[6:7], 0, v7, s[6:7]
	v_add_co_u32_e64 v8, s[6:7], s11, v8
	s_or_b64 s[26:27], vcc, s[26:27]
	v_add_co_u32_e32 v10, vcc, s12, v10
	v_add_u32_e32 v28, s2, v28
	v_addc_co_u32_e64 v9, s[6:7], 0, v9, s[6:7]
	v_addc_co_u32_e32 v11, vcc, 0, v11, vcc
	s_andn2_b64 exec, exec, s[26:27]
	s_cbranch_execnz .LBB36_69
; %bb.70:                               ;   in Loop: Header=BB36_7 Depth=1
	s_or_b64 exec, exec, s[26:27]
.LBB36_71:                              ;   in Loop: Header=BB36_7 Depth=1
	s_or_b64 exec, exec, s[28:29]
	s_lshl_b32 s2, s51, 6
	s_and_saveexec_b64 s[6:7], s[4:5]
	s_cbranch_execnz .LBB36_42
	s_branch .LBB36_43
.LBB36_72:                              ;   in Loop: Header=BB36_7 Depth=1
                                        ; implicit-def: $sgpr26_sgpr27
	s_branch .LBB36_51
.LBB36_73:                              ;   in Loop: Header=BB36_7 Depth=1
	s_or_b64 exec, exec, s[20:21]
	s_waitcnt lgkmcnt(0)
	s_barrier
	s_mov_b64 s[2:3], exec
	v_readlane_b32 s6, v56, 6
	v_readlane_b32 s7, v56, 7
	s_and_b64 s[6:7], s[2:3], s[6:7]
	s_mov_b64 exec, s[6:7]
	s_cbranch_execz .LBB36_75
; %bb.74:                               ;   in Loop: Header=BB36_7 Depth=1
	ds_read_b32 v4, v3 offset:5136
	s_waitcnt lgkmcnt(0)
	v_ashrrev_i32_e32 v5, 31, v4
	ds_write_b64 v3, v[4:5] offset:5120
.LBB36_75:                              ;   in Loop: Header=BB36_7 Depth=1
	s_or_b64 exec, exec, s[2:3]
	s_waitcnt lgkmcnt(0)
	s_barrier
	s_mov_b64 s[6:7], -1
	s_and_b64 vcc, exec, s[18:19]
	s_cbranch_vccnz .LBB36_22
	s_branch .LBB36_37
.LBB36_76:                              ;   in Loop: Header=BB36_7 Depth=1
	v_mov_b32_e32 v4, 0
	v_mov_b32_e32 v5, 0
	s_mov_b32 s3, 0
.LBB36_77:                              ;   in Loop: Header=BB36_7 Depth=1
	v_readlane_b32 s10, v56, 27
	v_readlane_b32 s11, v56, 28
	s_andn2_b64 vcc, exec, s[10:11]
	s_cbranch_vccnz .LBB36_80
; %bb.78:                               ;   in Loop: Header=BB36_7 Depth=1
	s_lshl_b32 s10, s51, 9
	s_lshl_b32 s3, s3, 5
	s_add_i32 s10, s10, s3
	v_add_u32_e32 v2, s10, v41
	v_readlane_b32 s3, v56, 26
.LBB36_79:                              ;   Parent Loop BB36_7 Depth=1
                                        ; =>  This Inner Loop Header: Depth=2
	ds_read_b64 v[6:7], v2
	s_add_i32 s3, s3, -1
	v_add_u32_e32 v2, 32, v2
	s_cmp_lg_u32 s3, 0
	s_waitcnt lgkmcnt(0)
	v_add_co_u32_e32 v4, vcc, v6, v4
	v_addc_co_u32_e32 v5, vcc, v7, v5, vcc
	s_cbranch_scc1 .LBB36_79
.LBB36_80:                              ;   in Loop: Header=BB36_7 Depth=1
	v_add_lshl_u32 v2, s2, v30, 3
	ds_write_b64 v2, v[4:5] offset:3072
.LBB36_81:                              ;   in Loop: Header=BB36_7 Depth=1
	s_or_b64 exec, exec, s[6:7]
	s_lshl_b32 s2, s2, 3
	v_mov_b32_e32 v2, s2
	s_waitcnt lgkmcnt(0)
	s_barrier
	ds_read_b128 v[8:11], v2 offset:3088
	ds_read_b128 v[4:7], v2 offset:3072
	v_cmp_eq_u64_e64 s[6:7], 1, v[24:25]
	s_lshl_b32 s16, 3, s50
	s_not_b32 s17, s16
	s_waitcnt lgkmcnt(1)
	v_readfirstlane_b32 s26, v8
	s_waitcnt lgkmcnt(0)
	v_cmp_eq_u64_e32 vcc, 1, v[4:5]
	v_readfirstlane_b32 s27, v9
	v_readfirstlane_b32 s14, v10
	;; [unrolled: 1-line block ×3, first 2 shown]
	s_and_b64 s[20:21], vcc, s[6:7]
	s_mov_b64 s[6:7], -1
	s_mov_b64 s[10:11], -1
                                        ; implicit-def: $sgpr36_sgpr37
                                        ; implicit-def: $sgpr28_sgpr29
	s_and_saveexec_b64 s[18:19], s[20:21]
	s_cbranch_execz .LBB36_113
; %bb.82:                               ;   in Loop: Header=BB36_7 Depth=1
	ds_read_b64 v[8:9], v3 offset:5120
	s_waitcnt lgkmcnt(0)
	s_barrier
	v_readfirstlane_b32 s22, v8
	v_readfirstlane_b32 s23, v9
	s_mov_b64 s[2:3], exec
	v_readlane_b32 s10, v56, 10
	v_readlane_b32 s11, v56, 11
	s_and_b64 s[10:11], s[2:3], s[10:11]
	s_mov_b64 exec, s[10:11]
; %bb.83:                               ;   in Loop: Header=BB36_7 Depth=1
	ds_write_b16 v44, v3
; %bb.84:                               ;   in Loop: Header=BB36_7 Depth=1
	s_or_b64 exec, exec, s[2:3]
	v_cmp_lt_i64_e64 s[2:3], s[22:23], 1
	v_and_b32_e32 v42, s17, v42
	v_or_b32_e32 v46, s16, v46
	s_mov_b64 s[28:29], -1
	s_mov_b64 s[36:37], 0
	s_and_b64 vcc, exec, s[2:3]
	s_mov_b64 s[38:39], 0
	s_mov_b64 s[40:41], -1
	s_waitcnt lgkmcnt(0)
	s_barrier
                                        ; implicit-def: $vgpr47
	s_cbranch_vccz .LBB36_98
; %bb.85:                               ;   in Loop: Header=BB36_7 Depth=1
	s_mov_b32 s52, s45
	s_cmp_lg_u64 s[52:53], 0
	s_cbranch_scc0 .LBB36_139
; %bb.86:                               ;   in Loop: Header=BB36_7 Depth=1
	s_add_u32 s2, s33, 0
	s_addc_u32 s3, 0, 0
	s_xor_b64 s[38:39], s[2:3], 0
	v_cvt_f32_u32_e32 v2, s38
	v_cvt_f32_u32_e32 v8, s39
	s_sub_u32 s10, 0, s38
	s_subb_u32 s11, 0, s39
	v_mac_f32_e32 v2, 0x4f800000, v8
	v_rcp_f32_e32 v2, v2
	v_mul_f32_e32 v2, 0x5f7ffffc, v2
	v_mul_f32_e32 v8, 0x2f800000, v2
	v_trunc_f32_e32 v8, v8
	v_mac_f32_e32 v2, 0xcf800000, v8
	v_cvt_u32_f32_e32 v8, v8
	v_cvt_u32_f32_e32 v2, v2
	v_readfirstlane_b32 s12, v8
	v_readfirstlane_b32 s2, v2
	s_mul_i32 s3, s10, s12
	s_mul_hi_u32 s40, s10, s2
	s_mul_i32 s13, s11, s2
	s_add_i32 s3, s40, s3
	s_mul_i32 s41, s10, s2
	s_add_i32 s3, s3, s13
	s_mul_i32 s40, s2, s3
	s_mul_hi_u32 s44, s2, s41
	s_mul_hi_u32 s13, s2, s3
	s_add_u32 s40, s44, s40
	s_addc_u32 s13, 0, s13
	s_mul_hi_u32 s52, s12, s41
	s_mul_i32 s41, s12, s41
	s_add_u32 s40, s40, s41
	s_mul_hi_u32 s44, s12, s3
	s_addc_u32 s13, s13, s52
	s_addc_u32 s40, s44, 0
	s_mul_i32 s3, s12, s3
	s_add_u32 s3, s13, s3
	s_addc_u32 s13, 0, s40
	s_add_u32 s40, s2, s3
	s_cselect_b64 s[2:3], -1, 0
	s_cmp_lg_u64 s[2:3], 0
	s_addc_u32 s12, s12, s13
	s_mul_i32 s2, s10, s12
	s_mul_hi_u32 s3, s10, s40
	s_add_i32 s2, s3, s2
	s_mul_i32 s11, s11, s40
	s_add_i32 s2, s2, s11
	s_mul_i32 s10, s10, s40
	s_mul_hi_u32 s11, s12, s10
	s_mul_i32 s13, s12, s10
	s_mul_i32 s44, s40, s2
	s_mul_hi_u32 s10, s40, s10
	s_mul_hi_u32 s41, s40, s2
	s_add_u32 s10, s10, s44
	s_addc_u32 s41, 0, s41
	s_add_u32 s10, s10, s13
	s_mul_hi_u32 s3, s12, s2
	s_addc_u32 s10, s41, s11
	s_addc_u32 s3, s3, 0
	s_mul_i32 s2, s12, s2
	s_add_u32 s2, s10, s2
	s_addc_u32 s10, 0, s3
	s_add_u32 s13, s40, s2
	s_cselect_b64 s[2:3], -1, 0
	s_cmp_lg_u64 s[2:3], 0
	s_addc_u32 s12, s12, s10
	s_ashr_i32 s2, s53, 31
	s_add_u32 s10, s35, s2
	s_mov_b32 s3, s2
	s_addc_u32 s11, s53, s2
	s_xor_b64 s[10:11], s[10:11], s[2:3]
	s_mul_i32 s41, s10, s12
	s_mul_hi_u32 s44, s10, s13
	s_mul_hi_u32 s40, s10, s12
	s_add_u32 s41, s44, s41
	s_addc_u32 s40, 0, s40
	s_mul_hi_u32 s52, s11, s13
	s_mul_i32 s13, s11, s13
	s_add_u32 s13, s41, s13
	s_mul_hi_u32 s44, s11, s12
	s_addc_u32 s13, s40, s52
	s_addc_u32 s40, s44, 0
	s_mul_i32 s12, s11, s12
	s_add_u32 s12, s13, s12
	s_addc_u32 s13, 0, s40
	s_mul_i32 s13, s38, s13
	s_mul_hi_u32 s40, s38, s12
	s_add_i32 s13, s40, s13
	s_mul_i32 s40, s39, s12
	s_add_i32 s44, s13, s40
	s_sub_i32 s40, s11, s44
	s_mul_i32 s12, s38, s12
	s_sub_u32 s10, s10, s12
	s_cselect_b64 s[12:13], -1, 0
	s_cmp_lg_u64 s[12:13], 0
	s_subb_u32 s52, s40, s39
	s_sub_u32 s56, s10, s38
	s_cselect_b64 s[40:41], -1, 0
	s_cmp_lg_u64 s[40:41], 0
	s_subb_u32 s57, s52, 0
	s_cmp_ge_u32 s57, s39
	s_cselect_b32 s58, -1, 0
	s_cmp_ge_u32 s56, s38
	s_cselect_b32 s59, -1, 0
	s_cmp_eq_u32 s57, s39
	s_cselect_b32 s58, s59, s58
	s_cmp_lg_u64 s[40:41], 0
	s_subb_u32 s52, s52, s39
	s_sub_u32 s59, s56, s38
	s_cselect_b64 s[40:41], -1, 0
	s_cmp_lg_u64 s[40:41], 0
	s_subb_u32 s40, s52, 0
	s_cmp_lg_u32 s58, 0
	s_cselect_b32 s41, s59, s56
	s_cselect_b32 s40, s40, s57
	s_cmp_lg_u64 s[12:13], 0
	s_subb_u32 s11, s11, s44
	s_cmp_ge_u32 s11, s39
	s_cselect_b32 s12, -1, 0
	s_cmp_ge_u32 s10, s38
	s_cselect_b32 s13, -1, 0
	s_cmp_eq_u32 s11, s39
	s_cselect_b32 s12, s13, s12
	s_cmp_lg_u32 s12, 0
	s_cselect_b32 s11, s40, s11
	s_cselect_b32 s10, s41, s10
	s_xor_b64 s[10:11], s[10:11], s[2:3]
	s_sub_u32 s10, s10, s2
	s_subb_u32 s11, s11, s2
	s_cbranch_execnz .LBB36_88
.LBB36_87:                              ;   in Loop: Header=BB36_7 Depth=1
	v_cvt_f32_u32_e32 v2, s33
	s_sub_i32 s2, 0, s33
	v_rcp_iflag_f32_e32 v2, v2
	v_mul_f32_e32 v2, 0x4f7ffffe, v2
	v_cvt_u32_f32_e32 v2, v2
	v_readfirstlane_b32 s3, v2
	s_mul_i32 s2, s2, s3
	s_mul_hi_u32 s2, s3, s2
	s_add_i32 s3, s3, s2
	s_mul_hi_u32 s2, s35, s3
	s_mul_i32 s2, s2, s33
	s_sub_i32 s2, s35, s2
	s_sub_i32 s3, s2, s33
	s_cmp_ge_u32 s2, s33
	s_cselect_b32 s2, s3, s2
	s_sub_i32 s3, s2, s33
	s_cmp_ge_u32 s2, s33
	s_cselect_b32 s44, s3, s2
	s_mov_b64 s[10:11], s[44:45]
.LBB36_88:                              ;   in Loop: Header=BB36_7 Depth=1
	s_sub_u32 s10, s35, s10
	s_subb_u32 s11, s53, s11
	v_cmp_gt_i64_e32 vcc, s[10:11], v[0:1]
	s_mov_b64 s[40:41], 0
	s_mov_b64 s[38:39], 0
                                        ; implicit-def: $vgpr47
	s_and_saveexec_b64 s[12:13], vcc
	s_cbranch_execz .LBB36_97
; %bb.89:                               ;   in Loop: Header=BB36_7 Depth=1
	v_mov_b32_e32 v8, v12
	v_mov_b32_e32 v11, v1
	;; [unrolled: 1-line block ×4, first 2 shown]
                                        ; implicit-def: $sgpr56_sgpr57
	s_branch .LBB36_92
.LBB36_90:                              ;   in Loop: Header=BB36_92 Depth=2
	s_or_b64 exec, exec, s[58:59]
	s_waitcnt lgkmcnt(0)
	s_barrier
	ds_read_b32 v2, v3 offset:3072
	s_mov_b64 s[58:59], -1
	s_mov_b64 s[78:79], -1
	s_waitcnt lgkmcnt(0)
	s_barrier
	v_cmp_ne_u32_sdwa s[2:3], v2, v3 src0_sel:WORD_0 src1_sel:DWORD
	s_and_b64 vcc, exec, s[2:3]
	s_cbranch_vccz .LBB36_95
.LBB36_91:                              ;   in Loop: Header=BB36_92 Depth=2
	s_and_b64 s[2:3], exec, s[58:59]
	s_or_b64 s[38:39], s[2:3], s[38:39]
	s_andn2_b64 s[2:3], s[56:57], exec
	s_and_b64 s[56:57], s[78:79], exec
	s_or_b64 s[56:57], s[2:3], s[56:57]
	s_andn2_b64 exec, exec, s[38:39]
	s_cbranch_execz .LBB36_96
.LBB36_92:                              ;   Parent Loop BB36_7 Depth=1
                                        ; =>  This Inner Loop Header: Depth=2
	v_cmp_gt_i64_e32 vcc, s[24:25], v[10:11]
	s_and_saveexec_b64 s[58:59], vcc
	s_cbranch_execz .LBB36_90
; %bb.93:                               ;   in Loop: Header=BB36_92 Depth=2
	global_load_ushort v2, v[8:9], off
	s_waitcnt vmcnt(0)
	v_add_u32_sdwa v26, sext(v2), s9 dst_sel:DWORD dst_unused:UNUSED_PAD src0_sel:WORD_0 src1_sel:DWORD
	v_and_b32_e32 v26, v26, v46
	v_cmp_eq_u32_e32 vcc, v26, v42
	s_and_b64 exec, exec, vcc
	s_cbranch_execz .LBB36_90
; %bb.94:                               ;   in Loop: Header=BB36_92 Depth=2
	v_perm_b32 v2, v2, 1, v45
	ds_write_b32 v3, v2 offset:3072
	s_branch .LBB36_90
.LBB36_95:                              ;   in Loop: Header=BB36_92 Depth=2
	v_add_co_u32_e32 v10, vcc, s33, v10
	v_addc_co_u32_e32 v11, vcc, 0, v11, vcc
	v_mov_b32_e32 v26, s47
	v_add_co_u32_e32 v8, vcc, s46, v8
	v_addc_co_u32_e32 v9, vcc, v9, v26, vcc
	v_cmp_le_i64_e32 vcc, s[10:11], v[10:11]
	s_mov_b64 s[78:79], 0
	s_orn2_b64 s[58:59], vcc, exec
	s_branch .LBB36_91
.LBB36_96:                              ;   in Loop: Header=BB36_7 Depth=1
	s_or_b64 exec, exec, s[38:39]
	v_lshrrev_b32_e32 v47, 16, v2
	s_and_b64 s[38:39], s[56:57], exec
.LBB36_97:                              ;   in Loop: Header=BB36_7 Depth=1
	s_or_b64 exec, exec, s[12:13]
.LBB36_98:                              ;   in Loop: Header=BB36_7 Depth=1
	s_and_b64 vcc, exec, s[40:41]
	s_cbranch_vccz .LBB36_112
; %bb.99:                               ;   in Loop: Header=BB36_7 Depth=1
	v_readlane_b32 s2, v56, 22
	s_add_u32 s12, s22, s2
	v_readlane_b32 s2, v56, 23
	s_addc_u32 s29, s23, s2
	s_mov_b32 s28, s45
	s_cmp_lg_u64 s[28:29], 0
	s_cbranch_scc0 .LBB36_140
; %bb.100:                              ;   in Loop: Header=BB36_7 Depth=1
	s_add_u32 s2, s33, 0
	s_addc_u32 s3, 0, 0
	s_xor_b64 s[36:37], s[2:3], 0
	v_cvt_f32_u32_e32 v2, s36
	v_cvt_f32_u32_e32 v8, s37
	s_sub_u32 s10, 0, s36
	s_subb_u32 s11, 0, s37
	v_mac_f32_e32 v2, 0x4f800000, v8
	v_rcp_f32_e32 v2, v2
	v_mul_f32_e32 v2, 0x5f7ffffc, v2
	v_mul_f32_e32 v8, 0x2f800000, v2
	v_trunc_f32_e32 v8, v8
	v_mac_f32_e32 v2, 0xcf800000, v8
	v_cvt_u32_f32_e32 v8, v8
	v_cvt_u32_f32_e32 v2, v2
	v_readfirstlane_b32 s13, v8
	v_readfirstlane_b32 s2, v2
	s_mul_i32 s3, s10, s13
	s_mul_hi_u32 s40, s10, s2
	s_mul_i32 s28, s11, s2
	s_add_i32 s3, s40, s3
	s_mul_i32 s41, s10, s2
	s_add_i32 s3, s3, s28
	s_mul_i32 s40, s2, s3
	s_mul_hi_u32 s44, s2, s41
	s_mul_hi_u32 s28, s2, s3
	s_add_u32 s40, s44, s40
	s_addc_u32 s28, 0, s28
	s_mul_hi_u32 s52, s13, s41
	s_mul_i32 s41, s13, s41
	s_add_u32 s40, s40, s41
	s_mul_hi_u32 s44, s13, s3
	s_addc_u32 s28, s28, s52
	s_addc_u32 s40, s44, 0
	s_mul_i32 s3, s13, s3
	s_add_u32 s3, s28, s3
	s_addc_u32 s28, 0, s40
	s_add_u32 s40, s2, s3
	s_cselect_b64 s[2:3], -1, 0
	s_cmp_lg_u64 s[2:3], 0
	s_addc_u32 s13, s13, s28
	s_mul_i32 s2, s10, s13
	s_mul_hi_u32 s3, s10, s40
	s_add_i32 s2, s3, s2
	s_mul_i32 s11, s11, s40
	s_add_i32 s2, s2, s11
	s_mul_i32 s10, s10, s40
	s_mul_hi_u32 s11, s13, s10
	s_mul_i32 s28, s13, s10
	s_mul_i32 s44, s40, s2
	s_mul_hi_u32 s10, s40, s10
	s_mul_hi_u32 s41, s40, s2
	s_add_u32 s10, s10, s44
	s_addc_u32 s41, 0, s41
	s_add_u32 s10, s10, s28
	s_mul_hi_u32 s3, s13, s2
	s_addc_u32 s10, s41, s11
	s_addc_u32 s3, s3, 0
	s_mul_i32 s2, s13, s2
	s_add_u32 s2, s10, s2
	s_addc_u32 s10, 0, s3
	s_add_u32 s28, s40, s2
	s_cselect_b64 s[2:3], -1, 0
	s_cmp_lg_u64 s[2:3], 0
	s_addc_u32 s13, s13, s10
	s_ashr_i32 s2, s29, 31
	s_add_u32 s10, s12, s2
	s_mov_b32 s3, s2
	s_addc_u32 s11, s29, s2
	s_xor_b64 s[10:11], s[10:11], s[2:3]
	s_mul_i32 s41, s10, s13
	s_mul_hi_u32 s44, s10, s28
	s_mul_hi_u32 s40, s10, s13
	s_add_u32 s41, s44, s41
	s_addc_u32 s40, 0, s40
	s_mul_hi_u32 s52, s11, s28
	s_mul_i32 s28, s11, s28
	s_add_u32 s28, s41, s28
	s_mul_hi_u32 s44, s11, s13
	s_addc_u32 s28, s40, s52
	s_addc_u32 s40, s44, 0
	s_mul_i32 s13, s11, s13
	s_add_u32 s13, s28, s13
	s_addc_u32 s28, 0, s40
	s_mul_i32 s28, s36, s28
	s_mul_hi_u32 s40, s36, s13
	s_add_i32 s28, s40, s28
	s_mul_i32 s40, s37, s13
	s_add_i32 s28, s28, s40
	s_sub_i32 s44, s11, s28
	s_mul_i32 s13, s36, s13
	s_sub_u32 s10, s10, s13
	s_cselect_b64 s[40:41], -1, 0
	s_cmp_lg_u64 s[40:41], 0
	s_subb_u32 s13, s44, s37
	s_sub_u32 s44, s10, s36
	s_cselect_b64 s[56:57], -1, 0
	s_cmp_lg_u64 s[56:57], 0
	s_subb_u32 s52, s13, 0
	s_cmp_ge_u32 s52, s37
	s_cselect_b32 s58, -1, 0
	s_cmp_ge_u32 s44, s36
	s_cselect_b32 s59, -1, 0
	s_cmp_eq_u32 s52, s37
	s_cselect_b32 s58, s59, s58
	s_cmp_lg_u64 s[56:57], 0
	s_subb_u32 s13, s13, s37
	s_sub_u32 s59, s44, s36
	s_cselect_b64 s[56:57], -1, 0
	s_cmp_lg_u64 s[56:57], 0
	s_subb_u32 s13, s13, 0
	s_cmp_lg_u32 s58, 0
	s_cselect_b32 s44, s59, s44
	s_cselect_b32 s13, s13, s52
	s_cmp_lg_u64 s[40:41], 0
	s_subb_u32 s11, s11, s28
	s_cmp_ge_u32 s11, s37
	s_cselect_b32 s28, -1, 0
	s_cmp_ge_u32 s10, s36
	s_cselect_b32 s36, -1, 0
	s_cmp_eq_u32 s11, s37
	s_cselect_b32 s28, s36, s28
	s_cmp_lg_u32 s28, 0
	s_cselect_b32 s11, s13, s11
	s_cselect_b32 s10, s44, s10
	s_xor_b64 s[10:11], s[10:11], s[2:3]
	s_sub_u32 s10, s10, s2
	s_subb_u32 s11, s11, s2
	s_cbranch_execnz .LBB36_102
.LBB36_101:                             ;   in Loop: Header=BB36_7 Depth=1
	v_cvt_f32_u32_e32 v2, s33
	s_sub_i32 s2, 0, s33
	v_rcp_iflag_f32_e32 v2, v2
	v_mul_f32_e32 v2, 0x4f7ffffe, v2
	v_cvt_u32_f32_e32 v2, v2
	v_readfirstlane_b32 s3, v2
	s_mul_i32 s2, s2, s3
	s_mul_hi_u32 s2, s3, s2
	s_add_i32 s3, s3, s2
	s_mul_hi_u32 s2, s12, s3
	s_mul_i32 s2, s2, s33
	s_sub_i32 s2, s12, s2
	s_sub_i32 s3, s2, s33
	s_cmp_ge_u32 s2, s33
	s_cselect_b32 s2, s3, s2
	s_sub_i32 s3, s2, s33
	s_cmp_ge_u32 s2, s33
	s_cselect_b32 s44, s3, s2
	s_mov_b64 s[10:11], s[44:45]
.LBB36_102:                             ;   in Loop: Header=BB36_7 Depth=1
	s_sub_u32 s12, s12, s10
	s_subb_u32 s13, s29, s11
	v_cmp_gt_i64_e32 vcc, s[12:13], v[0:1]
                                        ; implicit-def: $vgpr47
	s_and_saveexec_b64 s[10:11], vcc
	s_cbranch_execz .LBB36_111
; %bb.103:                              ;   in Loop: Header=BB36_7 Depth=1
	v_mov_b32_e32 v9, v1
	s_mov_b64 s[28:29], 0
	v_mov_b32_e32 v2, v43
	v_mov_b32_e32 v8, v0
                                        ; implicit-def: $sgpr36_sgpr37
	s_branch .LBB36_106
.LBB36_104:                             ;   in Loop: Header=BB36_106 Depth=2
	s_or_b64 exec, exec, s[40:41]
	s_waitcnt lgkmcnt(0)
	s_barrier
	ds_read_b32 v10, v3 offset:3072
	s_mov_b64 s[40:41], -1
	s_mov_b64 s[56:57], -1
	s_waitcnt lgkmcnt(0)
	s_barrier
	v_cmp_ne_u32_sdwa s[2:3], v10, v3 src0_sel:WORD_0 src1_sel:DWORD
	s_and_b64 vcc, exec, s[2:3]
	s_cbranch_vccz .LBB36_109
.LBB36_105:                             ;   in Loop: Header=BB36_106 Depth=2
	s_and_b64 s[2:3], exec, s[40:41]
	s_or_b64 s[28:29], s[2:3], s[28:29]
	s_andn2_b64 s[2:3], s[36:37], exec
	s_and_b64 s[36:37], s[56:57], exec
	s_or_b64 s[36:37], s[2:3], s[36:37]
	s_andn2_b64 exec, exec, s[28:29]
	s_cbranch_execz .LBB36_110
.LBB36_106:                             ;   Parent Loop BB36_7 Depth=1
                                        ; =>  This Inner Loop Header: Depth=2
	v_cmp_gt_u64_e32 vcc, s[22:23], v[8:9]
	s_and_saveexec_b64 s[40:41], vcc
	s_cbranch_execz .LBB36_104
; %bb.107:                              ;   in Loop: Header=BB36_106 Depth=2
	ds_read_u16 v10, v2
	s_waitcnt lgkmcnt(0)
	v_add_u32_sdwa v11, sext(v10), s9 dst_sel:DWORD dst_unused:UNUSED_PAD src0_sel:WORD_0 src1_sel:DWORD
	v_and_b32_e32 v11, v11, v46
	v_cmp_eq_u32_e32 vcc, v11, v42
	s_and_b64 exec, exec, vcc
	s_cbranch_execz .LBB36_104
; %bb.108:                              ;   in Loop: Header=BB36_106 Depth=2
	v_perm_b32 v10, v10, 1, v45
	ds_write_b32 v3, v10 offset:3072
	s_branch .LBB36_104
.LBB36_109:                             ;   in Loop: Header=BB36_106 Depth=2
	v_add_co_u32_e32 v8, vcc, s33, v8
	v_addc_co_u32_e32 v9, vcc, 0, v9, vcc
	v_cmp_le_i64_e32 vcc, s[12:13], v[8:9]
	v_add_u32_e32 v2, s8, v2
	s_mov_b64 s[56:57], 0
	s_orn2_b64 s[40:41], vcc, exec
	s_branch .LBB36_105
.LBB36_110:                             ;   in Loop: Header=BB36_7 Depth=1
	s_or_b64 exec, exec, s[28:29]
	s_andn2_b64 s[2:3], s[38:39], exec
	s_and_b64 s[12:13], s[36:37], exec
	v_lshrrev_b32_e32 v47, 16, v10
	s_or_b64 s[38:39], s[2:3], s[12:13]
.LBB36_111:                             ;   in Loop: Header=BB36_7 Depth=1
	s_or_b64 exec, exec, s[10:11]
	s_mov_b64 s[28:29], 0
	s_mov_b64 s[36:37], -1
.LBB36_112:                             ;   in Loop: Header=BB36_7 Depth=1
	s_orn2_b64 s[10:11], s[38:39], exec
.LBB36_113:                             ;   in Loop: Header=BB36_7 Depth=1
	s_or_b64 exec, exec, s[18:19]
	s_andn2_b64 s[2:3], s[76:77], exec
	s_and_b64 s[12:13], s[36:37], exec
	s_or_b64 s[76:77], s[2:3], s[12:13]
	s_andn2_b64 s[2:3], s[74:75], exec
	s_and_b64 s[12:13], s[28:29], exec
	s_andn2_b64 s[72:73], s[72:73], exec
	s_or_b64 s[74:75], s[2:3], s[12:13]
                                        ; implicit-def: $vgpr8_vgpr9
	s_and_saveexec_b64 s[18:19], s[10:11]
	s_cbranch_execz .LBB36_6
; %bb.114:                              ;   in Loop: Header=BB36_7 Depth=1
	v_mov_b32_e32 v8, 1
	s_xor_b64 s[2:3], s[20:21], -1
	v_mov_b32_e32 v2, 1
	v_mov_b32_e32 v9, 0
	s_mov_b64 s[12:13], 0
	s_and_saveexec_b64 s[6:7], s[2:3]
	s_cbranch_execz .LBB36_123
; %bb.115:                              ;   in Loop: Header=BB36_7 Depth=1
	v_cmp_le_i64_e32 vcc, v[24:25], v[4:5]
	s_and_saveexec_b64 s[2:3], vcc
	s_xor_b64 s[10:11], exec, s[2:3]
	s_cbranch_execz .LBB36_120
; %bb.116:                              ;   in Loop: Header=BB36_7 Depth=1
	ds_read_b64 v[8:9], v3 offset:5120
	v_and_b32_e32 v42, s17, v42
	v_or_b32_e32 v46, s16, v46
	s_waitcnt lgkmcnt(0)
	v_cmp_ne_u64_e32 vcc, 0, v[8:9]
	s_cbranch_vccnz .LBB36_120
; %bb.117:                              ;   in Loop: Header=BB36_7 Depth=1
	s_mov_b64 s[2:3], exec
	v_readlane_b32 s12, v56, 6
	v_readlane_b32 s13, v56, 7
	s_and_b64 s[12:13], s[2:3], s[12:13]
	s_mov_b64 exec, s[12:13]
; %bb.118:                              ;   in Loop: Header=BB36_7 Depth=1
	ds_write_b64 v3, v[4:5] offset:5128
; %bb.119:                              ;   in Loop: Header=BB36_7 Depth=1
	s_or_b64 exec, exec, s[2:3]
	s_waitcnt lgkmcnt(0)
	s_barrier
.LBB36_120:                             ;   in Loop: Header=BB36_7 Depth=1
	s_or_saveexec_b64 s[10:11], s[10:11]
	s_mov_b64 s[12:13], 0
	v_mov_b32_e32 v2, 8
	s_xor_b64 exec, exec, s[10:11]
; %bb.121:                              ;   in Loop: Header=BB36_7 Depth=1
	v_sub_co_u32_e32 v24, vcc, v24, v4
	s_mov_b64 s[12:13], exec
	v_subb_co_u32_e32 v25, vcc, v25, v5, vcc
	v_mov_b32_e32 v2, 0
; %bb.122:                              ;   in Loop: Header=BB36_7 Depth=1
	s_or_b64 exec, exec, s[10:11]
	v_mov_b32_e32 v8, v24
	s_and_b64 s[12:13], s[12:13], exec
	v_mov_b32_e32 v9, v25
.LBB36_123:                             ;   in Loop: Header=BB36_7 Depth=1
	s_or_b64 exec, exec, s[6:7]
	s_mov_b64 s[20:21], -1
	s_mov_b64 s[10:11], -1
                                        ; implicit-def: $sgpr6_sgpr7
                                        ; implicit-def: $sgpr78_sgpr79
	s_and_saveexec_b64 s[2:3], s[12:13]
	s_xor_b64 s[22:23], exec, s[2:3]
	s_cbranch_execz .LBB36_265
; %bb.124:                              ;   in Loop: Header=BB36_7 Depth=1
	v_cmp_eq_u64_e32 vcc, 1, v[6:7]
	v_cmp_eq_u64_e64 s[6:7], 1, v[8:9]
                                        ; implicit-def: $sgpr78_sgpr79
	s_and_b64 s[82:83], vcc, s[6:7]
                                        ; implicit-def: $sgpr6_sgpr7
	s_and_saveexec_b64 s[80:81], s[82:83]
	s_cbranch_execz .LBB36_158
; %bb.125:                              ;   in Loop: Header=BB36_7 Depth=1
	ds_read_b64 v[4:5], v3 offset:5120
	s_waitcnt lgkmcnt(0)
	s_barrier
	v_readfirstlane_b32 s84, v4
	v_readfirstlane_b32 s85, v5
	s_mov_b64 s[2:3], exec
	v_readlane_b32 s6, v56, 10
	v_readlane_b32 s7, v56, 11
	s_and_b64 s[6:7], s[2:3], s[6:7]
	s_mov_b64 exec, s[6:7]
; %bb.126:                              ;   in Loop: Header=BB36_7 Depth=1
	ds_write_b16 v44, v3
; %bb.127:                              ;   in Loop: Header=BB36_7 Depth=1
	s_or_b64 exec, exec, s[2:3]
	v_cmp_gt_i64_e64 s[2:3], s[84:85], 0
	v_and_b32_e32 v4, s17, v42
	v_lshl_or_b32 v42, 1, s50, v4
	v_or_b32_e32 v46, s16, v46
	s_mov_b64 s[6:7], -1
	s_mov_b64 s[78:79], 0
	s_and_b64 vcc, exec, s[2:3]
	s_mov_b64 s[28:29], 0
	s_mov_b64 s[36:37], -1
	s_waitcnt lgkmcnt(0)
	s_barrier
                                        ; implicit-def: $vgpr47
	s_cbranch_vccnz .LBB36_143
; %bb.128:                              ;   in Loop: Header=BB36_7 Depth=1
	s_mov_b32 s52, s45
	s_cmp_lg_u64 s[52:53], 0
	s_cbranch_scc0 .LBB36_185
; %bb.129:                              ;   in Loop: Header=BB36_7 Depth=1
	s_add_u32 s2, s33, 0
	s_addc_u32 s3, 0, 0
	s_xor_b64 s[28:29], s[2:3], 0
	v_cvt_f32_u32_e32 v4, s28
	v_cvt_f32_u32_e32 v5, s29
	s_sub_u32 s10, 0, s28
	s_subb_u32 s11, 0, s29
	v_mac_f32_e32 v4, 0x4f800000, v5
	v_rcp_f32_e32 v4, v4
	v_mul_f32_e32 v4, 0x5f7ffffc, v4
	v_mul_f32_e32 v5, 0x2f800000, v4
	v_trunc_f32_e32 v5, v5
	v_mac_f32_e32 v4, 0xcf800000, v5
	v_cvt_u32_f32_e32 v5, v5
	v_cvt_u32_f32_e32 v4, v4
	v_readfirstlane_b32 s12, v5
	v_readfirstlane_b32 s2, v4
	s_mul_i32 s3, s10, s12
	s_mul_hi_u32 s36, s10, s2
	s_mul_i32 s13, s11, s2
	s_add_i32 s3, s36, s3
	s_mul_i32 s37, s10, s2
	s_add_i32 s3, s3, s13
	s_mul_i32 s36, s2, s3
	s_mul_hi_u32 s38, s2, s37
	s_mul_hi_u32 s13, s2, s3
	s_add_u32 s36, s38, s36
	s_addc_u32 s13, 0, s13
	s_mul_hi_u32 s39, s12, s37
	s_mul_i32 s37, s12, s37
	s_add_u32 s36, s36, s37
	s_mul_hi_u32 s38, s12, s3
	s_addc_u32 s13, s13, s39
	s_addc_u32 s36, s38, 0
	s_mul_i32 s3, s12, s3
	s_add_u32 s3, s13, s3
	s_addc_u32 s13, 0, s36
	s_add_u32 s36, s2, s3
	s_cselect_b64 s[2:3], -1, 0
	s_cmp_lg_u64 s[2:3], 0
	s_addc_u32 s12, s12, s13
	s_mul_i32 s2, s10, s12
	s_mul_hi_u32 s3, s10, s36
	s_add_i32 s2, s3, s2
	s_mul_i32 s11, s11, s36
	s_add_i32 s2, s2, s11
	s_mul_i32 s10, s10, s36
	s_mul_hi_u32 s11, s12, s10
	s_mul_i32 s13, s12, s10
	s_mul_i32 s38, s36, s2
	s_mul_hi_u32 s10, s36, s10
	s_mul_hi_u32 s37, s36, s2
	s_add_u32 s10, s10, s38
	s_addc_u32 s37, 0, s37
	s_add_u32 s10, s10, s13
	s_mul_hi_u32 s3, s12, s2
	s_addc_u32 s10, s37, s11
	s_addc_u32 s3, s3, 0
	s_mul_i32 s2, s12, s2
	s_add_u32 s2, s10, s2
	s_addc_u32 s10, 0, s3
	s_add_u32 s13, s36, s2
	s_cselect_b64 s[2:3], -1, 0
	s_cmp_lg_u64 s[2:3], 0
	s_addc_u32 s12, s12, s10
	s_ashr_i32 s2, s53, 31
	s_add_u32 s10, s35, s2
	s_mov_b32 s3, s2
	s_addc_u32 s11, s53, s2
	s_xor_b64 s[10:11], s[10:11], s[2:3]
	s_mul_i32 s37, s10, s12
	s_mul_hi_u32 s38, s10, s13
	s_mul_hi_u32 s36, s10, s12
	s_add_u32 s37, s38, s37
	s_addc_u32 s36, 0, s36
	s_mul_hi_u32 s39, s11, s13
	s_mul_i32 s13, s11, s13
	s_add_u32 s13, s37, s13
	s_mul_hi_u32 s38, s11, s12
	s_addc_u32 s13, s36, s39
	s_addc_u32 s36, s38, 0
	s_mul_i32 s12, s11, s12
	s_add_u32 s12, s13, s12
	s_addc_u32 s13, 0, s36
	s_mul_i32 s13, s28, s13
	s_mul_hi_u32 s36, s28, s12
	s_add_i32 s13, s36, s13
	s_mul_i32 s36, s29, s12
	s_add_i32 s38, s13, s36
	s_sub_i32 s36, s11, s38
	s_mul_i32 s12, s28, s12
	s_sub_u32 s10, s10, s12
	s_cselect_b64 s[12:13], -1, 0
	s_cmp_lg_u64 s[12:13], 0
	s_subb_u32 s39, s36, s29
	s_sub_u32 s40, s10, s28
	s_cselect_b64 s[36:37], -1, 0
	s_cmp_lg_u64 s[36:37], 0
	s_subb_u32 s41, s39, 0
	s_cmp_ge_u32 s41, s29
	s_cselect_b32 s44, -1, 0
	s_cmp_ge_u32 s40, s28
	s_cselect_b32 s52, -1, 0
	s_cmp_eq_u32 s41, s29
	s_cselect_b32 s44, s52, s44
	s_cmp_lg_u64 s[36:37], 0
	s_subb_u32 s39, s39, s29
	s_sub_u32 s52, s40, s28
	s_cselect_b64 s[36:37], -1, 0
	s_cmp_lg_u64 s[36:37], 0
	s_subb_u32 s36, s39, 0
	s_cmp_lg_u32 s44, 0
	s_cselect_b32 s37, s52, s40
	s_cselect_b32 s36, s36, s41
	s_cmp_lg_u64 s[12:13], 0
	s_subb_u32 s11, s11, s38
	s_cmp_ge_u32 s11, s29
	s_cselect_b32 s12, -1, 0
	s_cmp_ge_u32 s10, s28
	s_cselect_b32 s13, -1, 0
	s_cmp_eq_u32 s11, s29
	s_cselect_b32 s12, s13, s12
	s_cmp_lg_u32 s12, 0
	s_cselect_b32 s11, s36, s11
	s_cselect_b32 s10, s37, s10
	s_xor_b64 s[10:11], s[10:11], s[2:3]
	s_sub_u32 s10, s10, s2
	s_subb_u32 s11, s11, s2
	s_cbranch_execnz .LBB36_131
.LBB36_130:                             ;   in Loop: Header=BB36_7 Depth=1
	v_cvt_f32_u32_e32 v4, s33
	s_sub_i32 s2, 0, s33
	v_rcp_iflag_f32_e32 v4, v4
	v_mul_f32_e32 v4, 0x4f7ffffe, v4
	v_cvt_u32_f32_e32 v4, v4
	v_readfirstlane_b32 s3, v4
	s_mul_i32 s2, s2, s3
	s_mul_hi_u32 s2, s3, s2
	s_add_i32 s3, s3, s2
	s_mul_hi_u32 s2, s35, s3
	s_mul_i32 s2, s2, s33
	s_sub_i32 s2, s35, s2
	s_sub_i32 s3, s2, s33
	s_cmp_ge_u32 s2, s33
	s_cselect_b32 s2, s3, s2
	s_sub_i32 s3, s2, s33
	s_cmp_ge_u32 s2, s33
	s_cselect_b32 s44, s3, s2
	s_mov_b64 s[10:11], s[44:45]
.LBB36_131:                             ;   in Loop: Header=BB36_7 Depth=1
	s_sub_u32 s12, s35, s10
	s_subb_u32 s13, s53, s11
	v_cmp_gt_i64_e32 vcc, s[12:13], v[0:1]
	s_mov_b64 s[36:37], 0
	s_mov_b64 s[28:29], 0
                                        ; implicit-def: $vgpr47
	s_and_saveexec_b64 s[38:39], vcc
	s_cbranch_execz .LBB36_142
; %bb.132:                              ;   in Loop: Header=BB36_7 Depth=1
	v_mov_b32_e32 v4, v12
	v_mov_b32_e32 v11, v1
	s_mov_b64 s[10:11], 0
	v_mov_b32_e32 v5, v13
	v_mov_b32_e32 v10, v0
                                        ; implicit-def: $sgpr28_sgpr29
	s_branch .LBB36_135
.LBB36_133:                             ;   in Loop: Header=BB36_135 Depth=2
	s_or_b64 exec, exec, s[40:41]
	s_waitcnt lgkmcnt(0)
	s_barrier
	ds_read_b32 v24, v3 offset:3072
	s_mov_b64 s[40:41], -1
	s_mov_b64 s[56:57], -1
	s_waitcnt lgkmcnt(0)
	s_barrier
	v_cmp_ne_u32_sdwa s[2:3], v24, v3 src0_sel:WORD_0 src1_sel:DWORD
	s_and_b64 vcc, exec, s[2:3]
	s_cbranch_vccz .LBB36_138
.LBB36_134:                             ;   in Loop: Header=BB36_135 Depth=2
	s_and_b64 s[2:3], exec, s[40:41]
	s_or_b64 s[10:11], s[2:3], s[10:11]
	s_andn2_b64 s[2:3], s[28:29], exec
	s_and_b64 s[28:29], s[56:57], exec
	s_or_b64 s[28:29], s[2:3], s[28:29]
	s_andn2_b64 exec, exec, s[10:11]
	s_cbranch_execz .LBB36_141
.LBB36_135:                             ;   Parent Loop BB36_7 Depth=1
                                        ; =>  This Inner Loop Header: Depth=2
	v_cmp_gt_i64_e32 vcc, s[24:25], v[10:11]
	s_and_saveexec_b64 s[40:41], vcc
	s_cbranch_execz .LBB36_133
; %bb.136:                              ;   in Loop: Header=BB36_135 Depth=2
	global_load_ushort v24, v[4:5], off
	s_waitcnt vmcnt(0)
	v_add_u32_sdwa v25, sext(v24), s9 dst_sel:DWORD dst_unused:UNUSED_PAD src0_sel:WORD_0 src1_sel:DWORD
	v_and_b32_e32 v25, v25, v46
	v_cmp_eq_u32_e32 vcc, v25, v42
	s_and_b64 exec, exec, vcc
	s_cbranch_execz .LBB36_133
; %bb.137:                              ;   in Loop: Header=BB36_135 Depth=2
	v_perm_b32 v24, v24, 1, v45
	ds_write_b32 v3, v24 offset:3072
	s_branch .LBB36_133
.LBB36_138:                             ;   in Loop: Header=BB36_135 Depth=2
	v_add_co_u32_e32 v10, vcc, s33, v10
	v_addc_co_u32_e32 v11, vcc, 0, v11, vcc
	v_mov_b32_e32 v25, s47
	v_add_co_u32_e32 v4, vcc, s46, v4
	v_addc_co_u32_e32 v5, vcc, v5, v25, vcc
	v_cmp_le_i64_e32 vcc, s[12:13], v[10:11]
	s_mov_b64 s[56:57], 0
	s_orn2_b64 s[40:41], vcc, exec
	s_branch .LBB36_134
.LBB36_139:                             ;   in Loop: Header=BB36_7 Depth=1
                                        ; implicit-def: $sgpr10_sgpr11
	s_branch .LBB36_87
.LBB36_140:                             ;   in Loop: Header=BB36_7 Depth=1
                                        ; implicit-def: $sgpr10_sgpr11
	s_branch .LBB36_101
.LBB36_141:                             ;   in Loop: Header=BB36_7 Depth=1
	s_or_b64 exec, exec, s[10:11]
	v_lshrrev_b32_e32 v47, 16, v24
	s_and_b64 s[28:29], s[28:29], exec
.LBB36_142:                             ;   in Loop: Header=BB36_7 Depth=1
	s_or_b64 exec, exec, s[38:39]
.LBB36_143:                             ;   in Loop: Header=BB36_7 Depth=1
	s_and_b64 vcc, exec, s[36:37]
	s_cbranch_vccz .LBB36_157
; %bb.144:                              ;   in Loop: Header=BB36_7 Depth=1
	v_readlane_b32 s2, v56, 22
	s_add_u32 s12, s84, s2
	v_readlane_b32 s2, v56, 23
	s_addc_u32 s7, s85, s2
	s_mov_b32 s6, s45
	s_cmp_lg_u64 s[6:7], 0
	s_cbranch_scc0 .LBB36_186
; %bb.145:                              ;   in Loop: Header=BB36_7 Depth=1
	s_add_u32 s2, s33, 0
	s_addc_u32 s3, 0, 0
	s_xor_b64 s[36:37], s[2:3], 0
	v_cvt_f32_u32_e32 v4, s36
	v_cvt_f32_u32_e32 v5, s37
	s_sub_u32 s6, 0, s36
	s_subb_u32 s10, 0, s37
	v_mac_f32_e32 v4, 0x4f800000, v5
	v_rcp_f32_e32 v4, v4
	v_mul_f32_e32 v4, 0x5f7ffffc, v4
	v_mul_f32_e32 v5, 0x2f800000, v4
	v_trunc_f32_e32 v5, v5
	v_mac_f32_e32 v4, 0xcf800000, v5
	v_cvt_u32_f32_e32 v5, v5
	v_cvt_u32_f32_e32 v4, v4
	v_readfirstlane_b32 s11, v5
	v_readfirstlane_b32 s2, v4
	s_mul_i32 s3, s6, s11
	s_mul_hi_u32 s38, s6, s2
	s_mul_i32 s13, s10, s2
	s_add_i32 s3, s38, s3
	s_mul_i32 s39, s6, s2
	s_add_i32 s3, s3, s13
	s_mul_i32 s38, s2, s3
	s_mul_hi_u32 s40, s2, s39
	s_mul_hi_u32 s13, s2, s3
	s_add_u32 s38, s40, s38
	s_addc_u32 s13, 0, s13
	s_mul_hi_u32 s41, s11, s39
	s_mul_i32 s39, s11, s39
	s_add_u32 s38, s38, s39
	s_mul_hi_u32 s40, s11, s3
	s_addc_u32 s13, s13, s41
	s_addc_u32 s38, s40, 0
	s_mul_i32 s3, s11, s3
	s_add_u32 s3, s13, s3
	s_addc_u32 s13, 0, s38
	s_add_u32 s38, s2, s3
	s_cselect_b64 s[2:3], -1, 0
	s_cmp_lg_u64 s[2:3], 0
	s_addc_u32 s11, s11, s13
	s_mul_i32 s2, s6, s11
	s_mul_hi_u32 s3, s6, s38
	s_add_i32 s2, s3, s2
	s_mul_i32 s10, s10, s38
	s_add_i32 s2, s2, s10
	s_mul_i32 s6, s6, s38
	s_mul_hi_u32 s10, s11, s6
	s_mul_i32 s13, s11, s6
	s_mul_i32 s40, s38, s2
	s_mul_hi_u32 s6, s38, s6
	s_mul_hi_u32 s39, s38, s2
	s_add_u32 s6, s6, s40
	s_addc_u32 s39, 0, s39
	s_add_u32 s6, s6, s13
	s_mul_hi_u32 s3, s11, s2
	s_addc_u32 s6, s39, s10
	s_addc_u32 s3, s3, 0
	s_mul_i32 s2, s11, s2
	s_add_u32 s2, s6, s2
	s_addc_u32 s6, 0, s3
	s_add_u32 s13, s38, s2
	s_cselect_b64 s[2:3], -1, 0
	s_cmp_lg_u64 s[2:3], 0
	s_addc_u32 s6, s11, s6
	s_ashr_i32 s2, s7, 31
	s_add_u32 s10, s12, s2
	s_mov_b32 s3, s2
	s_addc_u32 s11, s7, s2
	s_xor_b64 s[10:11], s[10:11], s[2:3]
	s_mul_i32 s39, s10, s6
	s_mul_hi_u32 s40, s10, s13
	s_mul_hi_u32 s38, s10, s6
	s_add_u32 s39, s40, s39
	s_addc_u32 s38, 0, s38
	s_mul_hi_u32 s41, s11, s13
	s_mul_i32 s13, s11, s13
	s_add_u32 s13, s39, s13
	s_mul_hi_u32 s40, s11, s6
	s_addc_u32 s13, s38, s41
	s_addc_u32 s38, s40, 0
	s_mul_i32 s6, s11, s6
	s_add_u32 s6, s13, s6
	s_addc_u32 s13, 0, s38
	s_mul_i32 s13, s36, s13
	s_mul_hi_u32 s38, s36, s6
	s_add_i32 s13, s38, s13
	s_mul_i32 s38, s37, s6
	s_add_i32 s13, s13, s38
	s_sub_i32 s40, s11, s13
	s_mul_i32 s6, s36, s6
	s_sub_u32 s6, s10, s6
	s_cselect_b64 s[38:39], -1, 0
	s_cmp_lg_u64 s[38:39], 0
	s_subb_u32 s10, s40, s37
	s_sub_u32 s44, s6, s36
	s_cselect_b64 s[40:41], -1, 0
	s_cmp_lg_u64 s[40:41], 0
	s_subb_u32 s52, s10, 0
	s_cmp_ge_u32 s52, s37
	s_cselect_b32 s56, -1, 0
	s_cmp_ge_u32 s44, s36
	s_cselect_b32 s57, -1, 0
	s_cmp_eq_u32 s52, s37
	s_cselect_b32 s56, s57, s56
	s_cmp_lg_u64 s[40:41], 0
	s_subb_u32 s10, s10, s37
	s_sub_u32 s57, s44, s36
	s_cselect_b64 s[40:41], -1, 0
	s_cmp_lg_u64 s[40:41], 0
	s_subb_u32 s10, s10, 0
	s_cmp_lg_u32 s56, 0
	s_cselect_b32 s40, s57, s44
	s_cselect_b32 s10, s10, s52
	s_cmp_lg_u64 s[38:39], 0
	s_subb_u32 s11, s11, s13
	s_cmp_ge_u32 s11, s37
	s_cselect_b32 s13, -1, 0
	s_cmp_ge_u32 s6, s36
	s_cselect_b32 s36, -1, 0
	s_cmp_eq_u32 s11, s37
	s_cselect_b32 s13, s36, s13
	s_cmp_lg_u32 s13, 0
	s_cselect_b32 s11, s10, s11
	s_cselect_b32 s10, s40, s6
	s_xor_b64 s[10:11], s[10:11], s[2:3]
	s_sub_u32 s10, s10, s2
	s_subb_u32 s11, s11, s2
	s_cbranch_execnz .LBB36_147
.LBB36_146:                             ;   in Loop: Header=BB36_7 Depth=1
	v_cvt_f32_u32_e32 v4, s33
	s_sub_i32 s2, 0, s33
	v_rcp_iflag_f32_e32 v4, v4
	v_mul_f32_e32 v4, 0x4f7ffffe, v4
	v_cvt_u32_f32_e32 v4, v4
	v_readfirstlane_b32 s3, v4
	s_mul_i32 s2, s2, s3
	s_mul_hi_u32 s2, s3, s2
	s_add_i32 s3, s3, s2
	s_mul_hi_u32 s2, s12, s3
	s_mul_i32 s2, s2, s33
	s_sub_i32 s2, s12, s2
	s_sub_i32 s3, s2, s33
	s_cmp_ge_u32 s2, s33
	s_cselect_b32 s2, s3, s2
	s_sub_i32 s3, s2, s33
	s_cmp_ge_u32 s2, s33
	s_cselect_b32 s44, s3, s2
	s_mov_b64 s[10:11], s[44:45]
.LBB36_147:                             ;   in Loop: Header=BB36_7 Depth=1
	s_sub_u32 s10, s12, s10
	s_subb_u32 s11, s7, s11
	v_cmp_gt_i64_e32 vcc, s[10:11], v[0:1]
                                        ; implicit-def: $vgpr47
	s_and_saveexec_b64 s[6:7], vcc
	s_cbranch_execz .LBB36_156
; %bb.148:                              ;   in Loop: Header=BB36_7 Depth=1
	v_mov_b32_e32 v5, v1
	s_mov_b64 s[12:13], 0
	v_mov_b32_e32 v10, v43
	v_mov_b32_e32 v4, v0
                                        ; implicit-def: $sgpr36_sgpr37
	s_branch .LBB36_151
.LBB36_149:                             ;   in Loop: Header=BB36_151 Depth=2
	s_or_b64 exec, exec, s[38:39]
	s_waitcnt lgkmcnt(0)
	s_barrier
	ds_read_b32 v11, v3 offset:3072
	s_mov_b64 s[38:39], -1
	s_mov_b64 s[40:41], -1
	s_waitcnt lgkmcnt(0)
	s_barrier
	v_cmp_eq_u32_sdwa s[2:3], v11, v3 src0_sel:WORD_0 src1_sel:DWORD
	s_and_b64 vcc, exec, s[2:3]
	s_cbranch_vccnz .LBB36_154
.LBB36_150:                             ;   in Loop: Header=BB36_151 Depth=2
	s_and_b64 s[2:3], exec, s[38:39]
	s_or_b64 s[12:13], s[2:3], s[12:13]
	s_andn2_b64 s[2:3], s[36:37], exec
	s_and_b64 s[36:37], s[40:41], exec
	s_or_b64 s[36:37], s[2:3], s[36:37]
	s_andn2_b64 exec, exec, s[12:13]
	s_cbranch_execz .LBB36_155
.LBB36_151:                             ;   Parent Loop BB36_7 Depth=1
                                        ; =>  This Inner Loop Header: Depth=2
	v_cmp_gt_u64_e32 vcc, s[84:85], v[4:5]
	s_and_saveexec_b64 s[38:39], vcc
	s_cbranch_execz .LBB36_149
; %bb.152:                              ;   in Loop: Header=BB36_151 Depth=2
	ds_read_u16 v11, v10
	s_waitcnt lgkmcnt(0)
	v_add_u32_sdwa v24, sext(v11), s9 dst_sel:DWORD dst_unused:UNUSED_PAD src0_sel:WORD_0 src1_sel:DWORD
	v_and_b32_e32 v24, v24, v46
	v_cmp_eq_u32_e32 vcc, v24, v42
	s_and_b64 exec, exec, vcc
	s_cbranch_execz .LBB36_149
; %bb.153:                              ;   in Loop: Header=BB36_151 Depth=2
	v_perm_b32 v11, v11, 1, v45
	ds_write_b32 v3, v11 offset:3072
	s_branch .LBB36_149
.LBB36_154:                             ;   in Loop: Header=BB36_151 Depth=2
	v_add_co_u32_e32 v4, vcc, s33, v4
	v_addc_co_u32_e32 v5, vcc, 0, v5, vcc
	v_cmp_le_i64_e32 vcc, s[10:11], v[4:5]
	v_add_u32_e32 v10, s8, v10
	s_mov_b64 s[40:41], 0
	s_orn2_b64 s[38:39], vcc, exec
	s_branch .LBB36_150
.LBB36_155:                             ;   in Loop: Header=BB36_7 Depth=1
	s_or_b64 exec, exec, s[12:13]
	s_andn2_b64 s[2:3], s[28:29], exec
	s_and_b64 s[10:11], s[36:37], exec
	v_lshrrev_b32_e32 v47, 16, v11
	s_or_b64 s[28:29], s[2:3], s[10:11]
.LBB36_156:                             ;   in Loop: Header=BB36_7 Depth=1
	s_or_b64 exec, exec, s[6:7]
	s_mov_b64 s[6:7], 0
	s_mov_b64 s[78:79], -1
.LBB36_157:                             ;   in Loop: Header=BB36_7 Depth=1
	s_orn2_b64 s[10:11], s[28:29], exec
.LBB36_158:                             ;   in Loop: Header=BB36_7 Depth=1
	s_or_b64 exec, exec, s[80:81]
	s_mov_b64 s[12:13], 0
	s_and_saveexec_b64 s[80:81], s[10:11]
	s_cbranch_execz .LBB36_264
; %bb.159:                              ;   in Loop: Header=BB36_7 Depth=1
	v_mov_b32_e32 v4, 1
	s_xor_b64 s[2:3], s[82:83], -1
	v_mov_b32_e32 v2, 1
	v_mov_b32_e32 v5, 0
	s_and_saveexec_b64 s[28:29], s[2:3]
	s_cbranch_execz .LBB36_169
; %bb.160:                              ;   in Loop: Header=BB36_7 Depth=1
	v_cmp_le_i64_e32 vcc, v[8:9], v[6:7]
	s_and_saveexec_b64 s[2:3], vcc
	s_xor_b64 s[10:11], exec, s[2:3]
	s_cbranch_execz .LBB36_166
; %bb.161:                              ;   in Loop: Header=BB36_7 Depth=1
	ds_read_b64 v[4:5], v3 offset:5120
	v_and_b32_e32 v2, s17, v42
	v_lshl_or_b32 v42, 1, s50, v2
	v_or_b32_e32 v46, s16, v46
	s_waitcnt lgkmcnt(0)
	v_cmp_ne_u64_e32 vcc, 0, v[4:5]
	s_cbranch_vccnz .LBB36_165
; %bb.162:                              ;   in Loop: Header=BB36_7 Depth=1
	s_mov_b64 s[2:3], exec
	v_readlane_b32 s12, v56, 6
	v_readlane_b32 s13, v56, 7
	s_and_b64 s[12:13], s[2:3], s[12:13]
	s_mov_b64 exec, s[12:13]
; %bb.163:                              ;   in Loop: Header=BB36_7 Depth=1
	ds_write_b64 v3, v[6:7] offset:5128
; %bb.164:                              ;   in Loop: Header=BB36_7 Depth=1
	s_or_b64 exec, exec, s[2:3]
	s_waitcnt lgkmcnt(0)
	s_barrier
.LBB36_165:                             ;   in Loop: Header=BB36_7 Depth=1
                                        ; implicit-def: $vgpr4_vgpr5_vgpr6_vgpr7
.LBB36_166:                             ;   in Loop: Header=BB36_7 Depth=1
	s_or_saveexec_b64 s[10:11], s[10:11]
	s_mov_b64 s[12:13], 0
	v_mov_b32_e32 v2, 8
	s_xor_b64 exec, exec, s[10:11]
; %bb.167:                              ;   in Loop: Header=BB36_7 Depth=1
	v_sub_co_u32_e32 v8, vcc, v8, v6
	v_subb_co_u32_e32 v9, vcc, v9, v7, vcc
	v_mov_b32_e32 v2, 0
	s_mov_b64 s[12:13], exec
; %bb.168:                              ;   in Loop: Header=BB36_7 Depth=1
	s_or_b64 exec, exec, s[10:11]
	v_mov_b32_e32 v4, v8
	s_and_b64 s[12:13], s[12:13], exec
	v_mov_b32_e32 v5, v9
.LBB36_169:                             ;   in Loop: Header=BB36_7 Depth=1
	s_or_b64 exec, exec, s[28:29]
	s_mov_b64 s[10:11], -1
                                        ; implicit-def: $sgpr84_sgpr85
                                        ; implicit-def: $sgpr86_sgpr87
	s_and_saveexec_b64 s[82:83], s[12:13]
	s_cbranch_execz .LBB36_263
; %bb.170:                              ;   in Loop: Header=BB36_7 Depth=1
	s_cmp_eq_u64 s[26:27], 1
	v_cmp_eq_u64_e32 vcc, 1, v[4:5]
	s_cselect_b64 s[2:3], -1, 0
	s_and_b64 s[90:91], s[2:3], vcc
                                        ; implicit-def: $sgpr86_sgpr87
                                        ; implicit-def: $sgpr84_sgpr85
	s_and_saveexec_b64 s[88:89], s[90:91]
	s_cbranch_execz .LBB36_204
; %bb.171:                              ;   in Loop: Header=BB36_7 Depth=1
	ds_read_b64 v[6:7], v3 offset:5120
	s_waitcnt lgkmcnt(0)
	s_barrier
	v_readfirstlane_b32 s92, v6
	v_readfirstlane_b32 s93, v7
	s_mov_b64 s[2:3], exec
	v_readlane_b32 s10, v56, 10
	v_readlane_b32 s11, v56, 11
	s_and_b64 s[10:11], s[2:3], s[10:11]
	s_mov_b64 exec, s[10:11]
; %bb.172:                              ;   in Loop: Header=BB36_7 Depth=1
	ds_write_b16 v44, v3
; %bb.173:                              ;   in Loop: Header=BB36_7 Depth=1
	s_or_b64 exec, exec, s[2:3]
	v_cmp_gt_i64_e64 s[2:3], s[92:93], 0
	v_and_b32_e32 v6, s17, v42
	v_lshl_or_b32 v42, 2, s50, v6
	v_or_b32_e32 v46, s16, v46
	s_mov_b64 s[84:85], -1
	s_mov_b64 s[86:87], 0
	s_and_b64 vcc, exec, s[2:3]
	s_mov_b64 s[28:29], 0
	s_mov_b64 s[36:37], -1
	s_waitcnt lgkmcnt(0)
	s_barrier
                                        ; implicit-def: $vgpr47
	s_cbranch_vccnz .LBB36_189
; %bb.174:                              ;   in Loop: Header=BB36_7 Depth=1
	s_mov_b32 s52, s45
	s_cmp_lg_u64 s[52:53], 0
	s_cbranch_scc0 .LBB36_230
; %bb.175:                              ;   in Loop: Header=BB36_7 Depth=1
	s_add_u32 s2, s33, 0
	s_addc_u32 s3, 0, 0
	s_xor_b64 s[28:29], s[2:3], 0
	v_cvt_f32_u32_e32 v6, s28
	v_cvt_f32_u32_e32 v7, s29
	s_sub_u32 s10, 0, s28
	s_subb_u32 s11, 0, s29
	v_mac_f32_e32 v6, 0x4f800000, v7
	v_rcp_f32_e32 v6, v6
	v_mul_f32_e32 v6, 0x5f7ffffc, v6
	v_mul_f32_e32 v7, 0x2f800000, v6
	v_trunc_f32_e32 v7, v7
	v_mac_f32_e32 v6, 0xcf800000, v7
	v_cvt_u32_f32_e32 v7, v7
	v_cvt_u32_f32_e32 v6, v6
	v_readfirstlane_b32 s12, v7
	v_readfirstlane_b32 s2, v6
	s_mul_i32 s3, s10, s12
	s_mul_hi_u32 s36, s10, s2
	s_mul_i32 s13, s11, s2
	s_add_i32 s3, s36, s3
	s_mul_i32 s37, s10, s2
	s_add_i32 s3, s3, s13
	s_mul_i32 s36, s2, s3
	s_mul_hi_u32 s38, s2, s37
	s_mul_hi_u32 s13, s2, s3
	s_add_u32 s36, s38, s36
	s_addc_u32 s13, 0, s13
	s_mul_hi_u32 s39, s12, s37
	s_mul_i32 s37, s12, s37
	s_add_u32 s36, s36, s37
	s_mul_hi_u32 s38, s12, s3
	s_addc_u32 s13, s13, s39
	s_addc_u32 s36, s38, 0
	s_mul_i32 s3, s12, s3
	s_add_u32 s3, s13, s3
	s_addc_u32 s13, 0, s36
	s_add_u32 s36, s2, s3
	s_cselect_b64 s[2:3], -1, 0
	s_cmp_lg_u64 s[2:3], 0
	s_addc_u32 s12, s12, s13
	s_mul_i32 s2, s10, s12
	s_mul_hi_u32 s3, s10, s36
	s_add_i32 s2, s3, s2
	s_mul_i32 s11, s11, s36
	s_add_i32 s2, s2, s11
	s_mul_i32 s10, s10, s36
	s_mul_hi_u32 s11, s12, s10
	s_mul_i32 s13, s12, s10
	s_mul_i32 s38, s36, s2
	s_mul_hi_u32 s10, s36, s10
	s_mul_hi_u32 s37, s36, s2
	s_add_u32 s10, s10, s38
	s_addc_u32 s37, 0, s37
	s_add_u32 s10, s10, s13
	s_mul_hi_u32 s3, s12, s2
	s_addc_u32 s10, s37, s11
	s_addc_u32 s3, s3, 0
	s_mul_i32 s2, s12, s2
	s_add_u32 s2, s10, s2
	s_addc_u32 s10, 0, s3
	s_add_u32 s13, s36, s2
	s_cselect_b64 s[2:3], -1, 0
	s_cmp_lg_u64 s[2:3], 0
	s_addc_u32 s12, s12, s10
	s_ashr_i32 s2, s53, 31
	s_add_u32 s10, s35, s2
	s_mov_b32 s3, s2
	s_addc_u32 s11, s53, s2
	s_xor_b64 s[10:11], s[10:11], s[2:3]
	s_mul_i32 s37, s10, s12
	s_mul_hi_u32 s38, s10, s13
	s_mul_hi_u32 s36, s10, s12
	s_add_u32 s37, s38, s37
	s_addc_u32 s36, 0, s36
	s_mul_hi_u32 s39, s11, s13
	s_mul_i32 s13, s11, s13
	s_add_u32 s13, s37, s13
	s_mul_hi_u32 s38, s11, s12
	s_addc_u32 s13, s36, s39
	s_addc_u32 s36, s38, 0
	s_mul_i32 s12, s11, s12
	s_add_u32 s12, s13, s12
	s_addc_u32 s13, 0, s36
	s_mul_i32 s13, s28, s13
	s_mul_hi_u32 s36, s28, s12
	s_add_i32 s13, s36, s13
	s_mul_i32 s36, s29, s12
	s_add_i32 s38, s13, s36
	s_sub_i32 s36, s11, s38
	s_mul_i32 s12, s28, s12
	s_sub_u32 s10, s10, s12
	s_cselect_b64 s[12:13], -1, 0
	s_cmp_lg_u64 s[12:13], 0
	s_subb_u32 s39, s36, s29
	s_sub_u32 s40, s10, s28
	s_cselect_b64 s[36:37], -1, 0
	s_cmp_lg_u64 s[36:37], 0
	s_subb_u32 s41, s39, 0
	s_cmp_ge_u32 s41, s29
	s_cselect_b32 s44, -1, 0
	s_cmp_ge_u32 s40, s28
	s_cselect_b32 s52, -1, 0
	s_cmp_eq_u32 s41, s29
	s_cselect_b32 s44, s52, s44
	s_cmp_lg_u64 s[36:37], 0
	s_subb_u32 s39, s39, s29
	s_sub_u32 s52, s40, s28
	s_cselect_b64 s[36:37], -1, 0
	s_cmp_lg_u64 s[36:37], 0
	s_subb_u32 s36, s39, 0
	s_cmp_lg_u32 s44, 0
	s_cselect_b32 s37, s52, s40
	s_cselect_b32 s36, s36, s41
	s_cmp_lg_u64 s[12:13], 0
	s_subb_u32 s11, s11, s38
	s_cmp_ge_u32 s11, s29
	s_cselect_b32 s12, -1, 0
	s_cmp_ge_u32 s10, s28
	s_cselect_b32 s13, -1, 0
	s_cmp_eq_u32 s11, s29
	s_cselect_b32 s12, s13, s12
	s_cmp_lg_u32 s12, 0
	s_cselect_b32 s11, s36, s11
	s_cselect_b32 s10, s37, s10
	s_xor_b64 s[10:11], s[10:11], s[2:3]
	s_sub_u32 s10, s10, s2
	s_subb_u32 s11, s11, s2
	s_cbranch_execnz .LBB36_177
.LBB36_176:                             ;   in Loop: Header=BB36_7 Depth=1
	v_cvt_f32_u32_e32 v6, s33
	s_sub_i32 s2, 0, s33
	v_rcp_iflag_f32_e32 v6, v6
	v_mul_f32_e32 v6, 0x4f7ffffe, v6
	v_cvt_u32_f32_e32 v6, v6
	v_readfirstlane_b32 s3, v6
	s_mul_i32 s2, s2, s3
	s_mul_hi_u32 s2, s3, s2
	s_add_i32 s3, s3, s2
	s_mul_hi_u32 s2, s35, s3
	s_mul_i32 s2, s2, s33
	s_sub_i32 s2, s35, s2
	s_sub_i32 s3, s2, s33
	s_cmp_ge_u32 s2, s33
	s_cselect_b32 s2, s3, s2
	s_sub_i32 s3, s2, s33
	s_cmp_ge_u32 s2, s33
	s_cselect_b32 s44, s3, s2
	s_mov_b64 s[10:11], s[44:45]
.LBB36_177:                             ;   in Loop: Header=BB36_7 Depth=1
	s_sub_u32 s12, s35, s10
	s_subb_u32 s13, s53, s11
	v_cmp_gt_i64_e32 vcc, s[12:13], v[0:1]
	s_mov_b64 s[36:37], 0
	s_mov_b64 s[28:29], 0
                                        ; implicit-def: $vgpr47
	s_and_saveexec_b64 s[38:39], vcc
	s_cbranch_execz .LBB36_188
; %bb.178:                              ;   in Loop: Header=BB36_7 Depth=1
	v_mov_b32_e32 v6, v12
	v_mov_b32_e32 v9, v1
	s_mov_b64 s[10:11], 0
	v_mov_b32_e32 v7, v13
	v_mov_b32_e32 v8, v0
                                        ; implicit-def: $sgpr28_sgpr29
	s_branch .LBB36_181
.LBB36_179:                             ;   in Loop: Header=BB36_181 Depth=2
	s_or_b64 exec, exec, s[40:41]
	s_waitcnt lgkmcnt(0)
	s_barrier
	ds_read_b32 v10, v3 offset:3072
	s_mov_b64 s[40:41], -1
	s_mov_b64 s[56:57], -1
	s_waitcnt lgkmcnt(0)
	s_barrier
	v_cmp_ne_u32_sdwa s[2:3], v10, v3 src0_sel:WORD_0 src1_sel:DWORD
	s_and_b64 vcc, exec, s[2:3]
	s_cbranch_vccz .LBB36_184
.LBB36_180:                             ;   in Loop: Header=BB36_181 Depth=2
	s_and_b64 s[2:3], exec, s[40:41]
	s_or_b64 s[10:11], s[2:3], s[10:11]
	s_andn2_b64 s[2:3], s[28:29], exec
	s_and_b64 s[28:29], s[56:57], exec
	s_or_b64 s[28:29], s[2:3], s[28:29]
	s_andn2_b64 exec, exec, s[10:11]
	s_cbranch_execz .LBB36_187
.LBB36_181:                             ;   Parent Loop BB36_7 Depth=1
                                        ; =>  This Inner Loop Header: Depth=2
	v_cmp_gt_i64_e32 vcc, s[24:25], v[8:9]
	s_and_saveexec_b64 s[40:41], vcc
	s_cbranch_execz .LBB36_179
; %bb.182:                              ;   in Loop: Header=BB36_181 Depth=2
	global_load_ushort v10, v[6:7], off
	s_waitcnt vmcnt(0)
	v_add_u32_sdwa v11, sext(v10), s9 dst_sel:DWORD dst_unused:UNUSED_PAD src0_sel:WORD_0 src1_sel:DWORD
	v_and_b32_e32 v11, v11, v46
	v_cmp_eq_u32_e32 vcc, v11, v42
	s_and_b64 exec, exec, vcc
	s_cbranch_execz .LBB36_179
; %bb.183:                              ;   in Loop: Header=BB36_181 Depth=2
	v_perm_b32 v10, v10, 1, v45
	ds_write_b32 v3, v10 offset:3072
	s_branch .LBB36_179
.LBB36_184:                             ;   in Loop: Header=BB36_181 Depth=2
	v_add_co_u32_e32 v8, vcc, s33, v8
	v_addc_co_u32_e32 v9, vcc, 0, v9, vcc
	v_mov_b32_e32 v11, s47
	v_add_co_u32_e32 v6, vcc, s46, v6
	v_addc_co_u32_e32 v7, vcc, v7, v11, vcc
	v_cmp_le_i64_e32 vcc, s[12:13], v[8:9]
	s_mov_b64 s[56:57], 0
	s_orn2_b64 s[40:41], vcc, exec
	s_branch .LBB36_180
.LBB36_185:                             ;   in Loop: Header=BB36_7 Depth=1
                                        ; implicit-def: $sgpr10_sgpr11
	s_branch .LBB36_130
.LBB36_186:                             ;   in Loop: Header=BB36_7 Depth=1
                                        ; implicit-def: $sgpr10_sgpr11
	s_branch .LBB36_146
.LBB36_187:                             ;   in Loop: Header=BB36_7 Depth=1
	s_or_b64 exec, exec, s[10:11]
	v_lshrrev_b32_e32 v47, 16, v10
	s_and_b64 s[28:29], s[28:29], exec
.LBB36_188:                             ;   in Loop: Header=BB36_7 Depth=1
	s_or_b64 exec, exec, s[38:39]
.LBB36_189:                             ;   in Loop: Header=BB36_7 Depth=1
	s_and_b64 vcc, exec, s[36:37]
	s_cbranch_vccz .LBB36_203
; %bb.190:                              ;   in Loop: Header=BB36_7 Depth=1
	v_readlane_b32 s2, v56, 22
	s_add_u32 s12, s92, s2
	v_readlane_b32 s2, v56, 23
	s_addc_u32 s37, s93, s2
	s_mov_b32 s36, s45
	s_cmp_lg_u64 s[36:37], 0
	s_cbranch_scc0 .LBB36_231
; %bb.191:                              ;   in Loop: Header=BB36_7 Depth=1
	s_add_u32 s2, s33, 0
	s_addc_u32 s3, 0, 0
	s_xor_b64 s[38:39], s[2:3], 0
	v_cvt_f32_u32_e32 v6, s38
	v_cvt_f32_u32_e32 v7, s39
	s_sub_u32 s10, 0, s38
	s_subb_u32 s11, 0, s39
	v_mac_f32_e32 v6, 0x4f800000, v7
	v_rcp_f32_e32 v6, v6
	v_mul_f32_e32 v6, 0x5f7ffffc, v6
	v_mul_f32_e32 v7, 0x2f800000, v6
	v_trunc_f32_e32 v7, v7
	v_mac_f32_e32 v6, 0xcf800000, v7
	v_cvt_u32_f32_e32 v7, v7
	v_cvt_u32_f32_e32 v6, v6
	v_readfirstlane_b32 s13, v7
	v_readfirstlane_b32 s2, v6
	s_mul_i32 s3, s10, s13
	s_mul_hi_u32 s40, s10, s2
	s_mul_i32 s36, s11, s2
	s_add_i32 s3, s40, s3
	s_mul_i32 s41, s10, s2
	s_add_i32 s3, s3, s36
	s_mul_i32 s40, s2, s3
	s_mul_hi_u32 s44, s2, s41
	s_mul_hi_u32 s36, s2, s3
	s_add_u32 s40, s44, s40
	s_addc_u32 s36, 0, s36
	s_mul_hi_u32 s52, s13, s41
	s_mul_i32 s41, s13, s41
	s_add_u32 s40, s40, s41
	s_mul_hi_u32 s44, s13, s3
	s_addc_u32 s36, s36, s52
	s_addc_u32 s40, s44, 0
	s_mul_i32 s3, s13, s3
	s_add_u32 s3, s36, s3
	s_addc_u32 s36, 0, s40
	s_add_u32 s40, s2, s3
	s_cselect_b64 s[2:3], -1, 0
	s_cmp_lg_u64 s[2:3], 0
	s_addc_u32 s13, s13, s36
	s_mul_i32 s2, s10, s13
	s_mul_hi_u32 s3, s10, s40
	s_add_i32 s2, s3, s2
	s_mul_i32 s11, s11, s40
	s_add_i32 s2, s2, s11
	s_mul_i32 s10, s10, s40
	s_mul_hi_u32 s11, s13, s10
	s_mul_i32 s36, s13, s10
	s_mul_i32 s44, s40, s2
	s_mul_hi_u32 s10, s40, s10
	s_mul_hi_u32 s41, s40, s2
	s_add_u32 s10, s10, s44
	s_addc_u32 s41, 0, s41
	s_add_u32 s10, s10, s36
	s_mul_hi_u32 s3, s13, s2
	s_addc_u32 s10, s41, s11
	s_addc_u32 s3, s3, 0
	s_mul_i32 s2, s13, s2
	s_add_u32 s2, s10, s2
	s_addc_u32 s10, 0, s3
	s_add_u32 s36, s40, s2
	s_cselect_b64 s[2:3], -1, 0
	s_cmp_lg_u64 s[2:3], 0
	s_addc_u32 s13, s13, s10
	s_ashr_i32 s2, s37, 31
	s_add_u32 s10, s12, s2
	s_mov_b32 s3, s2
	s_addc_u32 s11, s37, s2
	s_xor_b64 s[10:11], s[10:11], s[2:3]
	s_mul_i32 s41, s10, s13
	s_mul_hi_u32 s44, s10, s36
	s_mul_hi_u32 s40, s10, s13
	s_add_u32 s41, s44, s41
	s_addc_u32 s40, 0, s40
	s_mul_hi_u32 s52, s11, s36
	s_mul_i32 s36, s11, s36
	s_add_u32 s36, s41, s36
	s_mul_hi_u32 s44, s11, s13
	s_addc_u32 s36, s40, s52
	s_addc_u32 s40, s44, 0
	s_mul_i32 s13, s11, s13
	s_add_u32 s13, s36, s13
	s_addc_u32 s36, 0, s40
	s_mul_i32 s36, s38, s36
	s_mul_hi_u32 s40, s38, s13
	s_add_i32 s36, s40, s36
	s_mul_i32 s40, s39, s13
	s_add_i32 s36, s36, s40
	s_sub_i32 s44, s11, s36
	s_mul_i32 s13, s38, s13
	s_sub_u32 s10, s10, s13
	s_cselect_b64 s[40:41], -1, 0
	s_cmp_lg_u64 s[40:41], 0
	s_subb_u32 s13, s44, s39
	s_sub_u32 s44, s10, s38
	s_cselect_b64 s[56:57], -1, 0
	s_cmp_lg_u64 s[56:57], 0
	s_subb_u32 s52, s13, 0
	s_cmp_ge_u32 s52, s39
	s_cselect_b32 s58, -1, 0
	s_cmp_ge_u32 s44, s38
	s_cselect_b32 s59, -1, 0
	s_cmp_eq_u32 s52, s39
	s_cselect_b32 s58, s59, s58
	s_cmp_lg_u64 s[56:57], 0
	s_subb_u32 s13, s13, s39
	s_sub_u32 s59, s44, s38
	s_cselect_b64 s[56:57], -1, 0
	s_cmp_lg_u64 s[56:57], 0
	s_subb_u32 s13, s13, 0
	s_cmp_lg_u32 s58, 0
	s_cselect_b32 s44, s59, s44
	s_cselect_b32 s13, s13, s52
	s_cmp_lg_u64 s[40:41], 0
	s_subb_u32 s11, s11, s36
	s_cmp_ge_u32 s11, s39
	s_cselect_b32 s36, -1, 0
	s_cmp_ge_u32 s10, s38
	s_cselect_b32 s38, -1, 0
	s_cmp_eq_u32 s11, s39
	s_cselect_b32 s36, s38, s36
	s_cmp_lg_u32 s36, 0
	s_cselect_b32 s11, s13, s11
	s_cselect_b32 s10, s44, s10
	s_xor_b64 s[10:11], s[10:11], s[2:3]
	s_sub_u32 s10, s10, s2
	s_subb_u32 s11, s11, s2
	s_cbranch_execnz .LBB36_193
.LBB36_192:                             ;   in Loop: Header=BB36_7 Depth=1
	v_cvt_f32_u32_e32 v6, s33
	s_sub_i32 s2, 0, s33
	v_rcp_iflag_f32_e32 v6, v6
	v_mul_f32_e32 v6, 0x4f7ffffe, v6
	v_cvt_u32_f32_e32 v6, v6
	v_readfirstlane_b32 s3, v6
	s_mul_i32 s2, s2, s3
	s_mul_hi_u32 s2, s3, s2
	s_add_i32 s3, s3, s2
	s_mul_hi_u32 s2, s12, s3
	s_mul_i32 s2, s2, s33
	s_sub_i32 s2, s12, s2
	s_sub_i32 s3, s2, s33
	s_cmp_ge_u32 s2, s33
	s_cselect_b32 s2, s3, s2
	s_sub_i32 s3, s2, s33
	s_cmp_ge_u32 s2, s33
	s_cselect_b32 s44, s3, s2
	s_mov_b64 s[10:11], s[44:45]
.LBB36_193:                             ;   in Loop: Header=BB36_7 Depth=1
	s_sub_u32 s12, s12, s10
	s_subb_u32 s13, s37, s11
	v_cmp_gt_i64_e32 vcc, s[12:13], v[0:1]
                                        ; implicit-def: $vgpr47
	s_and_saveexec_b64 s[10:11], vcc
	s_cbranch_execz .LBB36_202
; %bb.194:                              ;   in Loop: Header=BB36_7 Depth=1
	v_mov_b32_e32 v7, v1
	s_mov_b64 s[36:37], 0
	v_mov_b32_e32 v8, v43
	v_mov_b32_e32 v6, v0
                                        ; implicit-def: $sgpr38_sgpr39
	s_branch .LBB36_197
.LBB36_195:                             ;   in Loop: Header=BB36_197 Depth=2
	s_or_b64 exec, exec, s[40:41]
	s_waitcnt lgkmcnt(0)
	s_barrier
	ds_read_b32 v9, v3 offset:3072
	s_mov_b64 s[40:41], -1
	s_mov_b64 s[56:57], -1
	s_waitcnt lgkmcnt(0)
	s_barrier
	v_cmp_eq_u32_sdwa s[2:3], v9, v3 src0_sel:WORD_0 src1_sel:DWORD
	s_and_b64 vcc, exec, s[2:3]
	s_cbranch_vccnz .LBB36_200
.LBB36_196:                             ;   in Loop: Header=BB36_197 Depth=2
	s_and_b64 s[2:3], exec, s[40:41]
	s_or_b64 s[36:37], s[2:3], s[36:37]
	s_andn2_b64 s[2:3], s[38:39], exec
	s_and_b64 s[38:39], s[56:57], exec
	s_or_b64 s[38:39], s[2:3], s[38:39]
	s_andn2_b64 exec, exec, s[36:37]
	s_cbranch_execz .LBB36_201
.LBB36_197:                             ;   Parent Loop BB36_7 Depth=1
                                        ; =>  This Inner Loop Header: Depth=2
	v_cmp_gt_u64_e32 vcc, s[92:93], v[6:7]
	s_and_saveexec_b64 s[40:41], vcc
	s_cbranch_execz .LBB36_195
; %bb.198:                              ;   in Loop: Header=BB36_197 Depth=2
	ds_read_u16 v9, v8
	s_waitcnt lgkmcnt(0)
	v_add_u32_sdwa v10, sext(v9), s9 dst_sel:DWORD dst_unused:UNUSED_PAD src0_sel:WORD_0 src1_sel:DWORD
	v_and_b32_e32 v10, v10, v46
	v_cmp_eq_u32_e32 vcc, v10, v42
	s_and_b64 exec, exec, vcc
	s_cbranch_execz .LBB36_195
; %bb.199:                              ;   in Loop: Header=BB36_197 Depth=2
	v_perm_b32 v9, v9, 1, v45
	ds_write_b32 v3, v9 offset:3072
	s_branch .LBB36_195
.LBB36_200:                             ;   in Loop: Header=BB36_197 Depth=2
	v_add_co_u32_e32 v6, vcc, s33, v6
	v_addc_co_u32_e32 v7, vcc, 0, v7, vcc
	v_cmp_le_i64_e32 vcc, s[12:13], v[6:7]
	v_add_u32_e32 v8, s8, v8
	s_mov_b64 s[56:57], 0
	s_orn2_b64 s[40:41], vcc, exec
	s_branch .LBB36_196
.LBB36_201:                             ;   in Loop: Header=BB36_7 Depth=1
	s_or_b64 exec, exec, s[36:37]
	s_andn2_b64 s[2:3], s[28:29], exec
	s_and_b64 s[12:13], s[38:39], exec
	v_lshrrev_b32_e32 v47, 16, v9
	s_or_b64 s[28:29], s[2:3], s[12:13]
.LBB36_202:                             ;   in Loop: Header=BB36_7 Depth=1
	s_or_b64 exec, exec, s[10:11]
	s_mov_b64 s[84:85], 0
	s_mov_b64 s[86:87], -1
.LBB36_203:                             ;   in Loop: Header=BB36_7 Depth=1
	s_orn2_b64 s[10:11], s[28:29], exec
.LBB36_204:                             ;   in Loop: Header=BB36_7 Depth=1
	s_or_b64 exec, exec, s[88:89]
	s_mov_b64 s[12:13], 0
	s_and_saveexec_b64 s[88:89], s[10:11]
	s_cbranch_execz .LBB36_262
; %bb.205:                              ;   in Loop: Header=BB36_7 Depth=1
	v_mov_b32_e32 v6, 1
	s_xor_b64 s[2:3], s[90:91], -1
	v_mov_b32_e32 v2, 1
	v_mov_b32_e32 v7, 0
	s_and_saveexec_b64 s[28:29], s[2:3]
	s_cbranch_execz .LBB36_214
; %bb.206:                              ;   in Loop: Header=BB36_7 Depth=1
	v_cmp_ge_i64_e32 vcc, s[26:27], v[4:5]
	s_and_saveexec_b64 s[2:3], vcc
	s_xor_b64 s[10:11], exec, s[2:3]
	s_cbranch_execz .LBB36_211
; %bb.207:                              ;   in Loop: Header=BB36_7 Depth=1
	ds_read_b64 v[6:7], v3 offset:5120
	v_and_b32_e32 v2, s17, v42
	v_lshl_or_b32 v42, 2, s50, v2
	v_or_b32_e32 v46, s16, v46
	s_waitcnt lgkmcnt(0)
	v_cmp_ne_u64_e32 vcc, 0, v[6:7]
	s_cbranch_vccnz .LBB36_211
; %bb.208:                              ;   in Loop: Header=BB36_7 Depth=1
	s_mov_b64 s[2:3], exec
	v_readlane_b32 s12, v56, 6
	v_readlane_b32 s13, v56, 7
	s_and_b64 s[12:13], s[2:3], s[12:13]
	s_mov_b64 exec, s[12:13]
; %bb.209:                              ;   in Loop: Header=BB36_7 Depth=1
	v_mov_b32_e32 v6, s26
	v_mov_b32_e32 v7, s27
	ds_write_b64 v3, v[6:7] offset:5128
; %bb.210:                              ;   in Loop: Header=BB36_7 Depth=1
	s_or_b64 exec, exec, s[2:3]
	s_waitcnt lgkmcnt(0)
	s_barrier
.LBB36_211:                             ;   in Loop: Header=BB36_7 Depth=1
	s_or_saveexec_b64 s[10:11], s[10:11]
	s_mov_b64 s[12:13], 0
	v_mov_b32_e32 v2, 8
	s_xor_b64 exec, exec, s[10:11]
; %bb.212:                              ;   in Loop: Header=BB36_7 Depth=1
	v_subrev_co_u32_e32 v4, vcc, s26, v4
	v_mov_b32_e32 v2, s27
	v_subb_co_u32_e32 v5, vcc, v5, v2, vcc
	v_mov_b32_e32 v2, 0
	s_mov_b64 s[12:13], exec
; %bb.213:                              ;   in Loop: Header=BB36_7 Depth=1
	s_or_b64 exec, exec, s[10:11]
	v_mov_b32_e32 v7, v5
	s_and_b64 s[12:13], s[12:13], exec
	v_mov_b32_e32 v6, v4
.LBB36_214:                             ;   in Loop: Header=BB36_7 Depth=1
	s_or_b64 exec, exec, s[28:29]
	s_mov_b64 s[10:11], -1
                                        ; implicit-def: $sgpr36_sgpr37
                                        ; implicit-def: $sgpr28_sgpr29
	s_and_saveexec_b64 s[26:27], s[12:13]
	s_cbranch_execz .LBB36_261
; %bb.215:                              ;   in Loop: Header=BB36_7 Depth=1
	s_cmp_eq_u64 s[14:15], 1
	v_cmp_eq_u64_e32 vcc, 1, v[6:7]
	s_cselect_b64 s[2:3], -1, 0
	s_and_b64 s[90:91], s[2:3], vcc
                                        ; implicit-def: $sgpr36_sgpr37
                                        ; implicit-def: $sgpr28_sgpr29
	s_and_saveexec_b64 s[92:93], s[90:91]
	s_cbranch_execz .LBB36_249
; %bb.216:                              ;   in Loop: Header=BB36_7 Depth=1
	ds_read_b64 v[4:5], v3 offset:5120
	v_writelane_b32 v56, s94, 29
	v_writelane_b32 v56, s95, 30
	s_waitcnt lgkmcnt(0)
	s_barrier
	v_readfirstlane_b32 s94, v4
	v_readfirstlane_b32 s95, v5
	s_mov_b64 s[2:3], exec
	v_readlane_b32 s10, v56, 10
	v_readlane_b32 s11, v56, 11
	s_and_b64 s[10:11], s[2:3], s[10:11]
	s_mov_b64 exec, s[10:11]
; %bb.217:                              ;   in Loop: Header=BB36_7 Depth=1
	ds_write_b16 v44, v3
; %bb.218:                              ;   in Loop: Header=BB36_7 Depth=1
	s_or_b64 exec, exec, s[2:3]
	v_cmp_gt_i64_e64 s[2:3], s[94:95], 0
	v_or_b32_e32 v42, s16, v42
	v_or_b32_e32 v46, s16, v46
	s_mov_b64 s[28:29], -1
	s_mov_b64 s[36:37], 0
	s_and_b64 vcc, exec, s[2:3]
	s_mov_b64 s[38:39], 0
	s_mov_b64 s[40:41], -1
	s_waitcnt lgkmcnt(0)
	s_barrier
                                        ; implicit-def: $vgpr47
	s_cbranch_vccnz .LBB36_234
; %bb.219:                              ;   in Loop: Header=BB36_7 Depth=1
	s_mov_b32 s52, s45
	s_cmp_lg_u64 s[52:53], 0
	s_cbranch_scc0 .LBB36_268
; %bb.220:                              ;   in Loop: Header=BB36_7 Depth=1
	s_add_u32 s2, s33, 0
	s_addc_u32 s3, 0, 0
	s_xor_b64 s[38:39], s[2:3], 0
	v_cvt_f32_u32_e32 v4, s38
	v_cvt_f32_u32_e32 v5, s39
	s_sub_u32 s10, 0, s38
	s_subb_u32 s11, 0, s39
	v_mac_f32_e32 v4, 0x4f800000, v5
	v_rcp_f32_e32 v4, v4
	v_mul_f32_e32 v4, 0x5f7ffffc, v4
	v_mul_f32_e32 v5, 0x2f800000, v4
	v_trunc_f32_e32 v5, v5
	v_mac_f32_e32 v4, 0xcf800000, v5
	v_cvt_u32_f32_e32 v5, v5
	v_cvt_u32_f32_e32 v4, v4
	v_readfirstlane_b32 s12, v5
	v_readfirstlane_b32 s2, v4
	s_mul_i32 s3, s10, s12
	s_mul_hi_u32 s17, s10, s2
	s_mul_i32 s13, s11, s2
	s_add_i32 s3, s17, s3
	s_mul_i32 s40, s10, s2
	s_add_i32 s3, s3, s13
	s_mul_i32 s17, s2, s3
	s_mul_hi_u32 s41, s2, s40
	s_mul_hi_u32 s13, s2, s3
	s_add_u32 s17, s41, s17
	s_addc_u32 s13, 0, s13
	s_mul_hi_u32 s44, s12, s40
	s_mul_i32 s40, s12, s40
	s_add_u32 s17, s17, s40
	s_mul_hi_u32 s41, s12, s3
	s_addc_u32 s13, s13, s44
	s_addc_u32 s17, s41, 0
	s_mul_i32 s3, s12, s3
	s_add_u32 s3, s13, s3
	s_addc_u32 s13, 0, s17
	s_add_u32 s17, s2, s3
	s_cselect_b64 s[2:3], -1, 0
	s_cmp_lg_u64 s[2:3], 0
	s_addc_u32 s12, s12, s13
	s_mul_i32 s2, s10, s12
	s_mul_hi_u32 s3, s10, s17
	s_add_i32 s2, s3, s2
	s_mul_i32 s11, s11, s17
	s_add_i32 s2, s2, s11
	s_mul_i32 s10, s10, s17
	s_mul_hi_u32 s11, s12, s10
	s_mul_i32 s13, s12, s10
	s_mul_i32 s41, s17, s2
	s_mul_hi_u32 s10, s17, s10
	s_mul_hi_u32 s40, s17, s2
	s_add_u32 s10, s10, s41
	s_addc_u32 s40, 0, s40
	s_add_u32 s10, s10, s13
	s_mul_hi_u32 s3, s12, s2
	s_addc_u32 s10, s40, s11
	s_addc_u32 s3, s3, 0
	s_mul_i32 s2, s12, s2
	s_add_u32 s2, s10, s2
	s_addc_u32 s10, 0, s3
	s_add_u32 s13, s17, s2
	s_cselect_b64 s[2:3], -1, 0
	s_cmp_lg_u64 s[2:3], 0
	s_addc_u32 s12, s12, s10
	s_ashr_i32 s2, s53, 31
	s_add_u32 s10, s35, s2
	s_mov_b32 s3, s2
	s_addc_u32 s11, s53, s2
	s_xor_b64 s[10:11], s[10:11], s[2:3]
	s_mul_i32 s40, s10, s12
	s_mul_hi_u32 s41, s10, s13
	s_mul_hi_u32 s17, s10, s12
	s_add_u32 s40, s41, s40
	s_addc_u32 s17, 0, s17
	s_mul_hi_u32 s44, s11, s13
	s_mul_i32 s13, s11, s13
	s_add_u32 s13, s40, s13
	s_mul_hi_u32 s41, s11, s12
	s_addc_u32 s13, s17, s44
	s_addc_u32 s17, s41, 0
	s_mul_i32 s12, s11, s12
	s_add_u32 s12, s13, s12
	s_addc_u32 s13, 0, s17
	s_mul_i32 s13, s38, s13
	s_mul_hi_u32 s17, s38, s12
	s_add_i32 s13, s17, s13
	s_mul_i32 s17, s39, s12
	s_add_i32 s17, s13, s17
	s_sub_i32 s40, s11, s17
	s_mul_i32 s12, s38, s12
	s_sub_u32 s10, s10, s12
	s_cselect_b64 s[12:13], -1, 0
	s_cmp_lg_u64 s[12:13], 0
	s_subb_u32 s44, s40, s39
	s_sub_u32 s52, s10, s38
	s_cselect_b64 s[40:41], -1, 0
	s_cmp_lg_u64 s[40:41], 0
	s_subb_u32 s56, s44, 0
	s_cmp_ge_u32 s56, s39
	s_cselect_b32 s57, -1, 0
	s_cmp_ge_u32 s52, s38
	s_cselect_b32 s58, -1, 0
	s_cmp_eq_u32 s56, s39
	s_cselect_b32 s57, s58, s57
	s_cmp_lg_u64 s[40:41], 0
	s_subb_u32 s44, s44, s39
	s_sub_u32 s58, s52, s38
	s_cselect_b64 s[40:41], -1, 0
	s_cmp_lg_u64 s[40:41], 0
	s_subb_u32 s40, s44, 0
	s_cmp_lg_u32 s57, 0
	s_cselect_b32 s41, s58, s52
	s_cselect_b32 s40, s40, s56
	s_cmp_lg_u64 s[12:13], 0
	s_subb_u32 s11, s11, s17
	s_cmp_ge_u32 s11, s39
	s_cselect_b32 s12, -1, 0
	s_cmp_ge_u32 s10, s38
	s_cselect_b32 s13, -1, 0
	s_cmp_eq_u32 s11, s39
	s_cselect_b32 s12, s13, s12
	s_cmp_lg_u32 s12, 0
	s_cselect_b32 s11, s40, s11
	s_cselect_b32 s10, s41, s10
	s_xor_b64 s[10:11], s[10:11], s[2:3]
	s_sub_u32 s10, s10, s2
	s_subb_u32 s11, s11, s2
	s_cbranch_execnz .LBB36_222
.LBB36_221:                             ;   in Loop: Header=BB36_7 Depth=1
	v_cvt_f32_u32_e32 v4, s33
	s_sub_i32 s2, 0, s33
	v_rcp_iflag_f32_e32 v4, v4
	v_mul_f32_e32 v4, 0x4f7ffffe, v4
	v_cvt_u32_f32_e32 v4, v4
	v_readfirstlane_b32 s3, v4
	s_mul_i32 s2, s2, s3
	s_mul_hi_u32 s2, s3, s2
	s_add_i32 s3, s3, s2
	s_mul_hi_u32 s2, s35, s3
	s_mul_i32 s2, s2, s33
	s_sub_i32 s2, s35, s2
	s_sub_i32 s3, s2, s33
	s_cmp_ge_u32 s2, s33
	s_cselect_b32 s2, s3, s2
	s_sub_i32 s3, s2, s33
	s_cmp_ge_u32 s2, s33
	s_cselect_b32 s44, s3, s2
	s_mov_b64 s[10:11], s[44:45]
.LBB36_222:                             ;   in Loop: Header=BB36_7 Depth=1
	s_sub_u32 s10, s35, s10
	s_subb_u32 s11, s53, s11
	v_cmp_gt_i64_e32 vcc, s[10:11], v[0:1]
	s_mov_b64 s[40:41], 0
	s_mov_b64 s[38:39], 0
                                        ; implicit-def: $vgpr47
	s_and_saveexec_b64 s[12:13], vcc
	s_cbranch_execz .LBB36_233
; %bb.223:                              ;   in Loop: Header=BB36_7 Depth=1
	v_mov_b32_e32 v4, v12
	v_mov_b32_e32 v9, v1
	;; [unrolled: 1-line block ×4, first 2 shown]
                                        ; implicit-def: $sgpr56_sgpr57
	s_branch .LBB36_226
.LBB36_224:                             ;   in Loop: Header=BB36_226 Depth=2
	s_or_b64 exec, exec, s[58:59]
	s_waitcnt lgkmcnt(0)
	s_barrier
	ds_read_b32 v10, v3 offset:3072
	s_mov_b64 s[58:59], -1
	s_waitcnt lgkmcnt(0)
	s_barrier
	v_cmp_ne_u32_sdwa s[2:3], v10, v3 src0_sel:WORD_0 src1_sel:DWORD
	s_and_b64 vcc, exec, s[2:3]
	s_mov_b64 s[2:3], -1
	s_cbranch_vccz .LBB36_229
.LBB36_225:                             ;   in Loop: Header=BB36_226 Depth=2
	s_and_b64 s[58:59], exec, s[58:59]
	s_or_b64 s[38:39], s[58:59], s[38:39]
	s_andn2_b64 s[56:57], s[56:57], exec
	s_and_b64 s[2:3], s[2:3], exec
	s_or_b64 s[56:57], s[56:57], s[2:3]
	s_andn2_b64 exec, exec, s[38:39]
	s_cbranch_execz .LBB36_232
.LBB36_226:                             ;   Parent Loop BB36_7 Depth=1
                                        ; =>  This Inner Loop Header: Depth=2
	v_cmp_gt_i64_e32 vcc, s[24:25], v[8:9]
	s_and_saveexec_b64 s[58:59], vcc
	s_cbranch_execz .LBB36_224
; %bb.227:                              ;   in Loop: Header=BB36_226 Depth=2
	global_load_ushort v10, v[4:5], off
	s_waitcnt vmcnt(0)
	v_add_u32_sdwa v11, sext(v10), s9 dst_sel:DWORD dst_unused:UNUSED_PAD src0_sel:WORD_0 src1_sel:DWORD
	v_and_b32_e32 v11, v11, v46
	v_cmp_eq_u32_e32 vcc, v11, v42
	s_and_b64 exec, exec, vcc
	s_cbranch_execz .LBB36_224
; %bb.228:                              ;   in Loop: Header=BB36_226 Depth=2
	v_perm_b32 v10, v10, 1, v45
	ds_write_b32 v3, v10 offset:3072
	s_branch .LBB36_224
.LBB36_229:                             ;   in Loop: Header=BB36_226 Depth=2
	v_add_co_u32_e32 v8, vcc, s33, v8
	v_addc_co_u32_e32 v9, vcc, 0, v9, vcc
	v_mov_b32_e32 v11, s47
	v_add_co_u32_e32 v4, vcc, s46, v4
	v_addc_co_u32_e32 v5, vcc, v5, v11, vcc
	v_cmp_le_i64_e32 vcc, s[10:11], v[8:9]
	s_mov_b64 s[2:3], 0
	s_orn2_b64 s[58:59], vcc, exec
	s_branch .LBB36_225
.LBB36_230:                             ;   in Loop: Header=BB36_7 Depth=1
                                        ; implicit-def: $sgpr10_sgpr11
	s_branch .LBB36_176
.LBB36_231:                             ;   in Loop: Header=BB36_7 Depth=1
                                        ; implicit-def: $sgpr10_sgpr11
	s_branch .LBB36_192
.LBB36_232:                             ;   in Loop: Header=BB36_7 Depth=1
	s_or_b64 exec, exec, s[38:39]
	v_lshrrev_b32_e32 v47, 16, v10
	s_and_b64 s[38:39], s[56:57], exec
.LBB36_233:                             ;   in Loop: Header=BB36_7 Depth=1
	s_or_b64 exec, exec, s[12:13]
.LBB36_234:                             ;   in Loop: Header=BB36_7 Depth=1
	s_and_b64 vcc, exec, s[40:41]
	s_cbranch_vccz .LBB36_248
; %bb.235:                              ;   in Loop: Header=BB36_7 Depth=1
	v_readlane_b32 s2, v56, 22
	s_add_u32 s12, s94, s2
	v_readlane_b32 s2, v56, 23
	s_addc_u32 s29, s95, s2
	s_mov_b32 s28, s45
	s_cmp_lg_u64 s[28:29], 0
	s_cbranch_scc0 .LBB36_269
; %bb.236:                              ;   in Loop: Header=BB36_7 Depth=1
	s_add_u32 s2, s33, 0
	s_addc_u32 s3, 0, 0
	s_xor_b64 s[36:37], s[2:3], 0
	v_cvt_f32_u32_e32 v4, s36
	v_cvt_f32_u32_e32 v5, s37
	s_sub_u32 s10, 0, s36
	s_subb_u32 s11, 0, s37
	v_mac_f32_e32 v4, 0x4f800000, v5
	v_rcp_f32_e32 v4, v4
	v_mul_f32_e32 v4, 0x5f7ffffc, v4
	v_mul_f32_e32 v5, 0x2f800000, v4
	v_trunc_f32_e32 v5, v5
	v_mac_f32_e32 v4, 0xcf800000, v5
	v_cvt_u32_f32_e32 v5, v5
	v_cvt_u32_f32_e32 v4, v4
	v_readfirstlane_b32 s13, v5
	v_readfirstlane_b32 s2, v4
	s_mul_i32 s3, s10, s13
	s_mul_hi_u32 s28, s10, s2
	s_mul_i32 s17, s11, s2
	s_add_i32 s3, s28, s3
	s_mul_i32 s40, s10, s2
	s_add_i32 s3, s3, s17
	s_mul_i32 s28, s2, s3
	s_mul_hi_u32 s41, s2, s40
	s_mul_hi_u32 s17, s2, s3
	s_add_u32 s28, s41, s28
	s_addc_u32 s17, 0, s17
	s_mul_hi_u32 s44, s13, s40
	s_mul_i32 s40, s13, s40
	s_add_u32 s28, s28, s40
	s_mul_hi_u32 s41, s13, s3
	s_addc_u32 s17, s17, s44
	s_addc_u32 s28, s41, 0
	s_mul_i32 s3, s13, s3
	s_add_u32 s3, s17, s3
	s_addc_u32 s17, 0, s28
	s_add_u32 s28, s2, s3
	s_cselect_b64 s[2:3], -1, 0
	s_cmp_lg_u64 s[2:3], 0
	s_addc_u32 s13, s13, s17
	s_mul_i32 s2, s10, s13
	s_mul_hi_u32 s3, s10, s28
	s_add_i32 s2, s3, s2
	s_mul_i32 s11, s11, s28
	s_add_i32 s2, s2, s11
	s_mul_i32 s10, s10, s28
	s_mul_hi_u32 s11, s13, s10
	s_mul_i32 s17, s13, s10
	s_mul_i32 s41, s28, s2
	s_mul_hi_u32 s10, s28, s10
	s_mul_hi_u32 s40, s28, s2
	s_add_u32 s10, s10, s41
	s_addc_u32 s40, 0, s40
	s_add_u32 s10, s10, s17
	s_mul_hi_u32 s3, s13, s2
	s_addc_u32 s10, s40, s11
	s_addc_u32 s3, s3, 0
	s_mul_i32 s2, s13, s2
	s_add_u32 s2, s10, s2
	s_addc_u32 s10, 0, s3
	s_add_u32 s17, s28, s2
	s_cselect_b64 s[2:3], -1, 0
	s_cmp_lg_u64 s[2:3], 0
	s_addc_u32 s13, s13, s10
	s_ashr_i32 s2, s29, 31
	s_add_u32 s10, s12, s2
	s_mov_b32 s3, s2
	s_addc_u32 s11, s29, s2
	s_xor_b64 s[10:11], s[10:11], s[2:3]
	s_mul_i32 s40, s10, s13
	s_mul_hi_u32 s41, s10, s17
	s_mul_hi_u32 s28, s10, s13
	s_add_u32 s40, s41, s40
	s_addc_u32 s28, 0, s28
	s_mul_hi_u32 s44, s11, s17
	s_mul_i32 s17, s11, s17
	s_add_u32 s17, s40, s17
	s_mul_hi_u32 s41, s11, s13
	s_addc_u32 s17, s28, s44
	s_addc_u32 s28, s41, 0
	s_mul_i32 s13, s11, s13
	s_add_u32 s13, s17, s13
	s_addc_u32 s17, 0, s28
	s_mul_i32 s17, s36, s17
	s_mul_hi_u32 s28, s36, s13
	s_add_i32 s17, s28, s17
	s_mul_i32 s28, s37, s13
	s_add_i32 s17, s17, s28
	s_sub_i32 s28, s11, s17
	s_mul_i32 s13, s36, s13
	s_sub_u32 s10, s10, s13
	s_cselect_b64 s[40:41], -1, 0
	s_cmp_lg_u64 s[40:41], 0
	s_subb_u32 s13, s28, s37
	s_sub_u32 s28, s10, s36
	s_cselect_b64 s[56:57], -1, 0
	s_cmp_lg_u64 s[56:57], 0
	s_subb_u32 s44, s13, 0
	s_cmp_ge_u32 s44, s37
	s_cselect_b32 s52, -1, 0
	s_cmp_ge_u32 s28, s36
	s_cselect_b32 s58, -1, 0
	s_cmp_eq_u32 s44, s37
	s_cselect_b32 s52, s58, s52
	s_cmp_lg_u64 s[56:57], 0
	s_subb_u32 s13, s13, s37
	s_sub_u32 s58, s28, s36
	s_cselect_b64 s[56:57], -1, 0
	s_cmp_lg_u64 s[56:57], 0
	s_subb_u32 s13, s13, 0
	s_cmp_lg_u32 s52, 0
	s_cselect_b32 s28, s58, s28
	s_cselect_b32 s13, s13, s44
	s_cmp_lg_u64 s[40:41], 0
	s_subb_u32 s11, s11, s17
	s_cmp_ge_u32 s11, s37
	s_cselect_b32 s17, -1, 0
	s_cmp_ge_u32 s10, s36
	s_cselect_b32 s36, -1, 0
	s_cmp_eq_u32 s11, s37
	s_cselect_b32 s17, s36, s17
	s_cmp_lg_u32 s17, 0
	s_cselect_b32 s11, s13, s11
	s_cselect_b32 s10, s28, s10
	s_xor_b64 s[10:11], s[10:11], s[2:3]
	s_sub_u32 s10, s10, s2
	s_subb_u32 s11, s11, s2
	s_cbranch_execnz .LBB36_238
.LBB36_237:                             ;   in Loop: Header=BB36_7 Depth=1
	v_cvt_f32_u32_e32 v4, s33
	s_sub_i32 s2, 0, s33
	v_rcp_iflag_f32_e32 v4, v4
	v_mul_f32_e32 v4, 0x4f7ffffe, v4
	v_cvt_u32_f32_e32 v4, v4
	v_readfirstlane_b32 s3, v4
	s_mul_i32 s2, s2, s3
	s_mul_hi_u32 s2, s3, s2
	s_add_i32 s3, s3, s2
	s_mul_hi_u32 s2, s12, s3
	s_mul_i32 s2, s2, s33
	s_sub_i32 s2, s12, s2
	s_sub_i32 s3, s2, s33
	s_cmp_ge_u32 s2, s33
	s_cselect_b32 s2, s3, s2
	s_sub_i32 s3, s2, s33
	s_cmp_ge_u32 s2, s33
	s_cselect_b32 s44, s3, s2
	s_mov_b64 s[10:11], s[44:45]
.LBB36_238:                             ;   in Loop: Header=BB36_7 Depth=1
	s_sub_u32 s12, s12, s10
	s_subb_u32 s13, s29, s11
	v_cmp_gt_i64_e32 vcc, s[12:13], v[0:1]
                                        ; implicit-def: $vgpr47
	s_and_saveexec_b64 s[10:11], vcc
	s_cbranch_execz .LBB36_247
; %bb.239:                              ;   in Loop: Header=BB36_7 Depth=1
	v_mov_b32_e32 v5, v1
	s_mov_b64 s[28:29], 0
	v_mov_b32_e32 v8, v43
	v_mov_b32_e32 v4, v0
                                        ; implicit-def: $sgpr36_sgpr37
	s_branch .LBB36_242
.LBB36_240:                             ;   in Loop: Header=BB36_242 Depth=2
	s_or_b64 exec, exec, s[40:41]
	s_waitcnt lgkmcnt(0)
	s_barrier
	ds_read_b32 v9, v3 offset:3072
	s_mov_b64 s[40:41], -1
	s_waitcnt lgkmcnt(0)
	s_barrier
	v_cmp_eq_u32_sdwa s[2:3], v9, v3 src0_sel:WORD_0 src1_sel:DWORD
	s_and_b64 vcc, exec, s[2:3]
	s_mov_b64 s[2:3], -1
	s_cbranch_vccnz .LBB36_245
.LBB36_241:                             ;   in Loop: Header=BB36_242 Depth=2
	s_and_b64 s[40:41], exec, s[40:41]
	s_or_b64 s[28:29], s[40:41], s[28:29]
	s_andn2_b64 s[36:37], s[36:37], exec
	s_and_b64 s[2:3], s[2:3], exec
	s_or_b64 s[36:37], s[36:37], s[2:3]
	s_andn2_b64 exec, exec, s[28:29]
	s_cbranch_execz .LBB36_246
.LBB36_242:                             ;   Parent Loop BB36_7 Depth=1
                                        ; =>  This Inner Loop Header: Depth=2
	v_cmp_gt_u64_e32 vcc, s[94:95], v[4:5]
	s_and_saveexec_b64 s[40:41], vcc
	s_cbranch_execz .LBB36_240
; %bb.243:                              ;   in Loop: Header=BB36_242 Depth=2
	ds_read_u16 v9, v8
	s_waitcnt lgkmcnt(0)
	v_add_u32_sdwa v10, sext(v9), s9 dst_sel:DWORD dst_unused:UNUSED_PAD src0_sel:WORD_0 src1_sel:DWORD
	v_and_b32_e32 v10, v10, v46
	v_cmp_eq_u32_e32 vcc, v10, v42
	s_and_b64 exec, exec, vcc
	s_cbranch_execz .LBB36_240
; %bb.244:                              ;   in Loop: Header=BB36_242 Depth=2
	v_perm_b32 v9, v9, 1, v45
	ds_write_b32 v3, v9 offset:3072
	s_branch .LBB36_240
.LBB36_245:                             ;   in Loop: Header=BB36_242 Depth=2
	v_add_co_u32_e32 v4, vcc, s33, v4
	v_addc_co_u32_e32 v5, vcc, 0, v5, vcc
	v_cmp_le_i64_e32 vcc, s[12:13], v[4:5]
	v_add_u32_e32 v8, s8, v8
	s_mov_b64 s[2:3], 0
	s_orn2_b64 s[40:41], vcc, exec
	s_branch .LBB36_241
.LBB36_246:                             ;   in Loop: Header=BB36_7 Depth=1
	s_or_b64 exec, exec, s[28:29]
	s_andn2_b64 s[2:3], s[38:39], exec
	s_and_b64 s[12:13], s[36:37], exec
	v_lshrrev_b32_e32 v47, 16, v9
	s_or_b64 s[38:39], s[2:3], s[12:13]
.LBB36_247:                             ;   in Loop: Header=BB36_7 Depth=1
	s_or_b64 exec, exec, s[10:11]
	s_mov_b64 s[28:29], 0
	s_mov_b64 s[36:37], -1
.LBB36_248:                             ;   in Loop: Header=BB36_7 Depth=1
	v_readlane_b32 s94, v56, 29
	s_orn2_b64 s[10:11], s[38:39], exec
	v_readlane_b32 s95, v56, 30
.LBB36_249:                             ;   in Loop: Header=BB36_7 Depth=1
	s_or_b64 exec, exec, s[92:93]
	s_mov_b64 s[12:13], 0
	s_and_saveexec_b64 s[38:39], s[10:11]
	s_cbranch_execz .LBB36_260
; %bb.250:                              ;   in Loop: Header=BB36_7 Depth=1
	v_mov_b32_e32 v4, 1
	s_xor_b64 s[2:3], s[90:91], -1
	v_mov_b32_e32 v5, 0
	v_mov_b32_e32 v2, 1
	s_and_saveexec_b64 s[40:41], s[2:3]
	s_cbranch_execz .LBB36_259
; %bb.251:                              ;   in Loop: Header=BB36_7 Depth=1
	v_cmp_ge_i64_e32 vcc, s[14:15], v[6:7]
	s_and_saveexec_b64 s[2:3], vcc
	s_xor_b64 s[10:11], exec, s[2:3]
	s_cbranch_execz .LBB36_256
; %bb.252:                              ;   in Loop: Header=BB36_7 Depth=1
	ds_read_b64 v[4:5], v3 offset:5120
	v_or_b32_e32 v42, s16, v42
	v_or_b32_e32 v46, s16, v46
	s_waitcnt lgkmcnt(0)
	v_cmp_ne_u64_e32 vcc, 0, v[4:5]
	s_cbranch_vccnz .LBB36_256
; %bb.253:                              ;   in Loop: Header=BB36_7 Depth=1
	s_mov_b64 s[2:3], exec
	v_readlane_b32 s12, v56, 6
	v_readlane_b32 s13, v56, 7
	s_and_b64 s[12:13], s[2:3], s[12:13]
	s_mov_b64 exec, s[12:13]
; %bb.254:                              ;   in Loop: Header=BB36_7 Depth=1
	v_mov_b32_e32 v4, s14
	v_mov_b32_e32 v5, s15
	ds_write_b64 v3, v[4:5] offset:5128
; %bb.255:                              ;   in Loop: Header=BB36_7 Depth=1
	s_or_b64 exec, exec, s[2:3]
	s_waitcnt lgkmcnt(0)
	s_barrier
.LBB36_256:                             ;   in Loop: Header=BB36_7 Depth=1
	s_andn2_saveexec_b64 s[10:11], s[10:11]
; %bb.257:                              ;   in Loop: Header=BB36_7 Depth=1
	v_mov_b32_e32 v2, s15
	v_subrev_co_u32_e32 v6, vcc, s14, v6
	v_subb_co_u32_e32 v7, vcc, v7, v2, vcc
; %bb.258:                              ;   in Loop: Header=BB36_7 Depth=1
	s_or_b64 exec, exec, s[10:11]
	v_mov_b32_e32 v4, v6
	v_mov_b32_e32 v2, 8
	;; [unrolled: 1-line block ×3, first 2 shown]
.LBB36_259:                             ;   in Loop: Header=BB36_7 Depth=1
	s_or_b64 exec, exec, s[40:41]
	v_mov_b32_e32 v7, v5
	s_mov_b64 s[12:13], exec
	v_mov_b32_e32 v6, v4
.LBB36_260:                             ;   in Loop: Header=BB36_7 Depth=1
	s_or_b64 exec, exec, s[38:39]
	s_orn2_b64 s[10:11], s[12:13], exec
.LBB36_261:                             ;   in Loop: Header=BB36_7 Depth=1
	s_or_b64 exec, exec, s[26:27]
	s_andn2_b64 s[2:3], s[86:87], exec
	s_and_b64 s[12:13], s[36:37], exec
	s_or_b64 s[86:87], s[2:3], s[12:13]
	s_andn2_b64 s[2:3], s[84:85], exec
	s_and_b64 s[12:13], s[28:29], exec
	v_mov_b32_e32 v4, v6
	s_or_b64 s[84:85], s[2:3], s[12:13]
	s_and_b64 s[12:13], s[10:11], exec
	v_mov_b32_e32 v5, v7
.LBB36_262:                             ;   in Loop: Header=BB36_7 Depth=1
	s_or_b64 exec, exec, s[88:89]
	s_orn2_b64 s[10:11], s[12:13], exec
.LBB36_263:                             ;   in Loop: Header=BB36_7 Depth=1
	s_or_b64 exec, exec, s[82:83]
	s_andn2_b64 s[2:3], s[78:79], exec
	s_and_b64 s[12:13], s[86:87], exec
	s_or_b64 s[78:79], s[2:3], s[12:13]
	s_andn2_b64 s[2:3], s[6:7], exec
	s_and_b64 s[6:7], s[84:85], exec
	v_mov_b32_e32 v9, v5
	s_or_b64 s[6:7], s[2:3], s[6:7]
	s_and_b64 s[12:13], s[10:11], exec
	v_mov_b32_e32 v8, v4
.LBB36_264:                             ;   in Loop: Header=BB36_7 Depth=1
	s_or_b64 exec, exec, s[80:81]
	s_orn2_b64 s[10:11], s[12:13], exec
.LBB36_265:                             ;   in Loop: Header=BB36_7 Depth=1
	s_or_b64 exec, exec, s[22:23]
	s_mov_b64 s[12:13], 0
	s_and_saveexec_b64 s[2:3], s[10:11]
	s_xor_b64 s[10:11], exec, s[2:3]
	s_cbranch_execz .LBB36_5
; %bb.266:                              ;   in Loop: Header=BB36_7 Depth=1
	v_and_b32_e32 v2, 7, v2
	v_cmp_eq_u32_e32 vcc, 0, v2
	s_mov_b64 s[14:15], -1
	s_mov_b64 s[12:13], -1
	s_and_saveexec_b64 s[20:21], vcc
	s_cbranch_execz .LBB36_4
; %bb.267:                              ;   in Loop: Header=BB36_7 Depth=1
	s_xor_b32 s51, s51, 1
	s_add_i32 s16, s50, -2
	s_cmp_eq_u32 s50, 0
	s_cselect_b64 s[2:3], -1, 0
	s_xor_b64 s[12:13], exec, -1
	s_orn2_b64 s[14:15], s[2:3], exec
	s_mov_b32 s50, s16
	s_branch .LBB36_4
.LBB36_268:                             ;   in Loop: Header=BB36_7 Depth=1
                                        ; implicit-def: $sgpr10_sgpr11
	s_branch .LBB36_221
.LBB36_269:                             ;   in Loop: Header=BB36_7 Depth=1
                                        ; implicit-def: $sgpr10_sgpr11
	s_branch .LBB36_237
.LBB36_270:
	s_or_b64 exec, exec, s[64:65]
	s_xor_b64 s[2:3], s[70:71], -1
	s_xor_b64 s[0:1], s[66:67], -1
	;; [unrolled: 1-line block ×3, first 2 shown]
	s_mov_b64 s[6:7], 0
	s_and_saveexec_b64 s[4:5], s[0:1]
	s_xor_b64 s[4:5], exec, s[4:5]
	s_cbranch_execnz .LBB36_275
; %bb.271:
	s_andn2_saveexec_b64 s[0:1], s[4:5]
	s_cbranch_execnz .LBB36_297
.LBB36_272:
	s_or_b64 exec, exec, s[0:1]
	s_and_saveexec_b64 s[0:1], s[6:7]
.LBB36_273:
	; divergent unreachable
.LBB36_274:
	s_endpgm
.LBB36_275:
	s_and_saveexec_b64 s[0:1], s[2:3]
	s_xor_b64 s[6:7], exec, s[0:1]
	s_cbranch_execz .LBB36_295
; %bb.276:
	s_and_saveexec_b64 s[0:1], s[8:9]
	s_xor_b64 s[2:3], exec, s[0:1]
; %bb.277:
	v_xor_b32_e32 v47, 0xffff8000, v42
; %bb.278:
	s_or_b64 exec, exec, s[2:3]
	s_mov_b64 s[2:3], exec
	v_readlane_b32 s0, v56, 6
	v_readlane_b32 s1, v56, 7
	s_and_b64 s[0:1], s[2:3], s[0:1]
	v_readlane_b32 s26, v56, 8
	v_readlane_b32 s27, v56, 9
	s_mov_b64 exec, s[0:1]
; %bb.279:
	v_mov_b32_e32 v2, 0
	v_mov_b32_e32 v3, s24
	ds_write_b32 v2, v3 offset:5140
; %bb.280:
	s_or_b64 exec, exec, s[2:3]
	s_waitcnt lgkmcnt(0)
	s_barrier
	s_mov_b64 s[8:9], exec
	v_readlane_b32 s0, v56, 14
	v_readlane_b32 s1, v56, 15
	s_and_b64 s[0:1], s[8:9], s[0:1]
	s_mov_b64 exec, s[0:1]
	s_cbranch_execz .LBB36_292
; %bb.281:
	v_mov_b32_e32 v2, 0
	ds_read_b32 v4, v2 offset:5140
	s_mov_b64 s[10:11], 0
                                        ; implicit-def: $sgpr12_sgpr13
                                        ; implicit-def: $sgpr14_sgpr15
                                        ; implicit-def: $sgpr16_sgpr17
	s_waitcnt lgkmcnt(0)
	v_ashrrev_i32_e32 v5, 31, v4
	s_branch .LBB36_284
.LBB36_282:                             ;   in Loop: Header=BB36_284 Depth=1
	s_or_b64 exec, exec, s[22:23]
	s_andn2_b64 s[0:1], s[16:17], exec
	s_and_b64 s[16:17], s[20:21], exec
	s_or_b64 s[16:17], s[0:1], s[16:17]
	s_andn2_b64 s[0:1], s[14:15], exec
	s_and_b64 s[2:3], s[2:3], exec
	s_or_b64 s[14:15], s[0:1], s[2:3]
.LBB36_283:                             ;   in Loop: Header=BB36_284 Depth=1
	s_or_b64 exec, exec, s[18:19]
	s_and_b64 s[0:1], exec, s[14:15]
	s_or_b64 s[10:11], s[0:1], s[10:11]
	s_andn2_b64 s[0:1], s[12:13], exec
	s_and_b64 s[2:3], s[16:17], exec
	s_or_b64 s[12:13], s[0:1], s[2:3]
	s_andn2_b64 exec, exec, s[10:11]
	s_cbranch_execz .LBB36_287
.LBB36_284:                             ; =>This Inner Loop Header: Depth=1
	v_mov_b32_e32 v3, v1
	v_mov_b32_e32 v2, v0
	v_cmp_lt_i64_e32 vcc, v[2:3], v[4:5]
	s_or_b64 s[16:17], s[16:17], exec
	s_or_b64 s[14:15], s[14:15], exec
                                        ; implicit-def: $vgpr0_vgpr1
	s_and_saveexec_b64 s[18:19], vcc
	s_cbranch_execz .LBB36_283
; %bb.285:                              ;   in Loop: Header=BB36_284 Depth=1
	global_load_ushort v0, v[12:13], off
	s_mov_b64 s[2:3], -1
	s_mov_b64 s[20:21], 0
	s_waitcnt vmcnt(0)
	v_cmp_ne_u16_e32 vcc, v0, v47
                                        ; implicit-def: $vgpr0_vgpr1
	s_and_saveexec_b64 s[22:23], vcc
	s_cbranch_execz .LBB36_282
; %bb.286:                              ;   in Loop: Header=BB36_284 Depth=1
	v_add_co_u32_e32 v0, vcc, s33, v2
	v_addc_co_u32_e32 v1, vcc, 0, v3, vcc
	v_mov_b32_e32 v3, s47
	v_cmp_le_i64_e32 vcc, s[24:25], v[0:1]
	v_add_co_u32_e64 v12, s[2:3], s46, v12
	v_addc_co_u32_e64 v13, s[2:3], v13, v3, s[2:3]
	s_mov_b64 s[20:21], exec
	s_orn2_b64 s[2:3], vcc, exec
	s_branch .LBB36_282
.LBB36_287:
	s_or_b64 exec, exec, s[10:11]
	s_xor_b64 s[0:1], s[12:13], -1
	s_and_saveexec_b64 s[2:3], s[0:1]
	s_xor_b64 s[2:3], exec, s[2:3]
	s_cbranch_execz .LBB36_292
; %bb.288:
	s_mov_b64 s[2:3], exec
	s_brev_b32 s0, -2
.LBB36_289:                             ; =>This Inner Loop Header: Depth=1
	s_ff1_i32_b64 s1, s[2:3]
	v_readlane_b32 s12, v2, s1
	s_lshl_b64 s[10:11], 1, s1
	s_min_i32 s0, s0, s12
	s_andn2_b64 s[2:3], s[2:3], s[10:11]
	s_cmp_lg_u64 s[2:3], 0
	s_cbranch_scc1 .LBB36_289
; %bb.290:
	v_mbcnt_lo_u32_b32 v0, exec_lo, 0
	v_mbcnt_hi_u32_b32 v0, exec_hi, v0
	v_cmp_eq_u32_e32 vcc, 0, v0
	s_and_saveexec_b64 s[2:3], vcc
	s_xor_b64 s[2:3], exec, s[2:3]
; %bb.291:
	v_mov_b32_e32 v0, 0
	v_mov_b32_e32 v1, s0
	ds_min_i32 v0, v1 offset:5140
.LBB36_292:
	s_or_b64 exec, exec, s[8:9]
	s_waitcnt lgkmcnt(0)
	s_barrier
	s_mov_b64 s[2:3], exec
	v_readlane_b32 s0, v56, 6
	v_readlane_b32 s1, v56, 7
	s_and_b64 s[0:1], s[2:3], s[0:1]
	s_mov_b64 exec, s[0:1]
	s_cbranch_execz .LBB36_294
; %bb.293:
	v_readlane_b32 s8, v56, 2
	v_readlane_b32 s9, v56, 3
	;; [unrolled: 1-line block ×3, first 2 shown]
	s_mul_i32 s0, s9, s26
	s_mul_hi_u32 s1, s8, s26
	v_readlane_b32 s11, v56, 1
	v_mov_b32_e32 v2, 0
	s_add_i32 s1, s1, s0
	s_mul_i32 s0, s8, s26
	s_mul_i32 s8, s11, s26
	s_mul_hi_u32 s9, s10, s26
	ds_read_b32 v0, v2 offset:5140
	s_add_i32 s9, s9, s8
	s_mul_i32 s8, s10, s26
	s_lshl_b64 s[0:1], s[0:1], 1
	v_readlane_b32 s10, v56, 4
	v_readlane_b32 s11, v56, 5
	s_add_u32 s0, s10, s0
	s_addc_u32 s1, s11, s1
	s_lshl_b64 s[8:9], s[8:9], 3
	s_add_u32 s8, s94, s8
	s_addc_u32 s9, s95, s9
	s_waitcnt lgkmcnt(0)
	v_ashrrev_i32_e32 v1, 31, v0
	global_store_dwordx2 v2, v[0:1], s[8:9]
	global_store_short v2, v47, s[0:1]
.LBB36_294:
	s_or_b64 exec, exec, s[2:3]
.LBB36_295:
	s_or_saveexec_b64 s[0:1], s[6:7]
	s_mov_b64 s[2:3], 0
	s_xor_b64 exec, exec, s[0:1]
	s_cbranch_execnz .LBB36_298
.LBB36_296:
	s_or_b64 exec, exec, s[0:1]
	s_and_b64 s[6:7], s[2:3], exec
	s_andn2_saveexec_b64 s[0:1], s[4:5]
	s_cbranch_execz .LBB36_272
.LBB36_297:
	s_or_b64 s[6:7], s[6:7], exec
	s_trap 2
	s_or_b64 exec, exec, s[0:1]
	s_and_saveexec_b64 s[0:1], s[6:7]
	s_cbranch_execnz .LBB36_273
	s_branch .LBB36_274
.LBB36_298:
	s_mov_b64 s[2:3], exec
	s_trap 2
	s_branch .LBB36_296
	.section	.rodata,"a",@progbits
	.p2align	6, 0x0
	.amdhsa_kernel _ZN2at6native12_GLOBAL__N_114gatherKthValueIslLi1EEEvNS_4cuda6detail10TensorInfoIKT_T0_EES8_S8_S8_S8_NS5_IS6_S8_EENS5_IlS8_EE
		.amdhsa_group_segment_fixed_size 5144
		.amdhsa_private_segment_fixed_size 0
		.amdhsa_kernarg_size 1536
		.amdhsa_user_sgpr_count 6
		.amdhsa_user_sgpr_private_segment_buffer 1
		.amdhsa_user_sgpr_dispatch_ptr 0
		.amdhsa_user_sgpr_queue_ptr 0
		.amdhsa_user_sgpr_kernarg_segment_ptr 1
		.amdhsa_user_sgpr_dispatch_id 0
		.amdhsa_user_sgpr_flat_scratch_init 0
		.amdhsa_user_sgpr_private_segment_size 0
		.amdhsa_uses_dynamic_stack 0
		.amdhsa_system_sgpr_private_segment_wavefront_offset 0
		.amdhsa_system_sgpr_workgroup_id_x 1
		.amdhsa_system_sgpr_workgroup_id_y 1
		.amdhsa_system_sgpr_workgroup_id_z 1
		.amdhsa_system_sgpr_workgroup_info 0
		.amdhsa_system_vgpr_workitem_id 0
		.amdhsa_next_free_vgpr 57
		.amdhsa_next_free_sgpr 96
		.amdhsa_reserve_vcc 1
		.amdhsa_reserve_flat_scratch 0
		.amdhsa_float_round_mode_32 0
		.amdhsa_float_round_mode_16_64 0
		.amdhsa_float_denorm_mode_32 3
		.amdhsa_float_denorm_mode_16_64 3
		.amdhsa_dx10_clamp 1
		.amdhsa_ieee_mode 1
		.amdhsa_fp16_overflow 0
		.amdhsa_exception_fp_ieee_invalid_op 0
		.amdhsa_exception_fp_denorm_src 0
		.amdhsa_exception_fp_ieee_div_zero 0
		.amdhsa_exception_fp_ieee_overflow 0
		.amdhsa_exception_fp_ieee_underflow 0
		.amdhsa_exception_fp_ieee_inexact 0
		.amdhsa_exception_int_div_zero 0
	.end_amdhsa_kernel
	.section	.text._ZN2at6native12_GLOBAL__N_114gatherKthValueIslLi1EEEvNS_4cuda6detail10TensorInfoIKT_T0_EES8_S8_S8_S8_NS5_IS6_S8_EENS5_IlS8_EE,"axG",@progbits,_ZN2at6native12_GLOBAL__N_114gatherKthValueIslLi1EEEvNS_4cuda6detail10TensorInfoIKT_T0_EES8_S8_S8_S8_NS5_IS6_S8_EENS5_IlS8_EE,comdat
.Lfunc_end36:
	.size	_ZN2at6native12_GLOBAL__N_114gatherKthValueIslLi1EEEvNS_4cuda6detail10TensorInfoIKT_T0_EES8_S8_S8_S8_NS5_IS6_S8_EENS5_IlS8_EE, .Lfunc_end36-_ZN2at6native12_GLOBAL__N_114gatherKthValueIslLi1EEEvNS_4cuda6detail10TensorInfoIKT_T0_EES8_S8_S8_S8_NS5_IS6_S8_EENS5_IlS8_EE
                                        ; -- End function
	.set _ZN2at6native12_GLOBAL__N_114gatherKthValueIslLi1EEEvNS_4cuda6detail10TensorInfoIKT_T0_EES8_S8_S8_S8_NS5_IS6_S8_EENS5_IlS8_EE.num_vgpr, 57
	.set _ZN2at6native12_GLOBAL__N_114gatherKthValueIslLi1EEEvNS_4cuda6detail10TensorInfoIKT_T0_EES8_S8_S8_S8_NS5_IS6_S8_EENS5_IlS8_EE.num_agpr, 0
	.set _ZN2at6native12_GLOBAL__N_114gatherKthValueIslLi1EEEvNS_4cuda6detail10TensorInfoIKT_T0_EES8_S8_S8_S8_NS5_IS6_S8_EENS5_IlS8_EE.numbered_sgpr, 96
	.set _ZN2at6native12_GLOBAL__N_114gatherKthValueIslLi1EEEvNS_4cuda6detail10TensorInfoIKT_T0_EES8_S8_S8_S8_NS5_IS6_S8_EENS5_IlS8_EE.num_named_barrier, 0
	.set _ZN2at6native12_GLOBAL__N_114gatherKthValueIslLi1EEEvNS_4cuda6detail10TensorInfoIKT_T0_EES8_S8_S8_S8_NS5_IS6_S8_EENS5_IlS8_EE.private_seg_size, 0
	.set _ZN2at6native12_GLOBAL__N_114gatherKthValueIslLi1EEEvNS_4cuda6detail10TensorInfoIKT_T0_EES8_S8_S8_S8_NS5_IS6_S8_EENS5_IlS8_EE.uses_vcc, 1
	.set _ZN2at6native12_GLOBAL__N_114gatherKthValueIslLi1EEEvNS_4cuda6detail10TensorInfoIKT_T0_EES8_S8_S8_S8_NS5_IS6_S8_EENS5_IlS8_EE.uses_flat_scratch, 0
	.set _ZN2at6native12_GLOBAL__N_114gatherKthValueIslLi1EEEvNS_4cuda6detail10TensorInfoIKT_T0_EES8_S8_S8_S8_NS5_IS6_S8_EENS5_IlS8_EE.has_dyn_sized_stack, 0
	.set _ZN2at6native12_GLOBAL__N_114gatherKthValueIslLi1EEEvNS_4cuda6detail10TensorInfoIKT_T0_EES8_S8_S8_S8_NS5_IS6_S8_EENS5_IlS8_EE.has_recursion, 0
	.set _ZN2at6native12_GLOBAL__N_114gatherKthValueIslLi1EEEvNS_4cuda6detail10TensorInfoIKT_T0_EES8_S8_S8_S8_NS5_IS6_S8_EENS5_IlS8_EE.has_indirect_call, 0
	.section	.AMDGPU.csdata,"",@progbits
; Kernel info:
; codeLenInByte = 15960
; TotalNumSgprs: 100
; NumVgprs: 57
; ScratchSize: 0
; MemoryBound: 0
; FloatMode: 240
; IeeeMode: 1
; LDSByteSize: 5144 bytes/workgroup (compile time only)
; SGPRBlocks: 12
; VGPRBlocks: 14
; NumSGPRsForWavesPerEU: 100
; NumVGPRsForWavesPerEU: 57
; Occupancy: 4
; WaveLimiterHint : 1
; COMPUTE_PGM_RSRC2:SCRATCH_EN: 0
; COMPUTE_PGM_RSRC2:USER_SGPR: 6
; COMPUTE_PGM_RSRC2:TRAP_HANDLER: 0
; COMPUTE_PGM_RSRC2:TGID_X_EN: 1
; COMPUTE_PGM_RSRC2:TGID_Y_EN: 1
; COMPUTE_PGM_RSRC2:TGID_Z_EN: 1
; COMPUTE_PGM_RSRC2:TIDIG_COMP_CNT: 0
	.section	.text._ZN2at6native12_GLOBAL__N_114gatherKthValueIslLi2EEEvNS_4cuda6detail10TensorInfoIKT_T0_EES8_S8_S8_S8_NS5_IS6_S8_EENS5_IlS8_EE,"axG",@progbits,_ZN2at6native12_GLOBAL__N_114gatherKthValueIslLi2EEEvNS_4cuda6detail10TensorInfoIKT_T0_EES8_S8_S8_S8_NS5_IS6_S8_EENS5_IlS8_EE,comdat
	.globl	_ZN2at6native12_GLOBAL__N_114gatherKthValueIslLi2EEEvNS_4cuda6detail10TensorInfoIKT_T0_EES8_S8_S8_S8_NS5_IS6_S8_EENS5_IlS8_EE ; -- Begin function _ZN2at6native12_GLOBAL__N_114gatherKthValueIslLi2EEEvNS_4cuda6detail10TensorInfoIKT_T0_EES8_S8_S8_S8_NS5_IS6_S8_EENS5_IlS8_EE
	.p2align	8
	.type	_ZN2at6native12_GLOBAL__N_114gatherKthValueIslLi2EEEvNS_4cuda6detail10TensorInfoIKT_T0_EES8_S8_S8_S8_NS5_IS6_S8_EENS5_IlS8_EE,@function
_ZN2at6native12_GLOBAL__N_114gatherKthValueIslLi2EEEvNS_4cuda6detail10TensorInfoIKT_T0_EES8_S8_S8_S8_NS5_IS6_S8_EENS5_IlS8_EE: ; @_ZN2at6native12_GLOBAL__N_114gatherKthValueIslLi2EEEvNS_4cuda6detail10TensorInfoIKT_T0_EES8_S8_S8_S8_NS5_IS6_S8_EENS5_IlS8_EE
; %bb.0:
	s_load_dwordx2 s[14:15], s[4:5], 0x500
	s_load_dwordx8 s[24:31], s[4:5], 0x1a0
	s_add_u32 s12, s4, 0x500
	s_addc_u32 s13, s5, 0
	s_mov_b32 s67, 0
	s_waitcnt lgkmcnt(0)
	s_mul_i32 s0, s15, s8
	s_add_i32 s0, s0, s7
	s_mul_i32 s0, s0, s14
	s_add_i32 s66, s0, s6
	v_mov_b32_e32 v1, s66
	v_mov_b32_e32 v2, s67
	v_cmp_le_i64_e32 vcc, s[28:29], v[1:2]
	s_cbranch_vccnz .LBB37_283
; %bb.1:
	s_load_dwordx2 s[2:3], s[4:5], 0x10
	s_load_dwordx2 s[0:1], s[4:5], 0x1d0
                                        ; implicit-def: $vgpr58 : SGPR spill to VGPR lane
	s_waitcnt lgkmcnt(0)
	v_writelane_b32 v58, s0, 0
	v_writelane_b32 v58, s1, 1
	s_mov_b32 s0, s67
	s_mov_b32 s1, s3
	s_cmp_lg_u64 s[0:1], 0
	s_cbranch_scc0 .LBB37_296
; %bb.2:
	s_ashr_i32 s0, s3, 31
	s_add_u32 s8, s2, s0
	s_mov_b32 s1, s0
	s_addc_u32 s9, s3, s0
	s_xor_b64 s[10:11], s[8:9], s[0:1]
	v_cvt_f32_u32_e32 v1, s10
	v_cvt_f32_u32_e32 v2, s11
	s_sub_u32 s7, 0, s10
	s_subb_u32 s15, 0, s11
	v_madmk_f32 v1, v2, 0x4f800000, v1
	v_rcp_f32_e32 v1, v1
	v_mul_f32_e32 v1, 0x5f7ffffc, v1
	v_mul_f32_e32 v2, 0x2f800000, v1
	v_trunc_f32_e32 v2, v2
	v_madmk_f32 v1, v2, 0xcf800000, v1
	v_cvt_u32_f32_e32 v2, v2
	v_cvt_u32_f32_e32 v1, v1
	v_readfirstlane_b32 s18, v2
	v_readfirstlane_b32 s16, v1
	s_mul_i32 s17, s7, s18
	s_mul_hi_u32 s20, s7, s16
	s_mul_i32 s19, s15, s16
	s_add_i32 s17, s20, s17
	s_add_i32 s17, s17, s19
	s_mul_i32 s21, s7, s16
	s_mul_i32 s20, s16, s17
	s_mul_hi_u32 s22, s16, s21
	s_mul_hi_u32 s19, s16, s17
	s_add_u32 s20, s22, s20
	s_addc_u32 s19, 0, s19
	s_mul_hi_u32 s23, s18, s21
	s_mul_i32 s21, s18, s21
	s_add_u32 s20, s20, s21
	s_mul_hi_u32 s22, s18, s17
	s_addc_u32 s19, s19, s23
	s_addc_u32 s20, s22, 0
	s_mul_i32 s17, s18, s17
	s_add_u32 s17, s19, s17
	s_addc_u32 s19, 0, s20
	s_add_u32 s20, s16, s17
	s_cselect_b64 s[16:17], -1, 0
	s_cmp_lg_u64 s[16:17], 0
	s_addc_u32 s18, s18, s19
	s_mul_i32 s16, s7, s18
	s_mul_hi_u32 s17, s7, s20
	s_add_i32 s16, s17, s16
	s_mul_i32 s15, s15, s20
	s_add_i32 s16, s16, s15
	s_mul_i32 s7, s7, s20
	s_mul_hi_u32 s17, s18, s7
	s_mul_i32 s19, s18, s7
	s_mul_i32 s22, s20, s16
	s_mul_hi_u32 s7, s20, s7
	s_mul_hi_u32 s21, s20, s16
	s_add_u32 s7, s7, s22
	s_addc_u32 s21, 0, s21
	s_add_u32 s7, s7, s19
	s_mul_hi_u32 s15, s18, s16
	s_addc_u32 s7, s21, s17
	s_addc_u32 s15, s15, 0
	s_mul_i32 s16, s18, s16
	s_add_u32 s7, s7, s16
	s_addc_u32 s15, 0, s15
	s_add_u32 s7, s20, s7
	s_cselect_b64 s[16:17], -1, 0
	s_cmp_lg_u64 s[16:17], 0
	s_addc_u32 s15, s18, s15
	s_add_u32 s16, s66, 0
	s_addc_u32 s17, 0, 0
	s_xor_b64 s[16:17], s[16:17], 0
	s_mul_i32 s19, s16, s15
	s_mul_hi_u32 s20, s16, s7
	s_mul_hi_u32 s18, s16, s15
	s_add_u32 s19, s20, s19
	s_addc_u32 s18, 0, s18
	s_mul_hi_u32 s21, s17, s7
	s_mul_i32 s7, s17, s7
	s_add_u32 s7, s19, s7
	s_mul_hi_u32 s20, s17, s15
	s_addc_u32 s7, s18, s21
	s_addc_u32 s18, s20, 0
	s_mul_i32 s15, s17, s15
	s_add_u32 s7, s7, s15
	s_addc_u32 s15, 0, s18
	s_mul_i32 s18, s10, s15
	s_mul_hi_u32 s19, s10, s7
	s_add_i32 s18, s19, s18
	s_mul_i32 s19, s11, s7
	s_add_i32 s22, s18, s19
	s_sub_i32 s20, s17, s22
	s_mul_i32 s18, s10, s7
	s_sub_u32 s16, s16, s18
	s_cselect_b64 s[18:19], -1, 0
	s_cmp_lg_u64 s[18:19], 0
	s_subb_u32 s23, s20, s11
	s_sub_u32 s28, s16, s10
	s_cselect_b64 s[20:21], -1, 0
	s_cmp_lg_u64 s[20:21], 0
	s_subb_u32 s20, s23, 0
	s_cmp_ge_u32 s20, s11
	s_cselect_b32 s21, -1, 0
	s_cmp_ge_u32 s28, s10
	s_cselect_b32 s23, -1, 0
	s_cmp_eq_u32 s20, s11
	s_cselect_b32 s20, s23, s21
	s_add_u32 s21, s7, 1
	s_addc_u32 s23, s15, 0
	s_add_u32 s28, s7, 2
	s_addc_u32 s29, s15, 0
	s_cmp_lg_u32 s20, 0
	s_cselect_b32 s20, s28, s21
	s_cselect_b32 s21, s29, s23
	s_cmp_lg_u64 s[18:19], 0
	s_subb_u32 s17, s17, s22
	s_cmp_ge_u32 s17, s11
	s_cselect_b32 s18, -1, 0
	s_cmp_ge_u32 s16, s10
	s_cselect_b32 s10, -1, 0
	s_cmp_eq_u32 s17, s11
	s_cselect_b32 s10, s10, s18
	s_cmp_lg_u32 s10, 0
	s_cselect_b32 s11, s21, s15
	s_cselect_b32 s10, s20, s7
	s_xor_b64 s[0:1], 0, s[0:1]
	s_xor_b64 s[10:11], s[10:11], s[0:1]
	s_sub_u32 s16, s10, s0
	s_subb_u32 s17, s11, s1
	s_cbranch_execnz .LBB37_4
.LBB37_3:
	v_cvt_f32_u32_e32 v1, s2
	s_sub_i32 s0, 0, s2
	s_mov_b32 s17, 0
	v_rcp_iflag_f32_e32 v1, v1
	v_mul_f32_e32 v1, 0x4f7ffffe, v1
	v_cvt_u32_f32_e32 v1, v1
	v_readfirstlane_b32 s1, v1
	s_mul_i32 s0, s0, s1
	s_mul_hi_u32 s0, s1, s0
	s_add_i32 s1, s1, s0
	s_mul_hi_u32 s0, s66, s1
	s_mul_i32 s7, s0, s2
	s_sub_i32 s7, s66, s7
	s_add_i32 s1, s0, 1
	s_sub_i32 s8, s7, s2
	s_cmp_ge_u32 s7, s2
	s_cselect_b32 s0, s1, s0
	s_cselect_b32 s7, s8, s7
	s_add_i32 s1, s0, 1
	s_cmp_ge_u32 s7, s2
	s_cselect_b32 s16, s1, s0
.LBB37_4:
	s_load_dwordx2 s[0:1], s[4:5], 0x370
	s_load_dwordx2 s[8:9], s[4:5], 0x1d0
	s_waitcnt lgkmcnt(0)
	v_writelane_b32 v58, s0, 2
	v_writelane_b32 v58, s1, 3
	s_mov_b32 s0, 0
	s_mov_b32 s1, s9
	s_cmp_lg_u64 s[0:1], 0
	s_cbranch_scc0 .LBB37_297
; %bb.5:
	s_ashr_i32 s0, s9, 31
	s_add_u32 s8, s8, s0
	s_mov_b32 s1, s0
	s_addc_u32 s9, s9, s0
	s_xor_b64 s[10:11], s[8:9], s[0:1]
	v_cvt_f32_u32_e32 v1, s10
	v_cvt_f32_u32_e32 v2, s11
	s_sub_u32 s7, 0, s10
	s_subb_u32 s15, 0, s11
	v_madmk_f32 v1, v2, 0x4f800000, v1
	v_rcp_f32_e32 v1, v1
	v_mul_f32_e32 v1, 0x5f7ffffc, v1
	v_mul_f32_e32 v2, 0x2f800000, v1
	v_trunc_f32_e32 v2, v2
	v_madmk_f32 v1, v2, 0xcf800000, v1
	v_cvt_u32_f32_e32 v2, v2
	v_cvt_u32_f32_e32 v1, v1
	v_readfirstlane_b32 s20, v2
	v_readfirstlane_b32 s18, v1
	s_mul_i32 s19, s7, s20
	s_mul_hi_u32 s22, s7, s18
	s_mul_i32 s21, s15, s18
	s_add_i32 s19, s22, s19
	s_add_i32 s19, s19, s21
	s_mul_i32 s23, s7, s18
	s_mul_i32 s22, s18, s19
	s_mul_hi_u32 s28, s18, s23
	s_mul_hi_u32 s21, s18, s19
	s_add_u32 s22, s28, s22
	s_addc_u32 s21, 0, s21
	s_mul_hi_u32 s29, s20, s23
	s_mul_i32 s23, s20, s23
	s_add_u32 s22, s22, s23
	s_mul_hi_u32 s28, s20, s19
	s_addc_u32 s21, s21, s29
	s_addc_u32 s22, s28, 0
	s_mul_i32 s19, s20, s19
	s_add_u32 s19, s21, s19
	s_addc_u32 s21, 0, s22
	s_add_u32 s22, s18, s19
	s_cselect_b64 s[18:19], -1, 0
	s_cmp_lg_u64 s[18:19], 0
	s_addc_u32 s20, s20, s21
	s_mul_i32 s18, s7, s20
	s_mul_hi_u32 s19, s7, s22
	s_add_i32 s18, s19, s18
	s_mul_i32 s15, s15, s22
	s_add_i32 s18, s18, s15
	s_mul_i32 s7, s7, s22
	s_mul_hi_u32 s19, s20, s7
	s_mul_i32 s21, s20, s7
	s_mul_i32 s28, s22, s18
	s_mul_hi_u32 s7, s22, s7
	s_mul_hi_u32 s23, s22, s18
	s_add_u32 s7, s7, s28
	s_addc_u32 s23, 0, s23
	s_add_u32 s7, s7, s21
	s_mul_hi_u32 s15, s20, s18
	s_addc_u32 s7, s23, s19
	s_addc_u32 s15, s15, 0
	s_mul_i32 s18, s20, s18
	s_add_u32 s7, s7, s18
	s_addc_u32 s15, 0, s15
	s_add_u32 s7, s22, s7
	s_cselect_b64 s[18:19], -1, 0
	s_cmp_lg_u64 s[18:19], 0
	s_addc_u32 s15, s20, s15
	s_add_u32 s18, s66, 0
	s_addc_u32 s19, 0, 0
	s_xor_b64 s[18:19], s[18:19], 0
	s_mul_i32 s21, s18, s15
	s_mul_hi_u32 s22, s18, s7
	s_mul_hi_u32 s20, s18, s15
	s_add_u32 s21, s22, s21
	s_addc_u32 s20, 0, s20
	s_mul_hi_u32 s23, s19, s7
	s_mul_i32 s7, s19, s7
	s_add_u32 s7, s21, s7
	s_mul_hi_u32 s22, s19, s15
	s_addc_u32 s7, s20, s23
	s_addc_u32 s20, s22, 0
	s_mul_i32 s15, s19, s15
	s_add_u32 s7, s7, s15
	s_addc_u32 s15, 0, s20
	s_mul_i32 s20, s10, s15
	s_mul_hi_u32 s21, s10, s7
	s_add_i32 s20, s21, s20
	s_mul_i32 s21, s11, s7
	s_add_i32 s28, s20, s21
	s_sub_i32 s22, s19, s28
	s_mul_i32 s20, s10, s7
	s_sub_u32 s18, s18, s20
	s_cselect_b64 s[20:21], -1, 0
	s_cmp_lg_u64 s[20:21], 0
	s_subb_u32 s29, s22, s11
	s_sub_u32 s33, s18, s10
	s_cselect_b64 s[22:23], -1, 0
	s_cmp_lg_u64 s[22:23], 0
	s_subb_u32 s22, s29, 0
	s_cmp_ge_u32 s22, s11
	s_cselect_b32 s23, -1, 0
	s_cmp_ge_u32 s33, s10
	s_cselect_b32 s29, -1, 0
	s_cmp_eq_u32 s22, s11
	s_cselect_b32 s22, s29, s23
	s_add_u32 s23, s7, 1
	s_addc_u32 s29, s15, 0
	s_add_u32 s33, s7, 2
	s_addc_u32 s34, s15, 0
	s_cmp_lg_u32 s22, 0
	s_cselect_b32 s22, s33, s23
	s_cselect_b32 s23, s34, s29
	s_cmp_lg_u64 s[20:21], 0
	s_subb_u32 s19, s19, s28
	s_cmp_ge_u32 s19, s11
	s_cselect_b32 s20, -1, 0
	s_cmp_ge_u32 s18, s10
	s_cselect_b32 s10, -1, 0
	s_cmp_eq_u32 s19, s11
	s_cselect_b32 s10, s10, s20
	s_cmp_lg_u32 s10, 0
	s_cselect_b32 s11, s23, s15
	s_cselect_b32 s10, s22, s7
	s_xor_b64 s[0:1], 0, s[0:1]
	s_xor_b64 s[10:11], s[10:11], s[0:1]
	s_sub_u32 s0, s10, s0
	s_subb_u32 s1, s11, s1
	v_writelane_b32 v58, s0, 4
	v_writelane_b32 v58, s1, 5
	s_cbranch_execnz .LBB37_7
.LBB37_6:
	s_load_dwordx2 s[10:11], s[4:5], 0x1d0
	s_mov_b32 s9, 0
	s_waitcnt lgkmcnt(0)
	v_cvt_f32_u32_e32 v1, s10
	s_sub_i32 s0, 0, s10
	v_rcp_iflag_f32_e32 v1, v1
	v_mul_f32_e32 v1, 0x4f7ffffe, v1
	v_cvt_u32_f32_e32 v1, v1
	v_readfirstlane_b32 s1, v1
	s_mul_i32 s0, s0, s1
	s_mul_hi_u32 s0, s1, s0
	s_add_i32 s1, s1, s0
	s_mul_hi_u32 s0, s66, s1
	s_mul_i32 s7, s0, s10
	s_sub_i32 s7, s66, s7
	s_add_i32 s1, s0, 1
	s_sub_i32 s8, s7, s10
	s_cmp_ge_u32 s7, s10
	s_cselect_b32 s0, s1, s0
	s_cselect_b32 s7, s8, s7
	s_add_i32 s1, s0, 1
	s_cmp_ge_u32 s7, s10
	s_cselect_b32 s8, s1, s0
	v_writelane_b32 v58, s8, 4
	v_writelane_b32 v58, s9, 5
.LBB37_7:
	s_load_dwordx2 s[8:9], s[4:5], 0x370
	s_mov_b32 s0, 0
	s_waitcnt lgkmcnt(0)
	s_mov_b32 s1, s9
	s_cmp_lg_u64 s[0:1], 0
	s_cbranch_scc0 .LBB37_298
; %bb.8:
	s_load_dwordx2 s[0:1], s[4:5], 0x370
	s_load_dwordx2 s[10:11], s[4:5], 0x370
	s_waitcnt lgkmcnt(0)
	s_ashr_i32 s8, s1, 31
	s_load_dwordx2 s[0:1], s[4:5], 0x370
	s_mov_b32 s9, s8
	s_waitcnt lgkmcnt(0)
	s_add_u32 s0, s0, s8
	s_addc_u32 s1, s11, s8
	s_xor_b64 s[10:11], s[0:1], s[8:9]
	v_cvt_f32_u32_e32 v1, s10
	v_cvt_f32_u32_e32 v2, s11
	s_sub_u32 s7, 0, s10
	s_subb_u32 s15, 0, s11
	v_madmk_f32 v1, v2, 0x4f800000, v1
	v_rcp_f32_e32 v1, v1
	v_mul_f32_e32 v1, 0x5f7ffffc, v1
	v_mul_f32_e32 v2, 0x2f800000, v1
	v_trunc_f32_e32 v2, v2
	v_madmk_f32 v1, v2, 0xcf800000, v1
	v_cvt_u32_f32_e32 v2, v2
	v_cvt_u32_f32_e32 v1, v1
	v_readfirstlane_b32 s20, v2
	v_readfirstlane_b32 s18, v1
	s_mul_i32 s19, s7, s20
	s_mul_hi_u32 s22, s7, s18
	s_mul_i32 s21, s15, s18
	s_add_i32 s19, s22, s19
	s_add_i32 s19, s19, s21
	s_mul_i32 s23, s7, s18
	s_mul_i32 s22, s18, s19
	s_mul_hi_u32 s28, s18, s23
	s_mul_hi_u32 s21, s18, s19
	s_add_u32 s22, s28, s22
	s_addc_u32 s21, 0, s21
	s_mul_hi_u32 s29, s20, s23
	s_mul_i32 s23, s20, s23
	s_add_u32 s22, s22, s23
	s_mul_hi_u32 s28, s20, s19
	s_addc_u32 s21, s21, s29
	s_addc_u32 s22, s28, 0
	s_mul_i32 s19, s20, s19
	s_add_u32 s19, s21, s19
	s_addc_u32 s21, 0, s22
	s_add_u32 s22, s18, s19
	s_cselect_b64 s[18:19], -1, 0
	s_cmp_lg_u64 s[18:19], 0
	s_addc_u32 s20, s20, s21
	s_mul_i32 s18, s7, s20
	s_mul_hi_u32 s19, s7, s22
	s_add_i32 s18, s19, s18
	s_mul_i32 s15, s15, s22
	s_add_i32 s18, s18, s15
	s_mul_i32 s7, s7, s22
	s_mul_hi_u32 s19, s20, s7
	s_mul_i32 s21, s20, s7
	s_mul_i32 s28, s22, s18
	s_mul_hi_u32 s7, s22, s7
	s_mul_hi_u32 s23, s22, s18
	s_add_u32 s7, s7, s28
	s_addc_u32 s23, 0, s23
	s_add_u32 s7, s7, s21
	s_mul_hi_u32 s15, s20, s18
	s_addc_u32 s7, s23, s19
	s_addc_u32 s15, s15, 0
	s_mul_i32 s18, s20, s18
	s_add_u32 s7, s7, s18
	s_addc_u32 s15, 0, s15
	s_add_u32 s7, s22, s7
	s_cselect_b64 s[18:19], -1, 0
	s_cmp_lg_u64 s[18:19], 0
	s_addc_u32 s15, s20, s15
	s_add_u32 s18, s66, 0
	s_addc_u32 s19, 0, 0
	s_xor_b64 s[18:19], s[18:19], 0
	s_mul_i32 s21, s18, s15
	s_mul_hi_u32 s22, s18, s7
	s_mul_hi_u32 s20, s18, s15
	s_add_u32 s21, s22, s21
	s_addc_u32 s20, 0, s20
	s_mul_hi_u32 s23, s19, s7
	s_mul_i32 s7, s19, s7
	s_add_u32 s7, s21, s7
	s_mul_hi_u32 s22, s19, s15
	s_addc_u32 s7, s20, s23
	s_addc_u32 s20, s22, 0
	s_mul_i32 s15, s19, s15
	s_add_u32 s7, s7, s15
	s_addc_u32 s15, 0, s20
	s_mul_i32 s20, s10, s15
	s_mul_hi_u32 s21, s10, s7
	s_add_i32 s20, s21, s20
	s_mul_i32 s21, s11, s7
	s_add_i32 s28, s20, s21
	s_sub_i32 s22, s19, s28
	s_mul_i32 s20, s10, s7
	s_sub_u32 s18, s18, s20
	s_cselect_b64 s[20:21], -1, 0
	s_cmp_lg_u64 s[20:21], 0
	s_subb_u32 s29, s22, s11
	s_sub_u32 s33, s18, s10
	s_cselect_b64 s[22:23], -1, 0
	s_cmp_lg_u64 s[22:23], 0
	s_subb_u32 s22, s29, 0
	s_cmp_ge_u32 s22, s11
	s_cselect_b32 s23, -1, 0
	s_cmp_ge_u32 s33, s10
	s_cselect_b32 s29, -1, 0
	s_cmp_eq_u32 s22, s11
	s_cselect_b32 s22, s29, s23
	s_add_u32 s23, s7, 1
	s_addc_u32 s29, s15, 0
	s_add_u32 s33, s7, 2
	s_addc_u32 s34, s15, 0
	s_cmp_lg_u32 s22, 0
	s_cselect_b32 s22, s33, s23
	s_cselect_b32 s23, s34, s29
	s_cmp_lg_u64 s[20:21], 0
	s_subb_u32 s19, s19, s28
	s_cmp_ge_u32 s19, s11
	s_cselect_b32 s20, -1, 0
	s_cmp_ge_u32 s18, s10
	s_cselect_b32 s10, -1, 0
	s_cmp_eq_u32 s19, s11
	s_cselect_b32 s10, s10, s20
	s_cmp_lg_u32 s10, 0
	s_cselect_b32 s11, s23, s15
	s_cselect_b32 s10, s22, s7
	s_xor_b64 s[8:9], 0, s[8:9]
	s_xor_b64 s[10:11], s[10:11], s[8:9]
	s_sub_u32 s8, s10, s8
	s_subb_u32 s9, s11, s9
	v_writelane_b32 v58, s8, 6
	v_writelane_b32 v58, s9, 7
	s_load_dwordx2 s[8:9], s[4:5], 0x370
	s_load_dwordx2 s[18:19], s[4:5], 0x0
	s_cbranch_execnz .LBB37_10
.LBB37_9:
	s_waitcnt lgkmcnt(0)
	v_cvt_f32_u32_e32 v1, s8
	s_sub_i32 s0, 0, s8
	s_mov_b32 s21, 0
	s_load_dwordx2 s[10:11], s[4:5], 0x370
	v_rcp_iflag_f32_e32 v1, v1
	v_mul_f32_e32 v1, 0x4f7ffffe, v1
	v_cvt_u32_f32_e32 v1, v1
	v_readfirstlane_b32 s1, v1
	s_mul_i32 s0, s0, s1
	s_mul_hi_u32 s0, s1, s0
	s_add_i32 s1, s1, s0
	s_mul_hi_u32 s0, s66, s1
	s_mul_i32 s7, s0, s8
	s_load_dwordx2 s[8:9], s[4:5], 0x370
	s_sub_i32 s7, s66, s7
	s_add_i32 s1, s0, 1
	s_waitcnt lgkmcnt(0)
	s_sub_i32 s8, s7, s8
	s_cmp_ge_u32 s7, s10
	s_cselect_b32 s7, s8, s7
	s_load_dwordx2 s[8:9], s[4:5], 0x370
	s_cselect_b32 s0, s1, s0
	s_add_i32 s1, s0, 1
	s_waitcnt lgkmcnt(0)
	s_cmp_ge_u32 s7, s8
	s_cselect_b32 s20, s1, s0
	v_writelane_b32 v58, s20, 6
	v_writelane_b32 v58, s21, 7
.LBB37_10:
	s_load_dwordx2 s[0:1], s[4:5], 0x360
	s_mov_b32 s53, 0
	s_waitcnt lgkmcnt(0)
	s_load_dwordx4 s[8:11], s[4:5], 0xd0
	v_writelane_b32 v58, s0, 8
	v_writelane_b32 v58, s1, 9
	s_load_dwordx2 s[0:1], s[4:5], 0x1c0
	s_waitcnt lgkmcnt(0)
	v_writelane_b32 v58, s0, 10
	v_writelane_b32 v58, s1, 11
	v_cmp_eq_u32_e64 s[0:1], 0, v0
	s_mov_b64 s[20:21], exec
	v_writelane_b32 v58, s0, 12
	v_writelane_b32 v58, s1, 13
	s_and_b64 s[0:1], s[20:21], s[0:1]
	s_mov_b64 exec, s[0:1]
	s_cbranch_execz .LBB37_12
; %bb.11:
	v_mov_b32_e32 v1, 0
	v_mov_b32_e32 v3, s24
	;; [unrolled: 1-line block ×4, first 2 shown]
	ds_write_b32 v1, v1 offset:5136
	ds_write_b128 v1, v[1:4] offset:5120
.LBB37_12:
	s_or_b64 exec, exec, s[20:21]
	s_mul_i32 s0, s16, s3
	s_mul_hi_u32 s1, s16, s2
	s_add_i32 s0, s1, s0
	s_mul_i32 s1, s17, s2
	s_add_i32 s0, s0, s1
	s_mul_i32 s1, s16, s2
	s_sub_u32 s2, s66, s1
	s_subb_u32 s0, 0, s0
	s_mul_i32 s1, s2, s11
	s_mul_hi_u32 s3, s2, s10
	s_add_i32 s1, s3, s1
	s_mul_i32 s0, s0, s10
	s_add_i32 s1, s1, s0
	s_mul_i32 s0, s2, s10
	s_mul_i32 s2, s16, s9
	s_mul_hi_u32 s3, s16, s8
	s_add_i32 s2, s3, s2
	s_mul_i32 s3, s17, s8
	s_add_i32 s3, s2, s3
	s_mul_i32 s2, s16, s8
	s_lshl_b64 s[8:9], s[2:3], 1
	s_add_u32 s2, s18, s8
	s_addc_u32 s3, s19, s9
	s_lshl_b64 s[10:11], s[0:1], 1
	v_mad_u64_u32 v[4:5], s[0:1], s30, v0, 0
	v_mbcnt_lo_u32_b32 v1, -1, 0
	v_mbcnt_hi_u32_b32 v32, -1, v1
	v_mov_b32_e32 v1, v5
	v_mov_b32_e32 v5, 0x600
	v_mad_u64_u32 v[1:2], s[0:1], s31, v0, v[1:2]
	v_mov_b32_e32 v6, 0
	v_cmp_gt_i64_e64 s[0:1], s[24:25], v[5:6]
	s_waitcnt lgkmcnt(0)
	v_writelane_b32 v58, s0, 14
	s_barrier
	v_writelane_b32 v58, s1, 15
	s_load_dword s0, s[12:13], 0xc
	s_add_u32 s54, s2, s10
	v_mov_b32_e32 v5, v1
	s_addc_u32 s55, s3, s11
	v_cmp_gt_u32_e32 vcc, 64, v0
	v_cmp_gt_i32_e64 s[2:3], 4, v32
	v_lshlrev_b64 v[6:7], 1, v[4:5]
	s_and_b64 s[56:57], vcc, s[2:3]
	v_lshlrev_b64 v[1:2], v32, -1
	s_waitcnt lgkmcnt(0)
	s_and_b32 s33, s0, 0xffff
	s_bfe_u32 s1, s0, 0xa0006
	v_mov_b32_e32 v8, s55
	v_add_co_u32_e32 v14, vcc, s54, v6
	s_cmp_gt_u32 s33, 63
	v_mov_b32_e32 v3, 0
	v_addc_co_u32_e32 v15, vcc, v8, v7, vcc
	v_not_b32_e32 v33, v2
	s_cselect_b64 s[2:3], -1, 0
	v_add_u32_e32 v2, 2, v0
	v_writelane_b32 v58, s2, 16
	s_add_u32 s0, s33, -1
	v_cmp_gt_i64_e32 vcc, s[24:25], v[2:3]
	v_not_b32_e32 v34, v1
	v_writelane_b32 v58, s3, 17
	s_addc_u32 s2, 0, -1
	v_mov_b32_e32 v1, s25
	v_writelane_b32 v58, s0, 18
	s_add_u32 s0, s0, s24
	v_cndmask_b32_e32 v8, 0, v1, vcc
	v_mov_b32_e32 v1, s24
	s_addc_u32 s63, s2, s25
	v_cndmask_b32_e32 v1, v2, v1, vcc
	v_not_b32_e32 v2, v0
	s_cmp_lt_u32 s6, s14
	v_add_co_u32_e32 v1, vcc, v1, v2
	v_writelane_b32 v58, s2, 19
	s_cselect_b32 s2, 12, 18
	v_addc_co_u32_e32 v2, vcc, -1, v8, vcc
	s_add_u32 s64, s12, s2
	v_cmp_lt_u64_e64 s[2:3], 1, v[1:2]
	v_and_b32_e32 v16, -2, v1
	v_writelane_b32 v58, s2, 20
	v_mov_b32_e32 v17, v2
	v_writelane_b32 v58, s3, 21
	v_cmp_ne_u64_e64 s[2:3], v[1:2], v[16:17]
	s_addc_u32 s65, s13, 0
	v_writelane_b32 v58, s2, 22
	v_writelane_b32 v58, s3, 23
	s_add_i32 s2, s1, -1
	s_bfe_u32 s3, s33, 0x30006
	s_and_b32 s2, s2, 0xffff
	s_cmp_gt_u32 s2, 6
	s_cselect_b64 s[6:7], -1, 0
	v_writelane_b32 v58, s6, 24
	v_lshlrev_b32_e32 v35, 3, v0
	v_writelane_b32 v58, s7, 25
	s_and_b32 s1, s1, 0x3f8
	v_or_b32_e32 v2, 6, v35
	v_writelane_b32 v58, s3, 26
	s_cmp_lg_u32 s3, 0
	v_mad_u64_u32 v[18:19], s[2:3], s30, v2, 0
	s_cselect_b64 s[2:3], -1, 0
	v_writelane_b32 v58, s2, 27
	v_mov_b32_e32 v1, v19
	v_writelane_b32 v58, s3, 28
	v_mad_u64_u32 v[1:2], s[2:3], s31, v2, v[1:2]
	v_or_b32_e32 v2, 4, v35
	v_mad_u64_u32 v[19:20], s[2:3], s30, v2, 0
	s_add_u32 s6, s8, s10
	s_addc_u32 s7, s9, s11
	s_load_dwordx4 s[8:11], s[4:5], 0x430
	s_add_u32 s6, s18, s6
	v_mov_b32_e32 v36, v1
	v_mov_b32_e32 v1, v20
	s_addc_u32 s7, s19, s7
	v_mad_u64_u32 v[1:2], s[2:3], s31, v2, v[1:2]
	v_mov_b32_e32 v2, s7
	v_writelane_b32 v58, s6, 29
	v_writelane_b32 v58, s7, 30
	s_waitcnt lgkmcnt(0)
	v_writelane_b32 v58, s8, 31
	v_writelane_b32 v58, s9, 32
	;; [unrolled: 1-line block ×4, first 2 shown]
	s_load_dwordx4 s[8:11], s[4:5], 0x290
	v_or_b32_e32 v8, 2, v35
	v_mad_u64_u32 v[20:21], s[2:3], s30, v8, 0
	v_add_co_u32_e32 v12, vcc, s6, v6
	s_waitcnt lgkmcnt(0)
	v_writelane_b32 v58, s8, 35
	v_mov_b32_e32 v37, v1
	v_mov_b32_e32 v1, v21
	v_writelane_b32 v58, s9, 36
	v_addc_co_u32_e32 v13, vcc, v2, v7, vcc
	v_mad_u64_u32 v[6:7], s[2:3], s31, v8, v[1:2]
	v_writelane_b32 v58, s10, 37
	v_writelane_b32 v58, s11, 38
	v_cmp_gt_u32_e64 s[2:3], 2, v0
	v_lshlrev_b32_e32 v2, 2, v32
	v_writelane_b32 v58, s2, 39
	v_mov_b32_e32 v1, v3
	v_and_b32_e32 v39, 0x100, v2
	v_lshrrev_b32_e32 v2, 1, v0
	v_writelane_b32 v58, s3, 40
	v_cmp_gt_i64_e64 s[2:3], s[24:25], v[0:1]
	v_and_b32_e32 v2, 0x1e0, v2
	v_or_b32_e32 v40, 0xc00, v2
	v_mov_b32_e32 v2, s25
	v_add_co_u32_e32 v41, vcc, s24, v0
	s_mul_i32 s4, s31, s33
	s_mul_hi_u32 s5, s30, s33
	v_writelane_b32 v58, s2, 41
	v_lshlrev_b64 v[23:24], 3, v[4:5]
	v_addc_co_u32_e32 v42, vcc, 0, v2, vcc
	v_mov_b32_e32 v2, 0xc00
	s_add_i32 s5, s5, s4
	s_mul_i32 s4, s30, s33
	v_lshlrev_b32_e32 v45, 1, v0
	v_mov_b32_e32 v26, s26
	v_cmp_eq_u32_e64 s[10:11], 0, v32
	v_writelane_b32 v58, s3, 42
	v_mov_b32_e32 v38, v6
	v_lshlrev_b32_e32 v21, 2, v0
	v_mov_b32_e32 v22, v3
	s_mov_b32 s2, s30
	s_mov_b32 s3, s31
	s_lshl_b64 s[72:73], s[30:31], 1
	s_lshl_b64 s[74:75], s[30:31], 3
	v_lshl_or_b32 v43, v32, 3, v2
	s_lshl_b64 s[58:59], s[4:5], 1
	s_lshl_b32 s60, s33, 1
	s_mov_b32 s70, 14
	s_mov_b64 s[76:77], 0
	s_mov_b32 s61, 0x8000
	s_mov_b32 s71, 0
	v_add_u32_e32 v46, 0xc00, v45
	v_mov_b32_e32 v47, 0x5040100
	v_mov_b32_e32 v49, 0
	;; [unrolled: 1-line block ×4, first 2 shown]
	v_add_co_u32_e32 v25, vcc, v16, v0
	v_mov_b32_e32 v27, s27
                                        ; implicit-def: $sgpr78_sgpr79
                                        ; implicit-def: $sgpr82_sgpr83
                                        ; implicit-def: $sgpr80_sgpr81
                                        ; implicit-def: $sgpr86_sgpr87
                                        ; implicit-def: $sgpr88_sgpr89
                                        ; implicit-def: $sgpr84_sgpr85
	s_branch .LBB37_16
.LBB37_13:                              ;   in Loop: Header=BB37_16 Depth=1
	s_or_b64 exec, exec, s[8:9]
	s_and_b64 s[14:15], s[14:15], exec
	s_andn2_b64 s[92:93], s[92:93], exec
	s_andn2_b64 s[4:5], s[4:5], exec
	s_orn2_b64 s[20:21], s[16:17], exec
.LBB37_14:                              ;   in Loop: Header=BB37_16 Depth=1
	s_or_b64 exec, exec, s[6:7]
	s_andn2_b64 s[6:7], s[84:85], exec
	s_and_b64 s[8:9], s[14:15], exec
	s_or_b64 s[84:85], s[6:7], s[8:9]
	s_andn2_b64 s[6:7], s[88:89], exec
	s_and_b64 s[8:9], s[92:93], exec
	s_or_b64 s[88:89], s[6:7], s[8:9]
	;; [unrolled: 3-line block ×3, first 2 shown]
	s_orn2_b64 s[4:5], s[20:21], exec
.LBB37_15:                              ;   in Loop: Header=BB37_16 Depth=1
	s_or_b64 exec, exec, s[18:19]
	s_and_b64 s[4:5], exec, s[4:5]
	s_or_b64 s[76:77], s[4:5], s[76:77]
	s_andn2_b64 s[4:5], s[80:81], exec
	s_and_b64 s[6:7], s[84:85], exec
	s_or_b64 s[80:81], s[4:5], s[6:7]
	s_andn2_b64 s[4:5], s[82:83], exec
	s_and_b64 s[6:7], s[88:89], exec
	;; [unrolled: 3-line block ×3, first 2 shown]
	v_mov_b32_e32 v27, v9
	s_or_b64 s[78:79], s[4:5], s[6:7]
	v_mov_b32_e32 v26, v8
	s_andn2_b64 exec, exec, s[76:77]
	s_cbranch_execz .LBB37_279
.LBB37_16:                              ; =>This Loop Header: Depth=1
                                        ;     Child Loop BB37_21 Depth 2
                                        ;     Child Loop BB37_35 Depth 2
	;; [unrolled: 1-line block ×17, first 2 shown]
	ds_read_b128 v[4:7], v3 offset:5120
	s_waitcnt lgkmcnt(0)
	v_readfirstlane_b32 s27, v5
	v_readfirstlane_b32 s26, v4
	v_cmp_gt_i64_e64 s[4:5], s[26:27], 0
	s_and_b64 vcc, exec, s[4:5]
	s_cbranch_vccnz .LBB37_48
; %bb.17:                               ;   in Loop: Header=BB37_16 Depth=1
	v_readlane_b32 s4, v58, 14
	v_readlane_b32 s5, v58, 15
	s_and_b64 vcc, exec, s[4:5]
	s_cbranch_vccz .LBB37_29
; %bb.18:                               ;   in Loop: Header=BB37_16 Depth=1
	s_mov_b64 s[4:5], 0x601
	v_cmp_gt_i64_e32 vcc, s[4:5], v[6:7]
	s_mov_b64 s[6:7], 0
	s_mov_b64 s[4:5], 0
	s_cbranch_vccz .LBB37_30
; %bb.19:                               ;   in Loop: Header=BB37_16 Depth=1
	global_load_ushort v6, v3, s[64:65]
	global_load_ushort v2, v[14:15], off
	v_readlane_b32 s4, v58, 29
	v_readlane_b32 s5, v58, 30
	v_mov_b32_e32 v4, s4
	v_mov_b32_e32 v5, s5
	s_mov_b64 s[14:15], 0
	s_waitcnt vmcnt(1)
	v_and_b32_e32 v8, 0xffff, v6
	v_readfirstlane_b32 s8, v6
	v_add_co_u32_e32 v6, vcc, v0, v8
	v_addc_co_u32_e64 v7, s[4:5], 0, 0, vcc
	v_mul_lo_u32 v7, s72, v7
	v_mul_lo_u32 v9, s73, v6
	v_mad_u64_u32 v[4:5], s[4:5], s72, v6, v[4:5]
	s_and_b32 s8, 0xffff, s8
	s_mul_i32 s4, s73, s8
	s_mul_hi_u32 s5, s72, s8
	v_add3_u32 v5, v9, v5, v7
	v_mov_b32_e32 v7, v1
	s_mul_i32 s12, s72, s8
	s_add_i32 s13, s5, s4
	v_mov_b32_e32 v6, v0
	s_branch .LBB37_21
.LBB37_20:                              ;   in Loop: Header=BB37_21 Depth=2
	s_or_b64 exec, exec, s[8:9]
	v_mov_b32_e32 v2, s13
	v_add_co_u32_e32 v4, vcc, s12, v4
	v_addc_co_u32_e32 v5, vcc, v5, v2, vcc
	v_mov_b32_e32 v2, v9
	s_andn2_b64 exec, exec, s[14:15]
	s_cbranch_execz .LBB37_82
.LBB37_21:                              ;   Parent Loop BB37_16 Depth=1
                                        ; =>  This Inner Loop Header: Depth=2
	v_add_co_u32_e32 v6, vcc, v6, v8
	v_addc_co_u32_e32 v7, vcc, 0, v7, vcc
	v_cmp_gt_i64_e64 s[4:5], s[24:25], v[6:7]
	v_cmp_le_i64_e32 vcc, s[24:25], v[6:7]
	s_waitcnt lgkmcnt(0)
	v_mov_b32_e32 v10, 0
	v_mov_b32_e32 v9, 0
	s_and_saveexec_b64 s[8:9], s[4:5]
	s_cbranch_execz .LBB37_23
; %bb.22:                               ;   in Loop: Header=BB37_21 Depth=2
	global_load_ushort v9, v[4:5], off
.LBB37_23:                              ;   in Loop: Header=BB37_21 Depth=2
	s_or_b64 exec, exec, s[8:9]
	s_waitcnt vmcnt(0)
	v_add_u32_sdwa v11, sext(v2), s61 dst_sel:DWORD dst_unused:UNUSED_PAD src0_sel:WORD_0 src1_sel:DWORD
	v_and_b32_e32 v11, v11, v48
	v_cmp_eq_u32_e64 s[4:5], v11, v44
	s_cmp_lg_u64 s[4:5], 0
	s_cselect_b64 s[8:9], -1, 0
	s_and_b64 s[8:9], s[10:11], s[8:9]
	s_and_saveexec_b64 s[18:19], s[8:9]
	s_cbranch_execz .LBB37_27
; %bb.24:                               ;   in Loop: Header=BB37_21 Depth=2
	s_mov_b64 s[20:21], exec
	v_mbcnt_lo_u32_b32 v10, s20, 0
	v_mbcnt_hi_u32_b32 v10, s21, v10
	s_bcnt1_i32_b64 s22, s[4:5]
	v_cmp_eq_u32_e64 s[16:17], 0, v10
                                        ; implicit-def: $vgpr11
	s_and_saveexec_b64 s[8:9], s[16:17]
; %bb.25:                               ;   in Loop: Header=BB37_21 Depth=2
	s_bcnt1_i32_b64 s16, s[20:21]
	s_mul_i32 s16, s22, s16
	v_mov_b32_e32 v11, s16
	ds_add_rtn_u32 v11, v3, v11 offset:5136
; %bb.26:                               ;   in Loop: Header=BB37_21 Depth=2
	s_or_b64 exec, exec, s[8:9]
	s_waitcnt lgkmcnt(0)
	v_readfirstlane_b32 s8, v11
	v_mov_b32_e32 v11, s8
	v_mad_u32_u24 v10, s22, v10, v11
.LBB37_27:                              ;   in Loop: Header=BB37_21 Depth=2
	s_or_b64 exec, exec, s[18:19]
	ds_bpermute_b32 v10, v39, v10
	s_and_b64 s[8:9], exec, vcc
	s_or_b64 s[14:15], s[8:9], s[14:15]
	s_and_saveexec_b64 s[8:9], s[4:5]
	s_cbranch_execz .LBB37_20
; %bb.28:                               ;   in Loop: Header=BB37_21 Depth=2
	v_and_b32_e32 v28, s4, v34
	v_and_b32_e32 v11, s5, v33
	v_bcnt_u32_b32 v28, v28, 0
	v_bcnt_u32_b32 v11, v11, v28
	v_lshlrev_b32_e32 v11, 1, v11
	s_waitcnt lgkmcnt(0)
	v_lshl_add_u32 v10, v10, 1, v11
	ds_write_b16 v10, v2
	s_branch .LBB37_20
.LBB37_29:                              ;   in Loop: Header=BB37_16 Depth=1
	s_mov_b64 s[6:7], -1
	s_mov_b64 s[4:5], 0
.LBB37_30:                              ;   in Loop: Header=BB37_16 Depth=1
	s_and_b64 vcc, exec, s[6:7]
	s_cbranch_vccz .LBB37_46
.LBB37_31:                              ;   in Loop: Header=BB37_16 Depth=1
	s_mov_b64 s[6:7], exec
	v_readlane_b32 s4, v58, 41
	v_readlane_b32 s5, v58, 42
	s_and_b64 s[4:5], s[6:7], s[4:5]
	s_mov_b64 exec, s[4:5]
	s_cbranch_execz .LBB37_43
; %bb.32:                               ;   in Loop: Header=BB37_16 Depth=1
	global_load_ushort v2, v3, s[64:65]
	global_load_ushort v11, v[14:15], off
	v_mov_b32_e32 v8, v0
	s_waitcnt vmcnt(1)
	v_readfirstlane_b32 s4, v2
	v_add_u32_sdwa v2, v2, v0 dst_sel:DWORD dst_unused:UNUSED_PAD src0_sel:WORD_0 src1_sel:DWORD
	v_cmp_gt_i64_e32 vcc, s[24:25], v[2:3]
	s_and_saveexec_b64 s[14:15], vcc
	s_cbranch_execz .LBB37_42
; %bb.33:                               ;   in Loop: Header=BB37_16 Depth=1
	s_and_b32 s8, s4, 0xffff
	s_cmp_eq_u32 s8, 1
	v_readlane_b32 s12, v58, 20
                                        ; implicit-def: $vgpr8_vgpr9
	s_cselect_b64 s[4:5], -1, 0
	v_readlane_b32 s13, v58, 21
	v_mov_b32_e32 v10, v1
	v_mov_b32_e32 v5, v3
	s_and_b64 s[12:13], s[12:13], s[4:5]
	s_mov_b64 s[18:19], -1
	v_mov_b32_e32 v9, v0
	v_mov_b32_e32 v4, v2
	s_and_saveexec_b64 s[4:5], s[12:13]
	s_cbranch_execz .LBB37_37
; %bb.34:                               ;   in Loop: Header=BB37_16 Depth=1
	v_add_co_u32_e32 v4, vcc, 1, v2
	v_addc_co_u32_e64 v5, s[12:13], 0, 0, vcc
	v_mov_b32_e32 v8, v16
	v_mov_b32_e32 v7, v5
	s_waitcnt vmcnt(0)
	v_lshlrev_b32_e32 v28, 16, v11
	s_mov_b64 s[16:17], 0
	v_mov_b32_e32 v9, v17
	v_mov_b32_e32 v10, v45
	;; [unrolled: 1-line block ×5, first 2 shown]
.LBB37_35:                              ;   Parent Loop BB37_16 Depth=1
                                        ; =>  This Inner Loop Header: Depth=2
	v_mul_lo_u32 v11, v7, s30
	v_mul_lo_u32 v31, v6, s31
	v_mad_u64_u32 v[29:30], s[12:13], v6, s30, 0
	v_mad_u64_u32 v[50:51], s[12:13], v4, s2, 0
	v_add3_u32 v30, v30, v31, v11
	v_mul_lo_u32 v11, v5, s2
	v_mul_lo_u32 v31, v4, s3
	v_lshlrev_b64 v[29:30], 1, v[29:30]
	s_mov_b32 s9, 0x5040100
	v_add3_u32 v51, v51, v31, v11
	v_lshlrev_b64 v[50:51], 1, v[50:51]
	v_mov_b32_e32 v11, s55
	v_add_co_u32_e32 v50, vcc, s54, v50
	v_addc_co_u32_e32 v51, vcc, v11, v51, vcc
	v_add_co_u32_e32 v29, vcc, s54, v29
	v_addc_co_u32_e32 v30, vcc, v11, v30, vcc
	global_load_ushort v31, v[50:51], off
	global_load_ushort v11, v[29:30], off
	v_add_co_u32_e32 v6, vcc, 2, v6
	v_addc_co_u32_e32 v7, vcc, 0, v7, vcc
	v_add_co_u32_e32 v4, vcc, 2, v4
	v_addc_co_u32_e32 v5, vcc, 0, v5, vcc
	v_add_co_u32_e32 v8, vcc, -2, v8
	v_addc_co_u32_e32 v9, vcc, -1, v9, vcc
	v_cmp_eq_u64_e32 vcc, 0, v[8:9]
	s_or_b64 s[16:17], vcc, s[16:17]
	s_waitcnt vmcnt(1)
	v_alignbit_b32 v28, v31, v28, 16
	s_waitcnt vmcnt(0)
	v_perm_b32 v29, v11, v31, s9
	ds_write_b32 v10, v28
	v_add_u32_e32 v10, 4, v10
	v_mov_b32_e32 v28, v29
	s_andn2_b64 exec, exec, s[16:17]
	s_cbranch_execnz .LBB37_35
; %bb.36:                               ;   in Loop: Header=BB37_16 Depth=1
	s_or_b64 exec, exec, s[16:17]
	v_readlane_b32 s12, v58, 22
	v_add_co_u32_e32 v4, vcc, v2, v16
	v_readlane_b32 s13, v58, 23
	v_addc_co_u32_e32 v5, vcc, 0, v17, vcc
	v_add_co_u32_e32 v8, vcc, -1, v4
	s_orn2_b64 s[18:19], s[12:13], exec
	v_mov_b32_e32 v9, v25
	v_mov_b32_e32 v10, v26
.LBB37_37:                              ;   in Loop: Header=BB37_16 Depth=1
	s_or_b64 exec, exec, s[4:5]
	s_and_saveexec_b64 s[16:17], s[18:19]
	s_cbranch_execz .LBB37_41
; %bb.38:                               ;   in Loop: Header=BB37_16 Depth=1
	v_readlane_b32 s4, v58, 29
	v_readlane_b32 s5, v58, 30
	v_mov_b32_e32 v7, s5
	v_mov_b32_e32 v6, s4
	v_mad_u64_u32 v[6:7], s[4:5], s72, v4, v[6:7]
	v_mul_lo_u32 v2, s72, v5
	v_mul_lo_u32 v8, s73, v4
	s_mul_i32 s4, s73, s8
	s_mul_hi_u32 s5, s72, s8
	s_mov_b64 s[18:19], 0
	s_sub_u32 s9, 0, s8
	v_add3_u32 v7, v8, v7, v2
	s_add_i32 s12, s5, s4
.LBB37_39:                              ;   Parent Loop BB37_16 Depth=1
                                        ; =>  This Inner Loop Header: Depth=2
	global_load_ushort v2, v[6:7], off
	v_mov_b32_e32 v29, v5
	v_mov_b32_e32 v28, v4
	v_lshlrev_b32_e32 v4, 1, v9
	s_waitcnt vmcnt(1)
	ds_write_b16 v4, v11
	v_add_co_u32_e32 v4, vcc, s8, v28
	v_addc_co_u32_e32 v5, vcc, 0, v29, vcc
	s_mul_i32 s4, s72, s8
	v_add_co_u32_e32 v6, vcc, s4, v6
	v_mov_b32_e32 v8, s12
	v_addc_co_u32_e32 v7, vcc, v7, v8, vcc
	v_cmp_le_i64_e32 vcc, s[24:25], v[4:5]
	v_add_co_u32_e64 v8, s[4:5], s9, v4
	s_or_b64 s[18:19], vcc, s[18:19]
	v_mov_b32_e32 v9, v28
	v_mov_b32_e32 v10, v29
	s_waitcnt vmcnt(0)
	v_mov_b32_e32 v11, v2
	s_andn2_b64 exec, exec, s[18:19]
	s_cbranch_execnz .LBB37_39
; %bb.40:                               ;   in Loop: Header=BB37_16 Depth=1
	s_or_b64 exec, exec, s[18:19]
	v_mov_b32_e32 v11, v2
.LBB37_41:                              ;   in Loop: Header=BB37_16 Depth=1
	s_or_b64 exec, exec, s[16:17]
.LBB37_42:                              ;   in Loop: Header=BB37_16 Depth=1
	s_or_b64 exec, exec, s[14:15]
	v_lshlrev_b32_e32 v2, 1, v8
	s_waitcnt vmcnt(0)
	ds_write_b16 v2, v11
.LBB37_43:                              ;   in Loop: Header=BB37_16 Depth=1
	s_or_b64 exec, exec, s[6:7]
	s_waitcnt lgkmcnt(0)
	s_barrier
	s_mov_b64 s[4:5], exec
	v_readlane_b32 s6, v58, 12
	v_readlane_b32 s7, v58, 13
	s_and_b64 s[6:7], s[4:5], s[6:7]
	s_mov_b64 exec, s[6:7]
; %bb.44:                               ;   in Loop: Header=BB37_16 Depth=1
	v_mov_b32_e32 v4, s24
	v_mov_b32_e32 v5, s25
	ds_write_b64 v3, v[4:5] offset:5120
; %bb.45:                               ;   in Loop: Header=BB37_16 Depth=1
	s_or_b64 exec, exec, s[4:5]
	s_mov_b64 s[4:5], -1
	s_waitcnt lgkmcnt(0)
	s_barrier
.LBB37_46:                              ;   in Loop: Header=BB37_16 Depth=1
	s_and_b64 vcc, exec, s[4:5]
	s_cbranch_vccz .LBB37_48
; %bb.47:                               ;   in Loop: Header=BB37_16 Depth=1
	ds_read_b64 v[4:5], v3 offset:5120
	s_waitcnt lgkmcnt(0)
	v_readfirstlane_b32 s26, v4
.LBB37_48:                              ;   in Loop: Header=BB37_16 Depth=1
	s_cmp_lt_i32 s26, 1
	s_mov_b64 s[4:5], -1
                                        ; implicit-def: $vgpr4_vgpr5
                                        ; implicit-def: $vgpr8_vgpr9
	s_cbranch_scc1 .LBB37_58
; %bb.49:                               ;   in Loop: Header=BB37_16 Depth=1
	s_and_b64 vcc, exec, s[4:5]
	s_cbranch_vccnz .LBB37_72
.LBB37_50:                              ;   in Loop: Header=BB37_16 Depth=1
	s_lshl_b32 s6, s71, 6
	s_and_saveexec_b64 s[4:5], s[10:11]
	s_cbranch_execz .LBB37_52
.LBB37_51:                              ;   in Loop: Header=BB37_16 Depth=1
	v_lshl_add_u32 v2, s6, 3, v40
	ds_write_b128 v2, v[4:7]
	ds_write_b128 v2, v[8:11] offset:16
.LBB37_52:                              ;   in Loop: Header=BB37_16 Depth=1
	s_or_b64 exec, exec, s[4:5]
	s_waitcnt lgkmcnt(0)
	s_barrier
	s_and_saveexec_b64 s[4:5], s[56:57]
	s_cbranch_execz .LBB37_90
; %bb.53:                               ;   in Loop: Header=BB37_16 Depth=1
	v_readlane_b32 s8, v58, 16
	v_mov_b32_e32 v4, 0
	v_readlane_b32 s9, v58, 17
	v_mov_b32_e32 v5, 0
	s_andn2_b64 vcc, exec, s[8:9]
	s_cbranch_vccnz .LBB37_89
; %bb.54:                               ;   in Loop: Header=BB37_16 Depth=1
	v_readlane_b32 s8, v58, 24
	v_readlane_b32 s9, v58, 25
	s_andn2_b64 vcc, exec, s[8:9]
	s_cbranch_vccnz .LBB37_85
; %bb.55:                               ;   in Loop: Header=BB37_16 Depth=1
	v_mov_b32_e32 v4, 0
	v_lshl_add_u32 v2, s71, 9, v43
	v_mov_b32_e32 v5, 0
	s_mov_b32 s7, 0
.LBB37_56:                              ;   Parent Loop BB37_16 Depth=1
                                        ; =>  This Inner Loop Header: Depth=2
	ds_read2_b64 v[6:9], v2 offset1:4
	ds_read2_b64 v[28:31], v2 offset0:8 offset1:12
	ds_read2_b64 v[50:53], v2 offset0:16 offset1:20
	;; [unrolled: 1-line block ×3, first 2 shown]
	s_add_i32 s7, s7, 8
	s_waitcnt lgkmcnt(3)
	v_add_co_u32_e32 v4, vcc, v6, v4
	v_addc_co_u32_e32 v5, vcc, v7, v5, vcc
	v_add_co_u32_e32 v4, vcc, v8, v4
	v_addc_co_u32_e32 v5, vcc, v9, v5, vcc
	s_waitcnt lgkmcnt(2)
	v_add_co_u32_e32 v4, vcc, v28, v4
	v_addc_co_u32_e32 v5, vcc, v29, v5, vcc
	v_add_co_u32_e32 v4, vcc, v30, v4
	v_addc_co_u32_e32 v5, vcc, v31, v5, vcc
	;; [unrolled: 5-line block ×3, first 2 shown]
	s_waitcnt lgkmcnt(0)
	v_add_co_u32_e32 v4, vcc, v54, v4
	v_addc_co_u32_e32 v5, vcc, v55, v5, vcc
	v_add_co_u32_e32 v4, vcc, v56, v4
	v_add_u32_e32 v2, 0x100, v2
	s_cmp_eq_u32 s1, s7
	v_addc_co_u32_e32 v5, vcc, v57, v5, vcc
	s_cbranch_scc0 .LBB37_56
; %bb.57:                               ;   in Loop: Header=BB37_16 Depth=1
	s_mov_b32 s7, s1
	s_branch .LBB37_86
.LBB37_58:                              ;   in Loop: Header=BB37_16 Depth=1
	global_load_ushort v2, v3, s[64:65]
	s_mov_b32 s4, s53
	s_waitcnt vmcnt(0)
	v_readfirstlane_b32 s5, v2
	s_and_b32 s12, s5, 0xffff
	s_lshl_b32 s6, s12, 2
	s_mov_b32 s5, s25
	s_cmp_lg_u64 s[4:5], 0
	s_cbranch_scc0 .LBB37_81
; %bb.59:                               ;   in Loop: Header=BB37_16 Depth=1
	s_add_u32 s4, s6, 0
	s_addc_u32 s5, 0, 0
	s_xor_b64 s[4:5], s[4:5], 0
	v_cvt_f32_u32_e32 v2, s4
	v_cvt_f32_u32_e32 v4, s5
	s_sub_u32 s7, 0, s4
	s_subb_u32 s13, 0, s5
	v_mac_f32_e32 v2, 0x4f800000, v4
	v_rcp_f32_e32 v2, v2
	v_mul_f32_e32 v2, 0x5f7ffffc, v2
	v_mul_f32_e32 v4, 0x2f800000, v2
	v_trunc_f32_e32 v4, v4
	v_mac_f32_e32 v2, 0xcf800000, v4
	v_cvt_u32_f32_e32 v4, v4
	v_cvt_u32_f32_e32 v2, v2
	v_readfirstlane_b32 s14, v4
	v_readfirstlane_b32 s8, v2
	s_mul_i32 s9, s7, s14
	s_mul_hi_u32 s16, s7, s8
	s_mul_i32 s15, s13, s8
	s_add_i32 s9, s16, s9
	s_mul_i32 s17, s7, s8
	s_add_i32 s9, s9, s15
	s_mul_i32 s16, s8, s9
	s_mul_hi_u32 s18, s8, s17
	s_mul_hi_u32 s15, s8, s9
	s_add_u32 s16, s18, s16
	s_addc_u32 s15, 0, s15
	s_mul_hi_u32 s19, s14, s17
	s_mul_i32 s17, s14, s17
	s_add_u32 s16, s16, s17
	s_mul_hi_u32 s18, s14, s9
	s_addc_u32 s15, s15, s19
	s_addc_u32 s16, s18, 0
	s_mul_i32 s9, s14, s9
	s_add_u32 s9, s15, s9
	s_addc_u32 s15, 0, s16
	s_add_u32 s16, s8, s9
	s_cselect_b64 s[8:9], -1, 0
	s_cmp_lg_u64 s[8:9], 0
	s_addc_u32 s14, s14, s15
	s_mul_i32 s8, s7, s14
	s_mul_hi_u32 s9, s7, s16
	s_add_i32 s8, s9, s8
	s_mul_i32 s13, s13, s16
	s_add_i32 s8, s8, s13
	s_mul_i32 s7, s7, s16
	s_mul_hi_u32 s13, s14, s7
	s_mul_i32 s15, s14, s7
	s_mul_i32 s18, s16, s8
	s_mul_hi_u32 s7, s16, s7
	s_mul_hi_u32 s17, s16, s8
	s_add_u32 s7, s7, s18
	s_addc_u32 s17, 0, s17
	s_add_u32 s7, s7, s15
	s_mul_hi_u32 s9, s14, s8
	s_addc_u32 s7, s17, s13
	s_addc_u32 s9, s9, 0
	s_mul_i32 s8, s14, s8
	s_add_u32 s7, s7, s8
	s_addc_u32 s13, 0, s9
	s_add_u32 s7, s16, s7
	s_cselect_b64 s[8:9], -1, 0
	s_cmp_lg_u64 s[8:9], 0
	s_addc_u32 s13, s14, s13
	s_ashr_i32 s8, s25, 31
	s_add_u32 s14, s24, s8
	s_mov_b32 s9, s8
	s_addc_u32 s15, s25, s8
	s_xor_b64 s[14:15], s[14:15], s[8:9]
	s_mul_i32 s17, s14, s13
	s_mul_hi_u32 s18, s14, s7
	s_mul_hi_u32 s16, s14, s13
	s_add_u32 s17, s18, s17
	s_addc_u32 s16, 0, s16
	s_mul_hi_u32 s19, s15, s7
	s_mul_i32 s7, s15, s7
	s_add_u32 s7, s17, s7
	s_mul_hi_u32 s18, s15, s13
	s_addc_u32 s7, s16, s19
	s_addc_u32 s16, s18, 0
	s_mul_i32 s13, s15, s13
	s_add_u32 s7, s7, s13
	s_addc_u32 s13, 0, s16
	s_mul_i32 s13, s4, s13
	s_mul_hi_u32 s16, s4, s7
	s_add_i32 s13, s16, s13
	s_mul_i32 s16, s5, s7
	s_add_i32 s13, s13, s16
	s_sub_i32 s18, s15, s13
	s_mul_i32 s7, s4, s7
	s_sub_u32 s7, s14, s7
	s_cselect_b64 s[16:17], -1, 0
	s_cmp_lg_u64 s[16:17], 0
	s_subb_u32 s14, s18, s5
	s_sub_u32 s20, s7, s4
	s_cselect_b64 s[18:19], -1, 0
	s_cmp_lg_u64 s[18:19], 0
	s_subb_u32 s21, s14, 0
	s_cmp_ge_u32 s21, s5
	s_cselect_b32 s22, -1, 0
	s_cmp_ge_u32 s20, s4
	s_cselect_b32 s23, -1, 0
	s_cmp_eq_u32 s21, s5
	s_cselect_b32 s22, s23, s22
	s_cmp_lg_u64 s[18:19], 0
	s_subb_u32 s14, s14, s5
	s_sub_u32 s23, s20, s4
	s_cselect_b64 s[18:19], -1, 0
	s_cmp_lg_u64 s[18:19], 0
	s_subb_u32 s14, s14, 0
	s_cmp_lg_u32 s22, 0
	s_cselect_b32 s18, s23, s20
	s_cselect_b32 s14, s14, s21
	s_cmp_lg_u64 s[16:17], 0
	s_subb_u32 s13, s15, s13
	s_cmp_ge_u32 s13, s5
	s_cselect_b32 s15, -1, 0
	s_cmp_ge_u32 s7, s4
	s_cselect_b32 s4, -1, 0
	s_cmp_eq_u32 s13, s5
	s_cselect_b32 s4, s4, s15
	s_cmp_lg_u32 s4, 0
	s_cselect_b32 s5, s14, s13
	s_cselect_b32 s4, s18, s7
	s_xor_b64 s[4:5], s[4:5], s[8:9]
	s_sub_u32 s36, s4, s8
	s_subb_u32 s37, s5, s8
	s_cbranch_execnz .LBB37_61
.LBB37_60:                              ;   in Loop: Header=BB37_16 Depth=1
	v_cvt_f32_u32_e32 v2, s6
	s_sub_i32 s4, 0, s6
	v_rcp_iflag_f32_e32 v2, v2
	v_mul_f32_e32 v2, 0x4f7ffffe, v2
	v_cvt_u32_f32_e32 v2, v2
	v_readfirstlane_b32 s5, v2
	s_mul_i32 s4, s4, s5
	s_mul_hi_u32 s4, s5, s4
	s_add_i32 s5, s5, s4
	s_mul_hi_u32 s4, s24, s5
	s_mul_i32 s4, s4, s6
	s_sub_i32 s4, s24, s4
	s_sub_i32 s5, s4, s6
	s_cmp_ge_u32 s4, s6
	s_cselect_b32 s4, s5, s4
	s_sub_i32 s5, s4, s6
	s_cmp_ge_u32 s4, s6
	s_cselect_b32 s52, s5, s4
	s_mov_b64 s[36:37], s[52:53]
.LBB37_61:                              ;   in Loop: Header=BB37_16 Depth=1
	s_sub_u32 s38, s24, s36
	s_subb_u32 s39, s25, s37
	v_cmp_gt_i64_e32 vcc, s[38:39], v[21:22]
	v_mov_b32_e32 v4, 0
	v_mov_b32_e32 v6, 0
	v_mov_b32_e32 v8, 0
	v_mov_b32_e32 v10, 0
	v_mov_b32_e32 v5, 0
	v_mov_b32_e32 v7, 0
	v_mov_b32_e32 v9, 0
	v_mov_b32_e32 v11, 0
	s_and_saveexec_b64 s[48:49], vcc
	s_cbranch_execz .LBB37_65
; %bb.62:                               ;   in Loop: Header=BB37_16 Depth=1
	s_mul_i32 s4, s75, s12
	s_mul_hi_u32 s5, s74, s12
	v_mov_b32_e32 v29, v22
	s_add_i32 s7, s5, s4
	s_mov_b64 s[50:51], 0
	s_mov_b64 s[90:91], s[54:55]
	;; [unrolled: 1-line block ×6, first 2 shown]
	v_mov_b32_e32 v28, v21
.LBB37_63:                              ;   Parent Loop BB37_16 Depth=1
                                        ; =>  This Inner Loop Header: Depth=2
	v_add_co_u32_e32 v4, vcc, s90, v23
	v_mov_b32_e32 v2, s91
	v_addc_co_u32_e32 v5, vcc, v2, v24, vcc
	global_load_sshort v6, v[4:5], off
	v_add_co_u32_e32 v4, vcc, s90, v20
	v_addc_co_u32_e32 v5, vcc, v2, v38, vcc
	global_load_sshort v7, v[4:5], off
	v_add_co_u32_e32 v4, vcc, s90, v19
	;; [unrolled: 3-line block ×3, first 2 shown]
	v_addc_co_u32_e32 v5, vcc, v2, v36, vcc
	global_load_sshort v2, v[4:5], off
	s_waitcnt vmcnt(3)
	v_add_u32_e32 v4, 0x8000, v6
	s_waitcnt vmcnt(2)
	v_add_u32_e32 v5, 0x8000, v7
	v_and_b32_e32 v7, v4, v48
	v_bfe_u32 v4, v4, s70, 2
	v_cmp_eq_u32_e32 vcc, v7, v44
	v_and_b32_e32 v7, v5, v48
	s_waitcnt vmcnt(1)
	v_add_u32_e32 v6, 0x8000, v8
	v_bfe_u32 v5, v5, s70, 2
	v_cmp_eq_u32_e64 s[20:21], 0, v4
	v_cmp_eq_u32_e64 s[4:5], v7, v44
	v_and_b32_e32 v7, v6, v48
	s_waitcnt vmcnt(0)
	v_add_u32_e32 v2, 0x8000, v2
	v_bfe_u32 v6, v6, s70, 2
	s_and_b64 s[8:9], vcc, s[20:21]
	v_cmp_eq_u32_e64 s[20:21], 0, v5
	v_cmp_eq_u32_e64 s[16:17], v7, v44
	v_and_b32_e32 v7, v2, v48
	v_bfe_u32 v2, v2, s70, 2
	s_and_b64 s[14:15], s[4:5], s[20:21]
	v_cmp_eq_u32_e64 s[20:21], 0, v6
	v_cmp_eq_u32_e64 s[18:19], v7, v44
	s_and_b64 s[22:23], s[16:17], s[20:21]
	v_cmp_eq_u32_e64 s[20:21], 0, v2
	v_cndmask_b32_e64 v7, 0, 1, s[8:9]
	s_and_b64 s[28:29], s[18:19], s[20:21]
	v_cmp_ne_u32_e64 s[20:21], 0, v7
	v_cndmask_b32_e64 v7, 0, 1, s[14:15]
	s_bcnt1_i32_b64 s8, s[20:21]
	v_cmp_ne_u32_e64 s[20:21], 0, v7
	v_cndmask_b32_e64 v7, 0, 1, s[22:23]
	s_bcnt1_i32_b64 s9, s[20:21]
	;; [unrolled: 3-line block ×3, first 2 shown]
	v_cmp_ne_u32_e64 s[20:21], 0, v7
	s_bcnt1_i32_b64 s14, s[20:21]
	s_add_u32 s8, s8, s42
	s_addc_u32 s15, 0, s43
	s_add_u32 s8, s8, s9
	s_addc_u32 s9, s15, 0
	;; [unrolled: 2-line block ×3, first 2 shown]
	s_add_u32 s42, s8, s14
	v_cmp_eq_u32_e64 s[20:21], 1, v4
	s_addc_u32 s43, s9, 0
	s_and_b64 s[8:9], vcc, s[20:21]
	v_cmp_eq_u32_e64 s[20:21], 1, v5
	s_and_b64 s[14:15], s[4:5], s[20:21]
	v_cmp_eq_u32_e64 s[20:21], 1, v6
	s_and_b64 s[22:23], s[16:17], s[20:21]
	v_cmp_eq_u32_e64 s[20:21], 1, v2
	v_cndmask_b32_e64 v7, 0, 1, s[8:9]
	s_and_b64 s[28:29], s[18:19], s[20:21]
	v_cmp_ne_u32_e64 s[20:21], 0, v7
	v_cndmask_b32_e64 v7, 0, 1, s[14:15]
	s_bcnt1_i32_b64 s8, s[20:21]
	v_cmp_ne_u32_e64 s[20:21], 0, v7
	v_cndmask_b32_e64 v7, 0, 1, s[22:23]
	s_bcnt1_i32_b64 s9, s[20:21]
	;; [unrolled: 3-line block ×3, first 2 shown]
	v_cmp_ne_u32_e64 s[20:21], 0, v7
	s_bcnt1_i32_b64 s14, s[20:21]
	s_add_u32 s8, s8, s40
	s_addc_u32 s15, 0, s41
	s_add_u32 s8, s8, s9
	s_addc_u32 s9, s15, 0
	;; [unrolled: 2-line block ×3, first 2 shown]
	s_add_u32 s40, s8, s14
	v_cmp_eq_u32_e64 s[20:21], 2, v4
	s_addc_u32 s41, s9, 0
	s_and_b64 s[8:9], vcc, s[20:21]
	v_cmp_eq_u32_e64 s[20:21], 2, v5
	s_and_b64 s[14:15], s[4:5], s[20:21]
	v_cmp_eq_u32_e64 s[20:21], 2, v6
	s_and_b64 s[22:23], s[16:17], s[20:21]
	v_cmp_eq_u32_e64 s[20:21], 2, v2
	v_cndmask_b32_e64 v7, 0, 1, s[8:9]
	s_and_b64 s[28:29], s[18:19], s[20:21]
	v_cmp_ne_u32_e64 s[20:21], 0, v7
	v_cndmask_b32_e64 v7, 0, 1, s[14:15]
	s_bcnt1_i32_b64 s8, s[20:21]
	v_cmp_ne_u32_e64 s[20:21], 0, v7
	v_cndmask_b32_e64 v7, 0, 1, s[22:23]
	s_bcnt1_i32_b64 s9, s[20:21]
	;; [unrolled: 3-line block ×3, first 2 shown]
	v_cmp_ne_u32_e64 s[20:21], 0, v7
	s_bcnt1_i32_b64 s14, s[20:21]
	s_add_u32 s8, s8, s94
	s_addc_u32 s15, 0, s95
	s_add_u32 s8, s8, s9
	s_addc_u32 s9, s15, 0
	;; [unrolled: 2-line block ×3, first 2 shown]
	s_add_u32 s94, s8, s14
	v_cmp_eq_u32_e64 s[20:21], 3, v4
	s_addc_u32 s95, s9, 0
	s_and_b64 s[8:9], vcc, s[20:21]
	v_cmp_eq_u32_e32 vcc, 3, v5
	s_and_b64 s[4:5], s[4:5], vcc
	v_cmp_eq_u32_e32 vcc, 3, v6
	s_and_b64 s[14:15], s[16:17], vcc
	v_cmp_eq_u32_e32 vcc, 3, v2
	v_cndmask_b32_e64 v2, 0, 1, s[8:9]
	s_and_b64 s[16:17], s[18:19], vcc
	v_cmp_ne_u32_e32 vcc, 0, v2
	v_cndmask_b32_e64 v2, 0, 1, s[4:5]
	s_bcnt1_i32_b64 s8, vcc
	v_cmp_ne_u32_e32 vcc, 0, v2
	v_cndmask_b32_e64 v2, 0, 1, s[14:15]
	s_bcnt1_i32_b64 s4, vcc
	;; [unrolled: 3-line block ×3, first 2 shown]
	v_cmp_ne_u32_e32 vcc, 0, v2
	s_bcnt1_i32_b64 s9, vcc
	s_add_u32 s8, s8, s92
	s_addc_u32 s13, 0, s93
	s_add_u32 s4, s8, s4
	s_addc_u32 s8, s13, 0
	;; [unrolled: 2-line block ×3, first 2 shown]
	s_add_u32 s92, s4, s9
	v_add_co_u32_e32 v28, vcc, s6, v28
	s_addc_u32 s93, s5, 0
	v_addc_co_u32_e32 v29, vcc, 0, v29, vcc
	s_mul_i32 s4, s74, s12
	s_add_u32 s90, s90, s4
	v_cmp_le_i64_e32 vcc, s[38:39], v[28:29]
	s_addc_u32 s91, s91, s7
	v_mov_b32_e32 v4, s42
	v_mov_b32_e32 v6, s40
	;; [unrolled: 1-line block ×4, first 2 shown]
	s_or_b64 s[50:51], vcc, s[50:51]
	v_mov_b32_e32 v5, s43
	v_mov_b32_e32 v7, s41
	;; [unrolled: 1-line block ×4, first 2 shown]
	s_andn2_b64 exec, exec, s[50:51]
	s_cbranch_execnz .LBB37_63
; %bb.64:                               ;   in Loop: Header=BB37_16 Depth=1
	s_or_b64 exec, exec, s[50:51]
.LBB37_65:                              ;   in Loop: Header=BB37_16 Depth=1
	s_or_b64 exec, exec, s[48:49]
	v_mov_b32_e32 v2, s39
	v_add_co_u32_e32 v28, vcc, s38, v0
	v_addc_co_u32_e32 v29, vcc, 0, v2, vcc
	v_cmp_gt_i64_e32 vcc, s[24:25], v[28:29]
	s_and_saveexec_b64 s[6:7], vcc
	s_cbranch_execz .LBB37_71
; %bb.66:                               ;   in Loop: Header=BB37_16 Depth=1
	v_mul_lo_u32 v2, v29, s30
	v_mul_lo_u32 v50, v28, s31
	v_mad_u64_u32 v[30:31], s[4:5], v28, s30, 0
	v_readlane_b32 s4, v58, 29
	v_readlane_b32 s5, v58, 30
	v_add3_u32 v31, v31, v50, v2
	v_lshlrev_b64 v[30:31], 1, v[30:31]
	v_mov_b32_e32 v2, s55
	v_add_co_u32_e32 v30, vcc, s54, v30
	v_addc_co_u32_e32 v31, vcc, v2, v31, vcc
	global_load_ushort v2, v[30:31], off
	v_add_co_u32_e32 v30, vcc, s12, v41
	v_addc_co_u32_e32 v31, vcc, 0, v42, vcc
	v_mov_b32_e32 v50, s37
	v_subrev_co_u32_e32 v51, vcc, s36, v30
	v_subb_co_u32_e32 v30, vcc, v31, v50, vcc
	v_mul_lo_u32 v50, s72, v30
	v_mov_b32_e32 v31, s5
	v_mov_b32_e32 v30, s4
	v_mul_lo_u32 v52, s73, v51
	v_mad_u64_u32 v[30:31], s[4:5], s72, v51, v[30:31]
	s_mul_i32 s4, s73, s12
	s_mul_hi_u32 s5, s72, s12
	v_add3_u32 v31, v52, v31, v50
	s_add_i32 s13, s5, s4
	s_mov_b64 s[14:15], 0
	s_branch .LBB37_68
.LBB37_67:                              ;   in Loop: Header=BB37_68 Depth=2
	s_or_b64 exec, exec, s[8:9]
	s_waitcnt vmcnt(0)
	v_add_u32_sdwa v2, sext(v2), s61 dst_sel:DWORD dst_unused:UNUSED_PAD src0_sel:WORD_0 src1_sel:DWORD
	s_and_b64 s[4:5], exec, vcc
	v_and_b32_e32 v51, v2, v48
	v_bfe_u32 v2, v2, s70, 2
	s_or_b64 s[14:15], s[4:5], s[14:15]
	v_cmp_eq_u32_e32 vcc, v51, v44
	v_cmp_eq_u32_e64 s[4:5], 0, v2
	s_and_b64 s[4:5], vcc, s[4:5]
	v_cndmask_b32_e64 v51, 0, 1, s[4:5]
	v_cmp_ne_u32_e64 s[4:5], 0, v51
	s_bcnt1_i32_b64 s4, s[4:5]
	v_add_co_u32_e64 v4, s[4:5], s4, v4
	v_addc_co_u32_e64 v5, s[4:5], 0, v5, s[4:5]
	v_cmp_eq_u32_e64 s[4:5], 1, v2
	s_and_b64 s[4:5], vcc, s[4:5]
	v_cndmask_b32_e64 v51, 0, 1, s[4:5]
	v_cmp_ne_u32_e64 s[4:5], 0, v51
	s_bcnt1_i32_b64 s4, s[4:5]
	v_add_co_u32_e64 v6, s[4:5], s4, v6
	v_addc_co_u32_e64 v7, s[4:5], 0, v7, s[4:5]
	v_cmp_eq_u32_e64 s[4:5], 2, v2
	s_and_b64 s[4:5], vcc, s[4:5]
	v_cndmask_b32_e64 v51, 0, 1, s[4:5]
	v_cmp_ne_u32_e64 s[4:5], 0, v51
	s_bcnt1_i32_b64 s4, s[4:5]
	v_add_co_u32_e64 v8, s[4:5], s4, v8
	v_addc_co_u32_e64 v9, s[4:5], 0, v9, s[4:5]
	v_cmp_eq_u32_e64 s[4:5], 3, v2
	s_and_b64 s[4:5], vcc, s[4:5]
	v_cndmask_b32_e64 v2, 0, 1, s[4:5]
	v_cmp_ne_u32_e32 vcc, 0, v2
	s_bcnt1_i32_b64 s4, vcc
	v_add_co_u32_e32 v10, vcc, s4, v10
	v_addc_co_u32_e32 v11, vcc, 0, v11, vcc
	s_mul_i32 s4, s72, s12
	v_mov_b32_e32 v2, s13
	v_add_co_u32_e32 v30, vcc, s4, v30
	v_addc_co_u32_e32 v31, vcc, v31, v2, vcc
	v_mov_b32_e32 v2, v50
	s_andn2_b64 exec, exec, s[14:15]
	s_cbranch_execz .LBB37_70
.LBB37_68:                              ;   Parent Loop BB37_16 Depth=1
                                        ; =>  This Inner Loop Header: Depth=2
	v_add_co_u32_e32 v28, vcc, s12, v28
	v_addc_co_u32_e32 v29, vcc, 0, v29, vcc
	v_cmp_gt_i64_e64 s[4:5], s[24:25], v[28:29]
	v_cmp_le_i64_e32 vcc, s[24:25], v[28:29]
	v_mov_b32_e32 v50, 0
	s_and_saveexec_b64 s[8:9], s[4:5]
	s_cbranch_execz .LBB37_67
; %bb.69:                               ;   in Loop: Header=BB37_68 Depth=2
	global_load_ushort v50, v[30:31], off
	s_branch .LBB37_67
.LBB37_70:                              ;   in Loop: Header=BB37_16 Depth=1
	s_or_b64 exec, exec, s[14:15]
.LBB37_71:                              ;   in Loop: Header=BB37_16 Depth=1
	s_or_b64 exec, exec, s[6:7]
	s_branch .LBB37_50
.LBB37_72:                              ;   in Loop: Header=BB37_16 Depth=1
	global_load_ushort v2, v3, s[64:65]
	v_mov_b32_e32 v8, 0
	v_mov_b32_e32 v9, 0
	s_waitcnt vmcnt(0)
	v_readfirstlane_b32 s4, v2
	s_and_b32 s8, 0xffff, s4
	s_lshl_b32 s6, s8, 2
	v_cvt_f32_u32_e32 v4, s6
	s_sub_i32 s4, 0, s6
	v_rcp_iflag_f32_e32 v6, v4
	v_mov_b32_e32 v4, 0
	v_mov_b32_e32 v5, 0
	v_mul_f32_e32 v6, 0x4f7ffffe, v6
	v_cvt_u32_f32_e32 v10, v6
	v_mov_b32_e32 v6, 0
	v_mov_b32_e32 v7, 0
	v_readfirstlane_b32 s5, v10
	s_mul_i32 s4, s4, s5
	s_mul_hi_u32 s4, s5, s4
	s_add_i32 s5, s5, s4
	s_mul_hi_u32 s4, s26, s5
	s_mul_i32 s5, s4, s6
	s_sub_i32 s5, s26, s5
	s_add_i32 s7, s4, 1
	s_sub_i32 s9, s5, s6
	s_cmp_ge_u32 s5, s6
	s_cselect_b32 s4, s7, s4
	s_cselect_b32 s5, s9, s5
	s_add_i32 s7, s4, 1
	s_cmp_ge_u32 s5, s6
	s_cselect_b32 s4, s7, s4
	s_mul_hi_u32 s37, s8, s4
	s_mul_i32 s36, s8, s4
	s_lshl_b64 s[38:39], s[36:37], 2
	v_cmp_gt_u64_e32 vcc, s[38:39], v[21:22]
	v_mov_b32_e32 v10, 0
	v_mov_b32_e32 v11, 0
	s_and_saveexec_b64 s[40:41], vcc
	s_cbranch_execz .LBB37_76
; %bb.73:                               ;   in Loop: Header=BB37_16 Depth=1
	v_mov_b32_e32 v29, v22
	s_lshl_b32 s7, s8, 3
	s_mov_b64 s[42:43], 0
	v_mov_b32_e32 v30, v35
	s_mov_b64 s[48:49], 0
	s_mov_b64 s[50:51], 0
	;; [unrolled: 1-line block ×4, first 2 shown]
	v_mov_b32_e32 v28, v21
.LBB37_74:                              ;   Parent Loop BB37_16 Depth=1
                                        ; =>  This Inner Loop Header: Depth=2
	ds_read_b64 v[4:5], v30
	v_add_u32_e32 v30, s7, v30
	s_waitcnt lgkmcnt(0)
	v_add_u32_sdwa v6, sext(v4), s61 dst_sel:DWORD dst_unused:UNUSED_PAD src0_sel:WORD_0 src1_sel:DWORD
	v_add_u32_sdwa v4, sext(v4), s61 dst_sel:DWORD dst_unused:UNUSED_PAD src0_sel:WORD_1 src1_sel:DWORD
	v_and_b32_e32 v8, v6, v48
	v_bfe_u32 v6, v6, s70, 2
	v_add_u32_sdwa v7, sext(v5), s61 dst_sel:DWORD dst_unused:UNUSED_PAD src0_sel:WORD_0 src1_sel:DWORD
	v_cmp_eq_u32_e32 vcc, v8, v44
	v_and_b32_e32 v8, v4, v48
	v_bfe_u32 v4, v4, s70, 2
	v_cmp_eq_u32_e64 s[20:21], 0, v6
	v_add_u32_sdwa v5, sext(v5), s61 dst_sel:DWORD dst_unused:UNUSED_PAD src0_sel:WORD_1 src1_sel:DWORD
	v_cmp_eq_u32_e64 s[4:5], v8, v44
	v_and_b32_e32 v8, v7, v48
	v_bfe_u32 v7, v7, s70, 2
	s_and_b64 s[12:13], vcc, s[20:21]
	v_cmp_eq_u32_e64 s[20:21], 0, v4
	v_cmp_eq_u32_e64 s[16:17], v8, v44
	v_and_b32_e32 v8, v5, v48
	v_bfe_u32 v5, v5, s70, 2
	s_and_b64 s[14:15], s[4:5], s[20:21]
	v_cmp_eq_u32_e64 s[20:21], 0, v7
	v_cmp_eq_u32_e64 s[18:19], v8, v44
	s_and_b64 s[22:23], s[16:17], s[20:21]
	v_cmp_eq_u32_e64 s[20:21], 0, v5
	v_cndmask_b32_e64 v8, 0, 1, s[12:13]
	s_and_b64 s[28:29], s[18:19], s[20:21]
	v_cmp_ne_u32_e64 s[20:21], 0, v8
	v_cndmask_b32_e64 v8, 0, 1, s[14:15]
	s_bcnt1_i32_b64 s9, s[20:21]
	v_cmp_ne_u32_e64 s[20:21], 0, v8
	v_cndmask_b32_e64 v8, 0, 1, s[22:23]
	s_bcnt1_i32_b64 s12, s[20:21]
	;; [unrolled: 3-line block ×3, first 2 shown]
	v_cmp_ne_u32_e64 s[20:21], 0, v8
	s_bcnt1_i32_b64 s14, s[20:21]
	s_add_u32 s9, s9, s92
	s_addc_u32 s15, 0, s93
	s_add_u32 s9, s9, s12
	s_addc_u32 s12, s15, 0
	;; [unrolled: 2-line block ×3, first 2 shown]
	s_add_u32 s92, s9, s14
	v_cmp_eq_u32_e64 s[20:21], 1, v6
	s_addc_u32 s93, s12, 0
	s_and_b64 s[12:13], vcc, s[20:21]
	v_cmp_eq_u32_e64 s[20:21], 1, v4
	s_and_b64 s[14:15], s[4:5], s[20:21]
	v_cmp_eq_u32_e64 s[20:21], 1, v7
	s_and_b64 s[22:23], s[16:17], s[20:21]
	v_cmp_eq_u32_e64 s[20:21], 1, v5
	v_cndmask_b32_e64 v8, 0, 1, s[12:13]
	s_and_b64 s[28:29], s[18:19], s[20:21]
	v_cmp_ne_u32_e64 s[20:21], 0, v8
	v_cndmask_b32_e64 v8, 0, 1, s[14:15]
	s_bcnt1_i32_b64 s9, s[20:21]
	v_cmp_ne_u32_e64 s[20:21], 0, v8
	v_cndmask_b32_e64 v8, 0, 1, s[22:23]
	s_bcnt1_i32_b64 s12, s[20:21]
	;; [unrolled: 3-line block ×3, first 2 shown]
	v_cmp_ne_u32_e64 s[20:21], 0, v8
	s_bcnt1_i32_b64 s14, s[20:21]
	s_add_u32 s9, s9, s90
	s_addc_u32 s15, 0, s91
	s_add_u32 s9, s9, s12
	s_addc_u32 s12, s15, 0
	;; [unrolled: 2-line block ×3, first 2 shown]
	s_add_u32 s90, s9, s14
	v_cmp_eq_u32_e64 s[20:21], 2, v6
	s_addc_u32 s91, s12, 0
	s_and_b64 s[12:13], vcc, s[20:21]
	v_cmp_eq_u32_e64 s[20:21], 2, v4
	s_and_b64 s[14:15], s[4:5], s[20:21]
	v_cmp_eq_u32_e64 s[20:21], 2, v7
	s_and_b64 s[22:23], s[16:17], s[20:21]
	v_cmp_eq_u32_e64 s[20:21], 2, v5
	v_cndmask_b32_e64 v8, 0, 1, s[12:13]
	s_and_b64 s[28:29], s[18:19], s[20:21]
	v_cmp_ne_u32_e64 s[20:21], 0, v8
	v_cndmask_b32_e64 v8, 0, 1, s[14:15]
	s_bcnt1_i32_b64 s9, s[20:21]
	v_cmp_ne_u32_e64 s[20:21], 0, v8
	v_cndmask_b32_e64 v8, 0, 1, s[22:23]
	s_bcnt1_i32_b64 s12, s[20:21]
	;; [unrolled: 3-line block ×3, first 2 shown]
	v_cmp_ne_u32_e64 s[20:21], 0, v8
	s_bcnt1_i32_b64 s14, s[20:21]
	s_add_u32 s9, s9, s50
	s_addc_u32 s15, 0, s51
	s_add_u32 s9, s9, s12
	s_addc_u32 s12, s15, 0
	;; [unrolled: 2-line block ×3, first 2 shown]
	s_add_u32 s50, s9, s14
	v_cmp_eq_u32_e64 s[20:21], 3, v6
	s_addc_u32 s51, s12, 0
	s_and_b64 s[12:13], vcc, s[20:21]
	v_cmp_eq_u32_e32 vcc, 3, v4
	s_and_b64 s[4:5], s[4:5], vcc
	v_cmp_eq_u32_e32 vcc, 3, v7
	s_and_b64 s[14:15], s[16:17], vcc
	v_cmp_eq_u32_e32 vcc, 3, v5
	v_cndmask_b32_e64 v4, 0, 1, s[12:13]
	s_and_b64 s[16:17], s[18:19], vcc
	v_cmp_ne_u32_e32 vcc, 0, v4
	v_cndmask_b32_e64 v4, 0, 1, s[4:5]
	s_bcnt1_i32_b64 s9, vcc
	v_cmp_ne_u32_e32 vcc, 0, v4
	v_cndmask_b32_e64 v4, 0, 1, s[14:15]
	s_bcnt1_i32_b64 s4, vcc
	;; [unrolled: 3-line block ×3, first 2 shown]
	v_cmp_ne_u32_e32 vcc, 0, v4
	s_bcnt1_i32_b64 s12, vcc
	s_add_u32 s9, s9, s48
	s_addc_u32 s13, 0, s49
	s_add_u32 s4, s9, s4
	s_addc_u32 s9, s13, 0
	s_add_u32 s4, s4, s5
	v_add_co_u32_e32 v28, vcc, s6, v28
	s_addc_u32 s5, s9, 0
	v_addc_co_u32_e32 v29, vcc, 0, v29, vcc
	s_add_u32 s48, s4, s12
	v_cmp_le_u64_e32 vcc, s[38:39], v[28:29]
	s_addc_u32 s49, s5, 0
	v_mov_b32_e32 v4, s92
	v_mov_b32_e32 v6, s90
	;; [unrolled: 1-line block ×4, first 2 shown]
	s_or_b64 s[42:43], vcc, s[42:43]
	v_mov_b32_e32 v5, s93
	v_mov_b32_e32 v7, s91
	;; [unrolled: 1-line block ×4, first 2 shown]
	s_andn2_b64 exec, exec, s[42:43]
	s_cbranch_execnz .LBB37_74
; %bb.75:                               ;   in Loop: Header=BB37_16 Depth=1
	s_or_b64 exec, exec, s[42:43]
.LBB37_76:                              ;   in Loop: Header=BB37_16 Depth=1
	s_or_b64 exec, exec, s[40:41]
	v_mov_b32_e32 v29, s39
	v_add_co_u32_e32 v28, vcc, s38, v0
	s_and_b32 s52, s26, 0x7fffffff
	v_addc_co_u32_e32 v29, vcc, 0, v29, vcc
	v_cmp_gt_u64_e32 vcc, s[52:53], v[28:29]
	s_and_saveexec_b64 s[6:7], vcc
	s_cbranch_execz .LBB37_80
; %bb.77:                               ;   in Loop: Header=BB37_16 Depth=1
	v_lshl_add_u32 v30, s36, 3, v45
	s_lshl_b32 s8, s8, 1
	s_mov_b64 s[14:15], 0
.LBB37_78:                              ;   Parent Loop BB37_16 Depth=1
                                        ; =>  This Inner Loop Header: Depth=2
	ds_read_i16 v31, v30
	v_add_u32_e32 v30, s8, v30
	s_waitcnt lgkmcnt(0)
	v_add_u32_e32 v31, 0x8000, v31
	v_and_b32_e32 v50, v31, v48
	v_bfe_u32 v31, v31, s70, 2
	v_cmp_eq_u32_e32 vcc, v50, v44
	v_cmp_eq_u32_e64 s[4:5], 0, v31
	s_and_b64 s[4:5], vcc, s[4:5]
	v_cndmask_b32_e64 v50, 0, 1, s[4:5]
	v_cmp_ne_u32_e64 s[4:5], 0, v50
	s_bcnt1_i32_b64 s4, s[4:5]
	v_add_co_u32_e64 v4, s[4:5], s4, v4
	v_addc_co_u32_e64 v5, s[4:5], 0, v5, s[4:5]
	v_cmp_eq_u32_e64 s[4:5], 1, v31
	s_and_b64 s[4:5], vcc, s[4:5]
	v_cndmask_b32_e64 v50, 0, 1, s[4:5]
	v_cmp_ne_u32_e64 s[4:5], 0, v50
	s_bcnt1_i32_b64 s4, s[4:5]
	v_add_co_u32_e64 v6, s[4:5], s4, v6
	v_addc_co_u32_e64 v7, s[4:5], 0, v7, s[4:5]
	;; [unrolled: 7-line block ×3, first 2 shown]
	v_cmp_eq_u32_e64 s[4:5], 3, v31
	s_and_b64 s[4:5], vcc, s[4:5]
	v_cndmask_b32_e64 v31, 0, 1, s[4:5]
	v_cmp_ne_u32_e32 vcc, 0, v31
	s_bcnt1_i32_b64 s4, vcc
	v_add_co_u32_e32 v10, vcc, s4, v10
	v_addc_co_u32_e32 v11, vcc, 0, v11, vcc
	v_add_co_u32_sdwa v28, vcc, v28, v2 dst_sel:DWORD dst_unused:UNUSED_PAD src0_sel:DWORD src1_sel:WORD_0
	v_addc_co_u32_e32 v29, vcc, 0, v29, vcc
	v_cmp_le_u64_e32 vcc, s[52:53], v[28:29]
	s_or_b64 s[14:15], vcc, s[14:15]
	s_andn2_b64 exec, exec, s[14:15]
	s_cbranch_execnz .LBB37_78
; %bb.79:                               ;   in Loop: Header=BB37_16 Depth=1
	s_or_b64 exec, exec, s[14:15]
.LBB37_80:                              ;   in Loop: Header=BB37_16 Depth=1
	s_or_b64 exec, exec, s[6:7]
	s_lshl_b32 s6, s71, 6
	s_and_saveexec_b64 s[4:5], s[10:11]
	s_cbranch_execnz .LBB37_51
	s_branch .LBB37_52
.LBB37_81:                              ;   in Loop: Header=BB37_16 Depth=1
                                        ; implicit-def: $sgpr36_sgpr37
	s_branch .LBB37_60
.LBB37_82:                              ;   in Loop: Header=BB37_16 Depth=1
	s_or_b64 exec, exec, s[14:15]
	s_waitcnt lgkmcnt(0)
	s_barrier
	s_mov_b64 s[4:5], exec
	v_readlane_b32 s8, v58, 12
	v_readlane_b32 s9, v58, 13
	s_and_b64 s[8:9], s[4:5], s[8:9]
	s_mov_b64 exec, s[8:9]
	s_cbranch_execz .LBB37_84
; %bb.83:                               ;   in Loop: Header=BB37_16 Depth=1
	ds_read_b32 v4, v3 offset:5136
	s_waitcnt lgkmcnt(0)
	v_ashrrev_i32_e32 v5, 31, v4
	ds_write_b64 v3, v[4:5] offset:5120
.LBB37_84:                              ;   in Loop: Header=BB37_16 Depth=1
	s_or_b64 exec, exec, s[4:5]
	s_waitcnt lgkmcnt(0)
	s_barrier
	s_mov_b64 s[4:5], -1
	s_and_b64 vcc, exec, s[6:7]
	s_cbranch_vccnz .LBB37_31
	s_branch .LBB37_46
.LBB37_85:                              ;   in Loop: Header=BB37_16 Depth=1
	v_mov_b32_e32 v4, 0
	v_mov_b32_e32 v5, 0
	s_mov_b32 s7, 0
.LBB37_86:                              ;   in Loop: Header=BB37_16 Depth=1
	v_readlane_b32 s8, v58, 27
	v_readlane_b32 s9, v58, 28
	s_andn2_b64 vcc, exec, s[8:9]
	s_cbranch_vccnz .LBB37_89
; %bb.87:                               ;   in Loop: Header=BB37_16 Depth=1
	s_lshl_b32 s8, s71, 9
	s_lshl_b32 s7, s7, 5
	s_add_i32 s8, s8, s7
	v_add_u32_e32 v2, s8, v43
	v_readlane_b32 s7, v58, 26
.LBB37_88:                              ;   Parent Loop BB37_16 Depth=1
                                        ; =>  This Inner Loop Header: Depth=2
	ds_read_b64 v[6:7], v2
	s_add_i32 s7, s7, -1
	v_add_u32_e32 v2, 32, v2
	s_cmp_lg_u32 s7, 0
	s_waitcnt lgkmcnt(0)
	v_add_co_u32_e32 v4, vcc, v6, v4
	v_addc_co_u32_e32 v5, vcc, v7, v5, vcc
	s_cbranch_scc1 .LBB37_88
.LBB37_89:                              ;   in Loop: Header=BB37_16 Depth=1
	v_add_lshl_u32 v2, s6, v32, 3
	ds_write_b64 v2, v[4:5] offset:3072
.LBB37_90:                              ;   in Loop: Header=BB37_16 Depth=1
	s_or_b64 exec, exec, s[4:5]
	s_lshl_b32 s4, s6, 3
	v_mov_b32_e32 v2, s4
	s_waitcnt lgkmcnt(0)
	s_barrier
	ds_read_b128 v[8:11], v2 offset:3088
	ds_read_b128 v[4:7], v2 offset:3072
	v_cmp_eq_u64_e64 s[4:5], 1, v[26:27]
	s_lshl_b32 s12, 3, s70
	s_not_b32 s13, s12
	s_waitcnt lgkmcnt(1)
	v_readfirstlane_b32 s90, v8
	s_waitcnt lgkmcnt(0)
	v_cmp_eq_u64_e32 vcc, 1, v[4:5]
	v_readfirstlane_b32 s91, v9
	v_readfirstlane_b32 s16, v10
	;; [unrolled: 1-line block ×3, first 2 shown]
	s_and_b64 s[20:21], vcc, s[4:5]
	s_mov_b64 s[4:5], -1
	s_mov_b64 s[6:7], -1
                                        ; implicit-def: $sgpr26_sgpr27
                                        ; implicit-def: $sgpr14_sgpr15
	s_and_saveexec_b64 s[18:19], s[20:21]
	s_cbranch_execz .LBB37_122
; %bb.91:                               ;   in Loop: Header=BB37_16 Depth=1
	ds_read_b64 v[8:9], v3 offset:5120
	s_waitcnt lgkmcnt(0)
	s_barrier
	v_readfirstlane_b32 s6, v8
	v_readfirstlane_b32 s7, v9
	s_mov_b64 s[8:9], exec
	v_readlane_b32 s14, v58, 39
	v_readlane_b32 s15, v58, 40
	s_and_b64 s[14:15], s[8:9], s[14:15]
	s_mov_b64 exec, s[14:15]
; %bb.92:                               ;   in Loop: Header=BB37_16 Depth=1
	ds_write_b16 v46, v3
; %bb.93:                               ;   in Loop: Header=BB37_16 Depth=1
	s_or_b64 exec, exec, s[8:9]
	v_cmp_lt_i64_e64 s[8:9], s[6:7], 1
	v_and_b32_e32 v44, s13, v44
	v_or_b32_e32 v48, s12, v48
	s_mov_b64 s[14:15], -1
	s_mov_b64 s[26:27], 0
	s_and_b64 vcc, exec, s[8:9]
	s_mov_b64 s[36:37], 0
	s_mov_b64 s[28:29], -1
	s_waitcnt lgkmcnt(0)
	s_barrier
                                        ; implicit-def: $vgpr49
	s_cbranch_vccz .LBB37_107
; %bb.94:                               ;   in Loop: Header=BB37_16 Depth=1
	s_mov_b32 s62, s53
	s_cmp_lg_u64 s[62:63], 0
	s_cbranch_scc0 .LBB37_148
; %bb.95:                               ;   in Loop: Header=BB37_16 Depth=1
	s_add_u32 s8, s33, 0
	s_addc_u32 s9, 0, 0
	s_xor_b64 s[36:37], s[8:9], 0
	v_cvt_f32_u32_e32 v2, s36
	v_cvt_f32_u32_e32 v8, s37
	s_sub_u32 s22, 0, s36
	s_subb_u32 s23, 0, s37
	v_mac_f32_e32 v2, 0x4f800000, v8
	v_rcp_f32_e32 v2, v2
	v_mul_f32_e32 v2, 0x5f7ffffc, v2
	v_mul_f32_e32 v8, 0x2f800000, v2
	v_trunc_f32_e32 v8, v8
	v_mac_f32_e32 v2, 0xcf800000, v8
	v_cvt_u32_f32_e32 v8, v8
	v_cvt_u32_f32_e32 v2, v2
	v_readfirstlane_b32 s28, v8
	v_readfirstlane_b32 s8, v2
	s_mul_i32 s9, s22, s28
	s_mul_hi_u32 s34, s22, s8
	s_mul_i32 s29, s23, s8
	s_add_i32 s9, s34, s9
	s_mul_i32 s35, s22, s8
	s_add_i32 s9, s9, s29
	s_mul_i32 s34, s8, s9
	s_mul_hi_u32 s38, s8, s35
	s_mul_hi_u32 s29, s8, s9
	s_add_u32 s34, s38, s34
	s_addc_u32 s29, 0, s29
	s_mul_hi_u32 s39, s28, s35
	s_mul_i32 s35, s28, s35
	s_add_u32 s34, s34, s35
	s_mul_hi_u32 s38, s28, s9
	s_addc_u32 s29, s29, s39
	s_addc_u32 s34, s38, 0
	s_mul_i32 s9, s28, s9
	s_add_u32 s9, s29, s9
	s_addc_u32 s29, 0, s34
	s_add_u32 s34, s8, s9
	s_cselect_b64 s[8:9], -1, 0
	s_cmp_lg_u64 s[8:9], 0
	s_addc_u32 s28, s28, s29
	s_mul_i32 s8, s22, s28
	s_mul_hi_u32 s9, s22, s34
	s_add_i32 s8, s9, s8
	s_mul_i32 s23, s23, s34
	s_add_i32 s8, s8, s23
	s_mul_i32 s22, s22, s34
	s_mul_hi_u32 s23, s28, s22
	s_mul_i32 s29, s28, s22
	s_mul_i32 s38, s34, s8
	s_mul_hi_u32 s22, s34, s22
	s_mul_hi_u32 s35, s34, s8
	s_add_u32 s22, s22, s38
	s_addc_u32 s35, 0, s35
	s_add_u32 s22, s22, s29
	s_mul_hi_u32 s9, s28, s8
	s_addc_u32 s22, s35, s23
	s_addc_u32 s9, s9, 0
	s_mul_i32 s8, s28, s8
	s_add_u32 s8, s22, s8
	s_addc_u32 s22, 0, s9
	s_add_u32 s29, s34, s8
	s_cselect_b64 s[8:9], -1, 0
	s_cmp_lg_u64 s[8:9], 0
	s_addc_u32 s28, s28, s22
	s_ashr_i32 s8, s63, 31
	s_add_u32 s22, s0, s8
	s_mov_b32 s9, s8
	s_addc_u32 s23, s63, s8
	s_xor_b64 s[22:23], s[22:23], s[8:9]
	s_mul_i32 s35, s22, s28
	s_mul_hi_u32 s38, s22, s29
	s_mul_hi_u32 s34, s22, s28
	s_add_u32 s35, s38, s35
	s_addc_u32 s34, 0, s34
	s_mul_hi_u32 s39, s23, s29
	s_mul_i32 s29, s23, s29
	s_add_u32 s29, s35, s29
	s_mul_hi_u32 s38, s23, s28
	s_addc_u32 s29, s34, s39
	s_addc_u32 s34, s38, 0
	s_mul_i32 s28, s23, s28
	s_add_u32 s28, s29, s28
	s_addc_u32 s29, 0, s34
	s_mul_i32 s29, s36, s29
	s_mul_hi_u32 s34, s36, s28
	s_add_i32 s29, s34, s29
	s_mul_i32 s34, s37, s28
	s_add_i32 s38, s29, s34
	s_sub_i32 s34, s23, s38
	s_mul_i32 s28, s36, s28
	s_sub_u32 s22, s22, s28
	s_cselect_b64 s[28:29], -1, 0
	s_cmp_lg_u64 s[28:29], 0
	s_subb_u32 s39, s34, s37
	s_sub_u32 s40, s22, s36
	s_cselect_b64 s[34:35], -1, 0
	s_cmp_lg_u64 s[34:35], 0
	s_subb_u32 s41, s39, 0
	s_cmp_ge_u32 s41, s37
	s_cselect_b32 s42, -1, 0
	s_cmp_ge_u32 s40, s36
	s_cselect_b32 s43, -1, 0
	s_cmp_eq_u32 s41, s37
	s_cselect_b32 s42, s43, s42
	s_cmp_lg_u64 s[34:35], 0
	s_subb_u32 s39, s39, s37
	s_sub_u32 s43, s40, s36
	s_cselect_b64 s[34:35], -1, 0
	s_cmp_lg_u64 s[34:35], 0
	s_subb_u32 s34, s39, 0
	s_cmp_lg_u32 s42, 0
	s_cselect_b32 s35, s43, s40
	s_cselect_b32 s34, s34, s41
	s_cmp_lg_u64 s[28:29], 0
	s_subb_u32 s23, s23, s38
	s_cmp_ge_u32 s23, s37
	s_cselect_b32 s28, -1, 0
	s_cmp_ge_u32 s22, s36
	s_cselect_b32 s29, -1, 0
	s_cmp_eq_u32 s23, s37
	s_cselect_b32 s28, s29, s28
	s_cmp_lg_u32 s28, 0
	s_cselect_b32 s23, s34, s23
	s_cselect_b32 s22, s35, s22
	s_xor_b64 s[22:23], s[22:23], s[8:9]
	s_sub_u32 s28, s22, s8
	s_subb_u32 s29, s23, s8
	s_cbranch_execnz .LBB37_97
.LBB37_96:                              ;   in Loop: Header=BB37_16 Depth=1
	v_cvt_f32_u32_e32 v2, s33
	s_sub_i32 s8, 0, s33
	v_rcp_iflag_f32_e32 v2, v2
	v_mul_f32_e32 v2, 0x4f7ffffe, v2
	v_cvt_u32_f32_e32 v2, v2
	v_readfirstlane_b32 s9, v2
	s_mul_i32 s8, s8, s9
	s_mul_hi_u32 s8, s9, s8
	s_add_i32 s9, s9, s8
	s_mul_hi_u32 s8, s0, s9
	s_mul_i32 s8, s8, s33
	s_sub_i32 s8, s0, s8
	s_sub_i32 s9, s8, s33
	s_cmp_ge_u32 s8, s33
	s_cselect_b32 s8, s9, s8
	s_sub_i32 s9, s8, s33
	s_cmp_ge_u32 s8, s33
	s_cselect_b32 s52, s9, s8
	s_mov_b64 s[28:29], s[52:53]
.LBB37_97:                              ;   in Loop: Header=BB37_16 Depth=1
	s_sub_u32 s38, s0, s28
	s_subb_u32 s39, s63, s29
	v_cmp_gt_i64_e32 vcc, s[38:39], v[0:1]
	s_mov_b64 s[28:29], 0
	s_mov_b64 s[36:37], 0
                                        ; implicit-def: $vgpr49
	s_and_saveexec_b64 s[34:35], vcc
	s_cbranch_execz .LBB37_106
; %bb.98:                               ;   in Loop: Header=BB37_16 Depth=1
	v_mov_b32_e32 v8, v12
	v_mov_b32_e32 v11, v1
	;; [unrolled: 1-line block ×4, first 2 shown]
                                        ; implicit-def: $sgpr40_sgpr41
	s_branch .LBB37_101
.LBB37_99:                              ;   in Loop: Header=BB37_101 Depth=2
	s_or_b64 exec, exec, s[8:9]
	s_waitcnt lgkmcnt(0)
	s_barrier
	ds_read_b32 v2, v3 offset:3072
	s_mov_b64 s[8:9], -1
	s_mov_b64 s[42:43], -1
	s_waitcnt lgkmcnt(0)
	s_barrier
	v_cmp_ne_u32_sdwa s[22:23], v2, v3 src0_sel:WORD_0 src1_sel:DWORD
	s_and_b64 vcc, exec, s[22:23]
	s_cbranch_vccz .LBB37_104
.LBB37_100:                             ;   in Loop: Header=BB37_101 Depth=2
	s_and_b64 s[8:9], exec, s[8:9]
	s_or_b64 s[36:37], s[8:9], s[36:37]
	s_andn2_b64 s[8:9], s[40:41], exec
	s_and_b64 s[22:23], s[42:43], exec
	s_or_b64 s[40:41], s[8:9], s[22:23]
	s_andn2_b64 exec, exec, s[36:37]
	s_cbranch_execz .LBB37_105
.LBB37_101:                             ;   Parent Loop BB37_16 Depth=1
                                        ; =>  This Inner Loop Header: Depth=2
	v_cmp_gt_i64_e32 vcc, s[24:25], v[10:11]
	s_and_saveexec_b64 s[8:9], vcc
	s_cbranch_execz .LBB37_99
; %bb.102:                              ;   in Loop: Header=BB37_101 Depth=2
	global_load_ushort v2, v[8:9], off
	s_waitcnt vmcnt(0)
	v_add_u32_sdwa v28, sext(v2), s61 dst_sel:DWORD dst_unused:UNUSED_PAD src0_sel:WORD_0 src1_sel:DWORD
	v_and_b32_e32 v28, v28, v48
	v_cmp_eq_u32_e32 vcc, v28, v44
	s_and_b64 exec, exec, vcc
	s_cbranch_execz .LBB37_99
; %bb.103:                              ;   in Loop: Header=BB37_101 Depth=2
	v_perm_b32 v2, v2, 1, v47
	ds_write_b32 v3, v2 offset:3072
	s_branch .LBB37_99
.LBB37_104:                             ;   in Loop: Header=BB37_101 Depth=2
	v_add_co_u32_e32 v10, vcc, s33, v10
	v_addc_co_u32_e32 v11, vcc, 0, v11, vcc
	v_mov_b32_e32 v28, s59
	v_add_co_u32_e32 v8, vcc, s58, v8
	v_addc_co_u32_e32 v9, vcc, v9, v28, vcc
	v_cmp_le_i64_e32 vcc, s[38:39], v[10:11]
	s_mov_b64 s[42:43], 0
	s_orn2_b64 s[8:9], vcc, exec
	s_branch .LBB37_100
.LBB37_105:                             ;   in Loop: Header=BB37_16 Depth=1
	s_or_b64 exec, exec, s[36:37]
	v_lshrrev_b32_e32 v49, 16, v2
	s_and_b64 s[36:37], s[40:41], exec
.LBB37_106:                             ;   in Loop: Header=BB37_16 Depth=1
	s_or_b64 exec, exec, s[34:35]
.LBB37_107:                             ;   in Loop: Header=BB37_16 Depth=1
	s_and_b64 vcc, exec, s[28:29]
	s_cbranch_vccz .LBB37_121
; %bb.108:                              ;   in Loop: Header=BB37_16 Depth=1
	v_readlane_b32 s8, v58, 18
	s_add_u32 s22, s6, s8
	v_readlane_b32 s8, v58, 19
	s_addc_u32 s15, s7, s8
	s_mov_b32 s14, s53
	s_cmp_lg_u64 s[14:15], 0
	s_cbranch_scc0 .LBB37_149
; %bb.109:                              ;   in Loop: Header=BB37_16 Depth=1
	s_add_u32 s8, s33, 0
	s_addc_u32 s9, 0, 0
	s_xor_b64 s[26:27], s[8:9], 0
	v_cvt_f32_u32_e32 v2, s26
	v_cvt_f32_u32_e32 v8, s27
	s_sub_u32 s14, 0, s26
	s_subb_u32 s23, 0, s27
	v_mac_f32_e32 v2, 0x4f800000, v8
	v_rcp_f32_e32 v2, v2
	v_mul_f32_e32 v2, 0x5f7ffffc, v2
	v_mul_f32_e32 v8, 0x2f800000, v2
	v_trunc_f32_e32 v8, v8
	v_mac_f32_e32 v2, 0xcf800000, v8
	v_cvt_u32_f32_e32 v8, v8
	v_cvt_u32_f32_e32 v2, v2
	v_readfirstlane_b32 s28, v8
	v_readfirstlane_b32 s8, v2
	s_mul_i32 s9, s14, s28
	s_mul_hi_u32 s34, s14, s8
	s_mul_i32 s29, s23, s8
	s_add_i32 s9, s34, s9
	s_mul_i32 s35, s14, s8
	s_add_i32 s9, s9, s29
	s_mul_i32 s34, s8, s9
	s_mul_hi_u32 s38, s8, s35
	s_mul_hi_u32 s29, s8, s9
	s_add_u32 s34, s38, s34
	s_addc_u32 s29, 0, s29
	s_mul_hi_u32 s39, s28, s35
	s_mul_i32 s35, s28, s35
	s_add_u32 s34, s34, s35
	s_mul_hi_u32 s38, s28, s9
	s_addc_u32 s29, s29, s39
	s_addc_u32 s34, s38, 0
	s_mul_i32 s9, s28, s9
	s_add_u32 s9, s29, s9
	s_addc_u32 s29, 0, s34
	s_add_u32 s34, s8, s9
	s_cselect_b64 s[8:9], -1, 0
	s_cmp_lg_u64 s[8:9], 0
	s_addc_u32 s28, s28, s29
	s_mul_i32 s8, s14, s28
	s_mul_hi_u32 s9, s14, s34
	s_add_i32 s8, s9, s8
	s_mul_i32 s23, s23, s34
	s_add_i32 s8, s8, s23
	s_mul_i32 s14, s14, s34
	s_mul_hi_u32 s23, s28, s14
	s_mul_i32 s29, s28, s14
	s_mul_i32 s38, s34, s8
	s_mul_hi_u32 s14, s34, s14
	s_mul_hi_u32 s35, s34, s8
	s_add_u32 s14, s14, s38
	s_addc_u32 s35, 0, s35
	s_add_u32 s14, s14, s29
	s_mul_hi_u32 s9, s28, s8
	s_addc_u32 s14, s35, s23
	s_addc_u32 s9, s9, 0
	s_mul_i32 s8, s28, s8
	s_add_u32 s8, s14, s8
	s_addc_u32 s14, 0, s9
	s_add_u32 s23, s34, s8
	s_cselect_b64 s[8:9], -1, 0
	s_cmp_lg_u64 s[8:9], 0
	s_addc_u32 s14, s28, s14
	s_ashr_i32 s8, s15, 31
	s_add_u32 s28, s22, s8
	s_mov_b32 s9, s8
	s_addc_u32 s29, s15, s8
	s_xor_b64 s[28:29], s[28:29], s[8:9]
	s_mul_i32 s35, s28, s14
	s_mul_hi_u32 s38, s28, s23
	s_mul_hi_u32 s34, s28, s14
	s_add_u32 s35, s38, s35
	s_addc_u32 s34, 0, s34
	s_mul_hi_u32 s39, s29, s23
	s_mul_i32 s23, s29, s23
	s_add_u32 s23, s35, s23
	s_mul_hi_u32 s38, s29, s14
	s_addc_u32 s23, s34, s39
	s_addc_u32 s34, s38, 0
	s_mul_i32 s14, s29, s14
	s_add_u32 s14, s23, s14
	s_addc_u32 s23, 0, s34
	s_mul_i32 s23, s26, s23
	s_mul_hi_u32 s34, s26, s14
	s_add_i32 s23, s34, s23
	s_mul_i32 s34, s27, s14
	s_add_i32 s23, s23, s34
	s_sub_i32 s38, s29, s23
	s_mul_i32 s14, s26, s14
	s_sub_u32 s14, s28, s14
	s_cselect_b64 s[34:35], -1, 0
	s_cmp_lg_u64 s[34:35], 0
	s_subb_u32 s28, s38, s27
	s_sub_u32 s40, s14, s26
	s_cselect_b64 s[38:39], -1, 0
	s_cmp_lg_u64 s[38:39], 0
	s_subb_u32 s41, s28, 0
	s_cmp_ge_u32 s41, s27
	s_cselect_b32 s42, -1, 0
	s_cmp_ge_u32 s40, s26
	s_cselect_b32 s43, -1, 0
	s_cmp_eq_u32 s41, s27
	s_cselect_b32 s42, s43, s42
	s_cmp_lg_u64 s[38:39], 0
	s_subb_u32 s28, s28, s27
	s_sub_u32 s43, s40, s26
	s_cselect_b64 s[38:39], -1, 0
	s_cmp_lg_u64 s[38:39], 0
	s_subb_u32 s28, s28, 0
	s_cmp_lg_u32 s42, 0
	s_cselect_b32 s38, s43, s40
	s_cselect_b32 s28, s28, s41
	s_cmp_lg_u64 s[34:35], 0
	s_subb_u32 s23, s29, s23
	s_cmp_ge_u32 s23, s27
	s_cselect_b32 s29, -1, 0
	s_cmp_ge_u32 s14, s26
	s_cselect_b32 s26, -1, 0
	s_cmp_eq_u32 s23, s27
	s_cselect_b32 s26, s26, s29
	s_cmp_lg_u32 s26, 0
	s_cselect_b32 s27, s28, s23
	s_cselect_b32 s26, s38, s14
	s_xor_b64 s[26:27], s[26:27], s[8:9]
	s_sub_u32 s26, s26, s8
	s_subb_u32 s27, s27, s8
	s_cbranch_execnz .LBB37_111
.LBB37_110:                             ;   in Loop: Header=BB37_16 Depth=1
	v_cvt_f32_u32_e32 v2, s33
	s_sub_i32 s8, 0, s33
	v_rcp_iflag_f32_e32 v2, v2
	v_mul_f32_e32 v2, 0x4f7ffffe, v2
	v_cvt_u32_f32_e32 v2, v2
	v_readfirstlane_b32 s9, v2
	s_mul_i32 s8, s8, s9
	s_mul_hi_u32 s8, s9, s8
	s_add_i32 s9, s9, s8
	s_mul_hi_u32 s8, s22, s9
	s_mul_i32 s8, s8, s33
	s_sub_i32 s8, s22, s8
	s_sub_i32 s9, s8, s33
	s_cmp_ge_u32 s8, s33
	s_cselect_b32 s8, s9, s8
	s_sub_i32 s9, s8, s33
	s_cmp_ge_u32 s8, s33
	s_cselect_b32 s52, s9, s8
	s_mov_b64 s[26:27], s[52:53]
.LBB37_111:                             ;   in Loop: Header=BB37_16 Depth=1
	s_sub_u32 s26, s22, s26
	s_subb_u32 s27, s15, s27
	v_cmp_gt_i64_e32 vcc, s[26:27], v[0:1]
                                        ; implicit-def: $vgpr49
	s_and_saveexec_b64 s[14:15], vcc
	s_cbranch_execz .LBB37_120
; %bb.112:                              ;   in Loop: Header=BB37_16 Depth=1
	v_mov_b32_e32 v9, v1
	s_mov_b64 s[28:29], 0
	v_mov_b32_e32 v2, v45
	v_mov_b32_e32 v8, v0
                                        ; implicit-def: $sgpr34_sgpr35
	s_branch .LBB37_115
.LBB37_113:                             ;   in Loop: Header=BB37_115 Depth=2
	s_or_b64 exec, exec, s[8:9]
	s_waitcnt lgkmcnt(0)
	s_barrier
	ds_read_b32 v10, v3 offset:3072
	s_mov_b64 s[8:9], -1
	s_mov_b64 s[38:39], -1
	s_waitcnt lgkmcnt(0)
	s_barrier
	v_cmp_ne_u32_sdwa s[22:23], v10, v3 src0_sel:WORD_0 src1_sel:DWORD
	s_and_b64 vcc, exec, s[22:23]
	s_cbranch_vccz .LBB37_118
.LBB37_114:                             ;   in Loop: Header=BB37_115 Depth=2
	s_and_b64 s[8:9], exec, s[8:9]
	s_or_b64 s[28:29], s[8:9], s[28:29]
	s_andn2_b64 s[8:9], s[34:35], exec
	s_and_b64 s[22:23], s[38:39], exec
	s_or_b64 s[34:35], s[8:9], s[22:23]
	s_andn2_b64 exec, exec, s[28:29]
	s_cbranch_execz .LBB37_119
.LBB37_115:                             ;   Parent Loop BB37_16 Depth=1
                                        ; =>  This Inner Loop Header: Depth=2
	v_cmp_gt_u64_e32 vcc, s[6:7], v[8:9]
	s_and_saveexec_b64 s[8:9], vcc
	s_cbranch_execz .LBB37_113
; %bb.116:                              ;   in Loop: Header=BB37_115 Depth=2
	ds_read_u16 v10, v2
	s_waitcnt lgkmcnt(0)
	v_add_u32_sdwa v11, sext(v10), s61 dst_sel:DWORD dst_unused:UNUSED_PAD src0_sel:WORD_0 src1_sel:DWORD
	v_and_b32_e32 v11, v11, v48
	v_cmp_eq_u32_e32 vcc, v11, v44
	s_and_b64 exec, exec, vcc
	s_cbranch_execz .LBB37_113
; %bb.117:                              ;   in Loop: Header=BB37_115 Depth=2
	v_perm_b32 v10, v10, 1, v47
	ds_write_b32 v3, v10 offset:3072
	s_branch .LBB37_113
.LBB37_118:                             ;   in Loop: Header=BB37_115 Depth=2
	v_add_co_u32_e32 v8, vcc, s33, v8
	v_addc_co_u32_e32 v9, vcc, 0, v9, vcc
	v_cmp_le_i64_e32 vcc, s[26:27], v[8:9]
	v_add_u32_e32 v2, s60, v2
	s_mov_b64 s[38:39], 0
	s_orn2_b64 s[8:9], vcc, exec
	s_branch .LBB37_114
.LBB37_119:                             ;   in Loop: Header=BB37_16 Depth=1
	s_or_b64 exec, exec, s[28:29]
	s_andn2_b64 s[6:7], s[36:37], exec
	s_and_b64 s[8:9], s[34:35], exec
	v_lshrrev_b32_e32 v49, 16, v10
	s_or_b64 s[36:37], s[6:7], s[8:9]
.LBB37_120:                             ;   in Loop: Header=BB37_16 Depth=1
	s_or_b64 exec, exec, s[14:15]
	s_mov_b64 s[14:15], 0
	s_mov_b64 s[26:27], -1
.LBB37_121:                             ;   in Loop: Header=BB37_16 Depth=1
	s_orn2_b64 s[6:7], s[36:37], exec
.LBB37_122:                             ;   in Loop: Header=BB37_16 Depth=1
	s_or_b64 exec, exec, s[18:19]
	s_andn2_b64 s[8:9], s[88:89], exec
	s_and_b64 s[18:19], s[26:27], exec
	s_or_b64 s[88:89], s[8:9], s[18:19]
	s_andn2_b64 s[8:9], s[86:87], exec
	s_and_b64 s[14:15], s[14:15], exec
	s_andn2_b64 s[84:85], s[84:85], exec
	s_or_b64 s[86:87], s[8:9], s[14:15]
                                        ; implicit-def: $vgpr8_vgpr9
	s_and_saveexec_b64 s[18:19], s[6:7]
	s_cbranch_execz .LBB37_15
; %bb.123:                              ;   in Loop: Header=BB37_16 Depth=1
	v_mov_b32_e32 v8, 1
	s_xor_b64 s[6:7], s[20:21], -1
	v_mov_b32_e32 v2, 1
	v_mov_b32_e32 v9, 0
	s_mov_b64 s[14:15], 0
	s_and_saveexec_b64 s[4:5], s[6:7]
	s_cbranch_execz .LBB37_132
; %bb.124:                              ;   in Loop: Header=BB37_16 Depth=1
	v_cmp_le_i64_e32 vcc, v[26:27], v[4:5]
	s_and_saveexec_b64 s[6:7], vcc
	s_xor_b64 s[6:7], exec, s[6:7]
	s_cbranch_execz .LBB37_129
; %bb.125:                              ;   in Loop: Header=BB37_16 Depth=1
	ds_read_b64 v[8:9], v3 offset:5120
	v_and_b32_e32 v44, s13, v44
	v_or_b32_e32 v48, s12, v48
	s_waitcnt lgkmcnt(0)
	v_cmp_ne_u64_e32 vcc, 0, v[8:9]
	s_cbranch_vccnz .LBB37_129
; %bb.126:                              ;   in Loop: Header=BB37_16 Depth=1
	s_mov_b64 s[8:9], exec
	v_readlane_b32 s14, v58, 12
	v_readlane_b32 s15, v58, 13
	s_and_b64 s[14:15], s[8:9], s[14:15]
	s_mov_b64 exec, s[14:15]
; %bb.127:                              ;   in Loop: Header=BB37_16 Depth=1
	ds_write_b64 v3, v[4:5] offset:5128
; %bb.128:                              ;   in Loop: Header=BB37_16 Depth=1
	s_or_b64 exec, exec, s[8:9]
	s_waitcnt lgkmcnt(0)
	s_barrier
.LBB37_129:                             ;   in Loop: Header=BB37_16 Depth=1
	s_or_saveexec_b64 s[6:7], s[6:7]
	s_mov_b64 s[14:15], 0
	v_mov_b32_e32 v2, 8
	s_xor_b64 exec, exec, s[6:7]
; %bb.130:                              ;   in Loop: Header=BB37_16 Depth=1
	v_sub_co_u32_e32 v26, vcc, v26, v4
	v_subb_co_u32_e32 v27, vcc, v27, v5, vcc
	v_mov_b32_e32 v2, 0
	s_mov_b64 s[14:15], exec
; %bb.131:                              ;   in Loop: Header=BB37_16 Depth=1
	s_or_b64 exec, exec, s[6:7]
	v_mov_b32_e32 v8, v26
	s_and_b64 s[14:15], s[14:15], exec
	v_mov_b32_e32 v9, v27
.LBB37_132:                             ;   in Loop: Header=BB37_16 Depth=1
	s_or_b64 exec, exec, s[4:5]
	s_mov_b64 s[20:21], -1
	s_mov_b64 s[6:7], -1
                                        ; implicit-def: $sgpr4_sgpr5
                                        ; implicit-def: $sgpr92_sgpr93
	s_and_saveexec_b64 s[8:9], s[14:15]
	s_xor_b64 s[26:27], exec, s[8:9]
	s_cbranch_execz .LBB37_274
; %bb.133:                              ;   in Loop: Header=BB37_16 Depth=1
	v_cmp_eq_u64_e32 vcc, 1, v[6:7]
	v_cmp_eq_u64_e64 s[4:5], 1, v[8:9]
                                        ; implicit-def: $sgpr92_sgpr93
	s_and_b64 s[36:37], vcc, s[4:5]
                                        ; implicit-def: $sgpr4_sgpr5
	s_and_saveexec_b64 s[38:39], s[36:37]
	s_cbranch_execz .LBB37_167
; %bb.134:                              ;   in Loop: Header=BB37_16 Depth=1
	ds_read_b64 v[4:5], v3 offset:5120
	s_waitcnt lgkmcnt(0)
	s_barrier
	v_readfirstlane_b32 s40, v4
	v_readfirstlane_b32 s41, v5
	s_mov_b64 s[4:5], exec
	v_readlane_b32 s6, v58, 39
	v_readlane_b32 s7, v58, 40
	s_and_b64 s[6:7], s[4:5], s[6:7]
	s_mov_b64 exec, s[6:7]
; %bb.135:                              ;   in Loop: Header=BB37_16 Depth=1
	ds_write_b16 v46, v3
; %bb.136:                              ;   in Loop: Header=BB37_16 Depth=1
	s_or_b64 exec, exec, s[4:5]
	v_cmp_gt_i64_e64 s[6:7], s[40:41], 0
	v_and_b32_e32 v4, s13, v44
	v_lshl_or_b32 v44, 1, s70, v4
	v_or_b32_e32 v48, s12, v48
	s_mov_b64 s[4:5], -1
	s_mov_b64 s[92:93], 0
	s_and_b64 vcc, exec, s[6:7]
	s_mov_b64 s[6:7], 0
	s_mov_b64 s[14:15], -1
	s_waitcnt lgkmcnt(0)
	s_barrier
                                        ; implicit-def: $vgpr49
	s_cbranch_vccnz .LBB37_152
; %bb.137:                              ;   in Loop: Header=BB37_16 Depth=1
	s_mov_b32 s62, s53
	s_cmp_lg_u64 s[62:63], 0
	s_cbranch_scc0 .LBB37_194
; %bb.138:                              ;   in Loop: Header=BB37_16 Depth=1
	s_add_u32 s6, s33, 0
	s_addc_u32 s7, 0, 0
	s_xor_b64 s[6:7], s[6:7], 0
	v_cvt_f32_u32_e32 v4, s6
	v_cvt_f32_u32_e32 v5, s7
	s_sub_u32 s14, 0, s6
	s_subb_u32 s15, 0, s7
	v_mac_f32_e32 v4, 0x4f800000, v5
	v_rcp_f32_e32 v4, v4
	v_mul_f32_e32 v4, 0x5f7ffffc, v4
	v_mul_f32_e32 v5, 0x2f800000, v4
	v_trunc_f32_e32 v5, v5
	v_mac_f32_e32 v4, 0xcf800000, v5
	v_cvt_u32_f32_e32 v5, v5
	v_cvt_u32_f32_e32 v4, v4
	v_readfirstlane_b32 s22, v5
	v_readfirstlane_b32 s8, v4
	s_mul_i32 s9, s14, s22
	s_mul_hi_u32 s28, s14, s8
	s_mul_i32 s23, s15, s8
	s_add_i32 s9, s28, s9
	s_mul_i32 s29, s14, s8
	s_add_i32 s9, s9, s23
	s_mul_i32 s28, s8, s9
	s_mul_hi_u32 s34, s8, s29
	s_mul_hi_u32 s23, s8, s9
	s_add_u32 s28, s34, s28
	s_addc_u32 s23, 0, s23
	s_mul_hi_u32 s35, s22, s29
	s_mul_i32 s29, s22, s29
	s_add_u32 s28, s28, s29
	s_mul_hi_u32 s34, s22, s9
	s_addc_u32 s23, s23, s35
	s_addc_u32 s28, s34, 0
	s_mul_i32 s9, s22, s9
	s_add_u32 s9, s23, s9
	s_addc_u32 s23, 0, s28
	s_add_u32 s28, s8, s9
	s_cselect_b64 s[8:9], -1, 0
	s_cmp_lg_u64 s[8:9], 0
	s_addc_u32 s22, s22, s23
	s_mul_i32 s8, s14, s22
	s_mul_hi_u32 s9, s14, s28
	s_add_i32 s8, s9, s8
	s_mul_i32 s15, s15, s28
	s_add_i32 s8, s8, s15
	s_mul_i32 s14, s14, s28
	s_mul_hi_u32 s15, s22, s14
	s_mul_i32 s23, s22, s14
	s_mul_i32 s34, s28, s8
	s_mul_hi_u32 s14, s28, s14
	s_mul_hi_u32 s29, s28, s8
	s_add_u32 s14, s14, s34
	s_addc_u32 s29, 0, s29
	s_add_u32 s14, s14, s23
	s_mul_hi_u32 s9, s22, s8
	s_addc_u32 s14, s29, s15
	s_addc_u32 s9, s9, 0
	s_mul_i32 s8, s22, s8
	s_add_u32 s8, s14, s8
	s_addc_u32 s14, 0, s9
	s_add_u32 s23, s28, s8
	s_cselect_b64 s[8:9], -1, 0
	s_cmp_lg_u64 s[8:9], 0
	s_addc_u32 s22, s22, s14
	s_ashr_i32 s8, s63, 31
	s_add_u32 s14, s0, s8
	s_mov_b32 s9, s8
	s_addc_u32 s15, s63, s8
	s_xor_b64 s[14:15], s[14:15], s[8:9]
	s_mul_i32 s29, s14, s22
	s_mul_hi_u32 s34, s14, s23
	s_mul_hi_u32 s28, s14, s22
	s_add_u32 s29, s34, s29
	s_addc_u32 s28, 0, s28
	s_mul_hi_u32 s35, s15, s23
	s_mul_i32 s23, s15, s23
	s_add_u32 s23, s29, s23
	s_mul_hi_u32 s34, s15, s22
	s_addc_u32 s23, s28, s35
	s_addc_u32 s28, s34, 0
	s_mul_i32 s22, s15, s22
	s_add_u32 s22, s23, s22
	s_addc_u32 s23, 0, s28
	s_mul_i32 s23, s6, s23
	s_mul_hi_u32 s28, s6, s22
	s_add_i32 s23, s28, s23
	s_mul_i32 s28, s7, s22
	s_add_i32 s34, s23, s28
	s_sub_i32 s28, s15, s34
	s_mul_i32 s22, s6, s22
	s_sub_u32 s14, s14, s22
	s_cselect_b64 s[22:23], -1, 0
	s_cmp_lg_u64 s[22:23], 0
	s_subb_u32 s35, s28, s7
	s_sub_u32 s42, s14, s6
	s_cselect_b64 s[28:29], -1, 0
	s_cmp_lg_u64 s[28:29], 0
	s_subb_u32 s43, s35, 0
	s_cmp_ge_u32 s43, s7
	s_cselect_b32 s44, -1, 0
	s_cmp_ge_u32 s42, s6
	s_cselect_b32 s45, -1, 0
	s_cmp_eq_u32 s43, s7
	s_cselect_b32 s44, s45, s44
	s_cmp_lg_u64 s[28:29], 0
	s_subb_u32 s35, s35, s7
	s_sub_u32 s45, s42, s6
	s_cselect_b64 s[28:29], -1, 0
	s_cmp_lg_u64 s[28:29], 0
	s_subb_u32 s28, s35, 0
	s_cmp_lg_u32 s44, 0
	s_cselect_b32 s29, s45, s42
	s_cselect_b32 s28, s28, s43
	s_cmp_lg_u64 s[22:23], 0
	s_subb_u32 s15, s15, s34
	s_cmp_ge_u32 s15, s7
	s_cselect_b32 s22, -1, 0
	s_cmp_ge_u32 s14, s6
	s_cselect_b32 s6, -1, 0
	s_cmp_eq_u32 s15, s7
	s_cselect_b32 s6, s6, s22
	s_cmp_lg_u32 s6, 0
	s_cselect_b32 s7, s28, s15
	s_cselect_b32 s6, s29, s14
	s_xor_b64 s[6:7], s[6:7], s[8:9]
	s_sub_u32 s6, s6, s8
	s_subb_u32 s7, s7, s8
	s_cbranch_execnz .LBB37_140
.LBB37_139:                             ;   in Loop: Header=BB37_16 Depth=1
	v_cvt_f32_u32_e32 v4, s33
	s_sub_i32 s6, 0, s33
	v_rcp_iflag_f32_e32 v4, v4
	v_mul_f32_e32 v4, 0x4f7ffffe, v4
	v_cvt_u32_f32_e32 v4, v4
	v_readfirstlane_b32 s7, v4
	s_mul_i32 s6, s6, s7
	s_mul_hi_u32 s6, s7, s6
	s_add_i32 s7, s7, s6
	s_mul_hi_u32 s6, s0, s7
	s_mul_i32 s6, s6, s33
	s_sub_i32 s6, s0, s6
	s_sub_i32 s7, s6, s33
	s_cmp_ge_u32 s6, s33
	s_cselect_b32 s6, s7, s6
	s_sub_i32 s7, s6, s33
	s_cmp_ge_u32 s6, s33
	s_cselect_b32 s52, s7, s6
	s_mov_b64 s[6:7], s[52:53]
.LBB37_140:                             ;   in Loop: Header=BB37_16 Depth=1
	s_sub_u32 s34, s0, s6
	s_subb_u32 s35, s63, s7
	v_cmp_gt_i64_e32 vcc, s[34:35], v[0:1]
	s_mov_b64 s[14:15], 0
	s_mov_b64 s[6:7], 0
                                        ; implicit-def: $vgpr49
	s_and_saveexec_b64 s[28:29], vcc
	s_cbranch_execz .LBB37_151
; %bb.141:                              ;   in Loop: Header=BB37_16 Depth=1
	v_mov_b32_e32 v4, v12
	v_mov_b32_e32 v11, v1
	;; [unrolled: 1-line block ×4, first 2 shown]
                                        ; implicit-def: $sgpr42_sgpr43
	s_branch .LBB37_144
.LBB37_142:                             ;   in Loop: Header=BB37_144 Depth=2
	s_or_b64 exec, exec, s[44:45]
	s_waitcnt lgkmcnt(0)
	s_barrier
	ds_read_b32 v26, v3 offset:3072
	s_mov_b64 s[8:9], -1
	s_mov_b64 s[44:45], -1
	s_waitcnt lgkmcnt(0)
	s_barrier
	v_cmp_ne_u32_sdwa s[22:23], v26, v3 src0_sel:WORD_0 src1_sel:DWORD
	s_and_b64 vcc, exec, s[22:23]
	s_cbranch_vccz .LBB37_147
.LBB37_143:                             ;   in Loop: Header=BB37_144 Depth=2
	s_and_b64 s[8:9], exec, s[8:9]
	s_or_b64 s[6:7], s[8:9], s[6:7]
	s_andn2_b64 s[8:9], s[42:43], exec
	s_and_b64 s[22:23], s[44:45], exec
	s_or_b64 s[42:43], s[8:9], s[22:23]
	s_andn2_b64 exec, exec, s[6:7]
	s_cbranch_execz .LBB37_150
.LBB37_144:                             ;   Parent Loop BB37_16 Depth=1
                                        ; =>  This Inner Loop Header: Depth=2
	v_cmp_gt_i64_e32 vcc, s[24:25], v[10:11]
	s_and_saveexec_b64 s[44:45], vcc
	s_cbranch_execz .LBB37_142
; %bb.145:                              ;   in Loop: Header=BB37_144 Depth=2
	global_load_ushort v26, v[4:5], off
	s_waitcnt vmcnt(0)
	v_add_u32_sdwa v27, sext(v26), s61 dst_sel:DWORD dst_unused:UNUSED_PAD src0_sel:WORD_0 src1_sel:DWORD
	v_and_b32_e32 v27, v27, v48
	v_cmp_eq_u32_e32 vcc, v27, v44
	s_and_b64 exec, exec, vcc
	s_cbranch_execz .LBB37_142
; %bb.146:                              ;   in Loop: Header=BB37_144 Depth=2
	v_perm_b32 v26, v26, 1, v47
	ds_write_b32 v3, v26 offset:3072
	s_branch .LBB37_142
.LBB37_147:                             ;   in Loop: Header=BB37_144 Depth=2
	v_add_co_u32_e32 v10, vcc, s33, v10
	v_addc_co_u32_e32 v11, vcc, 0, v11, vcc
	v_mov_b32_e32 v27, s59
	v_add_co_u32_e32 v4, vcc, s58, v4
	v_addc_co_u32_e32 v5, vcc, v5, v27, vcc
	v_cmp_le_i64_e32 vcc, s[34:35], v[10:11]
	s_mov_b64 s[44:45], 0
	s_orn2_b64 s[8:9], vcc, exec
	s_branch .LBB37_143
.LBB37_148:                             ;   in Loop: Header=BB37_16 Depth=1
                                        ; implicit-def: $sgpr28_sgpr29
	s_branch .LBB37_96
.LBB37_149:                             ;   in Loop: Header=BB37_16 Depth=1
                                        ; implicit-def: $sgpr26_sgpr27
	s_branch .LBB37_110
.LBB37_150:                             ;   in Loop: Header=BB37_16 Depth=1
	s_or_b64 exec, exec, s[6:7]
	v_lshrrev_b32_e32 v49, 16, v26
	s_and_b64 s[6:7], s[42:43], exec
.LBB37_151:                             ;   in Loop: Header=BB37_16 Depth=1
	s_or_b64 exec, exec, s[28:29]
.LBB37_152:                             ;   in Loop: Header=BB37_16 Depth=1
	s_and_b64 vcc, exec, s[14:15]
	s_cbranch_vccz .LBB37_166
; %bb.153:                              ;   in Loop: Header=BB37_16 Depth=1
	v_readlane_b32 s4, v58, 18
	s_add_u32 s22, s40, s4
	v_readlane_b32 s4, v58, 19
	s_addc_u32 s5, s41, s4
	s_mov_b32 s4, s53
	s_cmp_lg_u64 s[4:5], 0
	s_cbranch_scc0 .LBB37_195
; %bb.154:                              ;   in Loop: Header=BB37_16 Depth=1
	s_add_u32 s8, s33, 0
	s_addc_u32 s9, 0, 0
	s_xor_b64 s[14:15], s[8:9], 0
	v_cvt_f32_u32_e32 v4, s14
	v_cvt_f32_u32_e32 v5, s15
	s_sub_u32 s4, 0, s14
	s_subb_u32 s23, 0, s15
	v_mac_f32_e32 v4, 0x4f800000, v5
	v_rcp_f32_e32 v4, v4
	v_mul_f32_e32 v4, 0x5f7ffffc, v4
	v_mul_f32_e32 v5, 0x2f800000, v4
	v_trunc_f32_e32 v5, v5
	v_mac_f32_e32 v4, 0xcf800000, v5
	v_cvt_u32_f32_e32 v5, v5
	v_cvt_u32_f32_e32 v4, v4
	v_readfirstlane_b32 s28, v5
	v_readfirstlane_b32 s8, v4
	s_mul_i32 s9, s4, s28
	s_mul_hi_u32 s34, s4, s8
	s_mul_i32 s29, s23, s8
	s_add_i32 s9, s34, s9
	s_mul_i32 s35, s4, s8
	s_add_i32 s9, s9, s29
	s_mul_i32 s34, s8, s9
	s_mul_hi_u32 s42, s8, s35
	s_mul_hi_u32 s29, s8, s9
	s_add_u32 s34, s42, s34
	s_addc_u32 s29, 0, s29
	s_mul_hi_u32 s43, s28, s35
	s_mul_i32 s35, s28, s35
	s_add_u32 s34, s34, s35
	s_mul_hi_u32 s42, s28, s9
	s_addc_u32 s29, s29, s43
	s_addc_u32 s34, s42, 0
	s_mul_i32 s9, s28, s9
	s_add_u32 s9, s29, s9
	s_addc_u32 s29, 0, s34
	s_add_u32 s34, s8, s9
	s_cselect_b64 s[8:9], -1, 0
	s_cmp_lg_u64 s[8:9], 0
	s_addc_u32 s28, s28, s29
	s_mul_i32 s8, s4, s28
	s_mul_hi_u32 s9, s4, s34
	s_add_i32 s8, s9, s8
	s_mul_i32 s23, s23, s34
	s_add_i32 s8, s8, s23
	s_mul_i32 s4, s4, s34
	s_mul_hi_u32 s23, s28, s4
	s_mul_i32 s29, s28, s4
	s_mul_i32 s42, s34, s8
	s_mul_hi_u32 s4, s34, s4
	s_mul_hi_u32 s35, s34, s8
	s_add_u32 s4, s4, s42
	s_addc_u32 s35, 0, s35
	s_add_u32 s4, s4, s29
	s_mul_hi_u32 s9, s28, s8
	s_addc_u32 s4, s35, s23
	s_addc_u32 s9, s9, 0
	s_mul_i32 s8, s28, s8
	s_add_u32 s4, s4, s8
	s_addc_u32 s23, 0, s9
	s_add_u32 s4, s34, s4
	s_cselect_b64 s[8:9], -1, 0
	s_cmp_lg_u64 s[8:9], 0
	s_addc_u32 s23, s28, s23
	s_ashr_i32 s8, s5, 31
	s_add_u32 s28, s22, s8
	s_mov_b32 s9, s8
	s_addc_u32 s29, s5, s8
	s_xor_b64 s[28:29], s[28:29], s[8:9]
	s_mul_i32 s35, s28, s23
	s_mul_hi_u32 s42, s28, s4
	s_mul_hi_u32 s34, s28, s23
	s_add_u32 s35, s42, s35
	s_addc_u32 s34, 0, s34
	s_mul_hi_u32 s43, s29, s4
	s_mul_i32 s4, s29, s4
	s_add_u32 s4, s35, s4
	s_mul_hi_u32 s42, s29, s23
	s_addc_u32 s4, s34, s43
	s_addc_u32 s34, s42, 0
	s_mul_i32 s23, s29, s23
	s_add_u32 s4, s4, s23
	s_addc_u32 s23, 0, s34
	s_mul_i32 s23, s14, s23
	s_mul_hi_u32 s34, s14, s4
	s_add_i32 s23, s34, s23
	s_mul_i32 s34, s15, s4
	s_add_i32 s23, s23, s34
	s_sub_i32 s42, s29, s23
	s_mul_i32 s4, s14, s4
	s_sub_u32 s4, s28, s4
	s_cselect_b64 s[34:35], -1, 0
	s_cmp_lg_u64 s[34:35], 0
	s_subb_u32 s28, s42, s15
	s_sub_u32 s44, s4, s14
	s_cselect_b64 s[42:43], -1, 0
	s_cmp_lg_u64 s[42:43], 0
	s_subb_u32 s45, s28, 0
	s_cmp_ge_u32 s45, s15
	s_cselect_b32 s46, -1, 0
	s_cmp_ge_u32 s44, s14
	s_cselect_b32 s47, -1, 0
	s_cmp_eq_u32 s45, s15
	s_cselect_b32 s46, s47, s46
	s_cmp_lg_u64 s[42:43], 0
	s_subb_u32 s28, s28, s15
	s_sub_u32 s47, s44, s14
	s_cselect_b64 s[42:43], -1, 0
	s_cmp_lg_u64 s[42:43], 0
	s_subb_u32 s28, s28, 0
	s_cmp_lg_u32 s46, 0
	s_cselect_b32 s42, s47, s44
	s_cselect_b32 s28, s28, s45
	s_cmp_lg_u64 s[34:35], 0
	s_subb_u32 s23, s29, s23
	s_cmp_ge_u32 s23, s15
	s_cselect_b32 s29, -1, 0
	s_cmp_ge_u32 s4, s14
	s_cselect_b32 s14, -1, 0
	s_cmp_eq_u32 s23, s15
	s_cselect_b32 s14, s14, s29
	s_cmp_lg_u32 s14, 0
	s_cselect_b32 s15, s28, s23
	s_cselect_b32 s14, s42, s4
	s_xor_b64 s[14:15], s[14:15], s[8:9]
	s_sub_u32 s14, s14, s8
	s_subb_u32 s15, s15, s8
	s_cbranch_execnz .LBB37_156
.LBB37_155:                             ;   in Loop: Header=BB37_16 Depth=1
	v_cvt_f32_u32_e32 v4, s33
	s_sub_i32 s4, 0, s33
	v_rcp_iflag_f32_e32 v4, v4
	v_mul_f32_e32 v4, 0x4f7ffffe, v4
	v_cvt_u32_f32_e32 v4, v4
	v_readfirstlane_b32 s8, v4
	s_mul_i32 s4, s4, s8
	s_mul_hi_u32 s4, s8, s4
	s_add_i32 s8, s8, s4
	s_mul_hi_u32 s4, s22, s8
	s_mul_i32 s4, s4, s33
	s_sub_i32 s4, s22, s4
	s_sub_i32 s8, s4, s33
	s_cmp_ge_u32 s4, s33
	s_cselect_b32 s4, s8, s4
	s_sub_i32 s8, s4, s33
	s_cmp_ge_u32 s4, s33
	s_cselect_b32 s52, s8, s4
	s_mov_b64 s[14:15], s[52:53]
.LBB37_156:                             ;   in Loop: Header=BB37_16 Depth=1
	s_sub_u32 s14, s22, s14
	s_subb_u32 s15, s5, s15
	v_cmp_gt_i64_e32 vcc, s[14:15], v[0:1]
                                        ; implicit-def: $vgpr49
	s_and_saveexec_b64 s[4:5], vcc
	s_cbranch_execz .LBB37_165
; %bb.157:                              ;   in Loop: Header=BB37_16 Depth=1
	v_mov_b32_e32 v5, v1
	s_mov_b64 s[28:29], 0
	v_mov_b32_e32 v10, v45
	v_mov_b32_e32 v4, v0
                                        ; implicit-def: $sgpr34_sgpr35
	s_branch .LBB37_160
.LBB37_158:                             ;   in Loop: Header=BB37_160 Depth=2
	s_or_b64 exec, exec, s[42:43]
	s_waitcnt lgkmcnt(0)
	s_barrier
	ds_read_b32 v11, v3 offset:3072
	s_mov_b64 s[8:9], -1
	s_mov_b64 s[42:43], -1
	s_waitcnt lgkmcnt(0)
	s_barrier
	v_cmp_eq_u32_sdwa s[22:23], v11, v3 src0_sel:WORD_0 src1_sel:DWORD
	s_and_b64 vcc, exec, s[22:23]
	s_cbranch_vccnz .LBB37_163
.LBB37_159:                             ;   in Loop: Header=BB37_160 Depth=2
	s_and_b64 s[8:9], exec, s[8:9]
	s_or_b64 s[28:29], s[8:9], s[28:29]
	s_andn2_b64 s[8:9], s[34:35], exec
	s_and_b64 s[22:23], s[42:43], exec
	s_or_b64 s[34:35], s[8:9], s[22:23]
	s_andn2_b64 exec, exec, s[28:29]
	s_cbranch_execz .LBB37_164
.LBB37_160:                             ;   Parent Loop BB37_16 Depth=1
                                        ; =>  This Inner Loop Header: Depth=2
	v_cmp_gt_u64_e32 vcc, s[40:41], v[4:5]
	s_and_saveexec_b64 s[42:43], vcc
	s_cbranch_execz .LBB37_158
; %bb.161:                              ;   in Loop: Header=BB37_160 Depth=2
	ds_read_u16 v11, v10
	s_waitcnt lgkmcnt(0)
	v_add_u32_sdwa v26, sext(v11), s61 dst_sel:DWORD dst_unused:UNUSED_PAD src0_sel:WORD_0 src1_sel:DWORD
	v_and_b32_e32 v26, v26, v48
	v_cmp_eq_u32_e32 vcc, v26, v44
	s_and_b64 exec, exec, vcc
	s_cbranch_execz .LBB37_158
; %bb.162:                              ;   in Loop: Header=BB37_160 Depth=2
	v_perm_b32 v11, v11, 1, v47
	ds_write_b32 v3, v11 offset:3072
	s_branch .LBB37_158
.LBB37_163:                             ;   in Loop: Header=BB37_160 Depth=2
	v_add_co_u32_e32 v4, vcc, s33, v4
	v_addc_co_u32_e32 v5, vcc, 0, v5, vcc
	v_cmp_le_i64_e32 vcc, s[14:15], v[4:5]
	v_add_u32_e32 v10, s60, v10
	s_mov_b64 s[42:43], 0
	s_orn2_b64 s[8:9], vcc, exec
	s_branch .LBB37_159
.LBB37_164:                             ;   in Loop: Header=BB37_16 Depth=1
	s_or_b64 exec, exec, s[28:29]
	s_andn2_b64 s[6:7], s[6:7], exec
	s_and_b64 s[8:9], s[34:35], exec
	v_lshrrev_b32_e32 v49, 16, v11
	s_or_b64 s[6:7], s[6:7], s[8:9]
.LBB37_165:                             ;   in Loop: Header=BB37_16 Depth=1
	s_or_b64 exec, exec, s[4:5]
	s_mov_b64 s[4:5], 0
	s_mov_b64 s[92:93], -1
.LBB37_166:                             ;   in Loop: Header=BB37_16 Depth=1
	s_orn2_b64 s[6:7], s[6:7], exec
.LBB37_167:                             ;   in Loop: Header=BB37_16 Depth=1
	s_or_b64 exec, exec, s[38:39]
	s_mov_b64 s[14:15], 0
	s_and_saveexec_b64 s[94:95], s[6:7]
	s_cbranch_execz .LBB37_273
; %bb.168:                              ;   in Loop: Header=BB37_16 Depth=1
	v_mov_b32_e32 v4, 1
	s_xor_b64 s[8:9], s[36:37], -1
	v_mov_b32_e32 v2, 1
	v_mov_b32_e32 v5, 0
	s_and_saveexec_b64 s[6:7], s[8:9]
	s_cbranch_execz .LBB37_178
; %bb.169:                              ;   in Loop: Header=BB37_16 Depth=1
	v_cmp_le_i64_e32 vcc, v[8:9], v[6:7]
	s_and_saveexec_b64 s[8:9], vcc
	s_xor_b64 s[14:15], exec, s[8:9]
	s_cbranch_execz .LBB37_175
; %bb.170:                              ;   in Loop: Header=BB37_16 Depth=1
	ds_read_b64 v[4:5], v3 offset:5120
	v_and_b32_e32 v2, s13, v44
	v_lshl_or_b32 v44, 1, s70, v2
	v_or_b32_e32 v48, s12, v48
	s_waitcnt lgkmcnt(0)
	v_cmp_ne_u64_e32 vcc, 0, v[4:5]
	s_cbranch_vccnz .LBB37_174
; %bb.171:                              ;   in Loop: Header=BB37_16 Depth=1
	s_mov_b64 s[8:9], exec
	v_readlane_b32 s22, v58, 12
	v_readlane_b32 s23, v58, 13
	s_and_b64 s[22:23], s[8:9], s[22:23]
	s_mov_b64 exec, s[22:23]
; %bb.172:                              ;   in Loop: Header=BB37_16 Depth=1
	ds_write_b64 v3, v[6:7] offset:5128
; %bb.173:                              ;   in Loop: Header=BB37_16 Depth=1
	s_or_b64 exec, exec, s[8:9]
	s_waitcnt lgkmcnt(0)
	s_barrier
.LBB37_174:                             ;   in Loop: Header=BB37_16 Depth=1
                                        ; implicit-def: $vgpr4_vgpr5_vgpr6_vgpr7
.LBB37_175:                             ;   in Loop: Header=BB37_16 Depth=1
	s_or_saveexec_b64 s[14:15], s[14:15]
	s_mov_b64 s[28:29], 0
	v_mov_b32_e32 v2, 8
	s_xor_b64 exec, exec, s[14:15]
; %bb.176:                              ;   in Loop: Header=BB37_16 Depth=1
	v_sub_co_u32_e32 v8, vcc, v8, v6
	v_subb_co_u32_e32 v9, vcc, v9, v7, vcc
	v_mov_b32_e32 v2, 0
	s_mov_b64 s[28:29], exec
; %bb.177:                              ;   in Loop: Header=BB37_16 Depth=1
	s_or_b64 exec, exec, s[14:15]
	v_mov_b32_e32 v4, v8
	s_and_b64 s[14:15], s[28:29], exec
	v_mov_b32_e32 v5, v9
.LBB37_178:                             ;   in Loop: Header=BB37_16 Depth=1
	s_or_b64 exec, exec, s[6:7]
	s_mov_b64 s[6:7], -1
                                        ; implicit-def: $sgpr50_sgpr51
                                        ; implicit-def: $sgpr36_sgpr37
	s_and_saveexec_b64 s[48:49], s[14:15]
	s_cbranch_execz .LBB37_272
; %bb.179:                              ;   in Loop: Header=BB37_16 Depth=1
	s_cmp_eq_u64 s[90:91], 1
	v_cmp_eq_u64_e32 vcc, 1, v[4:5]
	s_cselect_b64 s[6:7], -1, 0
	s_and_b64 s[40:41], s[6:7], vcc
	s_mov_b64 s[6:7], -1
                                        ; implicit-def: $sgpr36_sgpr37
                                        ; implicit-def: $sgpr50_sgpr51
	s_and_saveexec_b64 s[38:39], s[40:41]
	s_cbranch_execz .LBB37_213
; %bb.180:                              ;   in Loop: Header=BB37_16 Depth=1
	ds_read_b64 v[6:7], v3 offset:5120
	s_waitcnt lgkmcnt(0)
	s_barrier
	v_readfirstlane_b32 s42, v6
	v_readfirstlane_b32 s43, v7
	s_mov_b64 s[6:7], exec
	v_readlane_b32 s8, v58, 39
	v_readlane_b32 s9, v58, 40
	s_and_b64 s[8:9], s[6:7], s[8:9]
	s_mov_b64 exec, s[8:9]
; %bb.181:                              ;   in Loop: Header=BB37_16 Depth=1
	ds_write_b16 v46, v3
; %bb.182:                              ;   in Loop: Header=BB37_16 Depth=1
	s_or_b64 exec, exec, s[6:7]
	v_cmp_gt_i64_e64 s[6:7], s[42:43], 0
	v_and_b32_e32 v6, s13, v44
	v_lshl_or_b32 v44, 2, s70, v6
	v_or_b32_e32 v48, s12, v48
	s_mov_b64 s[50:51], -1
	s_mov_b64 s[36:37], 0
	s_and_b64 vcc, exec, s[6:7]
	s_mov_b64 s[6:7], 0
	s_mov_b64 s[14:15], -1
	s_waitcnt lgkmcnt(0)
	s_barrier
                                        ; implicit-def: $vgpr49
	s_cbranch_vccnz .LBB37_198
; %bb.183:                              ;   in Loop: Header=BB37_16 Depth=1
	s_mov_b32 s62, s53
	s_cmp_lg_u64 s[62:63], 0
	s_cbranch_scc0 .LBB37_239
; %bb.184:                              ;   in Loop: Header=BB37_16 Depth=1
	s_add_u32 s6, s33, 0
	s_addc_u32 s7, 0, 0
	s_xor_b64 s[6:7], s[6:7], 0
	v_cvt_f32_u32_e32 v6, s6
	v_cvt_f32_u32_e32 v7, s7
	s_sub_u32 s14, 0, s6
	s_subb_u32 s15, 0, s7
	v_mac_f32_e32 v6, 0x4f800000, v7
	v_rcp_f32_e32 v6, v6
	v_mul_f32_e32 v6, 0x5f7ffffc, v6
	v_mul_f32_e32 v7, 0x2f800000, v6
	v_trunc_f32_e32 v7, v7
	v_mac_f32_e32 v6, 0xcf800000, v7
	v_cvt_u32_f32_e32 v7, v7
	v_cvt_u32_f32_e32 v6, v6
	v_readfirstlane_b32 s22, v7
	v_readfirstlane_b32 s8, v6
	s_mul_i32 s9, s14, s22
	s_mul_hi_u32 s28, s14, s8
	s_mul_i32 s23, s15, s8
	s_add_i32 s9, s28, s9
	s_mul_i32 s29, s14, s8
	s_add_i32 s9, s9, s23
	s_mul_i32 s28, s8, s9
	s_mul_hi_u32 s34, s8, s29
	s_mul_hi_u32 s23, s8, s9
	s_add_u32 s28, s34, s28
	s_addc_u32 s23, 0, s23
	s_mul_hi_u32 s35, s22, s29
	s_mul_i32 s29, s22, s29
	s_add_u32 s28, s28, s29
	s_mul_hi_u32 s34, s22, s9
	s_addc_u32 s23, s23, s35
	s_addc_u32 s28, s34, 0
	s_mul_i32 s9, s22, s9
	s_add_u32 s9, s23, s9
	s_addc_u32 s23, 0, s28
	s_add_u32 s28, s8, s9
	s_cselect_b64 s[8:9], -1, 0
	s_cmp_lg_u64 s[8:9], 0
	s_addc_u32 s22, s22, s23
	s_mul_i32 s8, s14, s22
	s_mul_hi_u32 s9, s14, s28
	s_add_i32 s8, s9, s8
	s_mul_i32 s15, s15, s28
	s_add_i32 s8, s8, s15
	s_mul_i32 s14, s14, s28
	s_mul_hi_u32 s15, s22, s14
	s_mul_i32 s23, s22, s14
	s_mul_i32 s34, s28, s8
	s_mul_hi_u32 s14, s28, s14
	s_mul_hi_u32 s29, s28, s8
	s_add_u32 s14, s14, s34
	s_addc_u32 s29, 0, s29
	s_add_u32 s14, s14, s23
	s_mul_hi_u32 s9, s22, s8
	s_addc_u32 s14, s29, s15
	s_addc_u32 s9, s9, 0
	s_mul_i32 s8, s22, s8
	s_add_u32 s8, s14, s8
	s_addc_u32 s14, 0, s9
	s_add_u32 s23, s28, s8
	s_cselect_b64 s[8:9], -1, 0
	s_cmp_lg_u64 s[8:9], 0
	s_addc_u32 s22, s22, s14
	s_ashr_i32 s8, s63, 31
	s_add_u32 s14, s0, s8
	s_mov_b32 s9, s8
	s_addc_u32 s15, s63, s8
	s_xor_b64 s[14:15], s[14:15], s[8:9]
	s_mul_i32 s29, s14, s22
	s_mul_hi_u32 s34, s14, s23
	s_mul_hi_u32 s28, s14, s22
	s_add_u32 s29, s34, s29
	s_addc_u32 s28, 0, s28
	s_mul_hi_u32 s35, s15, s23
	s_mul_i32 s23, s15, s23
	s_add_u32 s23, s29, s23
	s_mul_hi_u32 s34, s15, s22
	s_addc_u32 s23, s28, s35
	s_addc_u32 s28, s34, 0
	s_mul_i32 s22, s15, s22
	s_add_u32 s22, s23, s22
	s_addc_u32 s23, 0, s28
	s_mul_i32 s23, s6, s23
	s_mul_hi_u32 s28, s6, s22
	s_add_i32 s23, s28, s23
	s_mul_i32 s28, s7, s22
	s_add_i32 s34, s23, s28
	s_sub_i32 s28, s15, s34
	s_mul_i32 s22, s6, s22
	s_sub_u32 s14, s14, s22
	s_cselect_b64 s[22:23], -1, 0
	s_cmp_lg_u64 s[22:23], 0
	s_subb_u32 s35, s28, s7
	s_sub_u32 s44, s14, s6
	s_cselect_b64 s[28:29], -1, 0
	s_cmp_lg_u64 s[28:29], 0
	s_subb_u32 s45, s35, 0
	s_cmp_ge_u32 s45, s7
	s_cselect_b32 s46, -1, 0
	s_cmp_ge_u32 s44, s6
	s_cselect_b32 s47, -1, 0
	s_cmp_eq_u32 s45, s7
	s_cselect_b32 s46, s47, s46
	s_cmp_lg_u64 s[28:29], 0
	s_subb_u32 s35, s35, s7
	s_sub_u32 s47, s44, s6
	s_cselect_b64 s[28:29], -1, 0
	s_cmp_lg_u64 s[28:29], 0
	s_subb_u32 s28, s35, 0
	s_cmp_lg_u32 s46, 0
	s_cselect_b32 s29, s47, s44
	s_cselect_b32 s28, s28, s45
	s_cmp_lg_u64 s[22:23], 0
	s_subb_u32 s15, s15, s34
	s_cmp_ge_u32 s15, s7
	s_cselect_b32 s22, -1, 0
	s_cmp_ge_u32 s14, s6
	s_cselect_b32 s6, -1, 0
	s_cmp_eq_u32 s15, s7
	s_cselect_b32 s6, s6, s22
	s_cmp_lg_u32 s6, 0
	s_cselect_b32 s7, s28, s15
	s_cselect_b32 s6, s29, s14
	s_xor_b64 s[6:7], s[6:7], s[8:9]
	s_sub_u32 s6, s6, s8
	s_subb_u32 s7, s7, s8
	s_cbranch_execnz .LBB37_186
.LBB37_185:                             ;   in Loop: Header=BB37_16 Depth=1
	v_cvt_f32_u32_e32 v6, s33
	s_sub_i32 s6, 0, s33
	v_rcp_iflag_f32_e32 v6, v6
	v_mul_f32_e32 v6, 0x4f7ffffe, v6
	v_cvt_u32_f32_e32 v6, v6
	v_readfirstlane_b32 s7, v6
	s_mul_i32 s6, s6, s7
	s_mul_hi_u32 s6, s7, s6
	s_add_i32 s7, s7, s6
	s_mul_hi_u32 s6, s0, s7
	s_mul_i32 s6, s6, s33
	s_sub_i32 s6, s0, s6
	s_sub_i32 s7, s6, s33
	s_cmp_ge_u32 s6, s33
	s_cselect_b32 s6, s7, s6
	s_sub_i32 s7, s6, s33
	s_cmp_ge_u32 s6, s33
	s_cselect_b32 s52, s7, s6
	s_mov_b64 s[6:7], s[52:53]
.LBB37_186:                             ;   in Loop: Header=BB37_16 Depth=1
	s_sub_u32 s34, s0, s6
	s_subb_u32 s35, s63, s7
	v_cmp_gt_i64_e32 vcc, s[34:35], v[0:1]
	s_mov_b64 s[14:15], 0
	s_mov_b64 s[6:7], 0
                                        ; implicit-def: $vgpr49
	s_and_saveexec_b64 s[28:29], vcc
	s_cbranch_execz .LBB37_197
; %bb.187:                              ;   in Loop: Header=BB37_16 Depth=1
	v_mov_b32_e32 v6, v12
	v_mov_b32_e32 v9, v1
	;; [unrolled: 1-line block ×4, first 2 shown]
                                        ; implicit-def: $sgpr44_sgpr45
	s_branch .LBB37_190
.LBB37_188:                             ;   in Loop: Header=BB37_190 Depth=2
	s_or_b64 exec, exec, s[46:47]
	s_waitcnt lgkmcnt(0)
	s_barrier
	ds_read_b32 v10, v3 offset:3072
	s_mov_b64 s[8:9], -1
	s_mov_b64 s[46:47], -1
	s_waitcnt lgkmcnt(0)
	s_barrier
	v_cmp_ne_u32_sdwa s[22:23], v10, v3 src0_sel:WORD_0 src1_sel:DWORD
	s_and_b64 vcc, exec, s[22:23]
	s_cbranch_vccz .LBB37_193
.LBB37_189:                             ;   in Loop: Header=BB37_190 Depth=2
	s_and_b64 s[8:9], exec, s[8:9]
	s_or_b64 s[6:7], s[8:9], s[6:7]
	s_andn2_b64 s[8:9], s[44:45], exec
	s_and_b64 s[22:23], s[46:47], exec
	s_or_b64 s[44:45], s[8:9], s[22:23]
	s_andn2_b64 exec, exec, s[6:7]
	s_cbranch_execz .LBB37_196
.LBB37_190:                             ;   Parent Loop BB37_16 Depth=1
                                        ; =>  This Inner Loop Header: Depth=2
	v_cmp_gt_i64_e32 vcc, s[24:25], v[8:9]
	s_and_saveexec_b64 s[46:47], vcc
	s_cbranch_execz .LBB37_188
; %bb.191:                              ;   in Loop: Header=BB37_190 Depth=2
	global_load_ushort v10, v[6:7], off
	s_waitcnt vmcnt(0)
	v_add_u32_sdwa v11, sext(v10), s61 dst_sel:DWORD dst_unused:UNUSED_PAD src0_sel:WORD_0 src1_sel:DWORD
	v_and_b32_e32 v11, v11, v48
	v_cmp_eq_u32_e32 vcc, v11, v44
	s_and_b64 exec, exec, vcc
	s_cbranch_execz .LBB37_188
; %bb.192:                              ;   in Loop: Header=BB37_190 Depth=2
	v_perm_b32 v10, v10, 1, v47
	ds_write_b32 v3, v10 offset:3072
	s_branch .LBB37_188
.LBB37_193:                             ;   in Loop: Header=BB37_190 Depth=2
	v_add_co_u32_e32 v8, vcc, s33, v8
	v_addc_co_u32_e32 v9, vcc, 0, v9, vcc
	v_mov_b32_e32 v11, s59
	v_add_co_u32_e32 v6, vcc, s58, v6
	v_addc_co_u32_e32 v7, vcc, v7, v11, vcc
	v_cmp_le_i64_e32 vcc, s[34:35], v[8:9]
	s_mov_b64 s[46:47], 0
	s_orn2_b64 s[8:9], vcc, exec
	s_branch .LBB37_189
.LBB37_194:                             ;   in Loop: Header=BB37_16 Depth=1
                                        ; implicit-def: $sgpr6_sgpr7
	s_branch .LBB37_139
.LBB37_195:                             ;   in Loop: Header=BB37_16 Depth=1
                                        ; implicit-def: $sgpr14_sgpr15
	s_branch .LBB37_155
.LBB37_196:                             ;   in Loop: Header=BB37_16 Depth=1
	s_or_b64 exec, exec, s[6:7]
	v_lshrrev_b32_e32 v49, 16, v10
	s_and_b64 s[6:7], s[44:45], exec
.LBB37_197:                             ;   in Loop: Header=BB37_16 Depth=1
	s_or_b64 exec, exec, s[28:29]
.LBB37_198:                             ;   in Loop: Header=BB37_16 Depth=1
	s_and_b64 vcc, exec, s[14:15]
	s_cbranch_vccz .LBB37_212
; %bb.199:                              ;   in Loop: Header=BB37_16 Depth=1
	v_readlane_b32 s8, v58, 18
	s_add_u32 s22, s42, s8
	v_readlane_b32 s8, v58, 19
	s_addc_u32 s15, s43, s8
	s_mov_b32 s14, s53
	s_cmp_lg_u64 s[14:15], 0
	s_cbranch_scc0 .LBB37_240
; %bb.200:                              ;   in Loop: Header=BB37_16 Depth=1
	s_add_u32 s8, s33, 0
	s_addc_u32 s9, 0, 0
	s_xor_b64 s[36:37], s[8:9], 0
	v_cvt_f32_u32_e32 v6, s36
	v_cvt_f32_u32_e32 v7, s37
	s_sub_u32 s14, 0, s36
	s_subb_u32 s23, 0, s37
	v_mac_f32_e32 v6, 0x4f800000, v7
	v_rcp_f32_e32 v6, v6
	v_mul_f32_e32 v6, 0x5f7ffffc, v6
	v_mul_f32_e32 v7, 0x2f800000, v6
	v_trunc_f32_e32 v7, v7
	v_mac_f32_e32 v6, 0xcf800000, v7
	v_cvt_u32_f32_e32 v7, v7
	v_cvt_u32_f32_e32 v6, v6
	v_readfirstlane_b32 s28, v7
	v_readfirstlane_b32 s8, v6
	s_mul_i32 s9, s14, s28
	s_mul_hi_u32 s34, s14, s8
	s_mul_i32 s29, s23, s8
	s_add_i32 s9, s34, s9
	s_mul_i32 s35, s14, s8
	s_add_i32 s9, s9, s29
	s_mul_i32 s34, s8, s9
	s_mul_hi_u32 s44, s8, s35
	s_mul_hi_u32 s29, s8, s9
	s_add_u32 s34, s44, s34
	s_addc_u32 s29, 0, s29
	s_mul_hi_u32 s45, s28, s35
	s_mul_i32 s35, s28, s35
	s_add_u32 s34, s34, s35
	s_mul_hi_u32 s44, s28, s9
	s_addc_u32 s29, s29, s45
	s_addc_u32 s34, s44, 0
	s_mul_i32 s9, s28, s9
	s_add_u32 s9, s29, s9
	s_addc_u32 s29, 0, s34
	s_add_u32 s34, s8, s9
	s_cselect_b64 s[8:9], -1, 0
	s_cmp_lg_u64 s[8:9], 0
	s_addc_u32 s28, s28, s29
	s_mul_i32 s8, s14, s28
	s_mul_hi_u32 s9, s14, s34
	s_add_i32 s8, s9, s8
	s_mul_i32 s23, s23, s34
	s_add_i32 s8, s8, s23
	s_mul_i32 s14, s14, s34
	s_mul_hi_u32 s23, s28, s14
	s_mul_i32 s29, s28, s14
	s_mul_i32 s44, s34, s8
	s_mul_hi_u32 s14, s34, s14
	s_mul_hi_u32 s35, s34, s8
	s_add_u32 s14, s14, s44
	s_addc_u32 s35, 0, s35
	s_add_u32 s14, s14, s29
	s_mul_hi_u32 s9, s28, s8
	s_addc_u32 s14, s35, s23
	s_addc_u32 s9, s9, 0
	s_mul_i32 s8, s28, s8
	s_add_u32 s8, s14, s8
	s_addc_u32 s14, 0, s9
	s_add_u32 s23, s34, s8
	s_cselect_b64 s[8:9], -1, 0
	s_cmp_lg_u64 s[8:9], 0
	s_addc_u32 s14, s28, s14
	s_ashr_i32 s8, s15, 31
	s_add_u32 s28, s22, s8
	s_mov_b32 s9, s8
	s_addc_u32 s29, s15, s8
	s_xor_b64 s[28:29], s[28:29], s[8:9]
	s_mul_i32 s35, s28, s14
	s_mul_hi_u32 s44, s28, s23
	s_mul_hi_u32 s34, s28, s14
	s_add_u32 s35, s44, s35
	s_addc_u32 s34, 0, s34
	s_mul_hi_u32 s45, s29, s23
	s_mul_i32 s23, s29, s23
	s_add_u32 s23, s35, s23
	s_mul_hi_u32 s44, s29, s14
	s_addc_u32 s23, s34, s45
	s_addc_u32 s34, s44, 0
	s_mul_i32 s14, s29, s14
	s_add_u32 s14, s23, s14
	s_addc_u32 s23, 0, s34
	s_mul_i32 s23, s36, s23
	s_mul_hi_u32 s34, s36, s14
	s_add_i32 s23, s34, s23
	s_mul_i32 s34, s37, s14
	s_add_i32 s23, s23, s34
	s_sub_i32 s44, s29, s23
	s_mul_i32 s14, s36, s14
	s_sub_u32 s14, s28, s14
	s_cselect_b64 s[34:35], -1, 0
	s_cmp_lg_u64 s[34:35], 0
	s_subb_u32 s28, s44, s37
	s_sub_u32 s46, s14, s36
	s_cselect_b64 s[44:45], -1, 0
	s_cmp_lg_u64 s[44:45], 0
	s_subb_u32 s47, s28, 0
	s_cmp_ge_u32 s47, s37
	s_cselect_b32 s50, -1, 0
	s_cmp_ge_u32 s46, s36
	s_cselect_b32 s51, -1, 0
	s_cmp_eq_u32 s47, s37
	s_cselect_b32 s50, s51, s50
	s_cmp_lg_u64 s[44:45], 0
	s_subb_u32 s28, s28, s37
	s_sub_u32 s51, s46, s36
	s_cselect_b64 s[44:45], -1, 0
	s_cmp_lg_u64 s[44:45], 0
	s_subb_u32 s28, s28, 0
	s_cmp_lg_u32 s50, 0
	s_cselect_b32 s44, s51, s46
	s_cselect_b32 s28, s28, s47
	s_cmp_lg_u64 s[34:35], 0
	s_subb_u32 s23, s29, s23
	s_cmp_ge_u32 s23, s37
	s_cselect_b32 s29, -1, 0
	s_cmp_ge_u32 s14, s36
	s_cselect_b32 s34, -1, 0
	s_cmp_eq_u32 s23, s37
	s_cselect_b32 s29, s34, s29
	s_cmp_lg_u32 s29, 0
	s_cselect_b32 s29, s28, s23
	s_cselect_b32 s28, s44, s14
	s_xor_b64 s[28:29], s[28:29], s[8:9]
	s_sub_u32 s28, s28, s8
	s_subb_u32 s29, s29, s8
	s_cbranch_execnz .LBB37_202
.LBB37_201:                             ;   in Loop: Header=BB37_16 Depth=1
	v_cvt_f32_u32_e32 v6, s33
	s_sub_i32 s8, 0, s33
	v_rcp_iflag_f32_e32 v6, v6
	v_mul_f32_e32 v6, 0x4f7ffffe, v6
	v_cvt_u32_f32_e32 v6, v6
	v_readfirstlane_b32 s9, v6
	s_mul_i32 s8, s8, s9
	s_mul_hi_u32 s8, s9, s8
	s_add_i32 s9, s9, s8
	s_mul_hi_u32 s8, s22, s9
	s_mul_i32 s8, s8, s33
	s_sub_i32 s8, s22, s8
	s_sub_i32 s9, s8, s33
	s_cmp_ge_u32 s8, s33
	s_cselect_b32 s8, s9, s8
	s_sub_i32 s9, s8, s33
	s_cmp_ge_u32 s8, s33
	s_cselect_b32 s52, s9, s8
	s_mov_b64 s[28:29], s[52:53]
.LBB37_202:                             ;   in Loop: Header=BB37_16 Depth=1
	s_sub_u32 s28, s22, s28
	s_subb_u32 s29, s15, s29
	v_cmp_gt_i64_e32 vcc, s[28:29], v[0:1]
                                        ; implicit-def: $vgpr49
	s_and_saveexec_b64 s[14:15], vcc
	s_cbranch_execz .LBB37_211
; %bb.203:                              ;   in Loop: Header=BB37_16 Depth=1
	v_mov_b32_e32 v7, v1
	s_mov_b64 s[34:35], 0
	v_mov_b32_e32 v8, v45
	v_mov_b32_e32 v6, v0
                                        ; implicit-def: $sgpr36_sgpr37
	s_branch .LBB37_206
.LBB37_204:                             ;   in Loop: Header=BB37_206 Depth=2
	s_or_b64 exec, exec, s[44:45]
	s_waitcnt lgkmcnt(0)
	s_barrier
	ds_read_b32 v9, v3 offset:3072
	s_mov_b64 s[8:9], -1
	s_mov_b64 s[44:45], -1
	s_waitcnt lgkmcnt(0)
	s_barrier
	v_cmp_eq_u32_sdwa s[22:23], v9, v3 src0_sel:WORD_0 src1_sel:DWORD
	s_and_b64 vcc, exec, s[22:23]
	s_cbranch_vccnz .LBB37_209
.LBB37_205:                             ;   in Loop: Header=BB37_206 Depth=2
	s_and_b64 s[8:9], exec, s[8:9]
	s_or_b64 s[34:35], s[8:9], s[34:35]
	s_andn2_b64 s[8:9], s[36:37], exec
	s_and_b64 s[22:23], s[44:45], exec
	s_or_b64 s[36:37], s[8:9], s[22:23]
	s_andn2_b64 exec, exec, s[34:35]
	s_cbranch_execz .LBB37_210
.LBB37_206:                             ;   Parent Loop BB37_16 Depth=1
                                        ; =>  This Inner Loop Header: Depth=2
	v_cmp_gt_u64_e32 vcc, s[42:43], v[6:7]
	s_and_saveexec_b64 s[44:45], vcc
	s_cbranch_execz .LBB37_204
; %bb.207:                              ;   in Loop: Header=BB37_206 Depth=2
	ds_read_u16 v9, v8
	s_waitcnt lgkmcnt(0)
	v_add_u32_sdwa v10, sext(v9), s61 dst_sel:DWORD dst_unused:UNUSED_PAD src0_sel:WORD_0 src1_sel:DWORD
	v_and_b32_e32 v10, v10, v48
	v_cmp_eq_u32_e32 vcc, v10, v44
	s_and_b64 exec, exec, vcc
	s_cbranch_execz .LBB37_204
; %bb.208:                              ;   in Loop: Header=BB37_206 Depth=2
	v_perm_b32 v9, v9, 1, v47
	ds_write_b32 v3, v9 offset:3072
	s_branch .LBB37_204
.LBB37_209:                             ;   in Loop: Header=BB37_206 Depth=2
	v_add_co_u32_e32 v6, vcc, s33, v6
	v_addc_co_u32_e32 v7, vcc, 0, v7, vcc
	v_cmp_le_i64_e32 vcc, s[28:29], v[6:7]
	v_add_u32_e32 v8, s60, v8
	s_mov_b64 s[44:45], 0
	s_orn2_b64 s[8:9], vcc, exec
	s_branch .LBB37_205
.LBB37_210:                             ;   in Loop: Header=BB37_16 Depth=1
	s_or_b64 exec, exec, s[34:35]
	s_andn2_b64 s[6:7], s[6:7], exec
	s_and_b64 s[8:9], s[36:37], exec
	v_lshrrev_b32_e32 v49, 16, v9
	s_or_b64 s[6:7], s[6:7], s[8:9]
.LBB37_211:                             ;   in Loop: Header=BB37_16 Depth=1
	s_or_b64 exec, exec, s[14:15]
	s_mov_b64 s[50:51], 0
	s_mov_b64 s[36:37], -1
.LBB37_212:                             ;   in Loop: Header=BB37_16 Depth=1
	s_orn2_b64 s[6:7], s[6:7], exec
.LBB37_213:                             ;   in Loop: Header=BB37_16 Depth=1
	s_or_b64 exec, exec, s[38:39]
	s_mov_b64 s[14:15], 0
	s_and_saveexec_b64 s[38:39], s[6:7]
	s_cbranch_execz .LBB37_271
; %bb.214:                              ;   in Loop: Header=BB37_16 Depth=1
	v_mov_b32_e32 v6, 1
	s_xor_b64 s[8:9], s[40:41], -1
	v_mov_b32_e32 v2, 1
	v_mov_b32_e32 v7, 0
	s_mov_b64 s[28:29], 0
	s_and_saveexec_b64 s[6:7], s[8:9]
	s_cbranch_execz .LBB37_223
; %bb.215:                              ;   in Loop: Header=BB37_16 Depth=1
	v_cmp_ge_i64_e32 vcc, s[90:91], v[4:5]
	s_and_saveexec_b64 s[8:9], vcc
	s_xor_b64 s[14:15], exec, s[8:9]
	s_cbranch_execz .LBB37_220
; %bb.216:                              ;   in Loop: Header=BB37_16 Depth=1
	ds_read_b64 v[6:7], v3 offset:5120
	v_and_b32_e32 v2, s13, v44
	v_lshl_or_b32 v44, 2, s70, v2
	v_or_b32_e32 v48, s12, v48
	s_waitcnt lgkmcnt(0)
	v_cmp_ne_u64_e32 vcc, 0, v[6:7]
	s_cbranch_vccnz .LBB37_220
; %bb.217:                              ;   in Loop: Header=BB37_16 Depth=1
	s_mov_b64 s[8:9], exec
	v_readlane_b32 s22, v58, 12
	v_readlane_b32 s23, v58, 13
	s_and_b64 s[22:23], s[8:9], s[22:23]
	s_mov_b64 exec, s[22:23]
; %bb.218:                              ;   in Loop: Header=BB37_16 Depth=1
	v_mov_b32_e32 v6, s90
	v_mov_b32_e32 v7, s91
	ds_write_b64 v3, v[6:7] offset:5128
; %bb.219:                              ;   in Loop: Header=BB37_16 Depth=1
	s_or_b64 exec, exec, s[8:9]
	s_waitcnt lgkmcnt(0)
	s_barrier
.LBB37_220:                             ;   in Loop: Header=BB37_16 Depth=1
	s_or_saveexec_b64 s[14:15], s[14:15]
	v_mov_b32_e32 v2, 8
	s_xor_b64 exec, exec, s[14:15]
; %bb.221:                              ;   in Loop: Header=BB37_16 Depth=1
	v_subrev_co_u32_e32 v4, vcc, s90, v4
	v_mov_b32_e32 v2, s91
	v_subb_co_u32_e32 v5, vcc, v5, v2, vcc
	v_mov_b32_e32 v2, 0
	s_mov_b64 s[28:29], exec
; %bb.222:                              ;   in Loop: Header=BB37_16 Depth=1
	s_or_b64 exec, exec, s[14:15]
	v_mov_b32_e32 v7, v5
	s_and_b64 s[28:29], s[28:29], exec
	v_mov_b32_e32 v6, v4
.LBB37_223:                             ;   in Loop: Header=BB37_16 Depth=1
	s_or_b64 exec, exec, s[6:7]
	s_mov_b64 s[6:7], -1
                                        ; implicit-def: $sgpr44_sgpr45
                                        ; implicit-def: $sgpr14_sgpr15
	s_and_saveexec_b64 s[40:41], s[28:29]
	s_cbranch_execz .LBB37_270
; %bb.224:                              ;   in Loop: Header=BB37_16 Depth=1
	s_cmp_eq_u64 s[16:17], 1
	v_cmp_eq_u64_e32 vcc, 1, v[6:7]
	s_cselect_b64 s[6:7], -1, 0
	s_and_b64 s[42:43], s[6:7], vcc
	s_mov_b64 s[28:29], -1
                                        ; implicit-def: $sgpr44_sgpr45
                                        ; implicit-def: $sgpr14_sgpr15
	s_and_saveexec_b64 s[90:91], s[42:43]
	s_cbranch_execz .LBB37_258
; %bb.225:                              ;   in Loop: Header=BB37_16 Depth=1
	ds_read_b64 v[4:5], v3 offset:5120
	s_waitcnt lgkmcnt(0)
	s_barrier
	v_readfirstlane_b32 s6, v4
	v_readfirstlane_b32 s7, v5
	s_mov_b64 s[8:9], exec
	v_readlane_b32 s14, v58, 39
	v_readlane_b32 s15, v58, 40
	s_and_b64 s[14:15], s[8:9], s[14:15]
	s_mov_b64 exec, s[14:15]
; %bb.226:                              ;   in Loop: Header=BB37_16 Depth=1
	ds_write_b16 v46, v3
; %bb.227:                              ;   in Loop: Header=BB37_16 Depth=1
	s_or_b64 exec, exec, s[8:9]
	v_cmp_gt_i64_e64 s[8:9], s[6:7], 0
	v_or_b32_e32 v44, s12, v44
	v_or_b32_e32 v48, s12, v48
	s_mov_b64 s[14:15], -1
	s_mov_b64 s[44:45], 0
	s_and_b64 vcc, exec, s[8:9]
	s_mov_b64 s[46:47], 0
	s_waitcnt lgkmcnt(0)
	s_barrier
                                        ; implicit-def: $vgpr49
	s_cbranch_vccnz .LBB37_243
; %bb.228:                              ;   in Loop: Header=BB37_16 Depth=1
	s_mov_b32 s62, s53
	v_writelane_b32 v58, s66, 43
	s_cmp_lg_u64 s[62:63], 0
	v_writelane_b32 v58, s67, 44
	s_cbranch_scc0 .LBB37_277
; %bb.229:                              ;   in Loop: Header=BB37_16 Depth=1
	s_add_u32 s8, s33, 0
	s_addc_u32 s9, 0, 0
	s_xor_b64 s[46:47], s[8:9], 0
	v_cvt_f32_u32_e32 v4, s46
	v_cvt_f32_u32_e32 v5, s47
	s_sub_u32 s13, 0, s46
	s_subb_u32 s22, 0, s47
	v_mac_f32_e32 v4, 0x4f800000, v5
	v_rcp_f32_e32 v4, v4
	v_mul_f32_e32 v4, 0x5f7ffffc, v4
	v_mul_f32_e32 v5, 0x2f800000, v4
	v_trunc_f32_e32 v5, v5
	v_mac_f32_e32 v4, 0xcf800000, v5
	v_cvt_u32_f32_e32 v5, v5
	v_cvt_u32_f32_e32 v4, v4
	v_readfirstlane_b32 s23, v5
	v_readfirstlane_b32 s8, v4
	s_mul_i32 s9, s13, s23
	s_mul_hi_u32 s29, s13, s8
	s_mul_i32 s28, s22, s8
	s_add_i32 s9, s29, s9
	s_mul_i32 s34, s13, s8
	s_add_i32 s9, s9, s28
	s_mul_i32 s29, s8, s9
	s_mul_hi_u32 s35, s8, s34
	s_mul_hi_u32 s28, s8, s9
	s_add_u32 s29, s35, s29
	s_addc_u32 s28, 0, s28
	s_mul_hi_u32 s52, s23, s34
	s_mul_i32 s34, s23, s34
	s_add_u32 s29, s29, s34
	s_mul_hi_u32 s35, s23, s9
	s_addc_u32 s28, s28, s52
	s_addc_u32 s29, s35, 0
	s_mul_i32 s9, s23, s9
	s_add_u32 s9, s28, s9
	s_addc_u32 s28, 0, s29
	s_add_u32 s29, s8, s9
	s_cselect_b64 s[8:9], -1, 0
	s_cmp_lg_u64 s[8:9], 0
	s_addc_u32 s23, s23, s28
	s_mul_i32 s8, s13, s23
	s_mul_hi_u32 s9, s13, s29
	s_add_i32 s8, s9, s8
	s_mul_i32 s22, s22, s29
	s_add_i32 s8, s8, s22
	s_mul_i32 s13, s13, s29
	s_mul_hi_u32 s22, s23, s13
	s_mul_i32 s28, s23, s13
	s_mul_i32 s35, s29, s8
	s_mul_hi_u32 s13, s29, s13
	s_mul_hi_u32 s34, s29, s8
	s_add_u32 s13, s13, s35
	s_addc_u32 s34, 0, s34
	s_add_u32 s13, s13, s28
	s_mul_hi_u32 s9, s23, s8
	s_addc_u32 s13, s34, s22
	s_addc_u32 s9, s9, 0
	s_mul_i32 s8, s23, s8
	s_add_u32 s8, s13, s8
	s_addc_u32 s13, 0, s9
	s_add_u32 s28, s29, s8
	s_cselect_b64 s[8:9], -1, 0
	s_cmp_lg_u64 s[8:9], 0
	s_addc_u32 s13, s23, s13
	s_ashr_i32 s8, s63, 31
	s_add_u32 s22, s0, s8
	s_mov_b32 s9, s8
	s_addc_u32 s23, s63, s8
	s_xor_b64 s[22:23], s[22:23], s[8:9]
	s_mul_i32 s34, s22, s13
	s_mul_hi_u32 s35, s22, s28
	s_mul_hi_u32 s29, s22, s13
	s_add_u32 s34, s35, s34
	s_addc_u32 s29, 0, s29
	s_mul_hi_u32 s52, s23, s28
	s_mul_i32 s28, s23, s28
	s_add_u32 s28, s34, s28
	s_mul_hi_u32 s35, s23, s13
	s_addc_u32 s28, s29, s52
	s_addc_u32 s29, s35, 0
	s_mul_i32 s13, s23, s13
	s_add_u32 s13, s28, s13
	s_addc_u32 s28, 0, s29
	s_mul_i32 s28, s46, s28
	s_mul_hi_u32 s29, s46, s13
	s_add_i32 s28, s29, s28
	s_mul_i32 s29, s47, s13
	s_add_i32 s52, s28, s29
	s_sub_i32 s34, s23, s52
	s_mul_i32 s13, s46, s13
	s_sub_u32 s13, s22, s13
	s_cselect_b64 s[28:29], -1, 0
	s_cmp_lg_u64 s[28:29], 0
	s_subb_u32 s22, s34, s47
	s_sub_u32 s62, s13, s46
	s_cselect_b64 s[34:35], -1, 0
	s_cmp_lg_u64 s[34:35], 0
	s_subb_u32 s66, s22, 0
	s_cmp_ge_u32 s66, s47
	s_cselect_b32 s67, -1, 0
	s_cmp_ge_u32 s62, s46
	s_cselect_b32 s68, -1, 0
	s_cmp_eq_u32 s66, s47
	s_cselect_b32 s67, s68, s67
	s_cmp_lg_u64 s[34:35], 0
	s_subb_u32 s22, s22, s47
	s_sub_u32 s68, s62, s46
	s_cselect_b64 s[34:35], -1, 0
	s_cmp_lg_u64 s[34:35], 0
	s_subb_u32 s22, s22, 0
	s_cmp_lg_u32 s67, 0
	s_cselect_b32 s34, s68, s62
	s_cselect_b32 s22, s22, s66
	s_cmp_lg_u64 s[28:29], 0
	s_subb_u32 s23, s23, s52
	s_cmp_ge_u32 s23, s47
	s_cselect_b32 s28, -1, 0
	s_cmp_ge_u32 s13, s46
	s_cselect_b32 s29, -1, 0
	s_cmp_eq_u32 s23, s47
	s_cselect_b32 s28, s29, s28
	s_cmp_lg_u32 s28, 0
	s_cselect_b32 s23, s22, s23
	s_cselect_b32 s22, s34, s13
	s_xor_b64 s[22:23], s[22:23], s[8:9]
	s_sub_u32 s28, s22, s8
	s_subb_u32 s29, s23, s8
	s_cbranch_execnz .LBB37_231
.LBB37_230:                             ;   in Loop: Header=BB37_16 Depth=1
	v_cvt_f32_u32_e32 v4, s33
	s_sub_i32 s8, 0, s33
	v_rcp_iflag_f32_e32 v4, v4
	v_mul_f32_e32 v4, 0x4f7ffffe, v4
	v_cvt_u32_f32_e32 v4, v4
	v_readfirstlane_b32 s9, v4
	s_mul_i32 s8, s8, s9
	s_mul_hi_u32 s8, s9, s8
	s_add_i32 s9, s9, s8
	s_mul_hi_u32 s8, s0, s9
	s_mul_i32 s8, s8, s33
	s_sub_i32 s8, s0, s8
	s_sub_i32 s9, s8, s33
	s_cmp_ge_u32 s8, s33
	s_cselect_b32 s8, s9, s8
	s_sub_i32 s9, s8, s33
	s_cmp_ge_u32 s8, s33
	s_cselect_b32 s52, s9, s8
	s_mov_b64 s[28:29], s[52:53]
.LBB37_231:                             ;   in Loop: Header=BB37_16 Depth=1
	s_sub_u32 s66, s0, s28
	s_subb_u32 s67, s63, s29
	v_cmp_gt_i64_e32 vcc, s[66:67], v[0:1]
	s_mov_b64 s[28:29], 0
	s_mov_b64 s[46:47], 0
                                        ; implicit-def: $vgpr49
	s_and_saveexec_b64 s[34:35], vcc
	s_cbranch_execz .LBB37_242
; %bb.232:                              ;   in Loop: Header=BB37_16 Depth=1
	v_mov_b32_e32 v4, v12
	v_mov_b32_e32 v9, v1
	v_mov_b32_e32 v5, v13
	v_mov_b32_e32 v8, v0
                                        ; implicit-def: $sgpr68_sgpr69
	s_branch .LBB37_235
.LBB37_233:                             ;   in Loop: Header=BB37_235 Depth=2
	s_or_b64 exec, exec, s[8:9]
	s_waitcnt lgkmcnt(0)
	s_barrier
	ds_read_b32 v10, v3 offset:3072
	s_mov_b64 s[8:9], -1
	s_waitcnt lgkmcnt(0)
	s_barrier
	v_cmp_ne_u32_sdwa s[22:23], v10, v3 src0_sel:WORD_0 src1_sel:DWORD
	s_and_b64 vcc, exec, s[22:23]
	s_mov_b64 s[22:23], -1
	s_cbranch_vccz .LBB37_238
.LBB37_234:                             ;   in Loop: Header=BB37_235 Depth=2
	s_and_b64 s[8:9], exec, s[8:9]
	s_or_b64 s[46:47], s[8:9], s[46:47]
	s_andn2_b64 s[8:9], s[68:69], exec
	s_and_b64 s[22:23], s[22:23], exec
	s_or_b64 s[68:69], s[8:9], s[22:23]
	s_andn2_b64 exec, exec, s[46:47]
	s_cbranch_execz .LBB37_241
.LBB37_235:                             ;   Parent Loop BB37_16 Depth=1
                                        ; =>  This Inner Loop Header: Depth=2
	v_cmp_gt_i64_e32 vcc, s[24:25], v[8:9]
	s_and_saveexec_b64 s[8:9], vcc
	s_cbranch_execz .LBB37_233
; %bb.236:                              ;   in Loop: Header=BB37_235 Depth=2
	global_load_ushort v10, v[4:5], off
	s_waitcnt vmcnt(0)
	v_add_u32_sdwa v11, sext(v10), s61 dst_sel:DWORD dst_unused:UNUSED_PAD src0_sel:WORD_0 src1_sel:DWORD
	v_and_b32_e32 v11, v11, v48
	v_cmp_eq_u32_e32 vcc, v11, v44
	s_and_b64 exec, exec, vcc
	s_cbranch_execz .LBB37_233
; %bb.237:                              ;   in Loop: Header=BB37_235 Depth=2
	v_perm_b32 v10, v10, 1, v47
	ds_write_b32 v3, v10 offset:3072
	s_branch .LBB37_233
.LBB37_238:                             ;   in Loop: Header=BB37_235 Depth=2
	v_add_co_u32_e32 v8, vcc, s33, v8
	v_addc_co_u32_e32 v9, vcc, 0, v9, vcc
	v_mov_b32_e32 v11, s59
	v_add_co_u32_e32 v4, vcc, s58, v4
	v_addc_co_u32_e32 v5, vcc, v5, v11, vcc
	v_cmp_le_i64_e32 vcc, s[66:67], v[8:9]
	s_mov_b64 s[22:23], 0
	s_orn2_b64 s[8:9], vcc, exec
	s_branch .LBB37_234
.LBB37_239:                             ;   in Loop: Header=BB37_16 Depth=1
                                        ; implicit-def: $sgpr6_sgpr7
	s_branch .LBB37_185
.LBB37_240:                             ;   in Loop: Header=BB37_16 Depth=1
                                        ; implicit-def: $sgpr28_sgpr29
	s_branch .LBB37_201
.LBB37_241:                             ;   in Loop: Header=BB37_16 Depth=1
	s_or_b64 exec, exec, s[46:47]
	v_lshrrev_b32_e32 v49, 16, v10
	s_and_b64 s[46:47], s[68:69], exec
.LBB37_242:                             ;   in Loop: Header=BB37_16 Depth=1
	s_or_b64 exec, exec, s[34:35]
	v_readlane_b32 s66, v58, 43
	v_readlane_b32 s67, v58, 44
.LBB37_243:                             ;   in Loop: Header=BB37_16 Depth=1
	s_and_b64 vcc, exec, s[28:29]
	s_cbranch_vccz .LBB37_257
; %bb.244:                              ;   in Loop: Header=BB37_16 Depth=1
	v_readlane_b32 s8, v58, 18
	s_add_u32 s13, s6, s8
	v_readlane_b32 s8, v58, 19
	s_addc_u32 s15, s7, s8
	s_mov_b32 s14, s53
	s_cmp_lg_u64 s[14:15], 0
	s_cbranch_scc0 .LBB37_278
; %bb.245:                              ;   in Loop: Header=BB37_16 Depth=1
	s_add_u32 s8, s33, 0
	s_addc_u32 s9, 0, 0
	s_xor_b64 s[44:45], s[8:9], 0
	v_cvt_f32_u32_e32 v4, s44
	v_cvt_f32_u32_e32 v5, s45
	s_sub_u32 s14, 0, s44
	s_subb_u32 s22, 0, s45
	s_mov_b32 vcc_lo, s66
	v_mac_f32_e32 v4, 0x4f800000, v5
	v_rcp_f32_e32 v4, v4
	v_mul_f32_e32 v4, 0x5f7ffffc, v4
	v_mul_f32_e32 v5, 0x2f800000, v4
	v_trunc_f32_e32 v5, v5
	v_mac_f32_e32 v4, 0xcf800000, v5
	v_cvt_u32_f32_e32 v5, v5
	v_cvt_u32_f32_e32 v4, v4
	v_readfirstlane_b32 s23, v5
	v_readfirstlane_b32 s8, v4
	s_mul_i32 s9, s14, s23
	s_mul_hi_u32 s29, s14, s8
	s_mul_i32 s28, s22, s8
	s_add_i32 s9, s29, s9
	s_mul_i32 s34, s14, s8
	s_add_i32 s9, s9, s28
	s_mul_i32 s29, s8, s9
	s_mul_hi_u32 s35, s8, s34
	s_mul_hi_u32 s28, s8, s9
	s_add_u32 s29, s35, s29
	s_addc_u32 s28, 0, s28
	s_mul_hi_u32 s52, s23, s34
	s_mul_i32 s34, s23, s34
	s_add_u32 s29, s29, s34
	s_mul_hi_u32 s35, s23, s9
	s_addc_u32 s28, s28, s52
	s_addc_u32 s29, s35, 0
	s_mul_i32 s9, s23, s9
	s_add_u32 s9, s28, s9
	s_addc_u32 s28, 0, s29
	s_add_u32 s29, s8, s9
	s_cselect_b64 s[8:9], -1, 0
	s_cmp_lg_u64 s[8:9], 0
	s_addc_u32 s23, s23, s28
	s_mul_i32 s8, s14, s23
	s_mul_hi_u32 s9, s14, s29
	s_add_i32 s8, s9, s8
	s_mul_i32 s22, s22, s29
	s_add_i32 s8, s8, s22
	s_mul_i32 s14, s14, s29
	s_mul_hi_u32 s22, s23, s14
	s_mul_i32 s28, s23, s14
	s_mul_i32 s35, s29, s8
	s_mul_hi_u32 s14, s29, s14
	s_mul_hi_u32 s34, s29, s8
	s_add_u32 s14, s14, s35
	s_addc_u32 s34, 0, s34
	s_add_u32 s14, s14, s28
	s_mul_hi_u32 s9, s23, s8
	s_addc_u32 s14, s34, s22
	s_addc_u32 s9, s9, 0
	s_mul_i32 s8, s23, s8
	s_add_u32 s8, s14, s8
	s_addc_u32 s14, 0, s9
	s_add_u32 s28, s29, s8
	s_cselect_b64 s[8:9], -1, 0
	s_cmp_lg_u64 s[8:9], 0
	s_addc_u32 s14, s23, s14
	s_ashr_i32 s8, s15, 31
	s_add_u32 s22, s13, s8
	s_mov_b32 s9, s8
	s_addc_u32 s23, s15, s8
	s_xor_b64 s[22:23], s[22:23], s[8:9]
	s_mul_i32 s34, s22, s14
	s_mul_hi_u32 s35, s22, s28
	s_mul_hi_u32 s29, s22, s14
	s_add_u32 s34, s35, s34
	s_addc_u32 s29, 0, s29
	s_mul_hi_u32 s52, s23, s28
	s_mul_i32 s28, s23, s28
	s_add_u32 s28, s34, s28
	s_mul_hi_u32 s35, s23, s14
	s_addc_u32 s28, s29, s52
	s_addc_u32 s29, s35, 0
	s_mul_i32 s14, s23, s14
	s_add_u32 s14, s28, s14
	s_addc_u32 s28, 0, s29
	s_mul_i32 s28, s44, s28
	s_mul_hi_u32 s29, s44, s14
	s_add_i32 s28, s29, s28
	s_mul_i32 s29, s45, s14
	s_add_i32 s52, s28, s29
	s_sub_i32 s34, s23, s52
	s_mul_i32 s14, s44, s14
	s_sub_u32 s14, s22, s14
	s_cselect_b64 s[28:29], -1, 0
	s_cmp_lg_u64 s[28:29], 0
	s_subb_u32 s22, s34, s45
	s_sub_u32 s62, s14, s44
	s_cselect_b64 s[34:35], -1, 0
	s_cmp_lg_u64 s[34:35], 0
	s_subb_u32 s66, s22, 0
	s_cmp_ge_u32 s66, s45
	s_cselect_b32 s67, -1, 0
	s_cmp_ge_u32 s62, s44
	s_cselect_b32 s68, -1, 0
	s_cmp_eq_u32 s66, s45
	s_cselect_b32 s67, s68, s67
	s_cmp_lg_u64 s[34:35], 0
	s_subb_u32 s22, s22, s45
	s_sub_u32 s68, s62, s44
	s_cselect_b64 s[34:35], -1, 0
	s_cmp_lg_u64 s[34:35], 0
	s_subb_u32 s22, s22, 0
	s_cmp_lg_u32 s67, 0
	s_cselect_b32 s34, s68, s62
	s_cselect_b32 s22, s22, s66
	s_cmp_lg_u64 s[28:29], 0
	s_subb_u32 s23, s23, s52
	s_cmp_ge_u32 s23, s45
	s_cselect_b32 s28, -1, 0
	s_cmp_ge_u32 s14, s44
	s_cselect_b32 s29, -1, 0
	s_cmp_eq_u32 s23, s45
	s_cselect_b32 s28, s29, s28
	s_cmp_lg_u32 s28, 0
	s_cselect_b32 s23, s22, s23
	s_cselect_b32 s22, s34, s14
	s_xor_b64 s[22:23], s[22:23], s[8:9]
	s_sub_u32 s28, s22, s8
	s_mov_b32 s66, vcc_lo
	s_subb_u32 s29, s23, s8
	s_cbranch_execnz .LBB37_247
.LBB37_246:                             ;   in Loop: Header=BB37_16 Depth=1
	v_cvt_f32_u32_e32 v4, s33
	s_sub_i32 s8, 0, s33
	v_rcp_iflag_f32_e32 v4, v4
	v_mul_f32_e32 v4, 0x4f7ffffe, v4
	v_cvt_u32_f32_e32 v4, v4
	v_readfirstlane_b32 s9, v4
	s_mul_i32 s8, s8, s9
	s_mul_hi_u32 s8, s9, s8
	s_add_i32 s9, s9, s8
	s_mul_hi_u32 s8, s13, s9
	s_mul_i32 s8, s8, s33
	s_sub_i32 s8, s13, s8
	s_sub_i32 s9, s8, s33
	s_cmp_ge_u32 s8, s33
	s_cselect_b32 s8, s9, s8
	s_sub_i32 s9, s8, s33
	s_cmp_ge_u32 s8, s33
	s_cselect_b32 s52, s9, s8
	s_mov_b64 s[28:29], s[52:53]
.LBB37_247:                             ;   in Loop: Header=BB37_16 Depth=1
	s_sub_u32 s28, s13, s28
	s_subb_u32 s29, s15, s29
	v_cmp_gt_i64_e32 vcc, s[28:29], v[0:1]
                                        ; implicit-def: $vgpr49
	s_and_saveexec_b64 s[14:15], vcc
	s_cbranch_execz .LBB37_256
; %bb.248:                              ;   in Loop: Header=BB37_16 Depth=1
	v_mov_b32_e32 v5, v1
	s_mov_b64 s[34:35], 0
	v_mov_b32_e32 v8, v45
	v_mov_b32_e32 v4, v0
                                        ; implicit-def: $sgpr44_sgpr45
	s_branch .LBB37_251
.LBB37_249:                             ;   in Loop: Header=BB37_251 Depth=2
	s_or_b64 exec, exec, s[8:9]
	s_waitcnt lgkmcnt(0)
	s_barrier
	ds_read_b32 v9, v3 offset:3072
	s_mov_b64 s[8:9], -1
	s_waitcnt lgkmcnt(0)
	s_barrier
	v_cmp_eq_u32_sdwa s[22:23], v9, v3 src0_sel:WORD_0 src1_sel:DWORD
	s_and_b64 vcc, exec, s[22:23]
	s_mov_b64 s[22:23], -1
	s_cbranch_vccnz .LBB37_254
.LBB37_250:                             ;   in Loop: Header=BB37_251 Depth=2
	s_and_b64 s[8:9], exec, s[8:9]
	s_or_b64 s[34:35], s[8:9], s[34:35]
	s_andn2_b64 s[8:9], s[44:45], exec
	s_and_b64 s[22:23], s[22:23], exec
	s_or_b64 s[44:45], s[8:9], s[22:23]
	s_andn2_b64 exec, exec, s[34:35]
	s_cbranch_execz .LBB37_255
.LBB37_251:                             ;   Parent Loop BB37_16 Depth=1
                                        ; =>  This Inner Loop Header: Depth=2
	v_cmp_gt_u64_e32 vcc, s[6:7], v[4:5]
	s_and_saveexec_b64 s[8:9], vcc
	s_cbranch_execz .LBB37_249
; %bb.252:                              ;   in Loop: Header=BB37_251 Depth=2
	ds_read_u16 v9, v8
	s_waitcnt lgkmcnt(0)
	v_add_u32_sdwa v10, sext(v9), s61 dst_sel:DWORD dst_unused:UNUSED_PAD src0_sel:WORD_0 src1_sel:DWORD
	v_and_b32_e32 v10, v10, v48
	v_cmp_eq_u32_e32 vcc, v10, v44
	s_and_b64 exec, exec, vcc
	s_cbranch_execz .LBB37_249
; %bb.253:                              ;   in Loop: Header=BB37_251 Depth=2
	v_perm_b32 v9, v9, 1, v47
	ds_write_b32 v3, v9 offset:3072
	s_branch .LBB37_249
.LBB37_254:                             ;   in Loop: Header=BB37_251 Depth=2
	v_add_co_u32_e32 v4, vcc, s33, v4
	v_addc_co_u32_e32 v5, vcc, 0, v5, vcc
	v_cmp_le_i64_e32 vcc, s[28:29], v[4:5]
	v_add_u32_e32 v8, s60, v8
	s_mov_b64 s[22:23], 0
	s_orn2_b64 s[8:9], vcc, exec
	s_branch .LBB37_250
.LBB37_255:                             ;   in Loop: Header=BB37_16 Depth=1
	s_or_b64 exec, exec, s[34:35]
	s_andn2_b64 s[6:7], s[46:47], exec
	s_and_b64 s[8:9], s[44:45], exec
	v_lshrrev_b32_e32 v49, 16, v9
	s_or_b64 s[46:47], s[6:7], s[8:9]
.LBB37_256:                             ;   in Loop: Header=BB37_16 Depth=1
	s_or_b64 exec, exec, s[14:15]
	s_mov_b64 s[14:15], 0
	s_mov_b64 s[44:45], -1
.LBB37_257:                             ;   in Loop: Header=BB37_16 Depth=1
	s_orn2_b64 s[28:29], s[46:47], exec
.LBB37_258:                             ;   in Loop: Header=BB37_16 Depth=1
	s_or_b64 exec, exec, s[90:91]
	s_mov_b64 s[34:35], 0
	s_and_saveexec_b64 s[6:7], s[28:29]
	s_cbranch_execz .LBB37_269
; %bb.259:                              ;   in Loop: Header=BB37_16 Depth=1
	v_mov_b32_e32 v4, 1
	s_xor_b64 s[8:9], s[42:43], -1
	v_mov_b32_e32 v5, 0
	v_mov_b32_e32 v2, 1
	s_and_saveexec_b64 s[28:29], s[8:9]
	s_cbranch_execz .LBB37_268
; %bb.260:                              ;   in Loop: Header=BB37_16 Depth=1
	v_cmp_ge_i64_e32 vcc, s[16:17], v[6:7]
	s_and_saveexec_b64 s[8:9], vcc
	s_xor_b64 s[34:35], exec, s[8:9]
	s_cbranch_execz .LBB37_265
; %bb.261:                              ;   in Loop: Header=BB37_16 Depth=1
	ds_read_b64 v[4:5], v3 offset:5120
	v_or_b32_e32 v44, s12, v44
	v_or_b32_e32 v48, s12, v48
	s_waitcnt lgkmcnt(0)
	v_cmp_ne_u64_e32 vcc, 0, v[4:5]
	s_cbranch_vccnz .LBB37_265
; %bb.262:                              ;   in Loop: Header=BB37_16 Depth=1
	s_mov_b64 s[8:9], exec
	v_readlane_b32 s12, v58, 12
	v_readlane_b32 s13, v58, 13
	s_and_b64 s[12:13], s[8:9], s[12:13]
	s_mov_b64 exec, s[12:13]
; %bb.263:                              ;   in Loop: Header=BB37_16 Depth=1
	v_mov_b32_e32 v4, s16
	v_mov_b32_e32 v5, s17
	ds_write_b64 v3, v[4:5] offset:5128
; %bb.264:                              ;   in Loop: Header=BB37_16 Depth=1
	s_or_b64 exec, exec, s[8:9]
	s_waitcnt lgkmcnt(0)
	s_barrier
.LBB37_265:                             ;   in Loop: Header=BB37_16 Depth=1
	s_andn2_saveexec_b64 s[34:35], s[34:35]
; %bb.266:                              ;   in Loop: Header=BB37_16 Depth=1
	v_mov_b32_e32 v2, s17
	v_subrev_co_u32_e32 v6, vcc, s16, v6
	v_subb_co_u32_e32 v7, vcc, v7, v2, vcc
; %bb.267:                              ;   in Loop: Header=BB37_16 Depth=1
	s_or_b64 exec, exec, s[34:35]
	v_mov_b32_e32 v4, v6
	v_mov_b32_e32 v2, 8
	;; [unrolled: 1-line block ×3, first 2 shown]
.LBB37_268:                             ;   in Loop: Header=BB37_16 Depth=1
	s_or_b64 exec, exec, s[28:29]
	v_mov_b32_e32 v7, v5
	s_mov_b64 s[34:35], exec
	v_mov_b32_e32 v6, v4
.LBB37_269:                             ;   in Loop: Header=BB37_16 Depth=1
	s_or_b64 exec, exec, s[6:7]
	s_orn2_b64 s[6:7], s[34:35], exec
.LBB37_270:                             ;   in Loop: Header=BB37_16 Depth=1
	s_or_b64 exec, exec, s[40:41]
	s_andn2_b64 s[8:9], s[36:37], exec
	s_and_b64 s[12:13], s[44:45], exec
	s_or_b64 s[36:37], s[8:9], s[12:13]
	s_andn2_b64 s[8:9], s[50:51], exec
	s_and_b64 s[12:13], s[14:15], exec
	v_mov_b32_e32 v4, v6
	s_or_b64 s[50:51], s[8:9], s[12:13]
	s_and_b64 s[14:15], s[6:7], exec
	v_mov_b32_e32 v5, v7
.LBB37_271:                             ;   in Loop: Header=BB37_16 Depth=1
	s_or_b64 exec, exec, s[38:39]
	s_orn2_b64 s[6:7], s[14:15], exec
.LBB37_272:                             ;   in Loop: Header=BB37_16 Depth=1
	s_or_b64 exec, exec, s[48:49]
	s_andn2_b64 s[8:9], s[92:93], exec
	s_and_b64 s[12:13], s[36:37], exec
	s_or_b64 s[92:93], s[8:9], s[12:13]
	s_andn2_b64 s[4:5], s[4:5], exec
	s_and_b64 s[8:9], s[50:51], exec
	v_mov_b32_e32 v9, v5
	s_or_b64 s[4:5], s[4:5], s[8:9]
	s_and_b64 s[14:15], s[6:7], exec
	v_mov_b32_e32 v8, v4
.LBB37_273:                             ;   in Loop: Header=BB37_16 Depth=1
	s_or_b64 exec, exec, s[94:95]
	s_orn2_b64 s[6:7], s[14:15], exec
.LBB37_274:                             ;   in Loop: Header=BB37_16 Depth=1
	s_or_b64 exec, exec, s[26:27]
	s_mov_b64 s[14:15], 0
	s_and_saveexec_b64 s[8:9], s[6:7]
	s_xor_b64 s[6:7], exec, s[8:9]
	s_cbranch_execz .LBB37_14
; %bb.275:                              ;   in Loop: Header=BB37_16 Depth=1
	v_and_b32_e32 v2, 7, v2
	v_cmp_eq_u32_e32 vcc, 0, v2
	s_mov_b64 s[16:17], -1
	s_mov_b64 s[14:15], -1
	s_and_saveexec_b64 s[8:9], vcc
	s_cbranch_execz .LBB37_13
; %bb.276:                              ;   in Loop: Header=BB37_16 Depth=1
	s_xor_b32 s71, s71, 1
	s_add_i32 s20, s70, -2
	s_cmp_eq_u32 s70, 0
	s_cselect_b64 s[12:13], -1, 0
	s_xor_b64 s[14:15], exec, -1
	s_orn2_b64 s[16:17], s[12:13], exec
	s_mov_b32 s70, s20
	s_branch .LBB37_13
.LBB37_277:                             ;   in Loop: Header=BB37_16 Depth=1
                                        ; implicit-def: $sgpr28_sgpr29
	s_branch .LBB37_230
.LBB37_278:                             ;   in Loop: Header=BB37_16 Depth=1
                                        ; implicit-def: $sgpr28_sgpr29
	s_branch .LBB37_246
.LBB37_279:
	s_or_b64 exec, exec, s[76:77]
	s_xor_b64 s[6:7], s[82:83], -1
	s_xor_b64 s[0:1], s[78:79], -1
	;; [unrolled: 1-line block ×3, first 2 shown]
	s_mov_b64 s[2:3], 0
	s_and_saveexec_b64 s[4:5], s[0:1]
	s_xor_b64 s[4:5], exec, s[4:5]
	s_cbranch_execnz .LBB37_284
; %bb.280:
	s_andn2_saveexec_b64 s[0:1], s[4:5]
	s_cbranch_execnz .LBB37_309
.LBB37_281:
	s_or_b64 exec, exec, s[0:1]
	s_and_saveexec_b64 s[0:1], s[2:3]
.LBB37_282:
	; divergent unreachable
.LBB37_283:
	s_endpgm
.LBB37_284:
	s_and_saveexec_b64 s[0:1], s[6:7]
	s_xor_b64 s[6:7], exec, s[0:1]
	s_cbranch_execz .LBB37_307
; %bb.285:
	s_and_saveexec_b64 s[0:1], s[8:9]
	s_xor_b64 s[2:3], exec, s[0:1]
; %bb.286:
	v_xor_b32_e32 v49, 0xffff8000, v44
; %bb.287:
	s_or_b64 exec, exec, s[2:3]
	s_mov_b64 s[2:3], exec
	v_readlane_b32 s0, v58, 12
	v_readlane_b32 s1, v58, 13
	s_and_b64 s[0:1], s[2:3], s[0:1]
	s_mov_b64 exec, s[0:1]
; %bb.288:
	v_mov_b32_e32 v2, 0
	v_mov_b32_e32 v3, s24
	ds_write_b32 v2, v3 offset:5140
; %bb.289:
	s_or_b64 exec, exec, s[2:3]
	s_waitcnt lgkmcnt(0)
	s_barrier
	s_mov_b64 s[10:11], exec
	v_readlane_b32 s0, v58, 41
	v_readlane_b32 s1, v58, 42
	s_and_b64 s[0:1], s[10:11], s[0:1]
	s_mov_b64 exec, s[0:1]
	s_cbranch_execz .LBB37_304
; %bb.290:
	v_mov_b32_e32 v2, 0
	ds_read_b32 v4, v2 offset:5140
	s_mov_b64 s[8:9], 0
                                        ; implicit-def: $sgpr12_sgpr13
                                        ; implicit-def: $sgpr14_sgpr15
                                        ; implicit-def: $sgpr16_sgpr17
	s_waitcnt lgkmcnt(0)
	v_ashrrev_i32_e32 v5, 31, v4
	s_branch .LBB37_293
.LBB37_291:                             ;   in Loop: Header=BB37_293 Depth=1
	s_or_b64 exec, exec, s[26:27]
	s_andn2_b64 s[0:1], s[16:17], exec
	s_and_b64 s[16:17], s[20:21], exec
	s_or_b64 s[16:17], s[0:1], s[16:17]
	s_andn2_b64 s[0:1], s[14:15], exec
	s_and_b64 s[2:3], s[2:3], exec
	s_or_b64 s[14:15], s[0:1], s[2:3]
.LBB37_292:                             ;   in Loop: Header=BB37_293 Depth=1
	s_or_b64 exec, exec, s[18:19]
	s_and_b64 s[0:1], exec, s[14:15]
	s_or_b64 s[8:9], s[0:1], s[8:9]
	s_andn2_b64 s[0:1], s[12:13], exec
	s_and_b64 s[2:3], s[16:17], exec
	s_or_b64 s[12:13], s[0:1], s[2:3]
	s_andn2_b64 exec, exec, s[8:9]
	s_cbranch_execz .LBB37_299
.LBB37_293:                             ; =>This Inner Loop Header: Depth=1
	v_mov_b32_e32 v3, v1
	v_mov_b32_e32 v2, v0
	v_cmp_lt_i64_e32 vcc, v[2:3], v[4:5]
	s_or_b64 s[16:17], s[16:17], exec
	s_or_b64 s[14:15], s[14:15], exec
                                        ; implicit-def: $vgpr0_vgpr1
	s_and_saveexec_b64 s[18:19], vcc
	s_cbranch_execz .LBB37_292
; %bb.294:                              ;   in Loop: Header=BB37_293 Depth=1
	global_load_ushort v0, v[12:13], off
	s_mov_b64 s[2:3], -1
	s_mov_b64 s[20:21], 0
	s_waitcnt vmcnt(0)
	v_cmp_ne_u16_e32 vcc, v0, v49
                                        ; implicit-def: $vgpr0_vgpr1
	s_and_saveexec_b64 s[26:27], vcc
	s_cbranch_execz .LBB37_291
; %bb.295:                              ;   in Loop: Header=BB37_293 Depth=1
	v_add_co_u32_e32 v0, vcc, s33, v2
	v_addc_co_u32_e32 v1, vcc, 0, v3, vcc
	v_mov_b32_e32 v3, s59
	v_cmp_le_i64_e32 vcc, s[24:25], v[0:1]
	v_add_co_u32_e64 v12, s[2:3], s58, v12
	v_addc_co_u32_e64 v13, s[2:3], v13, v3, s[2:3]
	s_mov_b64 s[20:21], exec
	s_orn2_b64 s[2:3], vcc, exec
	s_branch .LBB37_291
.LBB37_296:
                                        ; implicit-def: $sgpr16_sgpr17
	s_branch .LBB37_3
.LBB37_297:
                                        ; implicit-def: $sgpr0_sgpr1
                                        ; kill: killed $sgpr0_sgpr1
	s_branch .LBB37_6
.LBB37_298:
                                        ; implicit-def: $sgpr10_sgpr11
                                        ; kill: killed $sgpr10_sgpr11
	s_load_dwordx2 s[18:19], s[4:5], 0x0
	s_branch .LBB37_9
.LBB37_299:
	s_or_b64 exec, exec, s[8:9]
	s_xor_b64 s[0:1], s[12:13], -1
	s_and_saveexec_b64 s[2:3], s[0:1]
	s_xor_b64 s[2:3], exec, s[2:3]
	s_cbranch_execz .LBB37_304
; %bb.300:
	s_mov_b64 s[2:3], exec
	s_brev_b32 s0, -2
.LBB37_301:                             ; =>This Inner Loop Header: Depth=1
	s_ff1_i32_b64 s1, s[2:3]
	v_readlane_b32 s12, v2, s1
	s_lshl_b64 s[8:9], 1, s1
	s_min_i32 s0, s0, s12
	s_andn2_b64 s[2:3], s[2:3], s[8:9]
	s_cmp_lg_u64 s[2:3], 0
	s_cbranch_scc1 .LBB37_301
; %bb.302:
	v_mbcnt_lo_u32_b32 v0, exec_lo, 0
	v_mbcnt_hi_u32_b32 v0, exec_hi, v0
	v_cmp_eq_u32_e32 vcc, 0, v0
	s_and_saveexec_b64 s[2:3], vcc
	s_xor_b64 s[2:3], exec, s[2:3]
; %bb.303:
	v_mov_b32_e32 v0, 0
	v_mov_b32_e32 v1, s0
	ds_min_i32 v0, v1 offset:5140
.LBB37_304:
	s_or_b64 exec, exec, s[10:11]
	s_waitcnt lgkmcnt(0)
	s_barrier
	s_mov_b64 s[2:3], exec
	v_readlane_b32 s0, v58, 12
	v_readlane_b32 s1, v58, 13
	s_and_b64 s[0:1], s[2:3], s[0:1]
	s_mov_b64 exec, s[0:1]
	s_cbranch_execz .LBB37_306
; %bb.305:
	v_readlane_b32 s8, v58, 0
	v_readlane_b32 s9, v58, 1
	;; [unrolled: 1-line block ×4, first 2 shown]
	s_mul_i32 s0, s10, s9
	s_mul_hi_u32 s1, s10, s8
	s_add_i32 s0, s1, s0
	s_mul_i32 s1, s11, s8
	s_add_i32 s0, s0, s1
	s_mul_i32 s1, s10, s8
	v_readlane_b32 s12, v58, 35
	s_sub_u32 s8, s66, s1
	v_readlane_b32 s14, v58, 37
	v_readlane_b32 s15, v58, 38
	s_subb_u32 s0, 0, s0
	s_mul_i32 s1, s8, s15
	s_mul_hi_u32 s9, s8, s14
	v_readlane_b32 s13, v58, 36
	s_add_i32 s1, s9, s1
	s_mul_i32 s0, s0, s14
	s_add_i32 s1, s1, s0
	s_mul_i32 s0, s8, s14
	s_mul_i32 s8, s10, s13
	s_mul_hi_u32 s9, s10, s12
	s_add_i32 s8, s9, s8
	s_mul_i32 s9, s11, s12
	s_add_i32 s9, s8, s9
	s_mul_i32 s8, s10, s12
	v_readlane_b32 s12, v58, 2
	v_readlane_b32 s13, v58, 3
	;; [unrolled: 1-line block ×4, first 2 shown]
	s_mul_i32 s10, s14, s13
	s_mul_hi_u32 s11, s14, s12
	s_add_i32 s10, s11, s10
	s_mul_i32 s11, s15, s12
	s_add_i32 s10, s10, s11
	s_mul_i32 s11, s14, s12
	v_readlane_b32 s16, v58, 31
	s_sub_u32 s12, s66, s11
	v_readlane_b32 s18, v58, 33
	v_readlane_b32 s19, v58, 34
	s_subb_u32 s10, 0, s10
	s_mul_i32 s11, s12, s19
	s_mul_hi_u32 s13, s12, s18
	v_readlane_b32 s17, v58, 32
	s_add_i32 s11, s13, s11
	s_mul_i32 s10, s10, s18
	s_add_i32 s11, s11, s10
	s_mul_i32 s10, s12, s18
	s_mul_i32 s12, s14, s17
	s_mul_hi_u32 s13, s14, s16
	s_add_i32 s12, s13, s12
	s_mul_i32 s13, s15, s16
	s_add_i32 s13, s12, s13
	s_mul_i32 s12, s14, s16
	s_lshl_b64 s[8:9], s[8:9], 1
	v_readlane_b32 s14, v58, 10
	v_readlane_b32 s15, v58, 11
	s_add_u32 s8, s14, s8
	s_addc_u32 s9, s15, s9
	s_lshl_b64 s[0:1], s[0:1], 1
	v_mov_b32_e32 v2, 0
	s_add_u32 s0, s8, s0
	ds_read_b32 v0, v2 offset:5140
	s_addc_u32 s1, s9, s1
	s_lshl_b64 s[8:9], s[12:13], 3
	v_readlane_b32 s12, v58, 8
	v_readlane_b32 s13, v58, 9
	s_add_u32 s12, s12, s8
	s_addc_u32 s13, s13, s9
	s_lshl_b64 s[8:9], s[10:11], 3
	s_add_u32 s8, s12, s8
	s_addc_u32 s9, s13, s9
	s_waitcnt lgkmcnt(0)
	v_ashrrev_i32_e32 v1, 31, v0
	global_store_dwordx2 v2, v[0:1], s[8:9]
	global_store_short v2, v49, s[0:1]
.LBB37_306:
	s_or_b64 exec, exec, s[2:3]
.LBB37_307:
	s_or_saveexec_b64 s[0:1], s[6:7]
	s_mov_b64 s[2:3], 0
	s_xor_b64 exec, exec, s[0:1]
	s_cbranch_execnz .LBB37_310
.LBB37_308:
	s_or_b64 exec, exec, s[0:1]
	s_and_b64 s[2:3], s[2:3], exec
	s_andn2_saveexec_b64 s[0:1], s[4:5]
	s_cbranch_execz .LBB37_281
.LBB37_309:
	s_or_b64 s[2:3], s[2:3], exec
	s_trap 2
	s_or_b64 exec, exec, s[0:1]
	s_and_saveexec_b64 s[0:1], s[2:3]
	s_cbranch_execnz .LBB37_282
	s_branch .LBB37_283
.LBB37_310:
	s_mov_b64 s[2:3], exec
	s_trap 2
	s_branch .LBB37_308
	.section	.rodata,"a",@progbits
	.p2align	6, 0x0
	.amdhsa_kernel _ZN2at6native12_GLOBAL__N_114gatherKthValueIslLi2EEEvNS_4cuda6detail10TensorInfoIKT_T0_EES8_S8_S8_S8_NS5_IS6_S8_EENS5_IlS8_EE
		.amdhsa_group_segment_fixed_size 5144
		.amdhsa_private_segment_fixed_size 0
		.amdhsa_kernarg_size 1536
		.amdhsa_user_sgpr_count 6
		.amdhsa_user_sgpr_private_segment_buffer 1
		.amdhsa_user_sgpr_dispatch_ptr 0
		.amdhsa_user_sgpr_queue_ptr 0
		.amdhsa_user_sgpr_kernarg_segment_ptr 1
		.amdhsa_user_sgpr_dispatch_id 0
		.amdhsa_user_sgpr_flat_scratch_init 0
		.amdhsa_user_sgpr_private_segment_size 0
		.amdhsa_uses_dynamic_stack 0
		.amdhsa_system_sgpr_private_segment_wavefront_offset 0
		.amdhsa_system_sgpr_workgroup_id_x 1
		.amdhsa_system_sgpr_workgroup_id_y 1
		.amdhsa_system_sgpr_workgroup_id_z 1
		.amdhsa_system_sgpr_workgroup_info 0
		.amdhsa_system_vgpr_workitem_id 0
		.amdhsa_next_free_vgpr 59
		.amdhsa_next_free_sgpr 96
		.amdhsa_reserve_vcc 1
		.amdhsa_reserve_flat_scratch 0
		.amdhsa_float_round_mode_32 0
		.amdhsa_float_round_mode_16_64 0
		.amdhsa_float_denorm_mode_32 3
		.amdhsa_float_denorm_mode_16_64 3
		.amdhsa_dx10_clamp 1
		.amdhsa_ieee_mode 1
		.amdhsa_fp16_overflow 0
		.amdhsa_exception_fp_ieee_invalid_op 0
		.amdhsa_exception_fp_denorm_src 0
		.amdhsa_exception_fp_ieee_div_zero 0
		.amdhsa_exception_fp_ieee_overflow 0
		.amdhsa_exception_fp_ieee_underflow 0
		.amdhsa_exception_fp_ieee_inexact 0
		.amdhsa_exception_int_div_zero 0
	.end_amdhsa_kernel
	.section	.text._ZN2at6native12_GLOBAL__N_114gatherKthValueIslLi2EEEvNS_4cuda6detail10TensorInfoIKT_T0_EES8_S8_S8_S8_NS5_IS6_S8_EENS5_IlS8_EE,"axG",@progbits,_ZN2at6native12_GLOBAL__N_114gatherKthValueIslLi2EEEvNS_4cuda6detail10TensorInfoIKT_T0_EES8_S8_S8_S8_NS5_IS6_S8_EENS5_IlS8_EE,comdat
.Lfunc_end37:
	.size	_ZN2at6native12_GLOBAL__N_114gatherKthValueIslLi2EEEvNS_4cuda6detail10TensorInfoIKT_T0_EES8_S8_S8_S8_NS5_IS6_S8_EENS5_IlS8_EE, .Lfunc_end37-_ZN2at6native12_GLOBAL__N_114gatherKthValueIslLi2EEEvNS_4cuda6detail10TensorInfoIKT_T0_EES8_S8_S8_S8_NS5_IS6_S8_EENS5_IlS8_EE
                                        ; -- End function
	.set _ZN2at6native12_GLOBAL__N_114gatherKthValueIslLi2EEEvNS_4cuda6detail10TensorInfoIKT_T0_EES8_S8_S8_S8_NS5_IS6_S8_EENS5_IlS8_EE.num_vgpr, 59
	.set _ZN2at6native12_GLOBAL__N_114gatherKthValueIslLi2EEEvNS_4cuda6detail10TensorInfoIKT_T0_EES8_S8_S8_S8_NS5_IS6_S8_EENS5_IlS8_EE.num_agpr, 0
	.set _ZN2at6native12_GLOBAL__N_114gatherKthValueIslLi2EEEvNS_4cuda6detail10TensorInfoIKT_T0_EES8_S8_S8_S8_NS5_IS6_S8_EENS5_IlS8_EE.numbered_sgpr, 96
	.set _ZN2at6native12_GLOBAL__N_114gatherKthValueIslLi2EEEvNS_4cuda6detail10TensorInfoIKT_T0_EES8_S8_S8_S8_NS5_IS6_S8_EENS5_IlS8_EE.num_named_barrier, 0
	.set _ZN2at6native12_GLOBAL__N_114gatherKthValueIslLi2EEEvNS_4cuda6detail10TensorInfoIKT_T0_EES8_S8_S8_S8_NS5_IS6_S8_EENS5_IlS8_EE.private_seg_size, 0
	.set _ZN2at6native12_GLOBAL__N_114gatherKthValueIslLi2EEEvNS_4cuda6detail10TensorInfoIKT_T0_EES8_S8_S8_S8_NS5_IS6_S8_EENS5_IlS8_EE.uses_vcc, 1
	.set _ZN2at6native12_GLOBAL__N_114gatherKthValueIslLi2EEEvNS_4cuda6detail10TensorInfoIKT_T0_EES8_S8_S8_S8_NS5_IS6_S8_EENS5_IlS8_EE.uses_flat_scratch, 0
	.set _ZN2at6native12_GLOBAL__N_114gatherKthValueIslLi2EEEvNS_4cuda6detail10TensorInfoIKT_T0_EES8_S8_S8_S8_NS5_IS6_S8_EENS5_IlS8_EE.has_dyn_sized_stack, 0
	.set _ZN2at6native12_GLOBAL__N_114gatherKthValueIslLi2EEEvNS_4cuda6detail10TensorInfoIKT_T0_EES8_S8_S8_S8_NS5_IS6_S8_EENS5_IlS8_EE.has_recursion, 0
	.set _ZN2at6native12_GLOBAL__N_114gatherKthValueIslLi2EEEvNS_4cuda6detail10TensorInfoIKT_T0_EES8_S8_S8_S8_NS5_IS6_S8_EENS5_IlS8_EE.has_indirect_call, 0
	.section	.AMDGPU.csdata,"",@progbits
; Kernel info:
; codeLenInByte = 18572
; TotalNumSgprs: 100
; NumVgprs: 59
; ScratchSize: 0
; MemoryBound: 0
; FloatMode: 240
; IeeeMode: 1
; LDSByteSize: 5144 bytes/workgroup (compile time only)
; SGPRBlocks: 12
; VGPRBlocks: 14
; NumSGPRsForWavesPerEU: 100
; NumVGPRsForWavesPerEU: 59
; Occupancy: 4
; WaveLimiterHint : 1
; COMPUTE_PGM_RSRC2:SCRATCH_EN: 0
; COMPUTE_PGM_RSRC2:USER_SGPR: 6
; COMPUTE_PGM_RSRC2:TRAP_HANDLER: 0
; COMPUTE_PGM_RSRC2:TGID_X_EN: 1
; COMPUTE_PGM_RSRC2:TGID_Y_EN: 1
; COMPUTE_PGM_RSRC2:TGID_Z_EN: 1
; COMPUTE_PGM_RSRC2:TIDIG_COMP_CNT: 0
	.section	.text._ZN2at6native12_GLOBAL__N_114gatherKthValueIslLi3EEEvNS_4cuda6detail10TensorInfoIKT_T0_EES8_S8_S8_S8_NS5_IS6_S8_EENS5_IlS8_EE,"axG",@progbits,_ZN2at6native12_GLOBAL__N_114gatherKthValueIslLi3EEEvNS_4cuda6detail10TensorInfoIKT_T0_EES8_S8_S8_S8_NS5_IS6_S8_EENS5_IlS8_EE,comdat
	.globl	_ZN2at6native12_GLOBAL__N_114gatherKthValueIslLi3EEEvNS_4cuda6detail10TensorInfoIKT_T0_EES8_S8_S8_S8_NS5_IS6_S8_EENS5_IlS8_EE ; -- Begin function _ZN2at6native12_GLOBAL__N_114gatherKthValueIslLi3EEEvNS_4cuda6detail10TensorInfoIKT_T0_EES8_S8_S8_S8_NS5_IS6_S8_EENS5_IlS8_EE
	.p2align	8
	.type	_ZN2at6native12_GLOBAL__N_114gatherKthValueIslLi3EEEvNS_4cuda6detail10TensorInfoIKT_T0_EES8_S8_S8_S8_NS5_IS6_S8_EENS5_IlS8_EE,@function
_ZN2at6native12_GLOBAL__N_114gatherKthValueIslLi3EEEvNS_4cuda6detail10TensorInfoIKT_T0_EES8_S8_S8_S8_NS5_IS6_S8_EENS5_IlS8_EE: ; @_ZN2at6native12_GLOBAL__N_114gatherKthValueIslLi3EEEvNS_4cuda6detail10TensorInfoIKT_T0_EES8_S8_S8_S8_NS5_IS6_S8_EENS5_IlS8_EE
; %bb.0:
	s_load_dwordx2 s[18:19], s[4:5], 0x500
	s_load_dwordx8 s[24:31], s[4:5], 0x1a0
	s_add_u32 s16, s4, 0x500
	s_addc_u32 s17, s5, 0
	s_mov_b32 s49, 0
	s_waitcnt lgkmcnt(0)
	s_mul_i32 s0, s19, s8
	s_add_i32 s0, s0, s7
	s_mul_i32 s0, s0, s18
	s_add_i32 s48, s0, s6
	v_mov_b32_e32 v1, s48
	v_mov_b32_e32 v2, s49
	v_cmp_le_i64_e32 vcc, s[28:29], v[1:2]
	s_cbranch_vccnz .LBB38_301
; %bb.1:
	s_load_dwordx4 s[8:11], s[4:5], 0x10
	s_mov_b32 s0, s49
	s_waitcnt lgkmcnt(0)
	s_mov_b32 s1, s11
	s_cmp_lg_u64 s[0:1], 0
	s_cbranch_scc0 .LBB38_6
; %bb.2:
	s_ashr_i32 s0, s11, 31
	s_add_u32 s2, s10, s0
	s_mov_b32 s1, s0
	s_addc_u32 s3, s11, s0
	s_xor_b64 s[2:3], s[2:3], s[0:1]
	v_cvt_f32_u32_e32 v1, s2
	v_cvt_f32_u32_e32 v2, s3
	s_sub_u32 s7, 0, s2
	s_subb_u32 s19, 0, s3
	v_madmk_f32 v1, v2, 0x4f800000, v1
	v_rcp_f32_e32 v1, v1
	v_mul_f32_e32 v1, 0x5f7ffffc, v1
	v_mul_f32_e32 v2, 0x2f800000, v1
	v_trunc_f32_e32 v2, v2
	v_madmk_f32 v1, v2, 0xcf800000, v1
	v_cvt_u32_f32_e32 v2, v2
	v_cvt_u32_f32_e32 v1, v1
	v_readfirstlane_b32 s20, v2
	v_readfirstlane_b32 s14, v1
	s_mul_i32 s15, s7, s20
	s_mul_hi_u32 s22, s7, s14
	s_mul_i32 s21, s19, s14
	s_add_i32 s15, s22, s15
	s_add_i32 s15, s15, s21
	s_mul_i32 s23, s7, s14
	s_mul_i32 s22, s14, s15
	s_mul_hi_u32 s28, s14, s23
	s_mul_hi_u32 s21, s14, s15
	s_add_u32 s22, s28, s22
	s_addc_u32 s21, 0, s21
	s_mul_hi_u32 s29, s20, s23
	s_mul_i32 s23, s20, s23
	s_add_u32 s22, s22, s23
	s_mul_hi_u32 s28, s20, s15
	s_addc_u32 s21, s21, s29
	s_addc_u32 s22, s28, 0
	s_mul_i32 s15, s20, s15
	s_add_u32 s15, s21, s15
	s_addc_u32 s21, 0, s22
	s_add_u32 s22, s14, s15
	s_cselect_b64 s[14:15], -1, 0
	s_cmp_lg_u64 s[14:15], 0
	s_addc_u32 s20, s20, s21
	s_mul_i32 s14, s7, s20
	s_mul_hi_u32 s15, s7, s22
	s_add_i32 s14, s15, s14
	s_mul_i32 s19, s19, s22
	s_add_i32 s14, s14, s19
	s_mul_i32 s7, s7, s22
	s_mul_hi_u32 s19, s20, s7
	s_mul_i32 s21, s20, s7
	s_mul_i32 s28, s22, s14
	s_mul_hi_u32 s7, s22, s7
	s_mul_hi_u32 s23, s22, s14
	s_add_u32 s7, s7, s28
	s_addc_u32 s23, 0, s23
	s_add_u32 s7, s7, s21
	s_mul_hi_u32 s15, s20, s14
	s_addc_u32 s7, s23, s19
	s_addc_u32 s15, s15, 0
	s_mul_i32 s14, s20, s14
	s_add_u32 s7, s7, s14
	s_addc_u32 s19, 0, s15
	s_add_u32 s7, s22, s7
	s_cselect_b64 s[14:15], -1, 0
	s_cmp_lg_u64 s[14:15], 0
	s_addc_u32 s19, s20, s19
	s_add_u32 s14, s48, 0
	s_addc_u32 s15, 0, 0
	s_xor_b64 s[14:15], s[14:15], 0
	s_mul_i32 s21, s14, s19
	s_mul_hi_u32 s22, s14, s7
	s_mul_hi_u32 s20, s14, s19
	s_add_u32 s21, s22, s21
	s_addc_u32 s20, 0, s20
	s_mul_hi_u32 s23, s15, s7
	s_mul_i32 s7, s15, s7
	s_add_u32 s7, s21, s7
	s_mul_hi_u32 s22, s15, s19
	s_addc_u32 s7, s20, s23
	s_addc_u32 s20, s22, 0
	s_mul_i32 s19, s15, s19
	s_add_u32 s7, s7, s19
	s_addc_u32 s19, 0, s20
	s_mul_i32 s20, s2, s19
	s_mul_hi_u32 s21, s2, s7
	s_add_i32 s20, s21, s20
	s_mul_i32 s21, s3, s7
	s_add_i32 s28, s20, s21
	s_sub_i32 s22, s15, s28
	s_mul_i32 s20, s2, s7
	s_sub_u32 s14, s14, s20
	s_cselect_b64 s[20:21], -1, 0
	s_cmp_lg_u64 s[20:21], 0
	s_subb_u32 s29, s22, s3
	s_sub_u32 s33, s14, s2
	s_cselect_b64 s[22:23], -1, 0
	s_cmp_lg_u64 s[22:23], 0
	s_subb_u32 s22, s29, 0
	s_cmp_ge_u32 s22, s3
	s_cselect_b32 s23, -1, 0
	s_cmp_ge_u32 s33, s2
	s_cselect_b32 s29, -1, 0
	s_cmp_eq_u32 s22, s3
	s_cselect_b32 s22, s29, s23
	s_add_u32 s23, s7, 1
	s_addc_u32 s29, s19, 0
	s_add_u32 s33, s7, 2
	s_addc_u32 s34, s19, 0
	s_cmp_lg_u32 s22, 0
	s_cselect_b32 s22, s33, s23
	s_cselect_b32 s23, s34, s29
	s_cmp_lg_u64 s[20:21], 0
	s_subb_u32 s15, s15, s28
	s_cmp_ge_u32 s15, s3
	s_cselect_b32 s20, -1, 0
	s_cmp_ge_u32 s14, s2
	s_cselect_b32 s2, -1, 0
	s_cmp_eq_u32 s15, s3
	s_cselect_b32 s2, s2, s20
	s_cmp_lg_u32 s2, 0
	s_cselect_b32 s3, s23, s19
	s_cselect_b32 s2, s22, s7
	s_xor_b64 s[0:1], 0, s[0:1]
	s_xor_b64 s[2:3], s[2:3], s[0:1]
	s_sub_u32 s2, s2, s0
	s_subb_u32 s3, s3, s1
	s_cbranch_execnz .LBB38_4
.LBB38_3:
	v_cvt_f32_u32_e32 v1, s10
	s_sub_i32 s0, 0, s10
	s_mov_b32 s3, 0
	v_rcp_iflag_f32_e32 v1, v1
	v_mul_f32_e32 v1, 0x4f7ffffe, v1
	v_cvt_u32_f32_e32 v1, v1
	v_readfirstlane_b32 s1, v1
	s_mul_i32 s0, s0, s1
	s_mul_hi_u32 s0, s1, s0
	s_add_i32 s1, s1, s0
	s_mul_hi_u32 s0, s48, s1
	s_mul_i32 s2, s0, s10
	s_sub_i32 s2, s48, s2
	s_add_i32 s1, s0, 1
	s_sub_i32 s7, s2, s10
	s_cmp_ge_u32 s2, s10
	s_cselect_b32 s0, s1, s0
	s_cselect_b32 s2, s7, s2
	s_add_i32 s1, s0, 1
	s_cmp_ge_u32 s2, s10
	s_cselect_b32 s2, s1, s0
.LBB38_4:
	s_or_b64 s[0:1], s[2:3], s[8:9]
	s_mov_b32 s0, 0
	s_cmp_lg_u64 s[0:1], 0
	s_cbranch_scc0 .LBB38_7
; %bb.5:
	s_ashr_i32 s12, s9, 31
	s_add_u32 s0, s8, s12
	s_mov_b32 s13, s12
	s_addc_u32 s1, s9, s12
	s_xor_b64 s[14:15], s[0:1], s[12:13]
	v_cvt_f32_u32_e32 v1, s14
	v_cvt_f32_u32_e32 v2, s15
	s_sub_u32 s7, 0, s14
	s_subb_u32 s19, 0, s15
	s_mov_b64 s[0:1], 0
	v_madmk_f32 v1, v2, 0x4f800000, v1
	v_rcp_f32_e32 v1, v1
	v_mul_f32_e32 v1, 0x5f7ffffc, v1
	v_mul_f32_e32 v2, 0x2f800000, v1
	v_trunc_f32_e32 v2, v2
	v_madmk_f32 v1, v2, 0xcf800000, v1
	v_cvt_u32_f32_e32 v2, v2
	v_cvt_u32_f32_e32 v1, v1
	v_readfirstlane_b32 s22, v2
	v_readfirstlane_b32 s20, v1
	s_mul_i32 s21, s7, s22
	s_mul_hi_u32 s28, s7, s20
	s_mul_i32 s23, s19, s20
	s_add_i32 s21, s28, s21
	s_add_i32 s21, s21, s23
	s_mul_i32 s29, s7, s20
	s_mul_i32 s28, s20, s21
	s_mul_hi_u32 s33, s20, s29
	s_mul_hi_u32 s23, s20, s21
	s_add_u32 s28, s33, s28
	s_addc_u32 s23, 0, s23
	s_mul_hi_u32 s34, s22, s29
	s_mul_i32 s29, s22, s29
	s_add_u32 s28, s28, s29
	s_mul_hi_u32 s33, s22, s21
	s_addc_u32 s23, s23, s34
	s_addc_u32 s28, s33, 0
	s_mul_i32 s21, s22, s21
	s_add_u32 s21, s23, s21
	s_addc_u32 s23, 0, s28
	s_add_u32 s28, s20, s21
	s_cselect_b64 s[20:21], -1, 0
	s_cmp_lg_u64 s[20:21], 0
	s_addc_u32 s22, s22, s23
	s_mul_i32 s20, s7, s22
	s_mul_hi_u32 s21, s7, s28
	s_add_i32 s20, s21, s20
	s_mul_i32 s19, s19, s28
	s_add_i32 s20, s20, s19
	s_mul_i32 s7, s7, s28
	s_mul_hi_u32 s21, s22, s7
	s_mul_i32 s23, s22, s7
	s_mul_i32 s33, s28, s20
	s_mul_hi_u32 s7, s28, s7
	s_mul_hi_u32 s29, s28, s20
	s_add_u32 s7, s7, s33
	s_addc_u32 s29, 0, s29
	s_add_u32 s7, s7, s23
	s_mul_hi_u32 s19, s22, s20
	s_addc_u32 s7, s29, s21
	s_addc_u32 s19, s19, 0
	s_mul_i32 s20, s22, s20
	s_add_u32 s7, s7, s20
	s_addc_u32 s19, 0, s19
	s_add_u32 s7, s28, s7
	s_cselect_b64 s[20:21], -1, 0
	s_cmp_lg_u64 s[20:21], 0
	s_addc_u32 s19, s22, s19
	s_ashr_i32 s20, s3, 31
	s_add_u32 s22, s2, s20
	s_mov_b32 s21, s20
	s_addc_u32 s23, s3, s20
	s_xor_b64 s[22:23], s[22:23], s[20:21]
	s_mul_i32 s29, s22, s19
	s_mul_hi_u32 s33, s22, s7
	s_mul_hi_u32 s28, s22, s19
	s_add_u32 s29, s33, s29
	s_addc_u32 s28, 0, s28
	s_mul_hi_u32 s34, s23, s7
	s_mul_i32 s7, s23, s7
	s_add_u32 s7, s29, s7
	s_mul_hi_u32 s33, s23, s19
	s_addc_u32 s7, s28, s34
	s_addc_u32 s28, s33, 0
	s_mul_i32 s19, s23, s19
	s_add_u32 s7, s7, s19
	s_addc_u32 s19, 0, s28
	s_mul_i32 s28, s14, s19
	s_mul_hi_u32 s29, s14, s7
	s_add_i32 s28, s29, s28
	s_mul_i32 s29, s15, s7
	s_add_i32 s33, s28, s29
	s_sub_i32 s34, s23, s33
	s_mul_i32 s28, s14, s7
	s_sub_u32 s22, s22, s28
	s_cselect_b64 s[28:29], -1, 0
	s_cmp_lg_u64 s[28:29], 0
	s_subb_u32 s36, s34, s15
	s_sub_u32 s37, s22, s14
	s_cselect_b64 s[34:35], -1, 0
	s_cmp_lg_u64 s[34:35], 0
	s_subb_u32 s34, s36, 0
	s_cmp_ge_u32 s34, s15
	s_cselect_b32 s35, -1, 0
	s_cmp_ge_u32 s37, s14
	s_cselect_b32 s36, -1, 0
	s_cmp_eq_u32 s34, s15
	s_cselect_b32 s34, s36, s35
	s_add_u32 s35, s7, 1
	s_addc_u32 s36, s19, 0
	s_add_u32 s37, s7, 2
	s_addc_u32 s38, s19, 0
	s_cmp_lg_u32 s34, 0
	s_cselect_b32 s34, s37, s35
	s_cselect_b32 s35, s38, s36
	s_cmp_lg_u64 s[28:29], 0
	s_subb_u32 s23, s23, s33
	s_cmp_ge_u32 s23, s15
	s_cselect_b32 s28, -1, 0
	s_cmp_ge_u32 s22, s14
	s_cselect_b32 s14, -1, 0
	s_cmp_eq_u32 s23, s15
	s_cselect_b32 s14, s14, s28
	s_cmp_lg_u32 s14, 0
	s_cselect_b32 s15, s35, s19
	s_cselect_b32 s14, s34, s7
	s_xor_b64 s[12:13], s[20:21], s[12:13]
	s_xor_b64 s[14:15], s[14:15], s[12:13]
	s_sub_u32 s20, s14, s12
	s_subb_u32 s21, s15, s13
	s_branch .LBB38_8
.LBB38_6:
                                        ; implicit-def: $sgpr2_sgpr3
	s_branch .LBB38_3
.LBB38_7:
	s_mov_b64 s[0:1], -1
                                        ; implicit-def: $sgpr20_sgpr21
.LBB38_8:
	s_load_dwordx4 s[12:15], s[4:5], 0x1d0
                                        ; implicit-def: $vgpr53 : SGPR spill to VGPR lane
	s_andn2_b64 vcc, exec, s[0:1]
	s_waitcnt lgkmcnt(0)
	v_writelane_b32 v53, s12, 0
	v_writelane_b32 v53, s13, 1
	;; [unrolled: 1-line block ×4, first 2 shown]
	s_cbranch_vccnz .LBB38_10
; %bb.9:
	v_cvt_f32_u32_e32 v1, s8
	s_sub_i32 s0, 0, s8
	s_mov_b32 s21, 0
	v_rcp_iflag_f32_e32 v1, v1
	v_mul_f32_e32 v1, 0x4f7ffffe, v1
	v_cvt_u32_f32_e32 v1, v1
	v_readfirstlane_b32 s1, v1
	s_mul_i32 s0, s0, s1
	s_mul_hi_u32 s0, s1, s0
	s_add_i32 s1, s1, s0
	s_mul_hi_u32 s0, s2, s1
	s_mul_i32 s7, s0, s8
	s_sub_i32 s7, s2, s7
	s_add_i32 s1, s0, 1
	s_sub_i32 s12, s7, s8
	s_cmp_ge_u32 s7, s8
	s_cselect_b32 s0, s1, s0
	s_cselect_b32 s7, s12, s7
	s_add_i32 s1, s0, 1
	s_cmp_ge_u32 s7, s8
	s_cselect_b32 s20, s1, s0
.LBB38_10:
	s_load_dwordx4 s[12:15], s[4:5], 0x1d0
	s_mov_b32 s0, 0
	s_waitcnt lgkmcnt(0)
	s_mov_b32 s1, s15
	s_cmp_lg_u64 s[0:1], 0
	s_cbranch_scc0 .LBB38_15
; %bb.11:
	s_ashr_i32 s0, s15, 31
	s_add_u32 s12, s14, s0
	s_mov_b32 s1, s0
	s_addc_u32 s13, s15, s0
	s_xor_b64 s[14:15], s[12:13], s[0:1]
	v_cvt_f32_u32_e32 v1, s14
	v_cvt_f32_u32_e32 v2, s15
	s_sub_u32 s7, 0, s14
	s_subb_u32 s19, 0, s15
	v_madmk_f32 v1, v2, 0x4f800000, v1
	v_rcp_f32_e32 v1, v1
	v_mul_f32_e32 v1, 0x5f7ffffc, v1
	v_mul_f32_e32 v2, 0x2f800000, v1
	v_trunc_f32_e32 v2, v2
	v_madmk_f32 v1, v2, 0xcf800000, v1
	v_cvt_u32_f32_e32 v2, v2
	v_cvt_u32_f32_e32 v1, v1
	v_readfirstlane_b32 s28, v2
	v_readfirstlane_b32 s22, v1
	s_mul_i32 s23, s7, s28
	s_mul_hi_u32 s33, s7, s22
	s_mul_i32 s29, s19, s22
	s_add_i32 s23, s33, s23
	s_add_i32 s23, s23, s29
	s_mul_i32 s34, s7, s22
	s_mul_i32 s33, s22, s23
	s_mul_hi_u32 s35, s22, s34
	s_mul_hi_u32 s29, s22, s23
	s_add_u32 s33, s35, s33
	s_addc_u32 s29, 0, s29
	s_mul_hi_u32 s36, s28, s34
	s_mul_i32 s34, s28, s34
	s_add_u32 s33, s33, s34
	s_mul_hi_u32 s35, s28, s23
	s_addc_u32 s29, s29, s36
	s_addc_u32 s33, s35, 0
	s_mul_i32 s23, s28, s23
	s_add_u32 s23, s29, s23
	s_addc_u32 s29, 0, s33
	s_add_u32 s33, s22, s23
	s_cselect_b64 s[22:23], -1, 0
	s_cmp_lg_u64 s[22:23], 0
	s_addc_u32 s28, s28, s29
	s_mul_i32 s22, s7, s28
	s_mul_hi_u32 s23, s7, s33
	s_add_i32 s22, s23, s22
	s_mul_i32 s19, s19, s33
	s_add_i32 s22, s22, s19
	s_mul_i32 s7, s7, s33
	s_mul_hi_u32 s23, s28, s7
	s_mul_i32 s29, s28, s7
	s_mul_i32 s35, s33, s22
	s_mul_hi_u32 s7, s33, s7
	s_mul_hi_u32 s34, s33, s22
	s_add_u32 s7, s7, s35
	s_addc_u32 s34, 0, s34
	s_add_u32 s7, s7, s29
	s_mul_hi_u32 s19, s28, s22
	s_addc_u32 s7, s34, s23
	s_addc_u32 s19, s19, 0
	s_mul_i32 s22, s28, s22
	s_add_u32 s7, s7, s22
	s_addc_u32 s19, 0, s19
	s_add_u32 s7, s33, s7
	s_cselect_b64 s[22:23], -1, 0
	s_cmp_lg_u64 s[22:23], 0
	s_addc_u32 s19, s28, s19
	s_add_u32 s22, s48, 0
	s_addc_u32 s23, 0, 0
	s_xor_b64 s[22:23], s[22:23], 0
	s_mul_i32 s29, s22, s19
	s_mul_hi_u32 s33, s22, s7
	s_mul_hi_u32 s28, s22, s19
	s_add_u32 s29, s33, s29
	s_addc_u32 s28, 0, s28
	s_mul_hi_u32 s34, s23, s7
	s_mul_i32 s7, s23, s7
	s_add_u32 s7, s29, s7
	s_mul_hi_u32 s33, s23, s19
	s_addc_u32 s7, s28, s34
	s_addc_u32 s28, s33, 0
	s_mul_i32 s19, s23, s19
	s_add_u32 s7, s7, s19
	s_addc_u32 s19, 0, s28
	s_mul_i32 s28, s14, s19
	s_mul_hi_u32 s29, s14, s7
	s_add_i32 s28, s29, s28
	s_mul_i32 s29, s15, s7
	s_add_i32 s33, s28, s29
	s_sub_i32 s34, s23, s33
	s_mul_i32 s28, s14, s7
	s_sub_u32 s22, s22, s28
	s_cselect_b64 s[28:29], -1, 0
	s_cmp_lg_u64 s[28:29], 0
	s_subb_u32 s36, s34, s15
	s_sub_u32 s37, s22, s14
	s_cselect_b64 s[34:35], -1, 0
	s_cmp_lg_u64 s[34:35], 0
	s_subb_u32 s34, s36, 0
	s_cmp_ge_u32 s34, s15
	s_cselect_b32 s35, -1, 0
	s_cmp_ge_u32 s37, s14
	s_cselect_b32 s36, -1, 0
	s_cmp_eq_u32 s34, s15
	s_cselect_b32 s34, s36, s35
	s_add_u32 s35, s7, 1
	s_addc_u32 s36, s19, 0
	s_add_u32 s37, s7, 2
	s_addc_u32 s38, s19, 0
	s_cmp_lg_u32 s34, 0
	s_cselect_b32 s34, s37, s35
	s_cselect_b32 s35, s38, s36
	s_cmp_lg_u64 s[28:29], 0
	s_subb_u32 s23, s23, s33
	s_cmp_ge_u32 s23, s15
	s_cselect_b32 s28, -1, 0
	s_cmp_ge_u32 s22, s14
	s_cselect_b32 s14, -1, 0
	s_cmp_eq_u32 s23, s15
	s_cselect_b32 s14, s14, s28
	s_cmp_lg_u32 s14, 0
	s_cselect_b32 s15, s35, s19
	s_cselect_b32 s14, s34, s7
	s_xor_b64 s[0:1], 0, s[0:1]
	s_xor_b64 s[14:15], s[14:15], s[0:1]
	s_sub_u32 s22, s14, s0
	s_subb_u32 s23, s15, s1
	s_cbranch_execnz .LBB38_13
.LBB38_12:
	s_load_dwordx4 s[12:15], s[4:5], 0x1d0
	s_mov_b32 s23, 0
	s_waitcnt lgkmcnt(0)
	v_cvt_f32_u32_e32 v1, s14
	s_sub_i32 s0, 0, s14
	v_rcp_iflag_f32_e32 v1, v1
	v_mul_f32_e32 v1, 0x4f7ffffe, v1
	v_cvt_u32_f32_e32 v1, v1
	v_readfirstlane_b32 s1, v1
	s_mul_i32 s0, s0, s1
	s_mul_hi_u32 s0, s1, s0
	s_add_i32 s1, s1, s0
	s_mul_hi_u32 s0, s48, s1
	s_mul_i32 s7, s0, s14
	s_sub_i32 s7, s48, s7
	s_add_i32 s1, s0, 1
	s_sub_i32 s12, s7, s14
	s_cmp_ge_u32 s7, s14
	s_cselect_b32 s0, s1, s0
	s_cselect_b32 s7, s12, s7
	s_add_i32 s1, s0, 1
	s_cmp_ge_u32 s7, s14
	s_cselect_b32 s22, s1, s0
.LBB38_13:
	s_load_dwordx4 s[36:39], s[4:5], 0x1d0
	s_waitcnt lgkmcnt(0)
	s_or_b64 s[0:1], s[22:23], s[36:37]
	s_mov_b32 s0, 0
	s_cmp_lg_u64 s[0:1], 0
	v_writelane_b32 v53, s22, 4
	v_writelane_b32 v53, s23, 5
	s_cbranch_scc0 .LBB38_16
; %bb.14:
	s_ashr_i32 s12, s37, 31
	s_add_u32 s0, s36, s12
	s_mov_b32 s13, s12
	s_addc_u32 s1, s37, s12
	s_xor_b64 s[14:15], s[0:1], s[12:13]
	v_cvt_f32_u32_e32 v1, s14
	v_cvt_f32_u32_e32 v2, s15
	s_sub_u32 s7, 0, s14
	s_subb_u32 s19, 0, s15
	s_mov_b64 s[0:1], 0
	v_madmk_f32 v1, v2, 0x4f800000, v1
	v_rcp_f32_e32 v1, v1
	v_mul_f32_e32 v1, 0x5f7ffffc, v1
	v_mul_f32_e32 v2, 0x2f800000, v1
	v_trunc_f32_e32 v2, v2
	v_madmk_f32 v1, v2, 0xcf800000, v1
	v_cvt_u32_f32_e32 v2, v2
	v_cvt_u32_f32_e32 v1, v1
	v_readfirstlane_b32 s28, v2
	v_readfirstlane_b32 s22, v1
	s_mul_i32 s23, s7, s28
	s_mul_hi_u32 s33, s7, s22
	s_mul_i32 s29, s19, s22
	s_add_i32 s23, s33, s23
	s_add_i32 s23, s23, s29
	s_mul_i32 s34, s7, s22
	s_mul_i32 s33, s22, s23
	s_mul_hi_u32 s35, s22, s34
	s_mul_hi_u32 s29, s22, s23
	s_add_u32 s33, s35, s33
	s_addc_u32 s29, 0, s29
	s_mul_hi_u32 s36, s28, s34
	s_mul_i32 s34, s28, s34
	s_add_u32 s33, s33, s34
	s_mul_hi_u32 s35, s28, s23
	s_addc_u32 s29, s29, s36
	s_addc_u32 s33, s35, 0
	s_mul_i32 s23, s28, s23
	s_add_u32 s23, s29, s23
	s_addc_u32 s29, 0, s33
	s_add_u32 s33, s22, s23
	s_cselect_b64 s[22:23], -1, 0
	s_cmp_lg_u64 s[22:23], 0
	s_addc_u32 s28, s28, s29
	s_mul_i32 s22, s7, s28
	s_mul_hi_u32 s23, s7, s33
	s_add_i32 s22, s23, s22
	s_mul_i32 s19, s19, s33
	s_add_i32 s22, s22, s19
	s_mul_i32 s7, s7, s33
	s_mul_hi_u32 s23, s28, s7
	s_mul_i32 s29, s28, s7
	s_mul_i32 s35, s33, s22
	s_mul_hi_u32 s7, s33, s7
	s_mul_hi_u32 s34, s33, s22
	s_add_u32 s7, s7, s35
	s_addc_u32 s34, 0, s34
	s_add_u32 s7, s7, s29
	s_mul_hi_u32 s19, s28, s22
	s_addc_u32 s7, s34, s23
	s_addc_u32 s19, s19, 0
	s_mul_i32 s22, s28, s22
	s_add_u32 s7, s7, s22
	s_addc_u32 s19, 0, s19
	s_add_u32 s7, s33, s7
	s_cselect_b64 s[22:23], -1, 0
	s_cmp_lg_u64 s[22:23], 0
	v_readlane_b32 s22, v53, 4
	v_readlane_b32 s23, v53, 5
	s_addc_u32 s19, s28, s19
	s_ashr_i32 s22, s23, 31
	v_readlane_b32 s28, v53, 4
	v_readlane_b32 s34, v53, 4
	v_readlane_b32 s29, v53, 5
	s_add_u32 s28, s28, s22
	v_readlane_b32 s35, v53, 5
	s_mov_b32 s23, s22
	s_addc_u32 s29, s35, s22
	s_xor_b64 s[28:29], s[28:29], s[22:23]
	s_mul_i32 s34, s28, s19
	s_mul_hi_u32 s35, s28, s7
	s_mul_hi_u32 s33, s28, s19
	s_add_u32 s34, s35, s34
	s_addc_u32 s33, 0, s33
	s_mul_hi_u32 s36, s29, s7
	s_mul_i32 s7, s29, s7
	s_add_u32 s7, s34, s7
	s_mul_hi_u32 s35, s29, s19
	s_addc_u32 s7, s33, s36
	s_addc_u32 s33, s35, 0
	s_mul_i32 s19, s29, s19
	s_add_u32 s7, s7, s19
	s_addc_u32 s19, 0, s33
	s_mul_i32 s33, s14, s19
	s_mul_hi_u32 s34, s14, s7
	s_add_i32 s33, s34, s33
	s_mul_i32 s34, s15, s7
	s_add_i32 s33, s33, s34
	s_sub_i32 s36, s29, s33
	s_mul_i32 s34, s14, s7
	s_sub_u32 s28, s28, s34
	s_cselect_b64 s[34:35], -1, 0
	s_cmp_lg_u64 s[34:35], 0
	s_subb_u32 s38, s36, s15
	s_sub_u32 s39, s28, s14
	s_cselect_b64 s[36:37], -1, 0
	s_cmp_lg_u64 s[36:37], 0
	s_subb_u32 s36, s38, 0
	s_cmp_ge_u32 s36, s15
	s_cselect_b32 s37, -1, 0
	s_cmp_ge_u32 s39, s14
	s_cselect_b32 s38, -1, 0
	s_cmp_eq_u32 s36, s15
	s_cselect_b32 s36, s38, s37
	s_add_u32 s37, s7, 1
	s_addc_u32 s38, s19, 0
	s_add_u32 s39, s7, 2
	s_addc_u32 s40, s19, 0
	s_cmp_lg_u32 s36, 0
	s_cselect_b32 s36, s39, s37
	s_cselect_b32 s37, s40, s38
	s_cmp_lg_u64 s[34:35], 0
	s_subb_u32 s29, s29, s33
	s_cmp_ge_u32 s29, s15
	s_cselect_b32 s33, -1, 0
	s_cmp_ge_u32 s28, s14
	s_cselect_b32 s14, -1, 0
	s_cmp_eq_u32 s29, s15
	s_cselect_b32 s14, s14, s33
	s_cmp_lg_u32 s14, 0
	s_cselect_b32 s15, s37, s19
	s_cselect_b32 s14, s36, s7
	s_xor_b64 s[12:13], s[22:23], s[12:13]
	s_xor_b64 s[14:15], s[14:15], s[12:13]
	s_sub_u32 s12, s14, s12
	v_readlane_b32 s22, v53, 4
	s_subb_u32 s13, s15, s13
	v_readlane_b32 s23, v53, 5
	v_writelane_b32 v53, s12, 10
	v_writelane_b32 v53, s13, 11
	s_branch .LBB38_17
.LBB38_15:
                                        ; implicit-def: $sgpr22_sgpr23
	s_branch .LBB38_12
.LBB38_16:
	s_mov_b64 s[0:1], -1
                                        ; implicit-def: $sgpr12_sgpr13
                                        ; kill: killed $sgpr12_sgpr13
.LBB38_17:
	s_load_dwordx4 s[12:15], s[4:5], 0x370
	s_andn2_b64 vcc, exec, s[0:1]
	s_waitcnt lgkmcnt(0)
	v_writelane_b32 v53, s12, 6
	v_writelane_b32 v53, s13, 7
	;; [unrolled: 1-line block ×4, first 2 shown]
	s_cbranch_vccnz .LBB38_19
; %bb.18:
	s_load_dwordx4 s[12:15], s[4:5], 0x1d0
	s_waitcnt lgkmcnt(0)
	s_mov_b64 s[38:39], s[14:15]
	s_mov_b64 s[36:37], s[12:13]
	v_cvt_f32_u32_e32 v1, s36
	s_sub_i32 s0, 0, s36
	s_mov_b32 s13, 0
	v_rcp_iflag_f32_e32 v1, v1
	v_mul_f32_e32 v1, 0x4f7ffffe, v1
	v_cvt_u32_f32_e32 v1, v1
	v_readfirstlane_b32 s1, v1
	s_mul_i32 s0, s0, s1
	s_mul_hi_u32 s0, s1, s0
	s_add_i32 s1, s1, s0
	s_mul_hi_u32 s0, s22, s1
	s_mul_i32 s7, s0, s36
	s_sub_i32 s7, s22, s7
	s_add_i32 s1, s0, 1
	s_sub_i32 s12, s7, s36
	s_cmp_ge_u32 s7, s36
	s_cselect_b32 s0, s1, s0
	s_cselect_b32 s7, s12, s7
	s_add_i32 s1, s0, 1
	s_cmp_ge_u32 s7, s36
	s_cselect_b32 s12, s1, s0
	v_writelane_b32 v53, s12, 10
	v_writelane_b32 v53, s13, 11
.LBB38_19:
	s_load_dwordx4 s[12:15], s[4:5], 0x370
	s_mov_b32 s0, 0
	s_waitcnt lgkmcnt(0)
	s_mov_b32 s1, s15
	s_cmp_lg_u64 s[0:1], 0
	s_cbranch_scc0 .LBB38_24
; %bb.20:
	s_ashr_i32 s0, s15, 31
	s_add_u32 s12, s14, s0
	s_mov_b32 s1, s0
	s_addc_u32 s13, s15, s0
	s_xor_b64 s[14:15], s[12:13], s[0:1]
	v_cvt_f32_u32_e32 v1, s14
	v_cvt_f32_u32_e32 v2, s15
	s_sub_u32 s7, 0, s14
	s_subb_u32 s19, 0, s15
	v_madmk_f32 v1, v2, 0x4f800000, v1
	v_rcp_f32_e32 v1, v1
	v_mul_f32_e32 v1, 0x5f7ffffc, v1
	v_mul_f32_e32 v2, 0x2f800000, v1
	v_trunc_f32_e32 v2, v2
	v_madmk_f32 v1, v2, 0xcf800000, v1
	v_cvt_u32_f32_e32 v2, v2
	v_cvt_u32_f32_e32 v1, v1
	v_readfirstlane_b32 s28, v2
	v_readfirstlane_b32 s22, v1
	s_mul_i32 s23, s7, s28
	s_mul_hi_u32 s33, s7, s22
	s_mul_i32 s29, s19, s22
	s_add_i32 s23, s33, s23
	s_add_i32 s23, s23, s29
	s_mul_i32 s34, s7, s22
	s_mul_i32 s33, s22, s23
	s_mul_hi_u32 s35, s22, s34
	s_mul_hi_u32 s29, s22, s23
	s_add_u32 s33, s35, s33
	s_addc_u32 s29, 0, s29
	s_mul_hi_u32 s36, s28, s34
	s_mul_i32 s34, s28, s34
	s_add_u32 s33, s33, s34
	s_mul_hi_u32 s35, s28, s23
	s_addc_u32 s29, s29, s36
	s_addc_u32 s33, s35, 0
	s_mul_i32 s23, s28, s23
	s_add_u32 s23, s29, s23
	s_addc_u32 s29, 0, s33
	s_add_u32 s33, s22, s23
	s_cselect_b64 s[22:23], -1, 0
	s_cmp_lg_u64 s[22:23], 0
	s_addc_u32 s28, s28, s29
	s_mul_i32 s22, s7, s28
	s_mul_hi_u32 s23, s7, s33
	s_add_i32 s22, s23, s22
	s_mul_i32 s19, s19, s33
	s_add_i32 s22, s22, s19
	s_mul_i32 s7, s7, s33
	s_mul_hi_u32 s23, s28, s7
	s_mul_i32 s29, s28, s7
	s_mul_i32 s35, s33, s22
	s_mul_hi_u32 s7, s33, s7
	s_mul_hi_u32 s34, s33, s22
	s_add_u32 s7, s7, s35
	s_addc_u32 s34, 0, s34
	s_add_u32 s7, s7, s29
	s_mul_hi_u32 s19, s28, s22
	s_addc_u32 s7, s34, s23
	s_addc_u32 s19, s19, 0
	s_mul_i32 s22, s28, s22
	s_add_u32 s7, s7, s22
	s_addc_u32 s19, 0, s19
	s_add_u32 s7, s33, s7
	s_cselect_b64 s[22:23], -1, 0
	s_cmp_lg_u64 s[22:23], 0
	s_addc_u32 s19, s28, s19
	s_add_u32 s22, s48, 0
	s_addc_u32 s23, 0, 0
	s_xor_b64 s[22:23], s[22:23], 0
	s_mul_i32 s29, s22, s19
	s_mul_hi_u32 s33, s22, s7
	s_mul_hi_u32 s28, s22, s19
	s_add_u32 s29, s33, s29
	s_addc_u32 s28, 0, s28
	s_mul_hi_u32 s34, s23, s7
	s_mul_i32 s7, s23, s7
	s_add_u32 s7, s29, s7
	s_mul_hi_u32 s33, s23, s19
	s_addc_u32 s7, s28, s34
	s_addc_u32 s28, s33, 0
	s_mul_i32 s19, s23, s19
	s_add_u32 s7, s7, s19
	s_addc_u32 s19, 0, s28
	s_mul_i32 s28, s14, s19
	s_mul_hi_u32 s29, s14, s7
	s_add_i32 s28, s29, s28
	s_mul_i32 s29, s15, s7
	s_add_i32 s33, s28, s29
	s_sub_i32 s34, s23, s33
	s_mul_i32 s28, s14, s7
	s_sub_u32 s22, s22, s28
	s_cselect_b64 s[28:29], -1, 0
	s_cmp_lg_u64 s[28:29], 0
	s_subb_u32 s36, s34, s15
	s_sub_u32 s37, s22, s14
	s_cselect_b64 s[34:35], -1, 0
	s_cmp_lg_u64 s[34:35], 0
	s_subb_u32 s34, s36, 0
	s_cmp_ge_u32 s34, s15
	s_cselect_b32 s35, -1, 0
	s_cmp_ge_u32 s37, s14
	s_cselect_b32 s36, -1, 0
	s_cmp_eq_u32 s34, s15
	s_cselect_b32 s34, s36, s35
	s_add_u32 s35, s7, 1
	s_addc_u32 s36, s19, 0
	s_add_u32 s37, s7, 2
	s_addc_u32 s38, s19, 0
	s_cmp_lg_u32 s34, 0
	s_cselect_b32 s34, s37, s35
	s_cselect_b32 s35, s38, s36
	s_cmp_lg_u64 s[28:29], 0
	s_subb_u32 s23, s23, s33
	s_cmp_ge_u32 s23, s15
	s_cselect_b32 s28, -1, 0
	s_cmp_ge_u32 s22, s14
	s_cselect_b32 s14, -1, 0
	s_cmp_eq_u32 s23, s15
	s_cselect_b32 s14, s14, s28
	s_cmp_lg_u32 s14, 0
	s_cselect_b32 s15, s35, s19
	s_cselect_b32 s14, s34, s7
	s_xor_b64 s[0:1], 0, s[0:1]
	s_xor_b64 s[14:15], s[14:15], s[0:1]
	s_sub_u32 s42, s14, s0
	s_subb_u32 s43, s15, s1
	s_cbranch_execnz .LBB38_22
.LBB38_21:
	s_load_dwordx4 s[12:15], s[4:5], 0x370
	s_mov_b32 s43, 0
	s_waitcnt lgkmcnt(0)
	v_cvt_f32_u32_e32 v1, s14
	s_sub_i32 s0, 0, s14
	v_rcp_iflag_f32_e32 v1, v1
	v_mul_f32_e32 v1, 0x4f7ffffe, v1
	v_cvt_u32_f32_e32 v1, v1
	v_readfirstlane_b32 s1, v1
	s_mul_i32 s0, s0, s1
	s_mul_hi_u32 s0, s1, s0
	s_add_i32 s1, s1, s0
	s_mul_hi_u32 s0, s48, s1
	s_mul_i32 s7, s0, s14
	s_sub_i32 s7, s48, s7
	s_add_i32 s1, s0, 1
	s_sub_i32 s12, s7, s14
	s_cmp_ge_u32 s7, s14
	s_cselect_b32 s0, s1, s0
	s_cselect_b32 s7, s12, s7
	s_add_i32 s1, s0, 1
	s_cmp_ge_u32 s7, s14
	s_cselect_b32 s42, s1, s0
.LBB38_22:
	s_load_dwordx2 s[28:29], s[4:5], 0xe0
	s_load_dwordx4 s[12:15], s[4:5], 0xd0
	s_load_dwordx4 s[36:39], s[4:5], 0x370
	s_waitcnt lgkmcnt(0)
	s_or_b64 s[0:1], s[42:43], s[36:37]
	s_mov_b32 s0, 0
	s_cmp_lg_u64 s[0:1], 0
	v_writelane_b32 v53, s42, 12
	v_writelane_b32 v53, s43, 13
	s_cbranch_scc0 .LBB38_25
; %bb.23:
	s_ashr_i32 s34, s37, 31
	s_add_u32 s0, s36, s34
	s_mov_b32 s35, s34
	s_addc_u32 s1, s37, s34
	s_xor_b64 s[44:45], s[0:1], s[34:35]
	v_cvt_f32_u32_e32 v1, s44
	v_cvt_f32_u32_e32 v2, s45
	s_sub_u32 s7, 0, s44
	s_subb_u32 s19, 0, s45
	s_mov_b64 s[0:1], 0
	v_madmk_f32 v1, v2, 0x4f800000, v1
	v_rcp_f32_e32 v1, v1
	v_mul_f32_e32 v1, 0x5f7ffffc, v1
	v_mul_f32_e32 v2, 0x2f800000, v1
	v_trunc_f32_e32 v2, v2
	v_madmk_f32 v1, v2, 0xcf800000, v1
	v_cvt_u32_f32_e32 v2, v2
	v_cvt_u32_f32_e32 v1, v1
	v_readfirstlane_b32 s33, v2
	v_readfirstlane_b32 s22, v1
	s_mul_i32 s23, s7, s33
	s_mul_hi_u32 s37, s7, s22
	s_mul_i32 s36, s19, s22
	s_add_i32 s23, s37, s23
	s_add_i32 s23, s23, s36
	s_mul_i32 s38, s7, s22
	s_mul_i32 s37, s22, s23
	s_mul_hi_u32 s39, s22, s38
	s_mul_hi_u32 s36, s22, s23
	s_add_u32 s37, s39, s37
	s_addc_u32 s36, 0, s36
	s_mul_hi_u32 s40, s33, s38
	s_mul_i32 s38, s33, s38
	s_add_u32 s37, s37, s38
	s_mul_hi_u32 s39, s33, s23
	s_addc_u32 s36, s36, s40
	s_addc_u32 s37, s39, 0
	s_mul_i32 s23, s33, s23
	s_add_u32 s23, s36, s23
	s_addc_u32 s36, 0, s37
	s_add_u32 s37, s22, s23
	s_cselect_b64 s[22:23], -1, 0
	s_cmp_lg_u64 s[22:23], 0
	s_addc_u32 s33, s33, s36
	s_mul_i32 s22, s7, s33
	s_mul_hi_u32 s23, s7, s37
	s_add_i32 s22, s23, s22
	s_mul_i32 s19, s19, s37
	s_add_i32 s22, s22, s19
	s_mul_i32 s7, s7, s37
	s_mul_hi_u32 s23, s33, s7
	s_mul_i32 s36, s33, s7
	s_mul_i32 s39, s37, s22
	s_mul_hi_u32 s7, s37, s7
	s_mul_hi_u32 s38, s37, s22
	s_add_u32 s7, s7, s39
	s_addc_u32 s38, 0, s38
	s_add_u32 s7, s7, s36
	s_mul_hi_u32 s19, s33, s22
	s_addc_u32 s7, s38, s23
	s_addc_u32 s19, s19, 0
	s_mul_i32 s22, s33, s22
	s_add_u32 s7, s7, s22
	s_addc_u32 s19, 0, s19
	s_add_u32 s7, s37, s7
	s_cselect_b64 s[22:23], -1, 0
	s_cmp_lg_u64 s[22:23], 0
	s_addc_u32 s19, s33, s19
	s_ashr_i32 s22, s43, 31
	s_add_u32 s36, s42, s22
	s_mov_b32 s23, s22
	s_addc_u32 s37, s43, s22
	s_xor_b64 s[36:37], s[36:37], s[22:23]
	s_mul_i32 s38, s36, s19
	s_mul_hi_u32 s39, s36, s7
	s_mul_hi_u32 s33, s36, s19
	s_add_u32 s38, s39, s38
	s_addc_u32 s33, 0, s33
	s_mul_hi_u32 s40, s37, s7
	s_mul_i32 s7, s37, s7
	s_add_u32 s7, s38, s7
	s_mul_hi_u32 s39, s37, s19
	s_addc_u32 s7, s33, s40
	s_addc_u32 s33, s39, 0
	s_mul_i32 s19, s37, s19
	s_add_u32 s7, s7, s19
	s_addc_u32 s19, 0, s33
	s_mul_i32 s33, s44, s19
	s_mul_hi_u32 s38, s44, s7
	s_add_i32 s33, s38, s33
	s_mul_i32 s38, s45, s7
	s_add_i32 s33, s33, s38
	s_sub_i32 s40, s37, s33
	s_mul_i32 s38, s44, s7
	s_sub_u32 s36, s36, s38
	s_cselect_b64 s[38:39], -1, 0
	s_cmp_lg_u64 s[38:39], 0
	s_subb_u32 s42, s40, s45
	s_sub_u32 s43, s36, s44
	s_cselect_b64 s[40:41], -1, 0
	s_cmp_lg_u64 s[40:41], 0
	s_subb_u32 s40, s42, 0
	s_cmp_ge_u32 s40, s45
	s_cselect_b32 s41, -1, 0
	s_cmp_ge_u32 s43, s44
	s_cselect_b32 s42, -1, 0
	s_cmp_eq_u32 s40, s45
	s_cselect_b32 s40, s42, s41
	s_add_u32 s41, s7, 1
	s_addc_u32 s42, s19, 0
	s_add_u32 s43, s7, 2
	s_addc_u32 s46, s19, 0
	s_cmp_lg_u32 s40, 0
	s_cselect_b32 s40, s43, s41
	s_cselect_b32 s41, s46, s42
	s_cmp_lg_u64 s[38:39], 0
	s_subb_u32 s33, s37, s33
	s_cmp_ge_u32 s33, s45
	s_cselect_b32 s37, -1, 0
	s_cmp_ge_u32 s36, s44
	s_cselect_b32 s36, -1, 0
	s_cmp_eq_u32 s33, s45
	s_cselect_b32 s33, s36, s37
	s_cmp_lg_u32 s33, 0
	s_cselect_b32 s37, s41, s19
	s_cselect_b32 s36, s40, s7
	s_xor_b64 s[22:23], s[22:23], s[34:35]
	s_xor_b64 s[34:35], s[36:37], s[22:23]
	s_sub_u32 s22, s34, s22
	s_subb_u32 s23, s35, s23
	v_writelane_b32 v53, s22, 26
	v_writelane_b32 v53, s23, 27
	s_branch .LBB38_26
.LBB38_24:
                                        ; implicit-def: $sgpr42_sgpr43
	s_branch .LBB38_21
.LBB38_25:
	s_mov_b64 s[0:1], -1
                                        ; implicit-def: $sgpr22_sgpr23
                                        ; kill: killed $sgpr22_sgpr23
.LBB38_26:
	s_load_dwordx2 s[22:23], s[4:5], 0x440
	s_load_dwordx4 s[36:39], s[4:5], 0x430
	s_andn2_b64 vcc, exec, s[0:1]
	s_load_dwordx2 s[34:35], s[4:5], 0x0
	s_waitcnt lgkmcnt(0)
	v_writelane_b32 v53, s22, 14
	v_writelane_b32 v53, s23, 15
	s_load_dwordx2 s[22:23], s[4:5], 0x2a0
	v_writelane_b32 v53, s36, 16
	v_writelane_b32 v53, s37, 17
	;; [unrolled: 1-line block ×4, first 2 shown]
	s_load_dwordx4 s[36:39], s[4:5], 0x290
	s_waitcnt lgkmcnt(0)
	v_writelane_b32 v53, s22, 20
	v_writelane_b32 v53, s23, 21
	;; [unrolled: 1-line block ×6, first 2 shown]
	s_cbranch_vccnz .LBB38_28
; %bb.27:
	s_load_dwordx4 s[36:39], s[4:5], 0x370
	v_readlane_b32 s22, v53, 12
	s_waitcnt lgkmcnt(0)
	s_mov_b32 s37, 0
	v_readlane_b32 s23, v53, 13
	v_cvt_f32_u32_e32 v1, s36
	s_sub_i32 s0, 0, s36
	v_rcp_iflag_f32_e32 v1, v1
	v_mul_f32_e32 v1, 0x4f7ffffe, v1
	v_cvt_u32_f32_e32 v1, v1
	v_readfirstlane_b32 s1, v1
	s_mul_i32 s0, s0, s1
	s_mul_hi_u32 s0, s1, s0
	s_add_i32 s1, s1, s0
	s_mul_hi_u32 s0, s22, s1
	s_mul_i32 s7, s0, s36
	s_sub_i32 s7, s22, s7
	s_add_i32 s1, s0, 1
	s_sub_i32 s19, s7, s36
	s_cmp_ge_u32 s7, s36
	s_cselect_b32 s0, s1, s0
	s_cselect_b32 s7, s19, s7
	s_add_i32 s1, s0, 1
	s_cmp_ge_u32 s7, s36
	s_cselect_b32 s36, s1, s0
	v_writelane_b32 v53, s36, 26
	v_writelane_b32 v53, s37, 27
.LBB38_28:
	s_load_dwordx2 s[0:1], s[4:5], 0x360
	s_mov_b32 s65, 0
	s_waitcnt lgkmcnt(0)
	v_writelane_b32 v53, s0, 28
	v_writelane_b32 v53, s1, 29
	s_load_dwordx2 s[0:1], s[4:5], 0x1c0
	s_waitcnt lgkmcnt(0)
	v_writelane_b32 v53, s0, 30
	v_writelane_b32 v53, s1, 31
	v_cmp_eq_u32_e64 s[0:1], 0, v0
	s_mov_b64 s[4:5], exec
	v_writelane_b32 v53, s0, 32
	v_writelane_b32 v53, s1, 33
	s_and_b64 s[0:1], s[4:5], s[0:1]
	s_mov_b64 exec, s[0:1]
	s_cbranch_execz .LBB38_30
; %bb.29:
	v_mov_b32_e32 v1, 0
	v_mov_b32_e32 v3, s24
	;; [unrolled: 1-line block ×4, first 2 shown]
	ds_write_b32 v1, v1 offset:5136
	ds_write_b128 v1, v[1:4] offset:5120
.LBB38_30:
	s_or_b64 exec, exec, s[4:5]
	s_mul_i32 s0, s20, s9
	s_mul_hi_u32 s1, s20, s8
	s_add_i32 s0, s1, s0
	s_mul_i32 s1, s21, s8
	s_add_i32 s0, s0, s1
	s_mul_i32 s1, s20, s8
	s_sub_u32 s4, s2, s1
	s_subb_u32 s0, s3, s0
	s_mul_i32 s1, s4, s15
	s_mul_hi_u32 s5, s4, s14
	s_add_i32 s1, s5, s1
	s_mul_i32 s0, s0, s14
	s_add_i32 s1, s1, s0
	s_mul_i32 s0, s4, s14
	s_mul_i32 s4, s20, s13
	s_mul_hi_u32 s5, s20, s12
	s_mul_i32 s7, s2, s11
	s_mul_hi_u32 s8, s2, s10
	s_add_i32 s4, s5, s4
	s_mul_i32 s5, s21, s12
	s_add_i32 s7, s8, s7
	s_mul_i32 s3, s3, s10
	s_add_i32 s5, s4, s5
	s_add_i32 s7, s7, s3
	s_mul_i32 s2, s2, s10
	s_mov_b32 s8, s48
	v_writelane_b32 v53, s8, 34
	s_sub_u32 s2, s48, s2
	v_writelane_b32 v53, s9, 35
	s_subb_u32 s3, 0, s7
	s_mul_i32 s7, s2, s29
	s_mul_hi_u32 s8, s2, s28
	s_mul_i32 s4, s20, s12
	s_add_i32 s7, s8, s7
	s_mul_i32 s3, s3, s28
	s_add_i32 s3, s7, s3
	s_lshl_b64 s[4:5], s[4:5], 1
	s_add_u32 s7, s34, s4
	s_addc_u32 s10, s35, s5
	s_lshl_b64 s[8:9], s[0:1], 1
	s_mul_i32 s2, s2, s28
	s_add_u32 s0, s7, s8
	s_addc_u32 s1, s10, s9
	s_lshl_b64 s[10:11], s[2:3], 1
	s_add_u32 s66, s0, s10
	s_addc_u32 s67, s1, s11
	v_mad_u64_u32 v[4:5], s[0:1], s30, v0, 0
	v_mbcnt_lo_u32_b32 v1, -1, 0
	v_mbcnt_hi_u32_b32 v32, -1, v1
	v_mov_b32_e32 v1, v5
	v_mov_b32_e32 v5, 0x600
	v_mad_u64_u32 v[1:2], s[0:1], s31, v0, v[1:2]
	v_mov_b32_e32 v6, 0
	v_cmp_gt_i64_e64 s[0:1], s[24:25], v[5:6]
	s_waitcnt lgkmcnt(0)
	v_writelane_b32 v53, s0, 36
	s_barrier
	v_writelane_b32 v53, s1, 37
	s_load_dword s0, s[16:17], 0xc
	v_mov_b32_e32 v5, v1
	v_cmp_gt_u32_e32 vcc, 64, v0
	v_cmp_gt_i32_e64 s[2:3], 4, v32
	v_lshlrev_b64 v[6:7], 1, v[4:5]
	s_and_b64 s[68:69], vcc, s[2:3]
	v_lshlrev_b64 v[1:2], v32, -1
	s_waitcnt lgkmcnt(0)
	s_and_b32 s33, s0, 0xffff
	s_bfe_u32 s1, s0, 0xa0006
	v_mov_b32_e32 v8, s67
	v_add_co_u32_e32 v14, vcc, s66, v6
	s_cmp_gt_u32 s33, 63
	v_mov_b32_e32 v3, 0
	v_addc_co_u32_e32 v15, vcc, v8, v7, vcc
	v_not_b32_e32 v33, v2
	s_cselect_b64 s[2:3], -1, 0
	v_add_u32_e32 v2, 2, v0
	v_writelane_b32 v53, s2, 38
	s_add_u32 s0, s33, -1
	v_cmp_gt_i64_e32 vcc, s[24:25], v[2:3]
	v_not_b32_e32 v34, v1
	v_writelane_b32 v53, s3, 39
	s_addc_u32 s2, 0, -1
	v_mov_b32_e32 v1, s25
	v_writelane_b32 v53, s0, 40
	s_add_u32 s0, s0, s24
	v_cndmask_b32_e32 v8, 0, v1, vcc
	v_mov_b32_e32 v1, s24
	s_addc_u32 s75, s2, s25
	v_cndmask_b32_e32 v1, v2, v1, vcc
	v_not_b32_e32 v2, v0
	s_cmp_lt_u32 s6, s18
	v_add_co_u32_e32 v1, vcc, v1, v2
	v_writelane_b32 v53, s2, 41
	s_cselect_b32 s2, 12, 18
	v_addc_co_u32_e32 v2, vcc, -1, v8, vcc
	s_add_u32 s76, s16, s2
	v_cmp_lt_u64_e64 s[2:3], 1, v[1:2]
	v_and_b32_e32 v16, -2, v1
	v_writelane_b32 v53, s2, 42
	v_mov_b32_e32 v17, v2
	v_writelane_b32 v53, s3, 43
	v_cmp_ne_u64_e64 s[2:3], v[1:2], v[16:17]
	s_addc_u32 s77, s17, 0
	v_writelane_b32 v53, s2, 44
	v_writelane_b32 v53, s3, 45
	s_add_i32 s2, s1, -1
	s_bfe_u32 s3, s33, 0x30006
	s_and_b32 s2, s2, 0xffff
	s_cmp_gt_u32 s2, 6
	s_cselect_b64 s[6:7], -1, 0
	v_writelane_b32 v53, s6, 46
	s_and_b32 s1, s1, 0x3f8
	v_writelane_b32 v53, s7, 47
	s_cmp_lg_u32 s3, 0
	v_writelane_b32 v53, s3, 48
	s_cselect_b64 s[2:3], -1, 0
	v_lshlrev_b32_e32 v35, 3, v0
	v_writelane_b32 v53, s2, 49
	v_or_b32_e32 v2, 6, v35
	v_writelane_b32 v53, s3, 50
	v_mad_u64_u32 v[18:19], s[2:3], s30, v2, 0
	s_add_u32 s4, s4, s10
	s_addc_u32 s2, s5, s11
	s_add_u32 s4, s4, s8
	v_mov_b32_e32 v1, v19
	s_addc_u32 s5, s2, s9
	v_mad_u64_u32 v[1:2], s[2:3], s31, v2, v[1:2]
	v_or_b32_e32 v2, 4, v35
	v_mad_u64_u32 v[19:20], s[2:3], s30, v2, 0
	v_mov_b32_e32 v36, v1
	v_or_b32_e32 v8, 2, v35
	v_mov_b32_e32 v1, v20
	v_mad_u64_u32 v[1:2], s[2:3], s31, v2, v[1:2]
	v_mad_u64_u32 v[20:21], s[2:3], s30, v8, 0
	s_add_u32 s4, s34, s4
	s_addc_u32 s5, s35, s5
	v_mov_b32_e32 v2, s5
	v_writelane_b32 v53, s4, 51
	v_add_co_u32_e32 v12, vcc, s4, v6
	v_mov_b32_e32 v37, v1
	v_mov_b32_e32 v1, v21
	v_addc_co_u32_e32 v13, vcc, v2, v7, vcc
	v_mad_u64_u32 v[6:7], s[2:3], s31, v8, v[1:2]
	v_writelane_b32 v53, s5, 52
	v_cmp_gt_u32_e64 s[2:3], 2, v0
	v_lshlrev_b32_e32 v2, 2, v32
	v_writelane_b32 v53, s2, 53
	v_mov_b32_e32 v1, v3
	v_and_b32_e32 v39, 0x100, v2
	v_lshrrev_b32_e32 v2, 1, v0
	v_writelane_b32 v53, s3, 54
	v_cmp_gt_i64_e64 s[2:3], s[24:25], v[0:1]
	v_and_b32_e32 v2, 0x1e0, v2
	v_or_b32_e32 v40, 0xc00, v2
	v_mov_b32_e32 v2, s25
	v_add_co_u32_e32 v41, vcc, s24, v0
	s_mul_i32 s4, s31, s33
	s_mul_hi_u32 s5, s30, s33
	v_writelane_b32 v53, s2, 55
	v_lshlrev_b64 v[23:24], 3, v[4:5]
	v_addc_co_u32_e32 v42, vcc, 0, v2, vcc
	v_mov_b32_e32 v2, 0xc00
	s_add_i32 s5, s5, s4
	s_mul_i32 s4, s30, s33
	v_lshlrev_b32_e32 v45, 1, v0
	v_mov_b32_e32 v26, s26
	v_cmp_eq_u32_e64 s[10:11], 0, v32
	v_writelane_b32 v53, s3, 56
	v_mov_b32_e32 v38, v6
	v_lshlrev_b32_e32 v21, 2, v0
	v_mov_b32_e32 v22, v3
	s_mov_b32 s2, s30
	s_mov_b32 s3, s31
	s_lshl_b64 s[84:85], s[30:31], 1
	s_lshl_b64 s[86:87], s[30:31], 3
	v_lshl_or_b32 v43, v32, 3, v2
	s_lshl_b64 s[70:71], s[4:5], 1
	s_lshl_b32 s72, s33, 1
	s_mov_b32 s82, 14
	s_mov_b64 s[88:89], 0
	s_mov_b32 s73, 0x8000
	s_mov_b32 s83, 0
	v_add_u32_e32 v46, 0xc00, v45
	v_mov_b32_e32 v47, 0x5040100
	v_mov_b32_e32 v49, 0
	;; [unrolled: 1-line block ×4, first 2 shown]
	v_add_co_u32_e32 v25, vcc, v16, v0
	v_mov_b32_e32 v27, s27
                                        ; implicit-def: $sgpr90_sgpr91
                                        ; implicit-def: $sgpr94_sgpr95
                                        ; implicit-def: $sgpr92_sgpr93
                                        ; implicit-def: $sgpr60_sgpr61
                                        ; implicit-def: $sgpr56_sgpr57
                                        ; implicit-def: $sgpr58_sgpr59
	s_branch .LBB38_34
.LBB38_31:                              ;   in Loop: Header=BB38_34 Depth=1
	s_or_b64 exec, exec, s[16:17]
	s_and_b64 s[6:7], s[6:7], exec
	s_andn2_b64 s[44:45], s[44:45], exec
	s_andn2_b64 s[14:15], s[14:15], exec
	s_orn2_b64 s[20:21], s[8:9], exec
.LBB38_32:                              ;   in Loop: Header=BB38_34 Depth=1
	s_or_b64 exec, exec, s[4:5]
	s_andn2_b64 s[4:5], s[58:59], exec
	s_and_b64 s[6:7], s[6:7], exec
	s_or_b64 s[58:59], s[4:5], s[6:7]
	s_andn2_b64 s[4:5], s[56:57], exec
	s_and_b64 s[6:7], s[44:45], exec
	s_or_b64 s[56:57], s[4:5], s[6:7]
	;; [unrolled: 3-line block ×3, first 2 shown]
	s_orn2_b64 s[4:5], s[20:21], exec
.LBB38_33:                              ;   in Loop: Header=BB38_34 Depth=1
	s_or_b64 exec, exec, s[18:19]
	s_and_b64 s[4:5], exec, s[4:5]
	s_or_b64 s[88:89], s[4:5], s[88:89]
	s_andn2_b64 s[4:5], s[92:93], exec
	s_and_b64 s[6:7], s[58:59], exec
	s_or_b64 s[92:93], s[4:5], s[6:7]
	s_andn2_b64 s[4:5], s[94:95], exec
	s_and_b64 s[6:7], s[56:57], exec
	s_or_b64 s[94:95], s[4:5], s[6:7]
	s_andn2_b64 s[4:5], s[90:91], exec
	s_and_b64 s[6:7], s[60:61], exec
	v_mov_b32_e32 v27, v9
	s_or_b64 s[90:91], s[4:5], s[6:7]
	v_mov_b32_e32 v26, v8
	s_andn2_b64 exec, exec, s[88:89]
	s_cbranch_execz .LBB38_297
.LBB38_34:                              ; =>This Loop Header: Depth=1
                                        ;     Child Loop BB38_39 Depth 2
                                        ;     Child Loop BB38_53 Depth 2
	;; [unrolled: 1-line block ×17, first 2 shown]
	ds_read_b128 v[4:7], v3 offset:5120
	s_waitcnt lgkmcnt(0)
	v_readfirstlane_b32 s27, v5
	v_readfirstlane_b32 s26, v4
	v_cmp_gt_i64_e64 s[4:5], s[26:27], 0
	s_and_b64 vcc, exec, s[4:5]
	s_cbranch_vccnz .LBB38_66
; %bb.35:                               ;   in Loop: Header=BB38_34 Depth=1
	v_readlane_b32 s4, v53, 36
	v_readlane_b32 s5, v53, 37
	s_and_b64 vcc, exec, s[4:5]
	s_cbranch_vccz .LBB38_47
; %bb.36:                               ;   in Loop: Header=BB38_34 Depth=1
	s_mov_b64 s[4:5], 0x601
	v_cmp_gt_i64_e32 vcc, s[4:5], v[6:7]
	s_mov_b64 s[4:5], 0
	s_mov_b64 s[6:7], 0
	s_cbranch_vccz .LBB38_48
; %bb.37:                               ;   in Loop: Header=BB38_34 Depth=1
	global_load_ushort v8, v[14:15], off
	global_load_ushort v6, v3, s[76:77]
	s_waitcnt vmcnt(0)
	v_and_b32_e32 v2, 0xffff, v6
	v_add_co_u32_e32 v7, vcc, v0, v2
	v_addc_co_u32_e64 v4, s[6:7], 0, 0, vcc
	v_readlane_b32 s6, v53, 51
	v_mul_lo_u32 v9, s84, v4
	v_readlane_b32 s7, v53, 52
	v_mov_b32_e32 v4, s6
	v_mov_b32_e32 v5, s7
	v_mul_lo_u32 v10, s85, v7
	v_mad_u64_u32 v[4:5], s[6:7], s84, v7, v[4:5]
	v_readfirstlane_b32 s6, v6
	s_and_b32 s6, 0xffff, s6
	s_mul_i32 s7, s85, s6
	s_mul_hi_u32 s8, s84, s6
	v_mov_b32_e32 v7, v1
	v_add3_u32 v5, v10, v5, v9
	s_add_i32 s12, s8, s7
	s_mul_i32 s13, s84, s6
	s_mov_b64 s[6:7], 0
	v_mov_b32_e32 v6, v0
	s_branch .LBB38_39
.LBB38_38:                              ;   in Loop: Header=BB38_39 Depth=2
	s_or_b64 exec, exec, s[8:9]
	v_mov_b32_e32 v8, s12
	v_add_co_u32_e32 v4, vcc, s13, v4
	v_addc_co_u32_e32 v5, vcc, v5, v8, vcc
	s_waitcnt vmcnt(0)
	v_mov_b32_e32 v8, v9
	s_andn2_b64 exec, exec, s[6:7]
	s_cbranch_execz .LBB38_100
.LBB38_39:                              ;   Parent Loop BB38_34 Depth=1
                                        ; =>  This Inner Loop Header: Depth=2
	v_add_co_u32_e32 v6, vcc, v6, v2
	v_addc_co_u32_e32 v7, vcc, 0, v7, vcc
	v_cmp_gt_i64_e64 s[14:15], s[24:25], v[6:7]
	v_cmp_le_i64_e32 vcc, s[24:25], v[6:7]
	s_waitcnt lgkmcnt(0)
	v_mov_b32_e32 v10, 0
	v_mov_b32_e32 v9, 0
	s_and_saveexec_b64 s[8:9], s[14:15]
	s_cbranch_execz .LBB38_41
; %bb.40:                               ;   in Loop: Header=BB38_39 Depth=2
	global_load_ushort v9, v[4:5], off
.LBB38_41:                              ;   in Loop: Header=BB38_39 Depth=2
	s_or_b64 exec, exec, s[8:9]
	v_add_u32_sdwa v11, sext(v8), s73 dst_sel:DWORD dst_unused:UNUSED_PAD src0_sel:WORD_0 src1_sel:DWORD
	v_and_b32_e32 v11, v11, v48
	v_cmp_eq_u32_e64 s[14:15], v11, v44
	s_cmp_lg_u64 s[14:15], 0
	s_cselect_b64 s[8:9], -1, 0
	s_and_b64 s[16:17], s[10:11], s[8:9]
	s_and_saveexec_b64 s[8:9], s[16:17]
	s_cbranch_execz .LBB38_45
; %bb.42:                               ;   in Loop: Header=BB38_39 Depth=2
	s_mov_b64 s[20:21], exec
	v_mbcnt_lo_u32_b32 v10, s20, 0
	v_mbcnt_hi_u32_b32 v10, s21, v10
	s_bcnt1_i32_b64 s22, s[14:15]
	v_cmp_eq_u32_e64 s[16:17], 0, v10
                                        ; implicit-def: $vgpr11
	s_and_saveexec_b64 s[18:19], s[16:17]
; %bb.43:                               ;   in Loop: Header=BB38_39 Depth=2
	s_bcnt1_i32_b64 s16, s[20:21]
	s_mul_i32 s16, s22, s16
	v_mov_b32_e32 v11, s16
	ds_add_rtn_u32 v11, v3, v11 offset:5136
; %bb.44:                               ;   in Loop: Header=BB38_39 Depth=2
	s_or_b64 exec, exec, s[18:19]
	s_waitcnt lgkmcnt(0)
	v_readfirstlane_b32 s16, v11
	v_mov_b32_e32 v11, s16
	v_mad_u32_u24 v10, s22, v10, v11
.LBB38_45:                              ;   in Loop: Header=BB38_39 Depth=2
	s_or_b64 exec, exec, s[8:9]
	ds_bpermute_b32 v10, v39, v10
	s_and_b64 s[8:9], exec, vcc
	s_or_b64 s[6:7], s[8:9], s[6:7]
	s_and_saveexec_b64 s[8:9], s[14:15]
	s_cbranch_execz .LBB38_38
; %bb.46:                               ;   in Loop: Header=BB38_39 Depth=2
	v_and_b32_e32 v28, s14, v34
	v_and_b32_e32 v11, s15, v33
	v_bcnt_u32_b32 v28, v28, 0
	v_bcnt_u32_b32 v11, v11, v28
	v_lshlrev_b32_e32 v11, 1, v11
	s_waitcnt lgkmcnt(0)
	v_lshl_add_u32 v10, v10, 1, v11
	ds_write_b16 v10, v8
	s_branch .LBB38_38
.LBB38_47:                              ;   in Loop: Header=BB38_34 Depth=1
	s_mov_b64 s[4:5], -1
	s_mov_b64 s[6:7], 0
.LBB38_48:                              ;   in Loop: Header=BB38_34 Depth=1
	s_and_b64 vcc, exec, s[4:5]
	s_cbranch_vccz .LBB38_64
.LBB38_49:                              ;   in Loop: Header=BB38_34 Depth=1
	s_mov_b64 s[4:5], exec
	v_readlane_b32 s6, v53, 55
	v_readlane_b32 s7, v53, 56
	s_and_b64 s[6:7], s[4:5], s[6:7]
	s_mov_b64 exec, s[6:7]
	s_cbranch_execz .LBB38_61
; %bb.50:                               ;   in Loop: Header=BB38_34 Depth=1
	global_load_ushort v2, v3, s[76:77]
	global_load_ushort v11, v[14:15], off
	v_mov_b32_e32 v8, v0
	s_waitcnt vmcnt(1)
	v_readfirstlane_b32 s8, v2
	v_add_u32_sdwa v2, v2, v0 dst_sel:DWORD dst_unused:UNUSED_PAD src0_sel:WORD_0 src1_sel:DWORD
	v_cmp_gt_i64_e32 vcc, s[24:25], v[2:3]
	s_and_saveexec_b64 s[6:7], vcc
	s_cbranch_execz .LBB38_60
; %bb.51:                               ;   in Loop: Header=BB38_34 Depth=1
	s_and_b32 s12, s8, 0xffff
	s_cmp_eq_u32 s12, 1
	v_readlane_b32 s14, v53, 42
                                        ; implicit-def: $vgpr8_vgpr9
	s_cselect_b64 s[8:9], -1, 0
	v_readlane_b32 s15, v53, 43
	v_mov_b32_e32 v10, v1
	v_mov_b32_e32 v5, v3
	s_and_b64 s[16:17], s[14:15], s[8:9]
	s_mov_b64 s[8:9], -1
	v_mov_b32_e32 v9, v0
	v_mov_b32_e32 v4, v2
	s_and_saveexec_b64 s[14:15], s[16:17]
	s_cbranch_execz .LBB38_55
; %bb.52:                               ;   in Loop: Header=BB38_34 Depth=1
	v_add_co_u32_e32 v4, vcc, 1, v2
	v_addc_co_u32_e64 v5, s[8:9], 0, 0, vcc
	v_mov_b32_e32 v8, v16
	v_mov_b32_e32 v7, v5
	s_waitcnt vmcnt(0)
	v_lshlrev_b32_e32 v28, 16, v11
	s_mov_b64 s[16:17], 0
	v_mov_b32_e32 v9, v17
	v_mov_b32_e32 v10, v45
	;; [unrolled: 1-line block ×5, first 2 shown]
.LBB38_53:                              ;   Parent Loop BB38_34 Depth=1
                                        ; =>  This Inner Loop Header: Depth=2
	v_mul_lo_u32 v11, v7, s30
	v_mul_lo_u32 v31, v6, s31
	v_mad_u64_u32 v[29:30], s[8:9], v6, s30, 0
	v_mad_u64_u32 v[50:51], s[8:9], v4, s2, 0
	v_add3_u32 v30, v30, v31, v11
	v_mul_lo_u32 v11, v5, s2
	v_mul_lo_u32 v31, v4, s3
	v_lshlrev_b64 v[29:30], 1, v[29:30]
	s_mov_b32 s8, 0x5040100
	v_add3_u32 v51, v51, v31, v11
	v_lshlrev_b64 v[50:51], 1, v[50:51]
	v_mov_b32_e32 v11, s67
	v_add_co_u32_e32 v50, vcc, s66, v50
	v_addc_co_u32_e32 v51, vcc, v11, v51, vcc
	v_add_co_u32_e32 v29, vcc, s66, v29
	v_addc_co_u32_e32 v30, vcc, v11, v30, vcc
	global_load_ushort v31, v[50:51], off
	global_load_ushort v11, v[29:30], off
	v_add_co_u32_e32 v6, vcc, 2, v6
	v_addc_co_u32_e32 v7, vcc, 0, v7, vcc
	v_add_co_u32_e32 v4, vcc, 2, v4
	v_addc_co_u32_e32 v5, vcc, 0, v5, vcc
	v_add_co_u32_e32 v8, vcc, -2, v8
	v_addc_co_u32_e32 v9, vcc, -1, v9, vcc
	v_cmp_eq_u64_e32 vcc, 0, v[8:9]
	s_or_b64 s[16:17], vcc, s[16:17]
	s_waitcnt vmcnt(1)
	v_alignbit_b32 v28, v31, v28, 16
	s_waitcnt vmcnt(0)
	v_perm_b32 v29, v11, v31, s8
	ds_write_b32 v10, v28
	v_add_u32_e32 v10, 4, v10
	v_mov_b32_e32 v28, v29
	s_andn2_b64 exec, exec, s[16:17]
	s_cbranch_execnz .LBB38_53
; %bb.54:                               ;   in Loop: Header=BB38_34 Depth=1
	s_or_b64 exec, exec, s[16:17]
	v_readlane_b32 s8, v53, 44
	v_add_co_u32_e32 v4, vcc, v2, v16
	v_readlane_b32 s9, v53, 45
	v_addc_co_u32_e32 v5, vcc, 0, v17, vcc
	v_add_co_u32_e32 v8, vcc, -1, v4
	s_orn2_b64 s[8:9], s[8:9], exec
	v_mov_b32_e32 v9, v25
	v_mov_b32_e32 v10, v26
.LBB38_55:                              ;   in Loop: Header=BB38_34 Depth=1
	s_or_b64 exec, exec, s[14:15]
	s_and_saveexec_b64 s[16:17], s[8:9]
	s_cbranch_execz .LBB38_59
; %bb.56:                               ;   in Loop: Header=BB38_34 Depth=1
	v_readlane_b32 s8, v53, 51
	v_readlane_b32 s9, v53, 52
	v_mov_b32_e32 v6, s8
	v_mov_b32_e32 v7, s9
	v_mad_u64_u32 v[6:7], s[8:9], s84, v4, v[6:7]
	v_mul_lo_u32 v2, s84, v5
	v_mul_lo_u32 v8, s85, v4
	s_mul_i32 s14, s85, s12
	s_mul_hi_u32 s15, s84, s12
	s_mov_b64 s[8:9], 0
	s_sub_u32 s13, 0, s12
	v_add3_u32 v7, v8, v7, v2
	s_add_i32 s18, s15, s14
.LBB38_57:                              ;   Parent Loop BB38_34 Depth=1
                                        ; =>  This Inner Loop Header: Depth=2
	global_load_ushort v2, v[6:7], off
	v_mov_b32_e32 v29, v5
	v_mov_b32_e32 v28, v4
	v_lshlrev_b32_e32 v4, 1, v9
	s_waitcnt vmcnt(1)
	ds_write_b16 v4, v11
	v_add_co_u32_e32 v4, vcc, s12, v28
	v_addc_co_u32_e32 v5, vcc, 0, v29, vcc
	s_mul_i32 s14, s84, s12
	v_add_co_u32_e32 v6, vcc, s14, v6
	v_mov_b32_e32 v8, s18
	v_addc_co_u32_e32 v7, vcc, v7, v8, vcc
	v_cmp_le_i64_e32 vcc, s[24:25], v[4:5]
	v_add_co_u32_e64 v8, s[14:15], s13, v4
	s_or_b64 s[8:9], vcc, s[8:9]
	v_mov_b32_e32 v9, v28
	v_mov_b32_e32 v10, v29
	s_waitcnt vmcnt(0)
	v_mov_b32_e32 v11, v2
	s_andn2_b64 exec, exec, s[8:9]
	s_cbranch_execnz .LBB38_57
; %bb.58:                               ;   in Loop: Header=BB38_34 Depth=1
	s_or_b64 exec, exec, s[8:9]
	v_mov_b32_e32 v11, v2
.LBB38_59:                              ;   in Loop: Header=BB38_34 Depth=1
	s_or_b64 exec, exec, s[16:17]
.LBB38_60:                              ;   in Loop: Header=BB38_34 Depth=1
	s_or_b64 exec, exec, s[6:7]
	v_lshlrev_b32_e32 v2, 1, v8
	s_waitcnt vmcnt(0)
	ds_write_b16 v2, v11
.LBB38_61:                              ;   in Loop: Header=BB38_34 Depth=1
	s_or_b64 exec, exec, s[4:5]
	s_waitcnt lgkmcnt(0)
	s_barrier
	s_mov_b64 s[4:5], exec
	v_readlane_b32 s6, v53, 32
	v_readlane_b32 s7, v53, 33
	s_and_b64 s[6:7], s[4:5], s[6:7]
	s_mov_b64 exec, s[6:7]
; %bb.62:                               ;   in Loop: Header=BB38_34 Depth=1
	v_mov_b32_e32 v4, s24
	v_mov_b32_e32 v5, s25
	ds_write_b64 v3, v[4:5] offset:5120
; %bb.63:                               ;   in Loop: Header=BB38_34 Depth=1
	s_or_b64 exec, exec, s[4:5]
	s_mov_b64 s[6:7], -1
	s_waitcnt lgkmcnt(0)
	s_barrier
.LBB38_64:                              ;   in Loop: Header=BB38_34 Depth=1
	s_and_b64 vcc, exec, s[6:7]
	s_cbranch_vccz .LBB38_66
; %bb.65:                               ;   in Loop: Header=BB38_34 Depth=1
	ds_read_b64 v[4:5], v3 offset:5120
	s_waitcnt lgkmcnt(0)
	v_readfirstlane_b32 s26, v4
.LBB38_66:                              ;   in Loop: Header=BB38_34 Depth=1
	s_cmp_lt_i32 s26, 1
	s_mov_b64 s[4:5], -1
                                        ; implicit-def: $vgpr4_vgpr5
                                        ; implicit-def: $vgpr8_vgpr9
	s_cbranch_scc1 .LBB38_76
; %bb.67:                               ;   in Loop: Header=BB38_34 Depth=1
	s_and_b64 vcc, exec, s[4:5]
	s_cbranch_vccnz .LBB38_90
.LBB38_68:                              ;   in Loop: Header=BB38_34 Depth=1
	s_lshl_b32 s6, s83, 6
	s_and_saveexec_b64 s[4:5], s[10:11]
	s_cbranch_execz .LBB38_70
.LBB38_69:                              ;   in Loop: Header=BB38_34 Depth=1
	v_lshl_add_u32 v2, s6, 3, v40
	ds_write_b128 v2, v[4:7]
	ds_write_b128 v2, v[8:11] offset:16
.LBB38_70:                              ;   in Loop: Header=BB38_34 Depth=1
	s_or_b64 exec, exec, s[4:5]
	s_waitcnt lgkmcnt(0)
	s_barrier
	s_and_saveexec_b64 s[4:5], s[68:69]
	s_cbranch_execz .LBB38_108
; %bb.71:                               ;   in Loop: Header=BB38_34 Depth=1
	v_readlane_b32 s8, v53, 38
	v_mov_b32_e32 v4, 0
	v_readlane_b32 s9, v53, 39
	v_mov_b32_e32 v5, 0
	s_andn2_b64 vcc, exec, s[8:9]
	s_cbranch_vccnz .LBB38_107
; %bb.72:                               ;   in Loop: Header=BB38_34 Depth=1
	v_readlane_b32 s8, v53, 46
	v_readlane_b32 s9, v53, 47
	s_andn2_b64 vcc, exec, s[8:9]
	s_cbranch_vccnz .LBB38_103
; %bb.73:                               ;   in Loop: Header=BB38_34 Depth=1
	v_mov_b32_e32 v4, 0
	v_lshl_add_u32 v2, s83, 9, v43
	v_mov_b32_e32 v5, 0
	s_mov_b32 s7, 0
.LBB38_74:                              ;   Parent Loop BB38_34 Depth=1
                                        ; =>  This Inner Loop Header: Depth=2
	ds_read2_b64 v[6:9], v2 offset1:4
	s_add_i32 s7, s7, 8
	s_cmp_eq_u32 s1, s7
	s_waitcnt lgkmcnt(0)
	v_add_co_u32_e32 v4, vcc, v6, v4
	v_addc_co_u32_e32 v5, vcc, v7, v5, vcc
	v_add_co_u32_e32 v8, vcc, v8, v4
	v_addc_co_u32_e32 v9, vcc, v9, v5, vcc
	ds_read2_b64 v[4:7], v2 offset0:8 offset1:12
	s_waitcnt lgkmcnt(0)
	v_add_co_u32_e32 v4, vcc, v4, v8
	v_addc_co_u32_e32 v5, vcc, v5, v9, vcc
	v_add_co_u32_e32 v8, vcc, v6, v4
	v_addc_co_u32_e32 v9, vcc, v7, v5, vcc
	ds_read2_b64 v[4:7], v2 offset0:16 offset1:20
	;; [unrolled: 6-line block ×3, first 2 shown]
	v_add_u32_e32 v2, 0x100, v2
	s_waitcnt lgkmcnt(0)
	v_add_co_u32_e32 v4, vcc, v4, v8
	v_addc_co_u32_e32 v5, vcc, v5, v9, vcc
	v_add_co_u32_e32 v4, vcc, v6, v4
	v_addc_co_u32_e32 v5, vcc, v7, v5, vcc
	s_cbranch_scc0 .LBB38_74
; %bb.75:                               ;   in Loop: Header=BB38_34 Depth=1
	s_mov_b32 s7, s1
	s_branch .LBB38_104
.LBB38_76:                              ;   in Loop: Header=BB38_34 Depth=1
	global_load_ushort v2, v3, s[76:77]
	s_mov_b32 s4, s65
	s_waitcnt vmcnt(0)
	v_readfirstlane_b32 s5, v2
	s_and_b32 s12, s5, 0xffff
	s_lshl_b32 s8, s12, 2
	s_mov_b32 s5, s25
	s_cmp_lg_u64 s[4:5], 0
	s_cbranch_scc0 .LBB38_99
; %bb.77:                               ;   in Loop: Header=BB38_34 Depth=1
	s_add_u32 s4, s8, 0
	s_addc_u32 s5, 0, 0
	s_xor_b64 s[4:5], s[4:5], 0
	v_cvt_f32_u32_e32 v2, s4
	v_cvt_f32_u32_e32 v4, s5
	s_sub_u32 s9, 0, s4
	s_subb_u32 s13, 0, s5
	v_mac_f32_e32 v2, 0x4f800000, v4
	v_rcp_f32_e32 v2, v2
	v_mul_f32_e32 v2, 0x5f7ffffc, v2
	v_mul_f32_e32 v4, 0x2f800000, v2
	v_trunc_f32_e32 v4, v4
	v_mac_f32_e32 v2, 0xcf800000, v4
	v_cvt_u32_f32_e32 v4, v4
	v_cvt_u32_f32_e32 v2, v2
	v_readfirstlane_b32 s14, v4
	v_readfirstlane_b32 s6, v2
	s_mul_i32 s7, s9, s14
	s_mul_hi_u32 s16, s9, s6
	s_mul_i32 s15, s13, s6
	s_add_i32 s7, s16, s7
	s_mul_i32 s17, s9, s6
	s_add_i32 s7, s7, s15
	s_mul_i32 s16, s6, s7
	s_mul_hi_u32 s18, s6, s17
	s_mul_hi_u32 s15, s6, s7
	s_add_u32 s16, s18, s16
	s_addc_u32 s15, 0, s15
	s_mul_hi_u32 s19, s14, s17
	s_mul_i32 s17, s14, s17
	s_add_u32 s16, s16, s17
	s_mul_hi_u32 s18, s14, s7
	s_addc_u32 s15, s15, s19
	s_addc_u32 s16, s18, 0
	s_mul_i32 s7, s14, s7
	s_add_u32 s7, s15, s7
	s_addc_u32 s15, 0, s16
	s_add_u32 s16, s6, s7
	s_cselect_b64 s[6:7], -1, 0
	s_cmp_lg_u64 s[6:7], 0
	s_addc_u32 s14, s14, s15
	s_mul_i32 s6, s9, s14
	s_mul_hi_u32 s7, s9, s16
	s_add_i32 s6, s7, s6
	s_mul_i32 s13, s13, s16
	s_add_i32 s6, s6, s13
	s_mul_i32 s9, s9, s16
	s_mul_hi_u32 s13, s14, s9
	s_mul_i32 s15, s14, s9
	s_mul_i32 s18, s16, s6
	s_mul_hi_u32 s9, s16, s9
	s_mul_hi_u32 s17, s16, s6
	s_add_u32 s9, s9, s18
	s_addc_u32 s17, 0, s17
	s_add_u32 s9, s9, s15
	s_mul_hi_u32 s7, s14, s6
	s_addc_u32 s9, s17, s13
	s_addc_u32 s7, s7, 0
	s_mul_i32 s6, s14, s6
	s_add_u32 s6, s9, s6
	s_addc_u32 s9, 0, s7
	s_add_u32 s13, s16, s6
	s_cselect_b64 s[6:7], -1, 0
	s_cmp_lg_u64 s[6:7], 0
	s_addc_u32 s9, s14, s9
	s_ashr_i32 s14, s25, 31
	s_add_u32 s6, s24, s14
	s_mov_b32 s15, s14
	s_addc_u32 s7, s25, s14
	s_xor_b64 s[6:7], s[6:7], s[14:15]
	s_mul_i32 s17, s6, s9
	s_mul_hi_u32 s18, s6, s13
	s_mul_hi_u32 s16, s6, s9
	s_add_u32 s17, s18, s17
	s_addc_u32 s16, 0, s16
	s_mul_hi_u32 s19, s7, s13
	s_mul_i32 s13, s7, s13
	s_add_u32 s13, s17, s13
	s_mul_hi_u32 s18, s7, s9
	s_addc_u32 s13, s16, s19
	s_addc_u32 s16, s18, 0
	s_mul_i32 s9, s7, s9
	s_add_u32 s9, s13, s9
	s_addc_u32 s13, 0, s16
	s_mul_i32 s13, s4, s13
	s_mul_hi_u32 s16, s4, s9
	s_add_i32 s13, s16, s13
	s_mul_i32 s16, s5, s9
	s_add_i32 s13, s13, s16
	s_sub_i32 s18, s7, s13
	s_mul_i32 s9, s4, s9
	s_sub_u32 s6, s6, s9
	s_cselect_b64 s[16:17], -1, 0
	s_cmp_lg_u64 s[16:17], 0
	s_subb_u32 s9, s18, s5
	s_sub_u32 s20, s6, s4
	s_cselect_b64 s[18:19], -1, 0
	s_cmp_lg_u64 s[18:19], 0
	s_subb_u32 s21, s9, 0
	s_cmp_ge_u32 s21, s5
	s_cselect_b32 s22, -1, 0
	s_cmp_ge_u32 s20, s4
	s_cselect_b32 s23, -1, 0
	s_cmp_eq_u32 s21, s5
	s_cselect_b32 s22, s23, s22
	s_cmp_lg_u64 s[18:19], 0
	s_subb_u32 s9, s9, s5
	s_sub_u32 s23, s20, s4
	s_cselect_b64 s[18:19], -1, 0
	s_cmp_lg_u64 s[18:19], 0
	s_subb_u32 s9, s9, 0
	s_cmp_lg_u32 s22, 0
	s_cselect_b32 s18, s23, s20
	s_cselect_b32 s9, s9, s21
	s_cmp_lg_u64 s[16:17], 0
	s_subb_u32 s7, s7, s13
	s_cmp_ge_u32 s7, s5
	s_cselect_b32 s13, -1, 0
	s_cmp_ge_u32 s6, s4
	s_cselect_b32 s4, -1, 0
	s_cmp_eq_u32 s7, s5
	s_cselect_b32 s4, s4, s13
	s_cmp_lg_u32 s4, 0
	s_cselect_b32 s5, s9, s7
	s_cselect_b32 s4, s18, s6
	s_xor_b64 s[4:5], s[4:5], s[14:15]
	s_sub_u32 s6, s4, s14
	s_subb_u32 s7, s5, s14
	s_cbranch_execnz .LBB38_79
.LBB38_78:                              ;   in Loop: Header=BB38_34 Depth=1
	v_cvt_f32_u32_e32 v2, s8
	s_sub_i32 s4, 0, s8
	v_rcp_iflag_f32_e32 v2, v2
	v_mul_f32_e32 v2, 0x4f7ffffe, v2
	v_cvt_u32_f32_e32 v2, v2
	v_readfirstlane_b32 s5, v2
	s_mul_i32 s4, s4, s5
	s_mul_hi_u32 s4, s5, s4
	s_add_i32 s5, s5, s4
	s_mul_hi_u32 s4, s24, s5
	s_mul_i32 s4, s4, s8
	s_sub_i32 s4, s24, s4
	s_sub_i32 s5, s4, s8
	s_cmp_ge_u32 s4, s8
	s_cselect_b32 s4, s5, s4
	s_sub_i32 s5, s4, s8
	s_cmp_ge_u32 s4, s8
	s_cselect_b32 s64, s5, s4
	s_mov_b64 s[6:7], s[64:65]
.LBB38_79:                              ;   in Loop: Header=BB38_34 Depth=1
	s_sub_u32 s44, s24, s6
	s_subb_u32 s45, s25, s7
	v_cmp_gt_i64_e32 vcc, s[44:45], v[21:22]
	v_mov_b32_e32 v4, 0
	v_mov_b32_e32 v6, 0
	;; [unrolled: 1-line block ×8, first 2 shown]
	s_and_saveexec_b64 s[46:47], vcc
	s_cbranch_execz .LBB38_83
; %bb.80:                               ;   in Loop: Header=BB38_34 Depth=1
	s_mul_i32 s4, s87, s12
	s_mul_hi_u32 s5, s86, s12
	v_mov_b32_e32 v29, v22
	s_add_i32 s9, s5, s4
	s_mov_b64 s[48:49], 0
	s_mov_b64 s[50:51], s[66:67]
	;; [unrolled: 1-line block ×6, first 2 shown]
	v_mov_b32_e32 v28, v21
.LBB38_81:                              ;   Parent Loop BB38_34 Depth=1
                                        ; =>  This Inner Loop Header: Depth=2
	v_add_co_u32_e32 v4, vcc, s50, v23
	v_mov_b32_e32 v2, s51
	v_addc_co_u32_e32 v5, vcc, v2, v24, vcc
	global_load_sshort v6, v[4:5], off
	v_add_co_u32_e32 v4, vcc, s50, v20
	v_addc_co_u32_e32 v5, vcc, v2, v38, vcc
	global_load_sshort v7, v[4:5], off
	v_add_co_u32_e32 v4, vcc, s50, v19
	;; [unrolled: 3-line block ×3, first 2 shown]
	v_addc_co_u32_e32 v5, vcc, v2, v36, vcc
	global_load_sshort v2, v[4:5], off
	s_waitcnt vmcnt(3)
	v_add_u32_e32 v4, 0x8000, v6
	s_waitcnt vmcnt(2)
	v_add_u32_e32 v5, 0x8000, v7
	v_and_b32_e32 v7, v4, v48
	v_bfe_u32 v4, v4, s82, 2
	v_cmp_eq_u32_e32 vcc, v7, v44
	v_and_b32_e32 v7, v5, v48
	s_waitcnt vmcnt(1)
	v_add_u32_e32 v6, 0x8000, v8
	v_bfe_u32 v5, v5, s82, 2
	v_cmp_eq_u32_e64 s[20:21], 0, v4
	v_cmp_eq_u32_e64 s[14:15], v7, v44
	v_and_b32_e32 v7, v6, v48
	s_waitcnt vmcnt(0)
	v_add_u32_e32 v2, 0x8000, v2
	v_bfe_u32 v6, v6, s82, 2
	s_and_b64 s[22:23], vcc, s[20:21]
	v_cmp_eq_u32_e64 s[20:21], 0, v5
	v_cmp_eq_u32_e64 s[16:17], v7, v44
	v_and_b32_e32 v7, v2, v48
	v_bfe_u32 v2, v2, s82, 2
	s_and_b64 s[28:29], s[14:15], s[20:21]
	v_cmp_eq_u32_e64 s[20:21], 0, v6
	v_cmp_eq_u32_e64 s[18:19], v7, v44
	s_and_b64 s[36:37], s[16:17], s[20:21]
	v_cmp_eq_u32_e64 s[20:21], 0, v2
	v_cndmask_b32_e64 v7, 0, 1, s[22:23]
	s_and_b64 s[38:39], s[18:19], s[20:21]
	v_cmp_ne_u32_e64 s[20:21], 0, v7
	v_cndmask_b32_e64 v7, 0, 1, s[28:29]
	s_bcnt1_i32_b64 s13, s[20:21]
	v_cmp_ne_u32_e64 s[20:21], 0, v7
	v_cndmask_b32_e64 v7, 0, 1, s[36:37]
	s_bcnt1_i32_b64 s22, s[20:21]
	;; [unrolled: 3-line block ×3, first 2 shown]
	v_cmp_ne_u32_e64 s[20:21], 0, v7
	s_bcnt1_i32_b64 s20, s[20:21]
	s_add_u32 s13, s13, s54
	s_addc_u32 s21, 0, s55
	s_add_u32 s13, s13, s22
	s_addc_u32 s21, s21, 0
	;; [unrolled: 2-line block ×4, first 2 shown]
	v_cmp_eq_u32_e64 s[20:21], 1, v4
	s_and_b64 s[22:23], vcc, s[20:21]
	v_cmp_eq_u32_e64 s[20:21], 1, v5
	s_and_b64 s[28:29], s[14:15], s[20:21]
	v_cmp_eq_u32_e64 s[20:21], 1, v6
	s_and_b64 s[36:37], s[16:17], s[20:21]
	v_cmp_eq_u32_e64 s[20:21], 1, v2
	v_cndmask_b32_e64 v7, 0, 1, s[22:23]
	s_and_b64 s[38:39], s[18:19], s[20:21]
	v_cmp_ne_u32_e64 s[20:21], 0, v7
	v_cndmask_b32_e64 v7, 0, 1, s[28:29]
	s_bcnt1_i32_b64 s13, s[20:21]
	v_cmp_ne_u32_e64 s[20:21], 0, v7
	v_cndmask_b32_e64 v7, 0, 1, s[36:37]
	s_bcnt1_i32_b64 s22, s[20:21]
	;; [unrolled: 3-line block ×3, first 2 shown]
	v_cmp_ne_u32_e64 s[20:21], 0, v7
	s_bcnt1_i32_b64 s20, s[20:21]
	s_add_u32 s13, s13, s34
	s_addc_u32 s21, 0, s35
	s_add_u32 s13, s13, s22
	s_addc_u32 s21, s21, 0
	;; [unrolled: 2-line block ×4, first 2 shown]
	v_cmp_eq_u32_e64 s[20:21], 2, v4
	s_and_b64 s[22:23], vcc, s[20:21]
	v_cmp_eq_u32_e64 s[20:21], 2, v5
	s_and_b64 s[28:29], s[14:15], s[20:21]
	v_cmp_eq_u32_e64 s[20:21], 2, v6
	s_and_b64 s[36:37], s[16:17], s[20:21]
	v_cmp_eq_u32_e64 s[20:21], 2, v2
	v_cndmask_b32_e64 v7, 0, 1, s[22:23]
	s_and_b64 s[38:39], s[18:19], s[20:21]
	v_cmp_ne_u32_e64 s[20:21], 0, v7
	v_cndmask_b32_e64 v7, 0, 1, s[28:29]
	s_bcnt1_i32_b64 s13, s[20:21]
	v_cmp_ne_u32_e64 s[20:21], 0, v7
	v_cndmask_b32_e64 v7, 0, 1, s[36:37]
	s_bcnt1_i32_b64 s22, s[20:21]
	;; [unrolled: 3-line block ×3, first 2 shown]
	v_cmp_ne_u32_e64 s[20:21], 0, v7
	s_bcnt1_i32_b64 s20, s[20:21]
	s_add_u32 s4, s13, s4
	s_addc_u32 s5, 0, s5
	s_add_u32 s4, s4, s22
	s_addc_u32 s5, s5, 0
	;; [unrolled: 2-line block ×3, first 2 shown]
	s_add_u32 s4, s4, s20
	v_cmp_eq_u32_e64 s[20:21], 3, v4
	s_addc_u32 s5, s5, 0
	s_and_b64 s[20:21], vcc, s[20:21]
	v_cmp_eq_u32_e32 vcc, 3, v5
	s_and_b64 s[14:15], s[14:15], vcc
	v_cmp_eq_u32_e32 vcc, 3, v6
	s_and_b64 s[16:17], s[16:17], vcc
	v_cmp_eq_u32_e32 vcc, 3, v2
	v_cndmask_b32_e64 v2, 0, 1, s[20:21]
	s_and_b64 s[18:19], s[18:19], vcc
	v_cmp_ne_u32_e32 vcc, 0, v2
	v_cndmask_b32_e64 v2, 0, 1, s[14:15]
	s_bcnt1_i32_b64 s13, vcc
	v_cmp_ne_u32_e32 vcc, 0, v2
	v_cndmask_b32_e64 v2, 0, 1, s[16:17]
	s_bcnt1_i32_b64 s14, vcc
	;; [unrolled: 3-line block ×3, first 2 shown]
	v_cmp_ne_u32_e32 vcc, 0, v2
	s_bcnt1_i32_b64 s16, vcc
	s_add_u32 s13, s13, s62
	s_addc_u32 s17, 0, s63
	s_add_u32 s13, s13, s14
	s_addc_u32 s14, s17, 0
	s_add_u32 s13, s13, s15
	s_addc_u32 s14, s14, 0
	s_add_u32 s62, s13, s16
	v_add_co_u32_e32 v28, vcc, s8, v28
	s_addc_u32 s63, s14, 0
	v_addc_co_u32_e32 v29, vcc, 0, v29, vcc
	s_mul_i32 s13, s86, s12
	s_add_u32 s50, s50, s13
	v_cmp_le_i64_e32 vcc, s[44:45], v[28:29]
	s_addc_u32 s51, s51, s9
	v_mov_b32_e32 v4, s54
	v_mov_b32_e32 v6, s34
	;; [unrolled: 1-line block ×4, first 2 shown]
	s_or_b64 s[48:49], vcc, s[48:49]
	v_mov_b32_e32 v5, s55
	v_mov_b32_e32 v7, s35
	;; [unrolled: 1-line block ×4, first 2 shown]
	s_andn2_b64 exec, exec, s[48:49]
	s_cbranch_execnz .LBB38_81
; %bb.82:                               ;   in Loop: Header=BB38_34 Depth=1
	s_or_b64 exec, exec, s[48:49]
.LBB38_83:                              ;   in Loop: Header=BB38_34 Depth=1
	s_or_b64 exec, exec, s[46:47]
	v_mov_b32_e32 v2, s45
	v_add_co_u32_e32 v28, vcc, s44, v0
	v_addc_co_u32_e32 v29, vcc, 0, v2, vcc
	v_cmp_gt_i64_e32 vcc, s[24:25], v[28:29]
	s_and_saveexec_b64 s[4:5], vcc
	s_cbranch_execz .LBB38_89
; %bb.84:                               ;   in Loop: Header=BB38_34 Depth=1
	v_mul_lo_u32 v2, v29, s30
	v_mul_lo_u32 v50, v28, s31
	v_mad_u64_u32 v[30:31], s[8:9], v28, s30, 0
	v_add3_u32 v31, v31, v50, v2
	v_lshlrev_b64 v[30:31], 1, v[30:31]
	v_mov_b32_e32 v2, s67
	v_add_co_u32_e32 v30, vcc, s66, v30
	v_addc_co_u32_e32 v31, vcc, v2, v31, vcc
	global_load_ushort v2, v[30:31], off
	v_add_co_u32_e32 v30, vcc, s12, v41
	v_addc_co_u32_e32 v31, vcc, 0, v42, vcc
	v_mov_b32_e32 v50, s7
	v_subrev_co_u32_e32 v51, vcc, s6, v30
	v_readlane_b32 s6, v53, 51
	v_subb_co_u32_e32 v30, vcc, v31, v50, vcc
	v_readlane_b32 s7, v53, 52
	v_mul_lo_u32 v50, s84, v30
	v_mov_b32_e32 v31, s7
	v_mov_b32_e32 v30, s6
	v_mul_lo_u32 v52, s85, v51
	v_mad_u64_u32 v[30:31], s[6:7], s84, v51, v[30:31]
	s_mul_i32 s6, s85, s12
	s_mul_hi_u32 s7, s84, s12
	v_add3_u32 v31, v52, v31, v50
	s_add_i32 s13, s7, s6
	s_mov_b64 s[6:7], 0
	s_branch .LBB38_86
.LBB38_85:                              ;   in Loop: Header=BB38_86 Depth=2
	s_or_b64 exec, exec, s[8:9]
	s_waitcnt vmcnt(0)
	v_add_u32_sdwa v2, sext(v2), s73 dst_sel:DWORD dst_unused:UNUSED_PAD src0_sel:WORD_0 src1_sel:DWORD
	s_and_b64 s[8:9], exec, vcc
	v_and_b32_e32 v51, v2, v48
	v_bfe_u32 v2, v2, s82, 2
	s_or_b64 s[6:7], s[8:9], s[6:7]
	v_cmp_eq_u32_e32 vcc, v51, v44
	v_cmp_eq_u32_e64 s[14:15], 0, v2
	s_and_b64 s[8:9], vcc, s[14:15]
	v_cndmask_b32_e64 v51, 0, 1, s[8:9]
	v_cmp_ne_u32_e64 s[14:15], 0, v51
	s_bcnt1_i32_b64 s8, s[14:15]
	v_add_co_u32_e64 v4, s[14:15], s8, v4
	v_addc_co_u32_e64 v5, s[14:15], 0, v5, s[14:15]
	v_cmp_eq_u32_e64 s[14:15], 1, v2
	s_and_b64 s[8:9], vcc, s[14:15]
	v_cndmask_b32_e64 v51, 0, 1, s[8:9]
	v_cmp_ne_u32_e64 s[14:15], 0, v51
	s_bcnt1_i32_b64 s8, s[14:15]
	v_add_co_u32_e64 v6, s[14:15], s8, v6
	v_addc_co_u32_e64 v7, s[14:15], 0, v7, s[14:15]
	;; [unrolled: 7-line block ×3, first 2 shown]
	v_cmp_eq_u32_e64 s[14:15], 3, v2
	s_and_b64 s[8:9], vcc, s[14:15]
	v_cndmask_b32_e64 v2, 0, 1, s[8:9]
	v_cmp_ne_u32_e32 vcc, 0, v2
	s_bcnt1_i32_b64 s8, vcc
	v_add_co_u32_e32 v10, vcc, s8, v10
	v_addc_co_u32_e32 v11, vcc, 0, v11, vcc
	s_mul_i32 s8, s84, s12
	v_mov_b32_e32 v2, s13
	v_add_co_u32_e32 v30, vcc, s8, v30
	v_addc_co_u32_e32 v31, vcc, v31, v2, vcc
	v_mov_b32_e32 v2, v50
	s_andn2_b64 exec, exec, s[6:7]
	s_cbranch_execz .LBB38_88
.LBB38_86:                              ;   Parent Loop BB38_34 Depth=1
                                        ; =>  This Inner Loop Header: Depth=2
	v_add_co_u32_e32 v28, vcc, s12, v28
	v_addc_co_u32_e32 v29, vcc, 0, v29, vcc
	v_cmp_gt_i64_e64 s[14:15], s[24:25], v[28:29]
	v_cmp_le_i64_e32 vcc, s[24:25], v[28:29]
	v_mov_b32_e32 v50, 0
	s_and_saveexec_b64 s[8:9], s[14:15]
	s_cbranch_execz .LBB38_85
; %bb.87:                               ;   in Loop: Header=BB38_86 Depth=2
	global_load_ushort v50, v[30:31], off
	s_branch .LBB38_85
.LBB38_88:                              ;   in Loop: Header=BB38_34 Depth=1
	s_or_b64 exec, exec, s[6:7]
.LBB38_89:                              ;   in Loop: Header=BB38_34 Depth=1
	s_or_b64 exec, exec, s[4:5]
	s_branch .LBB38_68
.LBB38_90:                              ;   in Loop: Header=BB38_34 Depth=1
	global_load_ushort v2, v3, s[76:77]
	v_mov_b32_e32 v8, 0
	v_mov_b32_e32 v9, 0
	s_waitcnt vmcnt(0)
	v_readfirstlane_b32 s4, v2
	s_and_b32 s8, 0xffff, s4
	s_lshl_b32 s9, s8, 2
	v_cvt_f32_u32_e32 v4, s9
	s_sub_i32 s4, 0, s9
	v_rcp_iflag_f32_e32 v6, v4
	v_mov_b32_e32 v4, 0
	v_mov_b32_e32 v5, 0
	v_mul_f32_e32 v6, 0x4f7ffffe, v6
	v_cvt_u32_f32_e32 v10, v6
	v_mov_b32_e32 v6, 0
	v_mov_b32_e32 v7, 0
	v_readfirstlane_b32 s5, v10
	s_mul_i32 s4, s4, s5
	s_mul_hi_u32 s4, s5, s4
	s_add_i32 s5, s5, s4
	s_mul_hi_u32 s4, s26, s5
	s_mul_i32 s5, s4, s9
	s_sub_i32 s5, s26, s5
	s_add_i32 s6, s4, 1
	s_sub_i32 s7, s5, s9
	s_cmp_ge_u32 s5, s9
	s_cselect_b32 s4, s6, s4
	s_cselect_b32 s5, s7, s5
	s_add_i32 s6, s4, 1
	s_cmp_ge_u32 s5, s9
	s_cselect_b32 s4, s6, s4
	s_mul_hi_u32 s5, s8, s4
	s_mul_i32 s4, s8, s4
	s_lshl_b64 s[6:7], s[4:5], 2
	v_cmp_gt_u64_e32 vcc, s[6:7], v[21:22]
	v_mov_b32_e32 v10, 0
	v_mov_b32_e32 v11, 0
	s_and_saveexec_b64 s[34:35], vcc
	s_cbranch_execz .LBB38_94
; %bb.91:                               ;   in Loop: Header=BB38_34 Depth=1
	v_mov_b32_e32 v29, v22
	s_lshl_b32 s5, s8, 3
	s_mov_b64 s[44:45], 0
	v_mov_b32_e32 v30, v35
	s_mov_b64 s[46:47], 0
	s_mov_b64 s[48:49], 0
	;; [unrolled: 1-line block ×4, first 2 shown]
	v_mov_b32_e32 v28, v21
.LBB38_92:                              ;   Parent Loop BB38_34 Depth=1
                                        ; =>  This Inner Loop Header: Depth=2
	ds_read_b64 v[4:5], v30
	v_add_u32_e32 v30, s5, v30
	s_waitcnt lgkmcnt(0)
	v_add_u32_sdwa v6, sext(v4), s73 dst_sel:DWORD dst_unused:UNUSED_PAD src0_sel:WORD_0 src1_sel:DWORD
	v_add_u32_sdwa v4, sext(v4), s73 dst_sel:DWORD dst_unused:UNUSED_PAD src0_sel:WORD_1 src1_sel:DWORD
	v_and_b32_e32 v8, v6, v48
	v_bfe_u32 v6, v6, s82, 2
	v_add_u32_sdwa v7, sext(v5), s73 dst_sel:DWORD dst_unused:UNUSED_PAD src0_sel:WORD_0 src1_sel:DWORD
	v_cmp_eq_u32_e32 vcc, v8, v44
	v_and_b32_e32 v8, v4, v48
	v_bfe_u32 v4, v4, s82, 2
	v_cmp_eq_u32_e64 s[20:21], 0, v6
	v_add_u32_sdwa v5, sext(v5), s73 dst_sel:DWORD dst_unused:UNUSED_PAD src0_sel:WORD_1 src1_sel:DWORD
	v_cmp_eq_u32_e64 s[14:15], v8, v44
	v_and_b32_e32 v8, v7, v48
	v_bfe_u32 v7, v7, s82, 2
	s_and_b64 s[12:13], vcc, s[20:21]
	v_cmp_eq_u32_e64 s[20:21], 0, v4
	v_cmp_eq_u32_e64 s[16:17], v8, v44
	v_and_b32_e32 v8, v5, v48
	v_bfe_u32 v5, v5, s82, 2
	s_and_b64 s[22:23], s[14:15], s[20:21]
	v_cmp_eq_u32_e64 s[20:21], 0, v7
	v_cmp_eq_u32_e64 s[18:19], v8, v44
	s_and_b64 s[28:29], s[16:17], s[20:21]
	v_cmp_eq_u32_e64 s[20:21], 0, v5
	v_cndmask_b32_e64 v8, 0, 1, s[12:13]
	s_and_b64 s[36:37], s[18:19], s[20:21]
	v_cmp_ne_u32_e64 s[20:21], 0, v8
	v_cndmask_b32_e64 v8, 0, 1, s[22:23]
	s_bcnt1_i32_b64 s12, s[20:21]
	v_cmp_ne_u32_e64 s[20:21], 0, v8
	v_cndmask_b32_e64 v8, 0, 1, s[28:29]
	s_bcnt1_i32_b64 s13, s[20:21]
	v_cmp_ne_u32_e64 s[20:21], 0, v8
	v_cndmask_b32_e64 v8, 0, 1, s[36:37]
	s_bcnt1_i32_b64 s22, s[20:21]
	v_cmp_ne_u32_e64 s[20:21], 0, v8
	s_bcnt1_i32_b64 s20, s[20:21]
	s_add_u32 s12, s12, s54
	s_addc_u32 s21, 0, s55
	s_add_u32 s12, s12, s13
	s_addc_u32 s13, s21, 0
	;; [unrolled: 2-line block ×3, first 2 shown]
	s_add_u32 s54, s12, s20
	v_cmp_eq_u32_e64 s[20:21], 1, v6
	s_addc_u32 s55, s13, 0
	s_and_b64 s[12:13], vcc, s[20:21]
	v_cmp_eq_u32_e64 s[20:21], 1, v4
	s_and_b64 s[22:23], s[14:15], s[20:21]
	v_cmp_eq_u32_e64 s[20:21], 1, v7
	s_and_b64 s[28:29], s[16:17], s[20:21]
	v_cmp_eq_u32_e64 s[20:21], 1, v5
	v_cndmask_b32_e64 v8, 0, 1, s[12:13]
	s_and_b64 s[36:37], s[18:19], s[20:21]
	v_cmp_ne_u32_e64 s[20:21], 0, v8
	v_cndmask_b32_e64 v8, 0, 1, s[22:23]
	s_bcnt1_i32_b64 s12, s[20:21]
	v_cmp_ne_u32_e64 s[20:21], 0, v8
	v_cndmask_b32_e64 v8, 0, 1, s[28:29]
	s_bcnt1_i32_b64 s13, s[20:21]
	v_cmp_ne_u32_e64 s[20:21], 0, v8
	v_cndmask_b32_e64 v8, 0, 1, s[36:37]
	s_bcnt1_i32_b64 s22, s[20:21]
	v_cmp_ne_u32_e64 s[20:21], 0, v8
	s_bcnt1_i32_b64 s20, s[20:21]
	s_add_u32 s12, s12, s50
	s_addc_u32 s21, 0, s51
	s_add_u32 s12, s12, s13
	s_addc_u32 s13, s21, 0
	;; [unrolled: 2-line block ×3, first 2 shown]
	s_add_u32 s50, s12, s20
	v_cmp_eq_u32_e64 s[20:21], 2, v6
	s_addc_u32 s51, s13, 0
	s_and_b64 s[12:13], vcc, s[20:21]
	v_cmp_eq_u32_e64 s[20:21], 2, v4
	s_and_b64 s[22:23], s[14:15], s[20:21]
	v_cmp_eq_u32_e64 s[20:21], 2, v7
	s_and_b64 s[28:29], s[16:17], s[20:21]
	v_cmp_eq_u32_e64 s[20:21], 2, v5
	v_cndmask_b32_e64 v8, 0, 1, s[12:13]
	s_and_b64 s[36:37], s[18:19], s[20:21]
	v_cmp_ne_u32_e64 s[20:21], 0, v8
	v_cndmask_b32_e64 v8, 0, 1, s[22:23]
	s_bcnt1_i32_b64 s12, s[20:21]
	v_cmp_ne_u32_e64 s[20:21], 0, v8
	v_cndmask_b32_e64 v8, 0, 1, s[28:29]
	s_bcnt1_i32_b64 s13, s[20:21]
	v_cmp_ne_u32_e64 s[20:21], 0, v8
	v_cndmask_b32_e64 v8, 0, 1, s[36:37]
	s_bcnt1_i32_b64 s22, s[20:21]
	v_cmp_ne_u32_e64 s[20:21], 0, v8
	s_bcnt1_i32_b64 s20, s[20:21]
	s_add_u32 s12, s12, s48
	s_addc_u32 s21, 0, s49
	s_add_u32 s12, s12, s13
	s_addc_u32 s13, s21, 0
	;; [unrolled: 2-line block ×3, first 2 shown]
	s_add_u32 s48, s12, s20
	v_cmp_eq_u32_e64 s[20:21], 3, v6
	s_addc_u32 s49, s13, 0
	s_and_b64 s[12:13], vcc, s[20:21]
	v_cmp_eq_u32_e32 vcc, 3, v4
	s_and_b64 s[14:15], s[14:15], vcc
	v_cmp_eq_u32_e32 vcc, 3, v7
	s_and_b64 s[16:17], s[16:17], vcc
	v_cmp_eq_u32_e32 vcc, 3, v5
	v_cndmask_b32_e64 v4, 0, 1, s[12:13]
	s_and_b64 s[18:19], s[18:19], vcc
	v_cmp_ne_u32_e32 vcc, 0, v4
	v_cndmask_b32_e64 v4, 0, 1, s[14:15]
	s_bcnt1_i32_b64 s12, vcc
	v_cmp_ne_u32_e32 vcc, 0, v4
	v_cndmask_b32_e64 v4, 0, 1, s[16:17]
	s_bcnt1_i32_b64 s13, vcc
	;; [unrolled: 3-line block ×3, first 2 shown]
	v_cmp_ne_u32_e32 vcc, 0, v4
	s_bcnt1_i32_b64 s15, vcc
	s_add_u32 s12, s12, s46
	s_addc_u32 s16, 0, s47
	s_add_u32 s12, s12, s13
	s_addc_u32 s13, s16, 0
	s_add_u32 s12, s12, s14
	v_add_co_u32_e32 v28, vcc, s9, v28
	s_addc_u32 s13, s13, 0
	v_addc_co_u32_e32 v29, vcc, 0, v29, vcc
	s_add_u32 s46, s12, s15
	v_cmp_le_u64_e32 vcc, s[6:7], v[28:29]
	s_addc_u32 s47, s13, 0
	v_mov_b32_e32 v4, s54
	v_mov_b32_e32 v6, s50
	;; [unrolled: 1-line block ×4, first 2 shown]
	s_or_b64 s[44:45], vcc, s[44:45]
	v_mov_b32_e32 v5, s55
	v_mov_b32_e32 v7, s51
	;; [unrolled: 1-line block ×4, first 2 shown]
	s_andn2_b64 exec, exec, s[44:45]
	s_cbranch_execnz .LBB38_92
; %bb.93:                               ;   in Loop: Header=BB38_34 Depth=1
	s_or_b64 exec, exec, s[44:45]
.LBB38_94:                              ;   in Loop: Header=BB38_34 Depth=1
	s_or_b64 exec, exec, s[34:35]
	v_mov_b32_e32 v29, s7
	v_add_co_u32_e32 v28, vcc, s6, v0
	s_and_b32 s64, s26, 0x7fffffff
	v_addc_co_u32_e32 v29, vcc, 0, v29, vcc
	v_cmp_gt_u64_e32 vcc, s[64:65], v[28:29]
	s_and_saveexec_b64 s[6:7], vcc
	s_cbranch_execz .LBB38_98
; %bb.95:                               ;   in Loop: Header=BB38_34 Depth=1
	v_lshl_add_u32 v30, s4, 3, v45
	s_lshl_b32 s8, s8, 1
	s_mov_b64 s[4:5], 0
.LBB38_96:                              ;   Parent Loop BB38_34 Depth=1
                                        ; =>  This Inner Loop Header: Depth=2
	ds_read_i16 v31, v30
	v_add_u32_e32 v30, s8, v30
	s_waitcnt lgkmcnt(0)
	v_add_u32_e32 v31, 0x8000, v31
	v_and_b32_e32 v50, v31, v48
	v_bfe_u32 v31, v31, s82, 2
	v_cmp_eq_u32_e32 vcc, v50, v44
	v_cmp_eq_u32_e64 s[14:15], 0, v31
	s_and_b64 s[12:13], vcc, s[14:15]
	v_cndmask_b32_e64 v50, 0, 1, s[12:13]
	v_cmp_ne_u32_e64 s[14:15], 0, v50
	s_bcnt1_i32_b64 s9, s[14:15]
	v_add_co_u32_e64 v4, s[14:15], s9, v4
	v_addc_co_u32_e64 v5, s[14:15], 0, v5, s[14:15]
	v_cmp_eq_u32_e64 s[14:15], 1, v31
	s_and_b64 s[12:13], vcc, s[14:15]
	v_cndmask_b32_e64 v50, 0, 1, s[12:13]
	v_cmp_ne_u32_e64 s[14:15], 0, v50
	s_bcnt1_i32_b64 s9, s[14:15]
	v_add_co_u32_e64 v6, s[14:15], s9, v6
	v_addc_co_u32_e64 v7, s[14:15], 0, v7, s[14:15]
	;; [unrolled: 7-line block ×3, first 2 shown]
	v_cmp_eq_u32_e64 s[14:15], 3, v31
	s_and_b64 s[12:13], vcc, s[14:15]
	v_cndmask_b32_e64 v31, 0, 1, s[12:13]
	v_cmp_ne_u32_e32 vcc, 0, v31
	s_bcnt1_i32_b64 s9, vcc
	v_add_co_u32_e32 v10, vcc, s9, v10
	v_addc_co_u32_e32 v11, vcc, 0, v11, vcc
	v_add_co_u32_sdwa v28, vcc, v28, v2 dst_sel:DWORD dst_unused:UNUSED_PAD src0_sel:DWORD src1_sel:WORD_0
	v_addc_co_u32_e32 v29, vcc, 0, v29, vcc
	v_cmp_le_u64_e32 vcc, s[64:65], v[28:29]
	s_or_b64 s[4:5], vcc, s[4:5]
	s_andn2_b64 exec, exec, s[4:5]
	s_cbranch_execnz .LBB38_96
; %bb.97:                               ;   in Loop: Header=BB38_34 Depth=1
	s_or_b64 exec, exec, s[4:5]
.LBB38_98:                              ;   in Loop: Header=BB38_34 Depth=1
	s_or_b64 exec, exec, s[6:7]
	s_lshl_b32 s6, s83, 6
	s_and_saveexec_b64 s[4:5], s[10:11]
	s_cbranch_execnz .LBB38_69
	s_branch .LBB38_70
.LBB38_99:                              ;   in Loop: Header=BB38_34 Depth=1
                                        ; implicit-def: $sgpr6_sgpr7
	s_branch .LBB38_78
.LBB38_100:                             ;   in Loop: Header=BB38_34 Depth=1
	s_or_b64 exec, exec, s[6:7]
	s_waitcnt lgkmcnt(0)
	s_barrier
	s_mov_b64 s[6:7], exec
	v_readlane_b32 s8, v53, 32
	v_readlane_b32 s9, v53, 33
	s_and_b64 s[8:9], s[6:7], s[8:9]
	s_mov_b64 exec, s[8:9]
	s_cbranch_execz .LBB38_102
; %bb.101:                              ;   in Loop: Header=BB38_34 Depth=1
	ds_read_b32 v4, v3 offset:5136
	s_waitcnt lgkmcnt(0)
	v_ashrrev_i32_e32 v5, 31, v4
	ds_write_b64 v3, v[4:5] offset:5120
.LBB38_102:                             ;   in Loop: Header=BB38_34 Depth=1
	s_or_b64 exec, exec, s[6:7]
	s_waitcnt lgkmcnt(0)
	s_barrier
	s_mov_b64 s[6:7], -1
	s_and_b64 vcc, exec, s[4:5]
	s_cbranch_vccnz .LBB38_49
	s_branch .LBB38_64
.LBB38_103:                             ;   in Loop: Header=BB38_34 Depth=1
	v_mov_b32_e32 v4, 0
	v_mov_b32_e32 v5, 0
	s_mov_b32 s7, 0
.LBB38_104:                             ;   in Loop: Header=BB38_34 Depth=1
	v_readlane_b32 s8, v53, 49
	v_readlane_b32 s9, v53, 50
	s_andn2_b64 vcc, exec, s[8:9]
	s_cbranch_vccnz .LBB38_107
; %bb.105:                              ;   in Loop: Header=BB38_34 Depth=1
	s_lshl_b32 s8, s83, 9
	s_lshl_b32 s7, s7, 5
	s_add_i32 s8, s8, s7
	v_add_u32_e32 v2, s8, v43
	v_readlane_b32 s7, v53, 48
.LBB38_106:                             ;   Parent Loop BB38_34 Depth=1
                                        ; =>  This Inner Loop Header: Depth=2
	ds_read_b64 v[6:7], v2
	s_add_i32 s7, s7, -1
	v_add_u32_e32 v2, 32, v2
	s_cmp_lg_u32 s7, 0
	s_waitcnt lgkmcnt(0)
	v_add_co_u32_e32 v4, vcc, v6, v4
	v_addc_co_u32_e32 v5, vcc, v7, v5, vcc
	s_cbranch_scc1 .LBB38_106
.LBB38_107:                             ;   in Loop: Header=BB38_34 Depth=1
	v_add_lshl_u32 v2, s6, v32, 3
	ds_write_b64 v2, v[4:5] offset:3072
.LBB38_108:                             ;   in Loop: Header=BB38_34 Depth=1
	s_or_b64 exec, exec, s[4:5]
	s_lshl_b32 s4, s6, 3
	v_mov_b32_e32 v2, s4
	s_waitcnt lgkmcnt(0)
	s_barrier
	ds_read_b128 v[8:11], v2 offset:3088
	ds_read_b128 v[4:7], v2 offset:3072
	v_cmp_eq_u64_e64 s[14:15], 1, v[26:27]
	s_lshl_b32 s12, 3, s82
	s_not_b32 s13, s12
	s_waitcnt lgkmcnt(1)
	v_readfirstlane_b32 s62, v8
	s_waitcnt lgkmcnt(0)
	v_cmp_eq_u64_e32 vcc, 1, v[4:5]
	v_readfirstlane_b32 s63, v9
	v_readfirstlane_b32 s16, v10
	;; [unrolled: 1-line block ×3, first 2 shown]
	s_and_b64 s[6:7], vcc, s[14:15]
	s_mov_b64 s[4:5], -1
	s_mov_b64 s[8:9], -1
                                        ; implicit-def: $sgpr26_sgpr27
                                        ; implicit-def: $sgpr20_sgpr21
	s_and_saveexec_b64 s[14:15], s[6:7]
	s_cbranch_execz .LBB38_140
; %bb.109:                              ;   in Loop: Header=BB38_34 Depth=1
	ds_read_b64 v[8:9], v3 offset:5120
	s_waitcnt lgkmcnt(0)
	s_barrier
	v_readfirstlane_b32 s18, v8
	v_readfirstlane_b32 s19, v9
	s_mov_b64 s[8:9], exec
	v_readlane_b32 s20, v53, 53
	v_readlane_b32 s21, v53, 54
	s_and_b64 s[20:21], s[8:9], s[20:21]
	s_mov_b64 exec, s[20:21]
; %bb.110:                              ;   in Loop: Header=BB38_34 Depth=1
	ds_write_b16 v46, v3
; %bb.111:                              ;   in Loop: Header=BB38_34 Depth=1
	s_or_b64 exec, exec, s[8:9]
	v_cmp_lt_i64_e64 s[8:9], s[18:19], 1
	v_and_b32_e32 v44, s13, v44
	v_or_b32_e32 v48, s12, v48
	s_mov_b64 s[20:21], -1
	s_mov_b64 s[26:27], 0
	s_and_b64 vcc, exec, s[8:9]
	s_mov_b64 s[28:29], 0
	s_mov_b64 s[8:9], -1
	s_waitcnt lgkmcnt(0)
	s_barrier
                                        ; implicit-def: $vgpr49
	s_cbranch_vccz .LBB38_125
; %bb.112:                              ;   in Loop: Header=BB38_34 Depth=1
	s_mov_b32 s74, s65
	s_cmp_lg_u64 s[74:75], 0
	s_cbranch_scc0 .LBB38_166
; %bb.113:                              ;   in Loop: Header=BB38_34 Depth=1
	s_add_u32 s8, s33, 0
	s_addc_u32 s9, 0, 0
	s_xor_b64 s[28:29], s[8:9], 0
	v_cvt_f32_u32_e32 v2, s28
	v_cvt_f32_u32_e32 v8, s29
	s_sub_u32 s22, 0, s28
	s_subb_u32 s23, 0, s29
	v_mac_f32_e32 v2, 0x4f800000, v8
	v_rcp_f32_e32 v2, v2
	v_mul_f32_e32 v2, 0x5f7ffffc, v2
	v_mul_f32_e32 v8, 0x2f800000, v2
	v_trunc_f32_e32 v8, v8
	v_mac_f32_e32 v2, 0xcf800000, v8
	v_cvt_u32_f32_e32 v8, v8
	v_cvt_u32_f32_e32 v2, v2
	v_readfirstlane_b32 s34, v8
	v_readfirstlane_b32 s8, v2
	s_mul_i32 s9, s22, s34
	s_mul_hi_u32 s36, s22, s8
	s_mul_i32 s35, s23, s8
	s_add_i32 s9, s36, s9
	s_mul_i32 s37, s22, s8
	s_add_i32 s9, s9, s35
	s_mul_i32 s36, s8, s9
	s_mul_hi_u32 s38, s8, s37
	s_mul_hi_u32 s35, s8, s9
	s_add_u32 s36, s38, s36
	s_addc_u32 s35, 0, s35
	s_mul_hi_u32 s39, s34, s37
	s_mul_i32 s37, s34, s37
	s_add_u32 s36, s36, s37
	s_mul_hi_u32 s38, s34, s9
	s_addc_u32 s35, s35, s39
	s_addc_u32 s36, s38, 0
	s_mul_i32 s9, s34, s9
	s_add_u32 s9, s35, s9
	s_addc_u32 s35, 0, s36
	s_add_u32 s36, s8, s9
	s_cselect_b64 s[8:9], -1, 0
	s_cmp_lg_u64 s[8:9], 0
	s_addc_u32 s34, s34, s35
	s_mul_i32 s8, s22, s34
	s_mul_hi_u32 s9, s22, s36
	s_add_i32 s8, s9, s8
	s_mul_i32 s23, s23, s36
	s_add_i32 s8, s8, s23
	s_mul_i32 s22, s22, s36
	s_mul_hi_u32 s23, s34, s22
	s_mul_i32 s35, s34, s22
	s_mul_i32 s38, s36, s8
	s_mul_hi_u32 s22, s36, s22
	s_mul_hi_u32 s37, s36, s8
	s_add_u32 s22, s22, s38
	s_addc_u32 s37, 0, s37
	s_add_u32 s22, s22, s35
	s_mul_hi_u32 s9, s34, s8
	s_addc_u32 s22, s37, s23
	s_addc_u32 s9, s9, 0
	s_mul_i32 s8, s34, s8
	s_add_u32 s8, s22, s8
	s_addc_u32 s22, 0, s9
	s_add_u32 s35, s36, s8
	s_cselect_b64 s[8:9], -1, 0
	s_cmp_lg_u64 s[8:9], 0
	s_addc_u32 s34, s34, s22
	s_ashr_i32 s22, s75, 31
	s_add_u32 s8, s0, s22
	s_mov_b32 s23, s22
	s_addc_u32 s9, s75, s22
	s_xor_b64 s[8:9], s[8:9], s[22:23]
	s_mul_i32 s37, s8, s34
	s_mul_hi_u32 s38, s8, s35
	s_mul_hi_u32 s36, s8, s34
	s_add_u32 s37, s38, s37
	s_addc_u32 s36, 0, s36
	s_mul_hi_u32 s39, s9, s35
	s_mul_i32 s35, s9, s35
	s_add_u32 s35, s37, s35
	s_mul_hi_u32 s38, s9, s34
	s_addc_u32 s35, s36, s39
	s_addc_u32 s36, s38, 0
	s_mul_i32 s34, s9, s34
	s_add_u32 s34, s35, s34
	s_addc_u32 s35, 0, s36
	s_mul_i32 s35, s28, s35
	s_mul_hi_u32 s36, s28, s34
	s_add_i32 s35, s36, s35
	s_mul_i32 s36, s29, s34
	s_add_i32 s38, s35, s36
	s_sub_i32 s36, s9, s38
	s_mul_i32 s34, s28, s34
	s_sub_u32 s8, s8, s34
	s_cselect_b64 s[34:35], -1, 0
	s_cmp_lg_u64 s[34:35], 0
	s_subb_u32 s39, s36, s29
	s_sub_u32 s40, s8, s28
	s_cselect_b64 s[36:37], -1, 0
	s_cmp_lg_u64 s[36:37], 0
	s_subb_u32 s41, s39, 0
	s_cmp_ge_u32 s41, s29
	s_cselect_b32 s42, -1, 0
	s_cmp_ge_u32 s40, s28
	s_cselect_b32 s43, -1, 0
	s_cmp_eq_u32 s41, s29
	s_cselect_b32 s42, s43, s42
	s_cmp_lg_u64 s[36:37], 0
	s_subb_u32 s39, s39, s29
	s_sub_u32 s43, s40, s28
	s_cselect_b64 s[36:37], -1, 0
	s_cmp_lg_u64 s[36:37], 0
	s_subb_u32 s36, s39, 0
	s_cmp_lg_u32 s42, 0
	s_cselect_b32 s37, s43, s40
	s_cselect_b32 s36, s36, s41
	s_cmp_lg_u64 s[34:35], 0
	s_subb_u32 s9, s9, s38
	s_cmp_ge_u32 s9, s29
	s_cselect_b32 s34, -1, 0
	s_cmp_ge_u32 s8, s28
	s_cselect_b32 s28, -1, 0
	s_cmp_eq_u32 s9, s29
	s_cselect_b32 s28, s28, s34
	s_cmp_lg_u32 s28, 0
	s_cselect_b32 s9, s36, s9
	s_cselect_b32 s8, s37, s8
	s_xor_b64 s[8:9], s[8:9], s[22:23]
	s_sub_u32 s8, s8, s22
	s_subb_u32 s9, s9, s22
	s_cbranch_execnz .LBB38_115
.LBB38_114:                             ;   in Loop: Header=BB38_34 Depth=1
	v_cvt_f32_u32_e32 v2, s33
	s_sub_i32 s8, 0, s33
	v_rcp_iflag_f32_e32 v2, v2
	v_mul_f32_e32 v2, 0x4f7ffffe, v2
	v_cvt_u32_f32_e32 v2, v2
	v_readfirstlane_b32 s9, v2
	s_mul_i32 s8, s8, s9
	s_mul_hi_u32 s8, s9, s8
	s_add_i32 s9, s9, s8
	s_mul_hi_u32 s8, s0, s9
	s_mul_i32 s8, s8, s33
	s_sub_i32 s8, s0, s8
	s_sub_i32 s9, s8, s33
	s_cmp_ge_u32 s8, s33
	s_cselect_b32 s8, s9, s8
	s_sub_i32 s9, s8, s33
	s_cmp_ge_u32 s8, s33
	s_cselect_b32 s64, s9, s8
	s_mov_b64 s[8:9], s[64:65]
.LBB38_115:                             ;   in Loop: Header=BB38_34 Depth=1
	s_sub_u32 s36, s0, s8
	s_subb_u32 s37, s75, s9
	v_cmp_gt_i64_e32 vcc, s[36:37], v[0:1]
	s_mov_b64 s[8:9], 0
	s_mov_b64 s[28:29], 0
                                        ; implicit-def: $vgpr49
	s_and_saveexec_b64 s[34:35], vcc
	s_cbranch_execz .LBB38_124
; %bb.116:                              ;   in Loop: Header=BB38_34 Depth=1
	v_mov_b32_e32 v8, v12
	v_mov_b32_e32 v11, v1
	;; [unrolled: 1-line block ×4, first 2 shown]
                                        ; implicit-def: $sgpr38_sgpr39
	s_branch .LBB38_119
.LBB38_117:                             ;   in Loop: Header=BB38_119 Depth=2
	s_or_b64 exec, exec, s[40:41]
	s_waitcnt lgkmcnt(0)
	s_barrier
	ds_read_b32 v2, v3 offset:3072
	s_mov_b64 s[40:41], -1
	s_mov_b64 s[42:43], -1
	s_waitcnt lgkmcnt(0)
	s_barrier
	v_cmp_ne_u32_sdwa s[22:23], v2, v3 src0_sel:WORD_0 src1_sel:DWORD
	s_and_b64 vcc, exec, s[22:23]
	s_cbranch_vccz .LBB38_122
.LBB38_118:                             ;   in Loop: Header=BB38_119 Depth=2
	s_and_b64 s[22:23], exec, s[40:41]
	s_or_b64 s[28:29], s[22:23], s[28:29]
	s_andn2_b64 s[22:23], s[38:39], exec
	s_and_b64 s[38:39], s[42:43], exec
	s_or_b64 s[38:39], s[22:23], s[38:39]
	s_andn2_b64 exec, exec, s[28:29]
	s_cbranch_execz .LBB38_123
.LBB38_119:                             ;   Parent Loop BB38_34 Depth=1
                                        ; =>  This Inner Loop Header: Depth=2
	v_cmp_gt_i64_e32 vcc, s[24:25], v[10:11]
	s_and_saveexec_b64 s[40:41], vcc
	s_cbranch_execz .LBB38_117
; %bb.120:                              ;   in Loop: Header=BB38_119 Depth=2
	global_load_ushort v2, v[8:9], off
	s_waitcnt vmcnt(0)
	v_add_u32_sdwa v28, sext(v2), s73 dst_sel:DWORD dst_unused:UNUSED_PAD src0_sel:WORD_0 src1_sel:DWORD
	v_and_b32_e32 v28, v28, v48
	v_cmp_eq_u32_e32 vcc, v28, v44
	s_and_b64 exec, exec, vcc
	s_cbranch_execz .LBB38_117
; %bb.121:                              ;   in Loop: Header=BB38_119 Depth=2
	v_perm_b32 v2, v2, 1, v47
	ds_write_b32 v3, v2 offset:3072
	s_branch .LBB38_117
.LBB38_122:                             ;   in Loop: Header=BB38_119 Depth=2
	v_add_co_u32_e32 v10, vcc, s33, v10
	v_addc_co_u32_e32 v11, vcc, 0, v11, vcc
	v_mov_b32_e32 v28, s71
	v_add_co_u32_e32 v8, vcc, s70, v8
	v_addc_co_u32_e32 v9, vcc, v9, v28, vcc
	v_cmp_le_i64_e32 vcc, s[36:37], v[10:11]
	s_mov_b64 s[42:43], 0
	s_orn2_b64 s[40:41], vcc, exec
	s_branch .LBB38_118
.LBB38_123:                             ;   in Loop: Header=BB38_34 Depth=1
	s_or_b64 exec, exec, s[28:29]
	v_lshrrev_b32_e32 v49, 16, v2
	s_and_b64 s[28:29], s[38:39], exec
.LBB38_124:                             ;   in Loop: Header=BB38_34 Depth=1
	s_or_b64 exec, exec, s[34:35]
.LBB38_125:                             ;   in Loop: Header=BB38_34 Depth=1
	s_and_b64 vcc, exec, s[8:9]
	s_cbranch_vccz .LBB38_139
; %bb.126:                              ;   in Loop: Header=BB38_34 Depth=1
	v_readlane_b32 s8, v53, 40
	s_add_u32 s34, s18, s8
	v_readlane_b32 s8, v53, 41
	s_addc_u32 s21, s19, s8
	s_mov_b32 s20, s65
	s_cmp_lg_u64 s[20:21], 0
	s_cbranch_scc0 .LBB38_167
; %bb.127:                              ;   in Loop: Header=BB38_34 Depth=1
	s_add_u32 s8, s33, 0
	s_addc_u32 s9, 0, 0
	s_xor_b64 s[26:27], s[8:9], 0
	v_cvt_f32_u32_e32 v2, s26
	v_cvt_f32_u32_e32 v8, s27
	s_sub_u32 s20, 0, s26
	s_subb_u32 s22, 0, s27
	v_mac_f32_e32 v2, 0x4f800000, v8
	v_rcp_f32_e32 v2, v2
	v_mul_f32_e32 v2, 0x5f7ffffc, v2
	v_mul_f32_e32 v8, 0x2f800000, v2
	v_trunc_f32_e32 v8, v8
	v_mac_f32_e32 v2, 0xcf800000, v8
	v_cvt_u32_f32_e32 v8, v8
	v_cvt_u32_f32_e32 v2, v2
	v_readfirstlane_b32 s23, v8
	v_readfirstlane_b32 s8, v2
	s_mul_i32 s9, s20, s23
	s_mul_hi_u32 s36, s20, s8
	s_mul_i32 s35, s22, s8
	s_add_i32 s9, s36, s9
	s_mul_i32 s37, s20, s8
	s_add_i32 s9, s9, s35
	s_mul_i32 s36, s8, s9
	s_mul_hi_u32 s38, s8, s37
	s_mul_hi_u32 s35, s8, s9
	s_add_u32 s36, s38, s36
	s_addc_u32 s35, 0, s35
	s_mul_hi_u32 s39, s23, s37
	s_mul_i32 s37, s23, s37
	s_add_u32 s36, s36, s37
	s_mul_hi_u32 s38, s23, s9
	s_addc_u32 s35, s35, s39
	s_addc_u32 s36, s38, 0
	s_mul_i32 s9, s23, s9
	s_add_u32 s9, s35, s9
	s_addc_u32 s35, 0, s36
	s_add_u32 s36, s8, s9
	s_cselect_b64 s[8:9], -1, 0
	s_cmp_lg_u64 s[8:9], 0
	s_addc_u32 s23, s23, s35
	s_mul_i32 s8, s20, s23
	s_mul_hi_u32 s9, s20, s36
	s_add_i32 s8, s9, s8
	s_mul_i32 s22, s22, s36
	s_add_i32 s8, s8, s22
	s_mul_i32 s20, s20, s36
	s_mul_hi_u32 s22, s23, s20
	s_mul_i32 s35, s23, s20
	s_mul_i32 s38, s36, s8
	s_mul_hi_u32 s20, s36, s20
	s_mul_hi_u32 s37, s36, s8
	s_add_u32 s20, s20, s38
	s_addc_u32 s37, 0, s37
	s_add_u32 s20, s20, s35
	s_mul_hi_u32 s9, s23, s8
	s_addc_u32 s20, s37, s22
	s_addc_u32 s9, s9, 0
	s_mul_i32 s8, s23, s8
	s_add_u32 s8, s20, s8
	s_addc_u32 s20, 0, s9
	s_add_u32 s35, s36, s8
	s_cselect_b64 s[8:9], -1, 0
	s_cmp_lg_u64 s[8:9], 0
	s_addc_u32 s20, s23, s20
	s_ashr_i32 s22, s21, 31
	s_add_u32 s8, s34, s22
	s_mov_b32 s23, s22
	s_addc_u32 s9, s21, s22
	s_xor_b64 s[8:9], s[8:9], s[22:23]
	s_mul_i32 s37, s8, s20
	s_mul_hi_u32 s38, s8, s35
	s_mul_hi_u32 s36, s8, s20
	s_add_u32 s37, s38, s37
	s_addc_u32 s36, 0, s36
	s_mul_hi_u32 s39, s9, s35
	s_mul_i32 s35, s9, s35
	s_add_u32 s35, s37, s35
	s_mul_hi_u32 s38, s9, s20
	s_addc_u32 s35, s36, s39
	s_addc_u32 s36, s38, 0
	s_mul_i32 s20, s9, s20
	s_add_u32 s20, s35, s20
	s_addc_u32 s35, 0, s36
	s_mul_i32 s35, s26, s35
	s_mul_hi_u32 s36, s26, s20
	s_add_i32 s35, s36, s35
	s_mul_i32 s36, s27, s20
	s_add_i32 s35, s35, s36
	s_sub_i32 s38, s9, s35
	s_mul_i32 s20, s26, s20
	s_sub_u32 s8, s8, s20
	s_cselect_b64 s[36:37], -1, 0
	s_cmp_lg_u64 s[36:37], 0
	s_subb_u32 s20, s38, s27
	s_sub_u32 s40, s8, s26
	s_cselect_b64 s[38:39], -1, 0
	s_cmp_lg_u64 s[38:39], 0
	s_subb_u32 s41, s20, 0
	s_cmp_ge_u32 s41, s27
	s_cselect_b32 s42, -1, 0
	s_cmp_ge_u32 s40, s26
	s_cselect_b32 s43, -1, 0
	s_cmp_eq_u32 s41, s27
	s_cselect_b32 s42, s43, s42
	s_cmp_lg_u64 s[38:39], 0
	s_subb_u32 s20, s20, s27
	s_sub_u32 s43, s40, s26
	s_cselect_b64 s[38:39], -1, 0
	s_cmp_lg_u64 s[38:39], 0
	s_subb_u32 s20, s20, 0
	s_cmp_lg_u32 s42, 0
	s_cselect_b32 s38, s43, s40
	s_cselect_b32 s20, s20, s41
	s_cmp_lg_u64 s[36:37], 0
	s_subb_u32 s9, s9, s35
	s_cmp_ge_u32 s9, s27
	s_cselect_b32 s35, -1, 0
	s_cmp_ge_u32 s8, s26
	s_cselect_b32 s26, -1, 0
	s_cmp_eq_u32 s9, s27
	s_cselect_b32 s26, s26, s35
	s_cmp_lg_u32 s26, 0
	s_cselect_b32 s9, s20, s9
	s_cselect_b32 s8, s38, s8
	s_xor_b64 s[8:9], s[8:9], s[22:23]
	s_sub_u32 s8, s8, s22
	s_subb_u32 s9, s9, s22
	s_cbranch_execnz .LBB38_129
.LBB38_128:                             ;   in Loop: Header=BB38_34 Depth=1
	v_cvt_f32_u32_e32 v2, s33
	s_sub_i32 s8, 0, s33
	v_rcp_iflag_f32_e32 v2, v2
	v_mul_f32_e32 v2, 0x4f7ffffe, v2
	v_cvt_u32_f32_e32 v2, v2
	v_readfirstlane_b32 s9, v2
	s_mul_i32 s8, s8, s9
	s_mul_hi_u32 s8, s9, s8
	s_add_i32 s9, s9, s8
	s_mul_hi_u32 s8, s34, s9
	s_mul_i32 s8, s8, s33
	s_sub_i32 s8, s34, s8
	s_sub_i32 s9, s8, s33
	s_cmp_ge_u32 s8, s33
	s_cselect_b32 s8, s9, s8
	s_sub_i32 s9, s8, s33
	s_cmp_ge_u32 s8, s33
	s_cselect_b32 s64, s9, s8
	s_mov_b64 s[8:9], s[64:65]
.LBB38_129:                             ;   in Loop: Header=BB38_34 Depth=1
	s_sub_u32 s20, s34, s8
	s_subb_u32 s21, s21, s9
	v_cmp_gt_i64_e32 vcc, s[20:21], v[0:1]
                                        ; implicit-def: $vgpr49
	s_and_saveexec_b64 s[8:9], vcc
	s_cbranch_execz .LBB38_138
; %bb.130:                              ;   in Loop: Header=BB38_34 Depth=1
	v_mov_b32_e32 v9, v1
	s_mov_b64 s[26:27], 0
	v_mov_b32_e32 v2, v45
	v_mov_b32_e32 v8, v0
                                        ; implicit-def: $sgpr34_sgpr35
	s_branch .LBB38_133
.LBB38_131:                             ;   in Loop: Header=BB38_133 Depth=2
	s_or_b64 exec, exec, s[36:37]
	s_waitcnt lgkmcnt(0)
	s_barrier
	ds_read_b32 v10, v3 offset:3072
	s_mov_b64 s[36:37], -1
	s_mov_b64 s[38:39], -1
	s_waitcnt lgkmcnt(0)
	s_barrier
	v_cmp_ne_u32_sdwa s[22:23], v10, v3 src0_sel:WORD_0 src1_sel:DWORD
	s_and_b64 vcc, exec, s[22:23]
	s_cbranch_vccz .LBB38_136
.LBB38_132:                             ;   in Loop: Header=BB38_133 Depth=2
	s_and_b64 s[22:23], exec, s[36:37]
	s_or_b64 s[26:27], s[22:23], s[26:27]
	s_andn2_b64 s[22:23], s[34:35], exec
	s_and_b64 s[34:35], s[38:39], exec
	s_or_b64 s[34:35], s[22:23], s[34:35]
	s_andn2_b64 exec, exec, s[26:27]
	s_cbranch_execz .LBB38_137
.LBB38_133:                             ;   Parent Loop BB38_34 Depth=1
                                        ; =>  This Inner Loop Header: Depth=2
	v_cmp_gt_u64_e32 vcc, s[18:19], v[8:9]
	s_and_saveexec_b64 s[36:37], vcc
	s_cbranch_execz .LBB38_131
; %bb.134:                              ;   in Loop: Header=BB38_133 Depth=2
	ds_read_u16 v10, v2
	s_waitcnt lgkmcnt(0)
	v_add_u32_sdwa v11, sext(v10), s73 dst_sel:DWORD dst_unused:UNUSED_PAD src0_sel:WORD_0 src1_sel:DWORD
	v_and_b32_e32 v11, v11, v48
	v_cmp_eq_u32_e32 vcc, v11, v44
	s_and_b64 exec, exec, vcc
	s_cbranch_execz .LBB38_131
; %bb.135:                              ;   in Loop: Header=BB38_133 Depth=2
	v_perm_b32 v10, v10, 1, v47
	ds_write_b32 v3, v10 offset:3072
	s_branch .LBB38_131
.LBB38_136:                             ;   in Loop: Header=BB38_133 Depth=2
	v_add_co_u32_e32 v8, vcc, s33, v8
	v_addc_co_u32_e32 v9, vcc, 0, v9, vcc
	v_cmp_le_i64_e32 vcc, s[20:21], v[8:9]
	v_add_u32_e32 v2, s72, v2
	s_mov_b64 s[38:39], 0
	s_orn2_b64 s[36:37], vcc, exec
	s_branch .LBB38_132
.LBB38_137:                             ;   in Loop: Header=BB38_34 Depth=1
	s_or_b64 exec, exec, s[26:27]
	s_andn2_b64 s[18:19], s[28:29], exec
	s_and_b64 s[20:21], s[34:35], exec
	v_lshrrev_b32_e32 v49, 16, v10
	s_or_b64 s[28:29], s[18:19], s[20:21]
.LBB38_138:                             ;   in Loop: Header=BB38_34 Depth=1
	s_or_b64 exec, exec, s[8:9]
	s_mov_b64 s[20:21], 0
	s_mov_b64 s[26:27], -1
.LBB38_139:                             ;   in Loop: Header=BB38_34 Depth=1
	s_orn2_b64 s[8:9], s[28:29], exec
.LBB38_140:                             ;   in Loop: Header=BB38_34 Depth=1
	s_or_b64 exec, exec, s[14:15]
	s_andn2_b64 s[14:15], s[56:57], exec
	s_and_b64 s[18:19], s[26:27], exec
	s_or_b64 s[56:57], s[14:15], s[18:19]
	s_andn2_b64 s[14:15], s[60:61], exec
	s_and_b64 s[18:19], s[20:21], exec
	s_andn2_b64 s[58:59], s[58:59], exec
	s_or_b64 s[60:61], s[14:15], s[18:19]
                                        ; implicit-def: $vgpr8_vgpr9
	s_and_saveexec_b64 s[18:19], s[8:9]
	s_cbranch_execz .LBB38_33
; %bb.141:                              ;   in Loop: Header=BB38_34 Depth=1
	v_mov_b32_e32 v8, 1
	s_xor_b64 s[8:9], s[6:7], -1
	v_mov_b32_e32 v2, 1
	v_mov_b32_e32 v9, 0
	s_mov_b64 s[6:7], 0
	s_and_saveexec_b64 s[4:5], s[8:9]
	s_cbranch_execz .LBB38_150
; %bb.142:                              ;   in Loop: Header=BB38_34 Depth=1
	v_cmp_le_i64_e32 vcc, v[26:27], v[4:5]
	s_and_saveexec_b64 s[6:7], vcc
	s_xor_b64 s[6:7], exec, s[6:7]
	s_cbranch_execz .LBB38_147
; %bb.143:                              ;   in Loop: Header=BB38_34 Depth=1
	ds_read_b64 v[8:9], v3 offset:5120
	v_and_b32_e32 v44, s13, v44
	v_or_b32_e32 v48, s12, v48
	s_waitcnt lgkmcnt(0)
	v_cmp_ne_u64_e32 vcc, 0, v[8:9]
	s_cbranch_vccnz .LBB38_147
; %bb.144:                              ;   in Loop: Header=BB38_34 Depth=1
	s_mov_b64 s[8:9], exec
	v_readlane_b32 s14, v53, 32
	v_readlane_b32 s15, v53, 33
	s_and_b64 s[14:15], s[8:9], s[14:15]
	s_mov_b64 exec, s[14:15]
; %bb.145:                              ;   in Loop: Header=BB38_34 Depth=1
	ds_write_b64 v3, v[4:5] offset:5128
; %bb.146:                              ;   in Loop: Header=BB38_34 Depth=1
	s_or_b64 exec, exec, s[8:9]
	s_waitcnt lgkmcnt(0)
	s_barrier
.LBB38_147:                             ;   in Loop: Header=BB38_34 Depth=1
	s_or_saveexec_b64 s[6:7], s[6:7]
	s_mov_b64 s[8:9], 0
	v_mov_b32_e32 v2, 8
	s_xor_b64 exec, exec, s[6:7]
; %bb.148:                              ;   in Loop: Header=BB38_34 Depth=1
	v_sub_co_u32_e32 v26, vcc, v26, v4
	v_subb_co_u32_e32 v27, vcc, v27, v5, vcc
	v_mov_b32_e32 v2, 0
	s_mov_b64 s[8:9], exec
; %bb.149:                              ;   in Loop: Header=BB38_34 Depth=1
	s_or_b64 exec, exec, s[6:7]
	v_mov_b32_e32 v8, v26
	s_and_b64 s[6:7], s[8:9], exec
	v_mov_b32_e32 v9, v27
.LBB38_150:                             ;   in Loop: Header=BB38_34 Depth=1
	s_or_b64 exec, exec, s[4:5]
	s_mov_b64 s[20:21], -1
	s_mov_b64 s[4:5], -1
                                        ; implicit-def: $sgpr14_sgpr15
                                        ; implicit-def: $sgpr44_sgpr45
	s_and_saveexec_b64 s[8:9], s[6:7]
	s_xor_b64 s[26:27], exec, s[8:9]
	s_cbranch_execz .LBB38_292
; %bb.151:                              ;   in Loop: Header=BB38_34 Depth=1
	v_cmp_eq_u64_e32 vcc, 1, v[6:7]
	v_cmp_eq_u64_e64 s[14:15], 1, v[8:9]
	s_mov_b64 s[8:9], -1
	s_and_b64 s[4:5], vcc, s[14:15]
                                        ; implicit-def: $sgpr44_sgpr45
                                        ; implicit-def: $sgpr14_sgpr15
	s_and_saveexec_b64 s[6:7], s[4:5]
	s_cbranch_execz .LBB38_185
; %bb.152:                              ;   in Loop: Header=BB38_34 Depth=1
	ds_read_b64 v[4:5], v3 offset:5120
	s_waitcnt lgkmcnt(0)
	s_barrier
	v_readfirstlane_b32 s34, v4
	v_readfirstlane_b32 s35, v5
	s_mov_b64 s[8:9], exec
	v_readlane_b32 s14, v53, 53
	v_readlane_b32 s15, v53, 54
	s_and_b64 s[14:15], s[8:9], s[14:15]
	s_mov_b64 exec, s[14:15]
; %bb.153:                              ;   in Loop: Header=BB38_34 Depth=1
	ds_write_b16 v46, v3
; %bb.154:                              ;   in Loop: Header=BB38_34 Depth=1
	s_or_b64 exec, exec, s[8:9]
	v_cmp_gt_i64_e64 s[8:9], s[34:35], 0
	v_and_b32_e32 v4, s13, v44
	v_lshl_or_b32 v44, 1, s82, v4
	v_or_b32_e32 v48, s12, v48
	s_mov_b64 s[14:15], -1
	s_mov_b64 s[44:45], 0
	s_and_b64 vcc, exec, s[8:9]
	s_mov_b64 s[28:29], 0
	s_mov_b64 s[46:47], -1
	s_waitcnt lgkmcnt(0)
	s_barrier
                                        ; implicit-def: $vgpr49
	s_cbranch_vccnz .LBB38_170
; %bb.155:                              ;   in Loop: Header=BB38_34 Depth=1
	s_mov_b32 s74, s65
	s_cmp_lg_u64 s[74:75], 0
	s_cbranch_scc0 .LBB38_212
; %bb.156:                              ;   in Loop: Header=BB38_34 Depth=1
	s_add_u32 s8, s33, 0
	s_addc_u32 s9, 0, 0
	s_xor_b64 s[28:29], s[8:9], 0
	v_cvt_f32_u32_e32 v4, s28
	v_cvt_f32_u32_e32 v5, s29
	s_sub_u32 s22, 0, s28
	s_subb_u32 s23, 0, s29
	v_mac_f32_e32 v4, 0x4f800000, v5
	v_rcp_f32_e32 v4, v4
	v_mul_f32_e32 v4, 0x5f7ffffc, v4
	v_mul_f32_e32 v5, 0x2f800000, v4
	v_trunc_f32_e32 v5, v5
	v_mac_f32_e32 v4, 0xcf800000, v5
	v_cvt_u32_f32_e32 v5, v5
	v_cvt_u32_f32_e32 v4, v4
	v_readfirstlane_b32 s36, v5
	v_readfirstlane_b32 s8, v4
	s_mul_i32 s9, s22, s36
	s_mul_hi_u32 s38, s22, s8
	s_mul_i32 s37, s23, s8
	s_add_i32 s9, s38, s9
	s_mul_i32 s39, s22, s8
	s_add_i32 s9, s9, s37
	s_mul_i32 s38, s8, s9
	s_mul_hi_u32 s40, s8, s39
	s_mul_hi_u32 s37, s8, s9
	s_add_u32 s38, s40, s38
	s_addc_u32 s37, 0, s37
	s_mul_hi_u32 s41, s36, s39
	s_mul_i32 s39, s36, s39
	s_add_u32 s38, s38, s39
	s_mul_hi_u32 s40, s36, s9
	s_addc_u32 s37, s37, s41
	s_addc_u32 s38, s40, 0
	s_mul_i32 s9, s36, s9
	s_add_u32 s9, s37, s9
	s_addc_u32 s37, 0, s38
	s_add_u32 s38, s8, s9
	s_cselect_b64 s[8:9], -1, 0
	s_cmp_lg_u64 s[8:9], 0
	s_addc_u32 s36, s36, s37
	s_mul_i32 s8, s22, s36
	s_mul_hi_u32 s9, s22, s38
	s_add_i32 s8, s9, s8
	s_mul_i32 s23, s23, s38
	s_add_i32 s8, s8, s23
	s_mul_i32 s22, s22, s38
	s_mul_hi_u32 s23, s36, s22
	s_mul_i32 s37, s36, s22
	s_mul_i32 s40, s38, s8
	s_mul_hi_u32 s22, s38, s22
	s_mul_hi_u32 s39, s38, s8
	s_add_u32 s22, s22, s40
	s_addc_u32 s39, 0, s39
	s_add_u32 s22, s22, s37
	s_mul_hi_u32 s9, s36, s8
	s_addc_u32 s22, s39, s23
	s_addc_u32 s9, s9, 0
	s_mul_i32 s8, s36, s8
	s_add_u32 s8, s22, s8
	s_addc_u32 s22, 0, s9
	s_add_u32 s37, s38, s8
	s_cselect_b64 s[8:9], -1, 0
	s_cmp_lg_u64 s[8:9], 0
	s_addc_u32 s36, s36, s22
	s_ashr_i32 s22, s75, 31
	s_add_u32 s8, s0, s22
	s_mov_b32 s23, s22
	s_addc_u32 s9, s75, s22
	s_xor_b64 s[8:9], s[8:9], s[22:23]
	s_mul_i32 s39, s8, s36
	s_mul_hi_u32 s40, s8, s37
	s_mul_hi_u32 s38, s8, s36
	s_add_u32 s39, s40, s39
	s_addc_u32 s38, 0, s38
	s_mul_hi_u32 s41, s9, s37
	s_mul_i32 s37, s9, s37
	s_add_u32 s37, s39, s37
	s_mul_hi_u32 s40, s9, s36
	s_addc_u32 s37, s38, s41
	s_addc_u32 s38, s40, 0
	s_mul_i32 s36, s9, s36
	s_add_u32 s36, s37, s36
	s_addc_u32 s37, 0, s38
	s_mul_i32 s37, s28, s37
	s_mul_hi_u32 s38, s28, s36
	s_add_i32 s37, s38, s37
	s_mul_i32 s38, s29, s36
	s_add_i32 s40, s37, s38
	s_sub_i32 s38, s9, s40
	s_mul_i32 s36, s28, s36
	s_sub_u32 s8, s8, s36
	s_cselect_b64 s[36:37], -1, 0
	s_cmp_lg_u64 s[36:37], 0
	s_subb_u32 s41, s38, s29
	s_sub_u32 s42, s8, s28
	s_cselect_b64 s[38:39], -1, 0
	s_cmp_lg_u64 s[38:39], 0
	s_subb_u32 s43, s41, 0
	s_cmp_ge_u32 s43, s29
	s_cselect_b32 s46, -1, 0
	s_cmp_ge_u32 s42, s28
	s_cselect_b32 s47, -1, 0
	s_cmp_eq_u32 s43, s29
	s_cselect_b32 s46, s47, s46
	s_cmp_lg_u64 s[38:39], 0
	s_subb_u32 s41, s41, s29
	s_sub_u32 s47, s42, s28
	s_cselect_b64 s[38:39], -1, 0
	s_cmp_lg_u64 s[38:39], 0
	s_subb_u32 s38, s41, 0
	s_cmp_lg_u32 s46, 0
	s_cselect_b32 s39, s47, s42
	s_cselect_b32 s38, s38, s43
	s_cmp_lg_u64 s[36:37], 0
	s_subb_u32 s9, s9, s40
	s_cmp_ge_u32 s9, s29
	s_cselect_b32 s36, -1, 0
	s_cmp_ge_u32 s8, s28
	s_cselect_b32 s28, -1, 0
	s_cmp_eq_u32 s9, s29
	s_cselect_b32 s28, s28, s36
	s_cmp_lg_u32 s28, 0
	s_cselect_b32 s9, s38, s9
	s_cselect_b32 s8, s39, s8
	s_xor_b64 s[8:9], s[8:9], s[22:23]
	s_sub_u32 s8, s8, s22
	s_subb_u32 s9, s9, s22
	s_cbranch_execnz .LBB38_158
.LBB38_157:                             ;   in Loop: Header=BB38_34 Depth=1
	v_cvt_f32_u32_e32 v4, s33
	s_sub_i32 s8, 0, s33
	v_rcp_iflag_f32_e32 v4, v4
	v_mul_f32_e32 v4, 0x4f7ffffe, v4
	v_cvt_u32_f32_e32 v4, v4
	v_readfirstlane_b32 s9, v4
	s_mul_i32 s8, s8, s9
	s_mul_hi_u32 s8, s9, s8
	s_add_i32 s9, s9, s8
	s_mul_hi_u32 s8, s0, s9
	s_mul_i32 s8, s8, s33
	s_sub_i32 s8, s0, s8
	s_sub_i32 s9, s8, s33
	s_cmp_ge_u32 s8, s33
	s_cselect_b32 s8, s9, s8
	s_sub_i32 s9, s8, s33
	s_cmp_ge_u32 s8, s33
	s_cselect_b32 s64, s9, s8
	s_mov_b64 s[8:9], s[64:65]
.LBB38_158:                             ;   in Loop: Header=BB38_34 Depth=1
	s_sub_u32 s36, s0, s8
	s_subb_u32 s37, s75, s9
	v_cmp_gt_i64_e32 vcc, s[36:37], v[0:1]
	s_mov_b64 s[46:47], 0
	s_mov_b64 s[28:29], 0
                                        ; implicit-def: $vgpr49
	s_and_saveexec_b64 s[8:9], vcc
	s_cbranch_execz .LBB38_169
; %bb.159:                              ;   in Loop: Header=BB38_34 Depth=1
	v_mov_b32_e32 v4, v12
	v_mov_b32_e32 v11, v1
	;; [unrolled: 1-line block ×4, first 2 shown]
                                        ; implicit-def: $sgpr38_sgpr39
	s_branch .LBB38_162
.LBB38_160:                             ;   in Loop: Header=BB38_162 Depth=2
	s_or_b64 exec, exec, s[40:41]
	s_waitcnt lgkmcnt(0)
	s_barrier
	ds_read_b32 v26, v3 offset:3072
	s_mov_b64 s[40:41], -1
	s_mov_b64 s[42:43], -1
	s_waitcnt lgkmcnt(0)
	s_barrier
	v_cmp_ne_u32_sdwa s[22:23], v26, v3 src0_sel:WORD_0 src1_sel:DWORD
	s_and_b64 vcc, exec, s[22:23]
	s_cbranch_vccz .LBB38_165
.LBB38_161:                             ;   in Loop: Header=BB38_162 Depth=2
	s_and_b64 s[22:23], exec, s[40:41]
	s_or_b64 s[28:29], s[22:23], s[28:29]
	s_andn2_b64 s[22:23], s[38:39], exec
	s_and_b64 s[38:39], s[42:43], exec
	s_or_b64 s[38:39], s[22:23], s[38:39]
	s_andn2_b64 exec, exec, s[28:29]
	s_cbranch_execz .LBB38_168
.LBB38_162:                             ;   Parent Loop BB38_34 Depth=1
                                        ; =>  This Inner Loop Header: Depth=2
	v_cmp_gt_i64_e32 vcc, s[24:25], v[10:11]
	s_and_saveexec_b64 s[40:41], vcc
	s_cbranch_execz .LBB38_160
; %bb.163:                              ;   in Loop: Header=BB38_162 Depth=2
	global_load_ushort v26, v[4:5], off
	s_waitcnt vmcnt(0)
	v_add_u32_sdwa v27, sext(v26), s73 dst_sel:DWORD dst_unused:UNUSED_PAD src0_sel:WORD_0 src1_sel:DWORD
	v_and_b32_e32 v27, v27, v48
	v_cmp_eq_u32_e32 vcc, v27, v44
	s_and_b64 exec, exec, vcc
	s_cbranch_execz .LBB38_160
; %bb.164:                              ;   in Loop: Header=BB38_162 Depth=2
	v_perm_b32 v26, v26, 1, v47
	ds_write_b32 v3, v26 offset:3072
	s_branch .LBB38_160
.LBB38_165:                             ;   in Loop: Header=BB38_162 Depth=2
	v_add_co_u32_e32 v10, vcc, s33, v10
	v_addc_co_u32_e32 v11, vcc, 0, v11, vcc
	v_mov_b32_e32 v27, s71
	v_add_co_u32_e32 v4, vcc, s70, v4
	v_addc_co_u32_e32 v5, vcc, v5, v27, vcc
	v_cmp_le_i64_e32 vcc, s[36:37], v[10:11]
	s_mov_b64 s[42:43], 0
	s_orn2_b64 s[40:41], vcc, exec
	s_branch .LBB38_161
.LBB38_166:                             ;   in Loop: Header=BB38_34 Depth=1
                                        ; implicit-def: $sgpr8_sgpr9
	s_branch .LBB38_114
.LBB38_167:                             ;   in Loop: Header=BB38_34 Depth=1
                                        ; implicit-def: $sgpr8_sgpr9
	s_branch .LBB38_128
.LBB38_168:                             ;   in Loop: Header=BB38_34 Depth=1
	s_or_b64 exec, exec, s[28:29]
	v_lshrrev_b32_e32 v49, 16, v26
	s_and_b64 s[28:29], s[38:39], exec
.LBB38_169:                             ;   in Loop: Header=BB38_34 Depth=1
	s_or_b64 exec, exec, s[8:9]
.LBB38_170:                             ;   in Loop: Header=BB38_34 Depth=1
	s_and_b64 vcc, exec, s[46:47]
	s_cbranch_vccz .LBB38_184
; %bb.171:                              ;   in Loop: Header=BB38_34 Depth=1
	v_readlane_b32 s8, v53, 40
	s_add_u32 s36, s34, s8
	v_readlane_b32 s8, v53, 41
	s_addc_u32 s15, s35, s8
	s_mov_b32 s14, s65
	s_cmp_lg_u64 s[14:15], 0
	s_cbranch_scc0 .LBB38_213
; %bb.172:                              ;   in Loop: Header=BB38_34 Depth=1
	s_add_u32 s8, s33, 0
	s_addc_u32 s9, 0, 0
	s_xor_b64 s[44:45], s[8:9], 0
	v_cvt_f32_u32_e32 v4, s44
	v_cvt_f32_u32_e32 v5, s45
	s_sub_u32 s14, 0, s44
	s_subb_u32 s22, 0, s45
	v_mac_f32_e32 v4, 0x4f800000, v5
	v_rcp_f32_e32 v4, v4
	v_mul_f32_e32 v4, 0x5f7ffffc, v4
	v_mul_f32_e32 v5, 0x2f800000, v4
	v_trunc_f32_e32 v5, v5
	v_mac_f32_e32 v4, 0xcf800000, v5
	v_cvt_u32_f32_e32 v5, v5
	v_cvt_u32_f32_e32 v4, v4
	v_readfirstlane_b32 s23, v5
	v_readfirstlane_b32 s8, v4
	s_mul_i32 s9, s14, s23
	s_mul_hi_u32 s38, s14, s8
	s_mul_i32 s37, s22, s8
	s_add_i32 s9, s38, s9
	s_mul_i32 s39, s14, s8
	s_add_i32 s9, s9, s37
	s_mul_i32 s38, s8, s9
	s_mul_hi_u32 s40, s8, s39
	s_mul_hi_u32 s37, s8, s9
	s_add_u32 s38, s40, s38
	s_addc_u32 s37, 0, s37
	s_mul_hi_u32 s41, s23, s39
	s_mul_i32 s39, s23, s39
	s_add_u32 s38, s38, s39
	s_mul_hi_u32 s40, s23, s9
	s_addc_u32 s37, s37, s41
	s_addc_u32 s38, s40, 0
	s_mul_i32 s9, s23, s9
	s_add_u32 s9, s37, s9
	s_addc_u32 s37, 0, s38
	s_add_u32 s38, s8, s9
	s_cselect_b64 s[8:9], -1, 0
	s_cmp_lg_u64 s[8:9], 0
	s_addc_u32 s23, s23, s37
	s_mul_i32 s8, s14, s23
	s_mul_hi_u32 s9, s14, s38
	s_add_i32 s8, s9, s8
	s_mul_i32 s22, s22, s38
	s_add_i32 s8, s8, s22
	s_mul_i32 s14, s14, s38
	s_mul_hi_u32 s22, s23, s14
	s_mul_i32 s37, s23, s14
	s_mul_i32 s40, s38, s8
	s_mul_hi_u32 s14, s38, s14
	s_mul_hi_u32 s39, s38, s8
	s_add_u32 s14, s14, s40
	s_addc_u32 s39, 0, s39
	s_add_u32 s14, s14, s37
	s_mul_hi_u32 s9, s23, s8
	s_addc_u32 s14, s39, s22
	s_addc_u32 s9, s9, 0
	s_mul_i32 s8, s23, s8
	s_add_u32 s8, s14, s8
	s_addc_u32 s14, 0, s9
	s_add_u32 s37, s38, s8
	s_cselect_b64 s[8:9], -1, 0
	s_cmp_lg_u64 s[8:9], 0
	s_addc_u32 s14, s23, s14
	s_ashr_i32 s22, s15, 31
	s_add_u32 s8, s36, s22
	s_mov_b32 s23, s22
	s_addc_u32 s9, s15, s22
	s_xor_b64 s[8:9], s[8:9], s[22:23]
	s_mul_i32 s39, s8, s14
	s_mul_hi_u32 s40, s8, s37
	s_mul_hi_u32 s38, s8, s14
	s_add_u32 s39, s40, s39
	s_addc_u32 s38, 0, s38
	s_mul_hi_u32 s41, s9, s37
	s_mul_i32 s37, s9, s37
	s_add_u32 s37, s39, s37
	s_mul_hi_u32 s40, s9, s14
	s_addc_u32 s37, s38, s41
	s_addc_u32 s38, s40, 0
	s_mul_i32 s14, s9, s14
	s_add_u32 s14, s37, s14
	s_addc_u32 s37, 0, s38
	s_mul_i32 s37, s44, s37
	s_mul_hi_u32 s38, s44, s14
	s_add_i32 s37, s38, s37
	s_mul_i32 s38, s45, s14
	s_add_i32 s37, s37, s38
	s_sub_i32 s40, s9, s37
	s_mul_i32 s14, s44, s14
	s_sub_u32 s8, s8, s14
	s_cselect_b64 s[38:39], -1, 0
	s_cmp_lg_u64 s[38:39], 0
	s_subb_u32 s14, s40, s45
	s_sub_u32 s42, s8, s44
	s_cselect_b64 s[40:41], -1, 0
	s_cmp_lg_u64 s[40:41], 0
	s_subb_u32 s43, s14, 0
	s_cmp_ge_u32 s43, s45
	s_cselect_b32 s46, -1, 0
	s_cmp_ge_u32 s42, s44
	s_cselect_b32 s47, -1, 0
	s_cmp_eq_u32 s43, s45
	s_cselect_b32 s46, s47, s46
	s_cmp_lg_u64 s[40:41], 0
	s_subb_u32 s14, s14, s45
	s_sub_u32 s47, s42, s44
	s_cselect_b64 s[40:41], -1, 0
	s_cmp_lg_u64 s[40:41], 0
	s_subb_u32 s14, s14, 0
	s_cmp_lg_u32 s46, 0
	s_cselect_b32 s40, s47, s42
	s_cselect_b32 s14, s14, s43
	s_cmp_lg_u64 s[38:39], 0
	s_subb_u32 s9, s9, s37
	s_cmp_ge_u32 s9, s45
	s_cselect_b32 s37, -1, 0
	s_cmp_ge_u32 s8, s44
	s_cselect_b32 s38, -1, 0
	s_cmp_eq_u32 s9, s45
	s_cselect_b32 s37, s38, s37
	s_cmp_lg_u32 s37, 0
	s_cselect_b32 s9, s14, s9
	s_cselect_b32 s8, s40, s8
	s_xor_b64 s[8:9], s[8:9], s[22:23]
	s_sub_u32 s8, s8, s22
	s_subb_u32 s9, s9, s22
	s_cbranch_execnz .LBB38_174
.LBB38_173:                             ;   in Loop: Header=BB38_34 Depth=1
	v_cvt_f32_u32_e32 v4, s33
	s_sub_i32 s8, 0, s33
	v_rcp_iflag_f32_e32 v4, v4
	v_mul_f32_e32 v4, 0x4f7ffffe, v4
	v_cvt_u32_f32_e32 v4, v4
	v_readfirstlane_b32 s9, v4
	s_mul_i32 s8, s8, s9
	s_mul_hi_u32 s8, s9, s8
	s_add_i32 s9, s9, s8
	s_mul_hi_u32 s8, s36, s9
	s_mul_i32 s8, s8, s33
	s_sub_i32 s8, s36, s8
	s_sub_i32 s9, s8, s33
	s_cmp_ge_u32 s8, s33
	s_cselect_b32 s8, s9, s8
	s_sub_i32 s9, s8, s33
	s_cmp_ge_u32 s8, s33
	s_cselect_b32 s64, s9, s8
	s_mov_b64 s[8:9], s[64:65]
.LBB38_174:                             ;   in Loop: Header=BB38_34 Depth=1
	s_sub_u32 s14, s36, s8
	s_subb_u32 s15, s15, s9
	v_cmp_gt_i64_e32 vcc, s[14:15], v[0:1]
                                        ; implicit-def: $vgpr49
	s_and_saveexec_b64 s[8:9], vcc
	s_cbranch_execz .LBB38_183
; %bb.175:                              ;   in Loop: Header=BB38_34 Depth=1
	v_mov_b32_e32 v5, v1
	s_mov_b64 s[36:37], 0
	v_mov_b32_e32 v10, v45
	v_mov_b32_e32 v4, v0
                                        ; implicit-def: $sgpr38_sgpr39
	s_branch .LBB38_178
.LBB38_176:                             ;   in Loop: Header=BB38_178 Depth=2
	s_or_b64 exec, exec, s[40:41]
	s_waitcnt lgkmcnt(0)
	s_barrier
	ds_read_b32 v11, v3 offset:3072
	s_mov_b64 s[40:41], -1
	s_mov_b64 s[42:43], -1
	s_waitcnt lgkmcnt(0)
	s_barrier
	v_cmp_eq_u32_sdwa s[22:23], v11, v3 src0_sel:WORD_0 src1_sel:DWORD
	s_and_b64 vcc, exec, s[22:23]
	s_cbranch_vccnz .LBB38_181
.LBB38_177:                             ;   in Loop: Header=BB38_178 Depth=2
	s_and_b64 s[22:23], exec, s[40:41]
	s_or_b64 s[36:37], s[22:23], s[36:37]
	s_andn2_b64 s[22:23], s[38:39], exec
	s_and_b64 s[38:39], s[42:43], exec
	s_or_b64 s[38:39], s[22:23], s[38:39]
	s_andn2_b64 exec, exec, s[36:37]
	s_cbranch_execz .LBB38_182
.LBB38_178:                             ;   Parent Loop BB38_34 Depth=1
                                        ; =>  This Inner Loop Header: Depth=2
	v_cmp_gt_u64_e32 vcc, s[34:35], v[4:5]
	s_and_saveexec_b64 s[40:41], vcc
	s_cbranch_execz .LBB38_176
; %bb.179:                              ;   in Loop: Header=BB38_178 Depth=2
	ds_read_u16 v11, v10
	s_waitcnt lgkmcnt(0)
	v_add_u32_sdwa v26, sext(v11), s73 dst_sel:DWORD dst_unused:UNUSED_PAD src0_sel:WORD_0 src1_sel:DWORD
	v_and_b32_e32 v26, v26, v48
	v_cmp_eq_u32_e32 vcc, v26, v44
	s_and_b64 exec, exec, vcc
	s_cbranch_execz .LBB38_176
; %bb.180:                              ;   in Loop: Header=BB38_178 Depth=2
	v_perm_b32 v11, v11, 1, v47
	ds_write_b32 v3, v11 offset:3072
	s_branch .LBB38_176
.LBB38_181:                             ;   in Loop: Header=BB38_178 Depth=2
	v_add_co_u32_e32 v4, vcc, s33, v4
	v_addc_co_u32_e32 v5, vcc, 0, v5, vcc
	v_cmp_le_i64_e32 vcc, s[14:15], v[4:5]
	v_add_u32_e32 v10, s72, v10
	s_mov_b64 s[42:43], 0
	s_orn2_b64 s[40:41], vcc, exec
	s_branch .LBB38_177
.LBB38_182:                             ;   in Loop: Header=BB38_34 Depth=1
	s_or_b64 exec, exec, s[36:37]
	s_andn2_b64 s[14:15], s[28:29], exec
	s_and_b64 s[22:23], s[38:39], exec
	v_lshrrev_b32_e32 v49, 16, v11
	s_or_b64 s[28:29], s[14:15], s[22:23]
.LBB38_183:                             ;   in Loop: Header=BB38_34 Depth=1
	s_or_b64 exec, exec, s[8:9]
	s_mov_b64 s[14:15], 0
	s_mov_b64 s[44:45], -1
.LBB38_184:                             ;   in Loop: Header=BB38_34 Depth=1
	s_orn2_b64 s[8:9], s[28:29], exec
.LBB38_185:                             ;   in Loop: Header=BB38_34 Depth=1
	s_or_b64 exec, exec, s[6:7]
	s_mov_b64 s[6:7], 0
	s_and_saveexec_b64 s[46:47], s[8:9]
	s_cbranch_execz .LBB38_291
; %bb.186:                              ;   in Loop: Header=BB38_34 Depth=1
	v_mov_b32_e32 v4, 1
	s_xor_b64 s[6:7], s[4:5], -1
	v_mov_b32_e32 v2, 1
	v_mov_b32_e32 v5, 0
	s_mov_b64 s[8:9], 0
	s_and_saveexec_b64 s[4:5], s[6:7]
	s_cbranch_execz .LBB38_196
; %bb.187:                              ;   in Loop: Header=BB38_34 Depth=1
	v_cmp_le_i64_e32 vcc, v[8:9], v[6:7]
	s_and_saveexec_b64 s[6:7], vcc
	s_xor_b64 s[6:7], exec, s[6:7]
	s_cbranch_execz .LBB38_193
; %bb.188:                              ;   in Loop: Header=BB38_34 Depth=1
	ds_read_b64 v[4:5], v3 offset:5120
	v_and_b32_e32 v2, s13, v44
	v_lshl_or_b32 v44, 1, s82, v2
	v_or_b32_e32 v48, s12, v48
	s_waitcnt lgkmcnt(0)
	v_cmp_ne_u64_e32 vcc, 0, v[4:5]
	s_cbranch_vccnz .LBB38_192
; %bb.189:                              ;   in Loop: Header=BB38_34 Depth=1
	s_mov_b64 s[8:9], exec
	v_readlane_b32 s22, v53, 32
	v_readlane_b32 s23, v53, 33
	s_and_b64 s[22:23], s[8:9], s[22:23]
	s_mov_b64 exec, s[22:23]
; %bb.190:                              ;   in Loop: Header=BB38_34 Depth=1
	ds_write_b64 v3, v[6:7] offset:5128
; %bb.191:                              ;   in Loop: Header=BB38_34 Depth=1
	s_or_b64 exec, exec, s[8:9]
	s_waitcnt lgkmcnt(0)
	s_barrier
.LBB38_192:                             ;   in Loop: Header=BB38_34 Depth=1
                                        ; implicit-def: $vgpr4_vgpr5_vgpr6_vgpr7
.LBB38_193:                             ;   in Loop: Header=BB38_34 Depth=1
	s_or_saveexec_b64 s[6:7], s[6:7]
	s_mov_b64 s[8:9], 0
	v_mov_b32_e32 v2, 8
	s_xor_b64 exec, exec, s[6:7]
; %bb.194:                              ;   in Loop: Header=BB38_34 Depth=1
	v_sub_co_u32_e32 v8, vcc, v8, v6
	v_subb_co_u32_e32 v9, vcc, v9, v7, vcc
	v_mov_b32_e32 v2, 0
	s_mov_b64 s[8:9], exec
; %bb.195:                              ;   in Loop: Header=BB38_34 Depth=1
	s_or_b64 exec, exec, s[6:7]
	v_mov_b32_e32 v4, v8
	s_and_b64 s[8:9], s[8:9], exec
	v_mov_b32_e32 v5, v9
.LBB38_196:                             ;   in Loop: Header=BB38_34 Depth=1
	s_or_b64 exec, exec, s[4:5]
	s_mov_b64 s[4:5], -1
                                        ; implicit-def: $sgpr50_sgpr51
                                        ; implicit-def: $sgpr6_sgpr7
	s_and_saveexec_b64 s[48:49], s[8:9]
	s_cbranch_execz .LBB38_290
; %bb.197:                              ;   in Loop: Header=BB38_34 Depth=1
	s_cmp_eq_u64 s[62:63], 1
	v_cmp_eq_u64_e32 vcc, 1, v[4:5]
	s_cselect_b64 s[4:5], -1, 0
	s_and_b64 s[34:35], s[4:5], vcc
	s_mov_b64 s[8:9], -1
                                        ; implicit-def: $sgpr6_sgpr7
                                        ; implicit-def: $sgpr50_sgpr51
	s_and_saveexec_b64 s[4:5], s[34:35]
	s_cbranch_execz .LBB38_231
; %bb.198:                              ;   in Loop: Header=BB38_34 Depth=1
	ds_read_b64 v[6:7], v3 offset:5120
	s_waitcnt lgkmcnt(0)
	s_barrier
	v_readfirstlane_b32 s54, v6
	v_readfirstlane_b32 s55, v7
	s_mov_b64 s[6:7], exec
	v_readlane_b32 s8, v53, 53
	v_readlane_b32 s9, v53, 54
	s_and_b64 s[8:9], s[6:7], s[8:9]
	s_mov_b64 exec, s[8:9]
; %bb.199:                              ;   in Loop: Header=BB38_34 Depth=1
	ds_write_b16 v46, v3
; %bb.200:                              ;   in Loop: Header=BB38_34 Depth=1
	s_or_b64 exec, exec, s[6:7]
	v_cmp_gt_i64_e64 s[8:9], s[54:55], 0
	v_and_b32_e32 v6, s13, v44
	v_lshl_or_b32 v44, 2, s82, v6
	v_or_b32_e32 v48, s12, v48
	s_mov_b64 s[50:51], -1
	s_mov_b64 s[6:7], 0
	s_and_b64 vcc, exec, s[8:9]
	s_mov_b64 s[28:29], 0
	s_mov_b64 s[52:53], -1
	s_waitcnt lgkmcnt(0)
	s_barrier
                                        ; implicit-def: $vgpr49
	s_cbranch_vccnz .LBB38_216
; %bb.201:                              ;   in Loop: Header=BB38_34 Depth=1
	s_mov_b32 s74, s65
	s_cmp_lg_u64 s[74:75], 0
	s_cbranch_scc0 .LBB38_257
; %bb.202:                              ;   in Loop: Header=BB38_34 Depth=1
	s_add_u32 s8, s33, 0
	s_addc_u32 s9, 0, 0
	s_xor_b64 s[28:29], s[8:9], 0
	v_cvt_f32_u32_e32 v6, s28
	v_cvt_f32_u32_e32 v7, s29
	s_sub_u32 s22, 0, s28
	s_subb_u32 s23, 0, s29
	v_mac_f32_e32 v6, 0x4f800000, v7
	v_rcp_f32_e32 v6, v6
	v_mul_f32_e32 v6, 0x5f7ffffc, v6
	v_mul_f32_e32 v7, 0x2f800000, v6
	v_trunc_f32_e32 v7, v7
	v_mac_f32_e32 v6, 0xcf800000, v7
	v_cvt_u32_f32_e32 v7, v7
	v_cvt_u32_f32_e32 v6, v6
	v_readfirstlane_b32 s36, v7
	v_readfirstlane_b32 s8, v6
	s_mul_i32 s9, s22, s36
	s_mul_hi_u32 s38, s22, s8
	s_mul_i32 s37, s23, s8
	s_add_i32 s9, s38, s9
	s_mul_i32 s39, s22, s8
	s_add_i32 s9, s9, s37
	s_mul_i32 s38, s8, s9
	s_mul_hi_u32 s40, s8, s39
	s_mul_hi_u32 s37, s8, s9
	s_add_u32 s38, s40, s38
	s_addc_u32 s37, 0, s37
	s_mul_hi_u32 s41, s36, s39
	s_mul_i32 s39, s36, s39
	s_add_u32 s38, s38, s39
	s_mul_hi_u32 s40, s36, s9
	s_addc_u32 s37, s37, s41
	s_addc_u32 s38, s40, 0
	s_mul_i32 s9, s36, s9
	s_add_u32 s9, s37, s9
	s_addc_u32 s37, 0, s38
	s_add_u32 s38, s8, s9
	s_cselect_b64 s[8:9], -1, 0
	s_cmp_lg_u64 s[8:9], 0
	s_addc_u32 s36, s36, s37
	s_mul_i32 s8, s22, s36
	s_mul_hi_u32 s9, s22, s38
	s_add_i32 s8, s9, s8
	s_mul_i32 s23, s23, s38
	s_add_i32 s8, s8, s23
	s_mul_i32 s22, s22, s38
	s_mul_hi_u32 s23, s36, s22
	s_mul_i32 s37, s36, s22
	s_mul_i32 s40, s38, s8
	s_mul_hi_u32 s22, s38, s22
	s_mul_hi_u32 s39, s38, s8
	s_add_u32 s22, s22, s40
	s_addc_u32 s39, 0, s39
	s_add_u32 s22, s22, s37
	s_mul_hi_u32 s9, s36, s8
	s_addc_u32 s22, s39, s23
	s_addc_u32 s9, s9, 0
	s_mul_i32 s8, s36, s8
	s_add_u32 s8, s22, s8
	s_addc_u32 s22, 0, s9
	s_add_u32 s37, s38, s8
	s_cselect_b64 s[8:9], -1, 0
	s_cmp_lg_u64 s[8:9], 0
	s_addc_u32 s36, s36, s22
	s_ashr_i32 s22, s75, 31
	s_add_u32 s8, s0, s22
	s_mov_b32 s23, s22
	s_addc_u32 s9, s75, s22
	s_xor_b64 s[8:9], s[8:9], s[22:23]
	s_mul_i32 s39, s8, s36
	s_mul_hi_u32 s40, s8, s37
	s_mul_hi_u32 s38, s8, s36
	s_add_u32 s39, s40, s39
	s_addc_u32 s38, 0, s38
	s_mul_hi_u32 s41, s9, s37
	s_mul_i32 s37, s9, s37
	s_add_u32 s37, s39, s37
	s_mul_hi_u32 s40, s9, s36
	s_addc_u32 s37, s38, s41
	s_addc_u32 s38, s40, 0
	s_mul_i32 s36, s9, s36
	s_add_u32 s36, s37, s36
	s_addc_u32 s37, 0, s38
	s_mul_i32 s37, s28, s37
	s_mul_hi_u32 s38, s28, s36
	s_add_i32 s37, s38, s37
	s_mul_i32 s38, s29, s36
	s_add_i32 s40, s37, s38
	s_sub_i32 s38, s9, s40
	s_mul_i32 s36, s28, s36
	s_sub_u32 s8, s8, s36
	s_cselect_b64 s[36:37], -1, 0
	s_cmp_lg_u64 s[36:37], 0
	s_subb_u32 s41, s38, s29
	s_sub_u32 s42, s8, s28
	s_cselect_b64 s[38:39], -1, 0
	s_cmp_lg_u64 s[38:39], 0
	s_subb_u32 s43, s41, 0
	s_cmp_ge_u32 s43, s29
	s_cselect_b32 s52, -1, 0
	s_cmp_ge_u32 s42, s28
	s_cselect_b32 s53, -1, 0
	s_cmp_eq_u32 s43, s29
	s_cselect_b32 s52, s53, s52
	s_cmp_lg_u64 s[38:39], 0
	s_subb_u32 s41, s41, s29
	s_sub_u32 s53, s42, s28
	s_cselect_b64 s[38:39], -1, 0
	s_cmp_lg_u64 s[38:39], 0
	s_subb_u32 s38, s41, 0
	s_cmp_lg_u32 s52, 0
	s_cselect_b32 s39, s53, s42
	s_cselect_b32 s38, s38, s43
	s_cmp_lg_u64 s[36:37], 0
	s_subb_u32 s9, s9, s40
	s_cmp_ge_u32 s9, s29
	s_cselect_b32 s36, -1, 0
	s_cmp_ge_u32 s8, s28
	s_cselect_b32 s28, -1, 0
	s_cmp_eq_u32 s9, s29
	s_cselect_b32 s28, s28, s36
	s_cmp_lg_u32 s28, 0
	s_cselect_b32 s9, s38, s9
	s_cselect_b32 s8, s39, s8
	s_xor_b64 s[8:9], s[8:9], s[22:23]
	s_sub_u32 s8, s8, s22
	s_subb_u32 s9, s9, s22
	s_cbranch_execnz .LBB38_204
.LBB38_203:                             ;   in Loop: Header=BB38_34 Depth=1
	v_cvt_f32_u32_e32 v6, s33
	s_sub_i32 s8, 0, s33
	v_rcp_iflag_f32_e32 v6, v6
	v_mul_f32_e32 v6, 0x4f7ffffe, v6
	v_cvt_u32_f32_e32 v6, v6
	v_readfirstlane_b32 s9, v6
	s_mul_i32 s8, s8, s9
	s_mul_hi_u32 s8, s9, s8
	s_add_i32 s9, s9, s8
	s_mul_hi_u32 s8, s0, s9
	s_mul_i32 s8, s8, s33
	s_sub_i32 s8, s0, s8
	s_sub_i32 s9, s8, s33
	s_cmp_ge_u32 s8, s33
	s_cselect_b32 s8, s9, s8
	s_sub_i32 s9, s8, s33
	s_cmp_ge_u32 s8, s33
	s_cselect_b32 s64, s9, s8
	s_mov_b64 s[8:9], s[64:65]
.LBB38_204:                             ;   in Loop: Header=BB38_34 Depth=1
	s_sub_u32 s36, s0, s8
	s_subb_u32 s37, s75, s9
	v_cmp_gt_i64_e32 vcc, s[36:37], v[0:1]
	s_mov_b64 s[52:53], 0
	s_mov_b64 s[28:29], 0
                                        ; implicit-def: $vgpr49
	s_and_saveexec_b64 s[8:9], vcc
	s_cbranch_execz .LBB38_215
; %bb.205:                              ;   in Loop: Header=BB38_34 Depth=1
	v_mov_b32_e32 v6, v12
	v_mov_b32_e32 v9, v1
	;; [unrolled: 1-line block ×4, first 2 shown]
                                        ; implicit-def: $sgpr38_sgpr39
	s_branch .LBB38_208
.LBB38_206:                             ;   in Loop: Header=BB38_208 Depth=2
	s_or_b64 exec, exec, s[40:41]
	s_waitcnt lgkmcnt(0)
	s_barrier
	ds_read_b32 v10, v3 offset:3072
	s_mov_b64 s[40:41], -1
	s_mov_b64 s[42:43], -1
	s_waitcnt lgkmcnt(0)
	s_barrier
	v_cmp_ne_u32_sdwa s[22:23], v10, v3 src0_sel:WORD_0 src1_sel:DWORD
	s_and_b64 vcc, exec, s[22:23]
	s_cbranch_vccz .LBB38_211
.LBB38_207:                             ;   in Loop: Header=BB38_208 Depth=2
	s_and_b64 s[22:23], exec, s[40:41]
	s_or_b64 s[28:29], s[22:23], s[28:29]
	s_andn2_b64 s[22:23], s[38:39], exec
	s_and_b64 s[38:39], s[42:43], exec
	s_or_b64 s[38:39], s[22:23], s[38:39]
	s_andn2_b64 exec, exec, s[28:29]
	s_cbranch_execz .LBB38_214
.LBB38_208:                             ;   Parent Loop BB38_34 Depth=1
                                        ; =>  This Inner Loop Header: Depth=2
	v_cmp_gt_i64_e32 vcc, s[24:25], v[8:9]
	s_and_saveexec_b64 s[40:41], vcc
	s_cbranch_execz .LBB38_206
; %bb.209:                              ;   in Loop: Header=BB38_208 Depth=2
	global_load_ushort v10, v[6:7], off
	s_waitcnt vmcnt(0)
	v_add_u32_sdwa v11, sext(v10), s73 dst_sel:DWORD dst_unused:UNUSED_PAD src0_sel:WORD_0 src1_sel:DWORD
	v_and_b32_e32 v11, v11, v48
	v_cmp_eq_u32_e32 vcc, v11, v44
	s_and_b64 exec, exec, vcc
	s_cbranch_execz .LBB38_206
; %bb.210:                              ;   in Loop: Header=BB38_208 Depth=2
	v_perm_b32 v10, v10, 1, v47
	ds_write_b32 v3, v10 offset:3072
	s_branch .LBB38_206
.LBB38_211:                             ;   in Loop: Header=BB38_208 Depth=2
	v_add_co_u32_e32 v8, vcc, s33, v8
	v_addc_co_u32_e32 v9, vcc, 0, v9, vcc
	v_mov_b32_e32 v11, s71
	v_add_co_u32_e32 v6, vcc, s70, v6
	v_addc_co_u32_e32 v7, vcc, v7, v11, vcc
	v_cmp_le_i64_e32 vcc, s[36:37], v[8:9]
	s_mov_b64 s[42:43], 0
	s_orn2_b64 s[40:41], vcc, exec
	s_branch .LBB38_207
.LBB38_212:                             ;   in Loop: Header=BB38_34 Depth=1
                                        ; implicit-def: $sgpr8_sgpr9
	s_branch .LBB38_157
.LBB38_213:                             ;   in Loop: Header=BB38_34 Depth=1
                                        ; implicit-def: $sgpr8_sgpr9
	s_branch .LBB38_173
.LBB38_214:                             ;   in Loop: Header=BB38_34 Depth=1
	s_or_b64 exec, exec, s[28:29]
	v_lshrrev_b32_e32 v49, 16, v10
	s_and_b64 s[28:29], s[38:39], exec
.LBB38_215:                             ;   in Loop: Header=BB38_34 Depth=1
	s_or_b64 exec, exec, s[8:9]
.LBB38_216:                             ;   in Loop: Header=BB38_34 Depth=1
	s_and_b64 vcc, exec, s[52:53]
	s_cbranch_vccz .LBB38_230
; %bb.217:                              ;   in Loop: Header=BB38_34 Depth=1
	v_readlane_b32 s6, v53, 40
	s_add_u32 s36, s54, s6
	v_readlane_b32 s6, v53, 41
	s_addc_u32 s7, s55, s6
	s_mov_b32 s6, s65
	s_cmp_lg_u64 s[6:7], 0
	s_cbranch_scc0 .LBB38_258
; %bb.218:                              ;   in Loop: Header=BB38_34 Depth=1
	s_add_u32 s8, s33, 0
	s_addc_u32 s9, 0, 0
	s_xor_b64 s[50:51], s[8:9], 0
	v_cvt_f32_u32_e32 v6, s50
	v_cvt_f32_u32_e32 v7, s51
	s_sub_u32 s6, 0, s50
	s_subb_u32 s22, 0, s51
	v_mac_f32_e32 v6, 0x4f800000, v7
	v_rcp_f32_e32 v6, v6
	v_mul_f32_e32 v6, 0x5f7ffffc, v6
	v_mul_f32_e32 v7, 0x2f800000, v6
	v_trunc_f32_e32 v7, v7
	v_mac_f32_e32 v6, 0xcf800000, v7
	v_cvt_u32_f32_e32 v7, v7
	v_cvt_u32_f32_e32 v6, v6
	v_readfirstlane_b32 s23, v7
	v_readfirstlane_b32 s8, v6
	s_mul_i32 s9, s6, s23
	s_mul_hi_u32 s38, s6, s8
	s_mul_i32 s37, s22, s8
	s_add_i32 s9, s38, s9
	s_mul_i32 s39, s6, s8
	s_add_i32 s9, s9, s37
	s_mul_i32 s38, s8, s9
	s_mul_hi_u32 s40, s8, s39
	s_mul_hi_u32 s37, s8, s9
	s_add_u32 s38, s40, s38
	s_addc_u32 s37, 0, s37
	s_mul_hi_u32 s41, s23, s39
	s_mul_i32 s39, s23, s39
	s_add_u32 s38, s38, s39
	s_mul_hi_u32 s40, s23, s9
	s_addc_u32 s37, s37, s41
	s_addc_u32 s38, s40, 0
	s_mul_i32 s9, s23, s9
	s_add_u32 s9, s37, s9
	s_addc_u32 s37, 0, s38
	s_add_u32 s38, s8, s9
	s_cselect_b64 s[8:9], -1, 0
	s_cmp_lg_u64 s[8:9], 0
	s_addc_u32 s23, s23, s37
	s_mul_i32 s8, s6, s23
	s_mul_hi_u32 s9, s6, s38
	s_add_i32 s8, s9, s8
	s_mul_i32 s22, s22, s38
	s_add_i32 s8, s8, s22
	s_mul_i32 s6, s6, s38
	s_mul_hi_u32 s22, s23, s6
	s_mul_i32 s37, s23, s6
	s_mul_i32 s40, s38, s8
	s_mul_hi_u32 s6, s38, s6
	s_mul_hi_u32 s39, s38, s8
	s_add_u32 s6, s6, s40
	s_addc_u32 s39, 0, s39
	s_add_u32 s6, s6, s37
	s_mul_hi_u32 s9, s23, s8
	s_addc_u32 s6, s39, s22
	s_addc_u32 s9, s9, 0
	s_mul_i32 s8, s23, s8
	s_add_u32 s6, s6, s8
	s_addc_u32 s22, 0, s9
	s_add_u32 s6, s38, s6
	s_cselect_b64 s[8:9], -1, 0
	s_cmp_lg_u64 s[8:9], 0
	s_addc_u32 s37, s23, s22
	s_ashr_i32 s22, s7, 31
	s_add_u32 s8, s36, s22
	s_mov_b32 s23, s22
	s_addc_u32 s9, s7, s22
	s_xor_b64 s[8:9], s[8:9], s[22:23]
	s_mul_i32 s39, s8, s37
	s_mul_hi_u32 s40, s8, s6
	s_mul_hi_u32 s38, s8, s37
	s_add_u32 s39, s40, s39
	s_addc_u32 s38, 0, s38
	s_mul_hi_u32 s41, s9, s6
	s_mul_i32 s6, s9, s6
	s_add_u32 s6, s39, s6
	s_mul_hi_u32 s40, s9, s37
	s_addc_u32 s6, s38, s41
	s_addc_u32 s38, s40, 0
	s_mul_i32 s37, s9, s37
	s_add_u32 s6, s6, s37
	s_addc_u32 s37, 0, s38
	s_mul_i32 s37, s50, s37
	s_mul_hi_u32 s38, s50, s6
	s_add_i32 s37, s38, s37
	s_mul_i32 s38, s51, s6
	s_add_i32 s37, s37, s38
	s_sub_i32 s40, s9, s37
	s_mul_i32 s6, s50, s6
	s_sub_u32 s6, s8, s6
	s_cselect_b64 s[38:39], -1, 0
	s_cmp_lg_u64 s[38:39], 0
	s_subb_u32 s8, s40, s51
	s_sub_u32 s42, s6, s50
	s_cselect_b64 s[40:41], -1, 0
	s_cmp_lg_u64 s[40:41], 0
	s_subb_u32 s43, s8, 0
	s_cmp_ge_u32 s43, s51
	s_cselect_b32 s52, -1, 0
	s_cmp_ge_u32 s42, s50
	s_cselect_b32 s53, -1, 0
	s_cmp_eq_u32 s43, s51
	s_cselect_b32 s52, s53, s52
	s_cmp_lg_u64 s[40:41], 0
	s_subb_u32 s8, s8, s51
	s_sub_u32 s53, s42, s50
	s_cselect_b64 s[40:41], -1, 0
	s_cmp_lg_u64 s[40:41], 0
	s_subb_u32 s8, s8, 0
	s_cmp_lg_u32 s52, 0
	s_cselect_b32 s40, s53, s42
	s_cselect_b32 s8, s8, s43
	s_cmp_lg_u64 s[38:39], 0
	s_subb_u32 s9, s9, s37
	s_cmp_ge_u32 s9, s51
	s_cselect_b32 s37, -1, 0
	s_cmp_ge_u32 s6, s50
	s_cselect_b32 s38, -1, 0
	s_cmp_eq_u32 s9, s51
	s_cselect_b32 s37, s38, s37
	s_cmp_lg_u32 s37, 0
	s_cselect_b32 s9, s8, s9
	s_cselect_b32 s8, s40, s6
	s_xor_b64 s[8:9], s[8:9], s[22:23]
	s_sub_u32 s8, s8, s22
	s_subb_u32 s9, s9, s22
	s_cbranch_execnz .LBB38_220
.LBB38_219:                             ;   in Loop: Header=BB38_34 Depth=1
	v_cvt_f32_u32_e32 v6, s33
	s_sub_i32 s6, 0, s33
	v_rcp_iflag_f32_e32 v6, v6
	v_mul_f32_e32 v6, 0x4f7ffffe, v6
	v_cvt_u32_f32_e32 v6, v6
	v_readfirstlane_b32 s8, v6
	s_mul_i32 s6, s6, s8
	s_mul_hi_u32 s6, s8, s6
	s_add_i32 s8, s8, s6
	s_mul_hi_u32 s6, s36, s8
	s_mul_i32 s6, s6, s33
	s_sub_i32 s6, s36, s6
	s_sub_i32 s8, s6, s33
	s_cmp_ge_u32 s6, s33
	s_cselect_b32 s6, s8, s6
	s_sub_i32 s8, s6, s33
	s_cmp_ge_u32 s6, s33
	s_cselect_b32 s64, s8, s6
	s_mov_b64 s[8:9], s[64:65]
.LBB38_220:                             ;   in Loop: Header=BB38_34 Depth=1
	s_sub_u32 s8, s36, s8
	s_subb_u32 s9, s7, s9
	v_cmp_gt_i64_e32 vcc, s[8:9], v[0:1]
                                        ; implicit-def: $vgpr49
	s_and_saveexec_b64 s[6:7], vcc
	s_cbranch_execz .LBB38_229
; %bb.221:                              ;   in Loop: Header=BB38_34 Depth=1
	v_mov_b32_e32 v7, v1
	s_mov_b64 s[36:37], 0
	v_mov_b32_e32 v8, v45
	v_mov_b32_e32 v6, v0
                                        ; implicit-def: $sgpr38_sgpr39
	s_branch .LBB38_224
.LBB38_222:                             ;   in Loop: Header=BB38_224 Depth=2
	s_or_b64 exec, exec, s[40:41]
	s_waitcnt lgkmcnt(0)
	s_barrier
	ds_read_b32 v9, v3 offset:3072
	s_mov_b64 s[40:41], -1
	s_mov_b64 s[42:43], -1
	s_waitcnt lgkmcnt(0)
	s_barrier
	v_cmp_eq_u32_sdwa s[22:23], v9, v3 src0_sel:WORD_0 src1_sel:DWORD
	s_and_b64 vcc, exec, s[22:23]
	s_cbranch_vccnz .LBB38_227
.LBB38_223:                             ;   in Loop: Header=BB38_224 Depth=2
	s_and_b64 s[22:23], exec, s[40:41]
	s_or_b64 s[36:37], s[22:23], s[36:37]
	s_andn2_b64 s[22:23], s[38:39], exec
	s_and_b64 s[38:39], s[42:43], exec
	s_or_b64 s[38:39], s[22:23], s[38:39]
	s_andn2_b64 exec, exec, s[36:37]
	s_cbranch_execz .LBB38_228
.LBB38_224:                             ;   Parent Loop BB38_34 Depth=1
                                        ; =>  This Inner Loop Header: Depth=2
	v_cmp_gt_u64_e32 vcc, s[54:55], v[6:7]
	s_and_saveexec_b64 s[40:41], vcc
	s_cbranch_execz .LBB38_222
; %bb.225:                              ;   in Loop: Header=BB38_224 Depth=2
	ds_read_u16 v9, v8
	s_waitcnt lgkmcnt(0)
	v_add_u32_sdwa v10, sext(v9), s73 dst_sel:DWORD dst_unused:UNUSED_PAD src0_sel:WORD_0 src1_sel:DWORD
	v_and_b32_e32 v10, v10, v48
	v_cmp_eq_u32_e32 vcc, v10, v44
	s_and_b64 exec, exec, vcc
	s_cbranch_execz .LBB38_222
; %bb.226:                              ;   in Loop: Header=BB38_224 Depth=2
	v_perm_b32 v9, v9, 1, v47
	ds_write_b32 v3, v9 offset:3072
	s_branch .LBB38_222
.LBB38_227:                             ;   in Loop: Header=BB38_224 Depth=2
	v_add_co_u32_e32 v6, vcc, s33, v6
	v_addc_co_u32_e32 v7, vcc, 0, v7, vcc
	v_cmp_le_i64_e32 vcc, s[8:9], v[6:7]
	v_add_u32_e32 v8, s72, v8
	s_mov_b64 s[42:43], 0
	s_orn2_b64 s[40:41], vcc, exec
	s_branch .LBB38_223
.LBB38_228:                             ;   in Loop: Header=BB38_34 Depth=1
	s_or_b64 exec, exec, s[36:37]
	s_andn2_b64 s[8:9], s[28:29], exec
	s_and_b64 s[22:23], s[38:39], exec
	v_lshrrev_b32_e32 v49, 16, v9
	s_or_b64 s[28:29], s[8:9], s[22:23]
.LBB38_229:                             ;   in Loop: Header=BB38_34 Depth=1
	s_or_b64 exec, exec, s[6:7]
	s_mov_b64 s[50:51], 0
	s_mov_b64 s[6:7], -1
.LBB38_230:                             ;   in Loop: Header=BB38_34 Depth=1
	s_orn2_b64 s[8:9], s[28:29], exec
.LBB38_231:                             ;   in Loop: Header=BB38_34 Depth=1
	s_or_b64 exec, exec, s[4:5]
	s_mov_b64 s[28:29], 0
	s_and_saveexec_b64 s[4:5], s[8:9]
	s_cbranch_execz .LBB38_289
; %bb.232:                              ;   in Loop: Header=BB38_34 Depth=1
	v_mov_b32_e32 v6, 1
	s_xor_b64 s[8:9], s[34:35], -1
	v_mov_b32_e32 v2, 1
	v_mov_b32_e32 v7, 0
	s_mov_b64 s[36:37], 0
	s_and_saveexec_b64 s[28:29], s[8:9]
	s_cbranch_execz .LBB38_241
; %bb.233:                              ;   in Loop: Header=BB38_34 Depth=1
	v_cmp_ge_i64_e32 vcc, s[62:63], v[4:5]
	s_and_saveexec_b64 s[8:9], vcc
	s_xor_b64 s[8:9], exec, s[8:9]
	s_cbranch_execz .LBB38_238
; %bb.234:                              ;   in Loop: Header=BB38_34 Depth=1
	ds_read_b64 v[6:7], v3 offset:5120
	v_and_b32_e32 v2, s13, v44
	v_lshl_or_b32 v44, 2, s82, v2
	v_or_b32_e32 v48, s12, v48
	s_waitcnt lgkmcnt(0)
	v_cmp_ne_u64_e32 vcc, 0, v[6:7]
	s_cbranch_vccnz .LBB38_238
; %bb.235:                              ;   in Loop: Header=BB38_34 Depth=1
	s_mov_b64 s[22:23], exec
	v_readlane_b32 s34, v53, 32
	v_readlane_b32 s35, v53, 33
	s_and_b64 s[34:35], s[22:23], s[34:35]
	s_mov_b64 exec, s[34:35]
; %bb.236:                              ;   in Loop: Header=BB38_34 Depth=1
	v_mov_b32_e32 v6, s62
	v_mov_b32_e32 v7, s63
	ds_write_b64 v3, v[6:7] offset:5128
; %bb.237:                              ;   in Loop: Header=BB38_34 Depth=1
	s_or_b64 exec, exec, s[22:23]
	s_waitcnt lgkmcnt(0)
	s_barrier
.LBB38_238:                             ;   in Loop: Header=BB38_34 Depth=1
	s_or_saveexec_b64 s[8:9], s[8:9]
	s_mov_b64 s[34:35], 0
	v_mov_b32_e32 v2, 8
	s_xor_b64 exec, exec, s[8:9]
; %bb.239:                              ;   in Loop: Header=BB38_34 Depth=1
	v_subrev_co_u32_e32 v4, vcc, s62, v4
	v_mov_b32_e32 v2, s63
	v_subb_co_u32_e32 v5, vcc, v5, v2, vcc
	v_mov_b32_e32 v2, 0
	s_mov_b64 s[34:35], exec
; %bb.240:                              ;   in Loop: Header=BB38_34 Depth=1
	s_or_b64 exec, exec, s[8:9]
	v_mov_b32_e32 v7, v5
	s_and_b64 s[36:37], s[34:35], exec
	v_mov_b32_e32 v6, v4
.LBB38_241:                             ;   in Loop: Header=BB38_34 Depth=1
	s_or_b64 exec, exec, s[28:29]
	s_mov_b64 s[8:9], -1
                                        ; implicit-def: $sgpr78_sgpr79
                                        ; implicit-def: $sgpr52_sgpr53
	s_and_saveexec_b64 s[34:35], s[36:37]
	s_cbranch_execz .LBB38_288
; %bb.242:                              ;   in Loop: Header=BB38_34 Depth=1
	s_cmp_eq_u64 s[16:17], 1
	v_cmp_eq_u64_e32 vcc, 1, v[6:7]
	s_cselect_b64 s[8:9], -1, 0
	s_and_b64 s[54:55], s[8:9], vcc
	s_mov_b64 s[8:9], -1
                                        ; implicit-def: $sgpr78_sgpr79
                                        ; implicit-def: $sgpr52_sgpr53
	s_and_saveexec_b64 s[62:63], s[54:55]
	s_cbranch_execz .LBB38_276
; %bb.243:                              ;   in Loop: Header=BB38_34 Depth=1
	ds_read_b64 v[4:5], v3 offset:5120
	s_waitcnt lgkmcnt(0)
	s_barrier
	v_readfirstlane_b32 s28, v4
	v_readfirstlane_b32 s29, v5
	s_mov_b64 s[8:9], exec
	v_readlane_b32 s22, v53, 53
	v_readlane_b32 s23, v53, 54
	s_and_b64 s[22:23], s[8:9], s[22:23]
	s_mov_b64 exec, s[22:23]
; %bb.244:                              ;   in Loop: Header=BB38_34 Depth=1
	ds_write_b16 v46, v3
; %bb.245:                              ;   in Loop: Header=BB38_34 Depth=1
	s_or_b64 exec, exec, s[8:9]
	v_cmp_gt_i64_e64 s[8:9], s[28:29], 0
	v_or_b32_e32 v44, s12, v44
	v_or_b32_e32 v48, s12, v48
	s_mov_b64 s[52:53], -1
	s_mov_b64 s[78:79], 0
	s_and_b64 vcc, exec, s[8:9]
	s_mov_b64 s[80:81], 0
	s_mov_b64 s[8:9], -1
	s_waitcnt lgkmcnt(0)
	s_barrier
                                        ; implicit-def: $vgpr49
	s_cbranch_vccnz .LBB38_261
; %bb.246:                              ;   in Loop: Header=BB38_34 Depth=1
	s_mov_b32 s74, s65
	s_cmp_lg_u64 s[74:75], 0
	s_cbranch_scc0 .LBB38_295
; %bb.247:                              ;   in Loop: Header=BB38_34 Depth=1
	s_add_u32 s8, s33, 0
	s_addc_u32 s9, 0, 0
	s_xor_b64 s[80:81], s[8:9], 0
	v_cvt_f32_u32_e32 v4, s80
	v_cvt_f32_u32_e32 v5, s81
	s_sub_u32 s13, 0, s80
	s_subb_u32 s22, 0, s81
	v_mac_f32_e32 v4, 0x4f800000, v5
	v_rcp_f32_e32 v4, v4
	v_mul_f32_e32 v4, 0x5f7ffffc, v4
	v_mul_f32_e32 v5, 0x2f800000, v4
	v_trunc_f32_e32 v5, v5
	v_mac_f32_e32 v4, 0xcf800000, v5
	v_cvt_u32_f32_e32 v5, v5
	v_cvt_u32_f32_e32 v4, v4
	v_readfirstlane_b32 s23, v5
	v_readfirstlane_b32 s8, v4
	s_mul_i32 s9, s13, s23
	s_mul_hi_u32 s37, s13, s8
	s_mul_i32 s36, s22, s8
	s_add_i32 s9, s37, s9
	s_mul_i32 s38, s13, s8
	s_add_i32 s9, s9, s36
	s_mul_i32 s37, s8, s9
	s_mul_hi_u32 s39, s8, s38
	s_mul_hi_u32 s36, s8, s9
	s_add_u32 s37, s39, s37
	s_addc_u32 s36, 0, s36
	s_mul_hi_u32 s40, s23, s38
	s_mul_i32 s38, s23, s38
	s_add_u32 s37, s37, s38
	s_mul_hi_u32 s39, s23, s9
	s_addc_u32 s36, s36, s40
	s_addc_u32 s37, s39, 0
	s_mul_i32 s9, s23, s9
	s_add_u32 s9, s36, s9
	s_addc_u32 s36, 0, s37
	s_add_u32 s37, s8, s9
	s_cselect_b64 s[8:9], -1, 0
	s_cmp_lg_u64 s[8:9], 0
	s_addc_u32 s23, s23, s36
	s_mul_i32 s8, s13, s23
	s_mul_hi_u32 s9, s13, s37
	s_add_i32 s8, s9, s8
	s_mul_i32 s22, s22, s37
	s_add_i32 s8, s8, s22
	s_mul_i32 s13, s13, s37
	s_mul_hi_u32 s22, s23, s13
	s_mul_i32 s36, s23, s13
	s_mul_i32 s39, s37, s8
	s_mul_hi_u32 s13, s37, s13
	s_mul_hi_u32 s38, s37, s8
	s_add_u32 s13, s13, s39
	s_addc_u32 s38, 0, s38
	s_add_u32 s13, s13, s36
	s_mul_hi_u32 s9, s23, s8
	s_addc_u32 s13, s38, s22
	s_addc_u32 s9, s9, 0
	s_mul_i32 s8, s23, s8
	s_add_u32 s8, s13, s8
	s_addc_u32 s13, 0, s9
	s_add_u32 s36, s37, s8
	s_cselect_b64 s[8:9], -1, 0
	s_cmp_lg_u64 s[8:9], 0
	s_addc_u32 s13, s23, s13
	s_ashr_i32 s22, s75, 31
	s_add_u32 s8, s0, s22
	s_mov_b32 s23, s22
	s_addc_u32 s9, s75, s22
	s_xor_b64 s[8:9], s[8:9], s[22:23]
	s_mul_i32 s38, s8, s13
	s_mul_hi_u32 s39, s8, s36
	s_mul_hi_u32 s37, s8, s13
	s_add_u32 s38, s39, s38
	s_addc_u32 s37, 0, s37
	s_mul_hi_u32 s40, s9, s36
	s_mul_i32 s36, s9, s36
	s_add_u32 s36, s38, s36
	s_mul_hi_u32 s39, s9, s13
	s_addc_u32 s36, s37, s40
	s_addc_u32 s37, s39, 0
	s_mul_i32 s13, s9, s13
	s_add_u32 s13, s36, s13
	s_addc_u32 s36, 0, s37
	s_mul_i32 s36, s80, s36
	s_mul_hi_u32 s37, s80, s13
	s_add_i32 s36, s37, s36
	s_mul_i32 s37, s81, s13
	s_add_i32 s40, s36, s37
	s_sub_i32 s38, s9, s40
	s_mul_i32 s13, s80, s13
	s_sub_u32 s8, s8, s13
	s_cselect_b64 s[36:37], -1, 0
	s_cmp_lg_u64 s[36:37], 0
	s_subb_u32 s13, s38, s81
	s_sub_u32 s41, s8, s80
	s_cselect_b64 s[38:39], -1, 0
	s_cmp_lg_u64 s[38:39], 0
	s_subb_u32 s42, s13, 0
	s_cmp_ge_u32 s42, s81
	s_cselect_b32 s43, -1, 0
	s_cmp_ge_u32 s41, s80
	s_cselect_b32 s64, -1, 0
	s_cmp_eq_u32 s42, s81
	s_cselect_b32 s43, s64, s43
	s_cmp_lg_u64 s[38:39], 0
	s_subb_u32 s13, s13, s81
	s_sub_u32 s64, s41, s80
	s_cselect_b64 s[38:39], -1, 0
	s_cmp_lg_u64 s[38:39], 0
	s_subb_u32 s13, s13, 0
	s_cmp_lg_u32 s43, 0
	s_cselect_b32 s38, s64, s41
	s_cselect_b32 s13, s13, s42
	s_cmp_lg_u64 s[36:37], 0
	s_subb_u32 s9, s9, s40
	s_cmp_ge_u32 s9, s81
	s_cselect_b32 s36, -1, 0
	s_cmp_ge_u32 s8, s80
	s_cselect_b32 s37, -1, 0
	s_cmp_eq_u32 s9, s81
	s_cselect_b32 s36, s37, s36
	s_cmp_lg_u32 s36, 0
	s_cselect_b32 s9, s13, s9
	s_cselect_b32 s8, s38, s8
	s_xor_b64 s[8:9], s[8:9], s[22:23]
	s_sub_u32 s8, s8, s22
	s_subb_u32 s9, s9, s22
	s_cbranch_execnz .LBB38_249
.LBB38_248:                             ;   in Loop: Header=BB38_34 Depth=1
	v_cvt_f32_u32_e32 v4, s33
	s_sub_i32 s8, 0, s33
	v_rcp_iflag_f32_e32 v4, v4
	v_mul_f32_e32 v4, 0x4f7ffffe, v4
	v_cvt_u32_f32_e32 v4, v4
	v_readfirstlane_b32 s9, v4
	s_mul_i32 s8, s8, s9
	s_mul_hi_u32 s8, s9, s8
	s_add_i32 s9, s9, s8
	s_mul_hi_u32 s8, s0, s9
	s_mul_i32 s8, s8, s33
	s_sub_i32 s8, s0, s8
	s_sub_i32 s9, s8, s33
	s_cmp_ge_u32 s8, s33
	s_cselect_b32 s8, s9, s8
	s_sub_i32 s9, s8, s33
	s_cmp_ge_u32 s8, s33
	s_cselect_b32 s64, s9, s8
	s_mov_b64 s[8:9], s[64:65]
.LBB38_249:                             ;   in Loop: Header=BB38_34 Depth=1
	s_sub_u32 s38, s0, s8
	s_subb_u32 s39, s75, s9
	v_cmp_gt_i64_e32 vcc, s[38:39], v[0:1]
	s_mov_b64 s[8:9], 0
	s_mov_b64 s[80:81], 0
                                        ; implicit-def: $vgpr49
	s_and_saveexec_b64 s[36:37], vcc
	s_cbranch_execz .LBB38_260
; %bb.250:                              ;   in Loop: Header=BB38_34 Depth=1
	v_mov_b32_e32 v4, v12
	v_mov_b32_e32 v9, v1
	;; [unrolled: 1-line block ×4, first 2 shown]
                                        ; implicit-def: $sgpr40_sgpr41
	s_branch .LBB38_253
.LBB38_251:                             ;   in Loop: Header=BB38_253 Depth=2
	s_or_b64 exec, exec, s[42:43]
	s_waitcnt lgkmcnt(0)
	s_barrier
	ds_read_b32 v10, v3 offset:3072
	s_mov_b64 s[42:43], -1
	s_waitcnt lgkmcnt(0)
	s_barrier
	v_cmp_ne_u32_sdwa s[22:23], v10, v3 src0_sel:WORD_0 src1_sel:DWORD
	s_and_b64 vcc, exec, s[22:23]
	s_mov_b64 s[22:23], -1
	s_cbranch_vccz .LBB38_256
.LBB38_252:                             ;   in Loop: Header=BB38_253 Depth=2
	s_and_b64 s[42:43], exec, s[42:43]
	s_or_b64 s[80:81], s[42:43], s[80:81]
	s_andn2_b64 s[40:41], s[40:41], exec
	s_and_b64 s[22:23], s[22:23], exec
	s_or_b64 s[40:41], s[40:41], s[22:23]
	s_andn2_b64 exec, exec, s[80:81]
	s_cbranch_execz .LBB38_259
.LBB38_253:                             ;   Parent Loop BB38_34 Depth=1
                                        ; =>  This Inner Loop Header: Depth=2
	v_cmp_gt_i64_e32 vcc, s[24:25], v[8:9]
	s_and_saveexec_b64 s[42:43], vcc
	s_cbranch_execz .LBB38_251
; %bb.254:                              ;   in Loop: Header=BB38_253 Depth=2
	global_load_ushort v10, v[4:5], off
	s_waitcnt vmcnt(0)
	v_add_u32_sdwa v11, sext(v10), s73 dst_sel:DWORD dst_unused:UNUSED_PAD src0_sel:WORD_0 src1_sel:DWORD
	v_and_b32_e32 v11, v11, v48
	v_cmp_eq_u32_e32 vcc, v11, v44
	s_and_b64 exec, exec, vcc
	s_cbranch_execz .LBB38_251
; %bb.255:                              ;   in Loop: Header=BB38_253 Depth=2
	v_perm_b32 v10, v10, 1, v47
	ds_write_b32 v3, v10 offset:3072
	s_branch .LBB38_251
.LBB38_256:                             ;   in Loop: Header=BB38_253 Depth=2
	v_add_co_u32_e32 v8, vcc, s33, v8
	v_addc_co_u32_e32 v9, vcc, 0, v9, vcc
	v_mov_b32_e32 v11, s71
	v_add_co_u32_e32 v4, vcc, s70, v4
	v_addc_co_u32_e32 v5, vcc, v5, v11, vcc
	v_cmp_le_i64_e32 vcc, s[38:39], v[8:9]
	s_mov_b64 s[22:23], 0
	s_orn2_b64 s[42:43], vcc, exec
	s_branch .LBB38_252
.LBB38_257:                             ;   in Loop: Header=BB38_34 Depth=1
                                        ; implicit-def: $sgpr8_sgpr9
	s_branch .LBB38_203
.LBB38_258:                             ;   in Loop: Header=BB38_34 Depth=1
                                        ; implicit-def: $sgpr8_sgpr9
	s_branch .LBB38_219
.LBB38_259:                             ;   in Loop: Header=BB38_34 Depth=1
	s_or_b64 exec, exec, s[80:81]
	v_lshrrev_b32_e32 v49, 16, v10
	s_and_b64 s[80:81], s[40:41], exec
.LBB38_260:                             ;   in Loop: Header=BB38_34 Depth=1
	s_or_b64 exec, exec, s[36:37]
.LBB38_261:                             ;   in Loop: Header=BB38_34 Depth=1
	s_and_b64 vcc, exec, s[8:9]
	s_cbranch_vccz .LBB38_275
; %bb.262:                              ;   in Loop: Header=BB38_34 Depth=1
	v_readlane_b32 s8, v53, 40
	s_add_u32 s13, s28, s8
	v_readlane_b32 s8, v53, 41
	s_addc_u32 s53, s29, s8
	s_mov_b32 s52, s65
	s_cmp_lg_u64 s[52:53], 0
	s_cbranch_scc0 .LBB38_296
; %bb.263:                              ;   in Loop: Header=BB38_34 Depth=1
	s_add_u32 s8, s33, 0
	s_addc_u32 s9, 0, 0
	s_xor_b64 s[78:79], s[8:9], 0
	v_cvt_f32_u32_e32 v4, s78
	v_cvt_f32_u32_e32 v5, s79
	s_sub_u32 s22, 0, s78
	s_subb_u32 s23, 0, s79
	v_mac_f32_e32 v4, 0x4f800000, v5
	v_rcp_f32_e32 v4, v4
	v_mul_f32_e32 v4, 0x5f7ffffc, v4
	v_mul_f32_e32 v5, 0x2f800000, v4
	v_trunc_f32_e32 v5, v5
	v_mac_f32_e32 v4, 0xcf800000, v5
	v_cvt_u32_f32_e32 v5, v5
	v_cvt_u32_f32_e32 v4, v4
	v_readfirstlane_b32 s36, v5
	v_readfirstlane_b32 s8, v4
	s_mul_i32 s9, s22, s36
	s_mul_hi_u32 s38, s22, s8
	s_mul_i32 s37, s23, s8
	s_add_i32 s9, s38, s9
	s_mul_i32 s39, s22, s8
	s_add_i32 s9, s9, s37
	s_mul_i32 s38, s8, s9
	s_mul_hi_u32 s40, s8, s39
	s_mul_hi_u32 s37, s8, s9
	s_add_u32 s38, s40, s38
	s_addc_u32 s37, 0, s37
	s_mul_hi_u32 s41, s36, s39
	s_mul_i32 s39, s36, s39
	s_add_u32 s38, s38, s39
	s_mul_hi_u32 s40, s36, s9
	s_addc_u32 s37, s37, s41
	s_addc_u32 s38, s40, 0
	s_mul_i32 s9, s36, s9
	s_add_u32 s9, s37, s9
	s_addc_u32 s37, 0, s38
	s_add_u32 s38, s8, s9
	s_cselect_b64 s[8:9], -1, 0
	s_cmp_lg_u64 s[8:9], 0
	s_addc_u32 s36, s36, s37
	s_mul_i32 s8, s22, s36
	s_mul_hi_u32 s9, s22, s38
	s_add_i32 s8, s9, s8
	s_mul_i32 s23, s23, s38
	s_add_i32 s8, s8, s23
	s_mul_i32 s22, s22, s38
	s_mul_hi_u32 s23, s36, s22
	s_mul_i32 s37, s36, s22
	s_mul_i32 s40, s38, s8
	s_mul_hi_u32 s22, s38, s22
	s_mul_hi_u32 s39, s38, s8
	s_add_u32 s22, s22, s40
	s_addc_u32 s39, 0, s39
	s_add_u32 s22, s22, s37
	s_mul_hi_u32 s9, s36, s8
	s_addc_u32 s22, s39, s23
	s_addc_u32 s9, s9, 0
	s_mul_i32 s8, s36, s8
	s_add_u32 s8, s22, s8
	s_addc_u32 s22, 0, s9
	s_add_u32 s37, s38, s8
	s_cselect_b64 s[8:9], -1, 0
	s_cmp_lg_u64 s[8:9], 0
	s_addc_u32 s36, s36, s22
	s_ashr_i32 s22, s53, 31
	s_add_u32 s8, s13, s22
	s_mov_b32 s23, s22
	s_addc_u32 s9, s53, s22
	s_xor_b64 s[8:9], s[8:9], s[22:23]
	s_mul_i32 s39, s8, s36
	s_mul_hi_u32 s40, s8, s37
	s_mul_hi_u32 s38, s8, s36
	s_add_u32 s39, s40, s39
	s_addc_u32 s38, 0, s38
	s_mul_hi_u32 s41, s9, s37
	s_mul_i32 s37, s9, s37
	s_add_u32 s37, s39, s37
	s_mul_hi_u32 s40, s9, s36
	s_addc_u32 s37, s38, s41
	s_addc_u32 s38, s40, 0
	s_mul_i32 s36, s9, s36
	s_add_u32 s36, s37, s36
	s_addc_u32 s37, 0, s38
	s_mul_i32 s37, s78, s37
	s_mul_hi_u32 s38, s78, s36
	s_add_i32 s37, s38, s37
	s_mul_i32 s38, s79, s36
	s_add_i32 s40, s37, s38
	s_sub_i32 s38, s9, s40
	s_mul_i32 s36, s78, s36
	s_sub_u32 s8, s8, s36
	s_cselect_b64 s[36:37], -1, 0
	s_cmp_lg_u64 s[36:37], 0
	s_subb_u32 s41, s38, s79
	s_sub_u32 s42, s8, s78
	s_cselect_b64 s[38:39], -1, 0
	s_cmp_lg_u64 s[38:39], 0
	s_subb_u32 s43, s41, 0
	s_cmp_ge_u32 s43, s79
	s_cselect_b32 s52, -1, 0
	s_cmp_ge_u32 s42, s78
	s_cselect_b32 s64, -1, 0
	s_cmp_eq_u32 s43, s79
	s_cselect_b32 s52, s64, s52
	s_cmp_lg_u64 s[38:39], 0
	s_subb_u32 s41, s41, s79
	s_sub_u32 s64, s42, s78
	s_cselect_b64 s[38:39], -1, 0
	s_cmp_lg_u64 s[38:39], 0
	s_subb_u32 s38, s41, 0
	s_cmp_lg_u32 s52, 0
	s_cselect_b32 s39, s64, s42
	s_cselect_b32 s38, s38, s43
	s_cmp_lg_u64 s[36:37], 0
	s_subb_u32 s9, s9, s40
	s_cmp_ge_u32 s9, s79
	s_cselect_b32 s36, -1, 0
	s_cmp_ge_u32 s8, s78
	s_cselect_b32 s37, -1, 0
	s_cmp_eq_u32 s9, s79
	s_cselect_b32 s36, s37, s36
	s_cmp_lg_u32 s36, 0
	s_cselect_b32 s9, s38, s9
	s_cselect_b32 s8, s39, s8
	s_xor_b64 s[8:9], s[8:9], s[22:23]
	s_sub_u32 s8, s8, s22
	s_subb_u32 s9, s9, s22
	s_cbranch_execnz .LBB38_265
.LBB38_264:                             ;   in Loop: Header=BB38_34 Depth=1
	v_cvt_f32_u32_e32 v4, s33
	s_sub_i32 s8, 0, s33
	v_rcp_iflag_f32_e32 v4, v4
	v_mul_f32_e32 v4, 0x4f7ffffe, v4
	v_cvt_u32_f32_e32 v4, v4
	v_readfirstlane_b32 s9, v4
	s_mul_i32 s8, s8, s9
	s_mul_hi_u32 s8, s9, s8
	s_add_i32 s9, s9, s8
	s_mul_hi_u32 s8, s13, s9
	s_mul_i32 s8, s8, s33
	s_sub_i32 s8, s13, s8
	s_sub_i32 s9, s8, s33
	s_cmp_ge_u32 s8, s33
	s_cselect_b32 s8, s9, s8
	s_sub_i32 s9, s8, s33
	s_cmp_ge_u32 s8, s33
	s_cselect_b32 s64, s9, s8
	s_mov_b64 s[8:9], s[64:65]
.LBB38_265:                             ;   in Loop: Header=BB38_34 Depth=1
	s_sub_u32 s36, s13, s8
	s_subb_u32 s37, s53, s9
	v_cmp_gt_i64_e32 vcc, s[36:37], v[0:1]
                                        ; implicit-def: $vgpr49
	s_and_saveexec_b64 s[8:9], vcc
	s_cbranch_execz .LBB38_274
; %bb.266:                              ;   in Loop: Header=BB38_34 Depth=1
	v_mov_b32_e32 v5, v1
	s_mov_b64 s[38:39], 0
	v_mov_b32_e32 v8, v45
	v_mov_b32_e32 v4, v0
                                        ; implicit-def: $sgpr40_sgpr41
	s_branch .LBB38_269
.LBB38_267:                             ;   in Loop: Header=BB38_269 Depth=2
	s_or_b64 exec, exec, s[42:43]
	s_waitcnt lgkmcnt(0)
	s_barrier
	ds_read_b32 v9, v3 offset:3072
	s_mov_b64 s[42:43], -1
	s_waitcnt lgkmcnt(0)
	s_barrier
	v_cmp_eq_u32_sdwa s[22:23], v9, v3 src0_sel:WORD_0 src1_sel:DWORD
	s_and_b64 vcc, exec, s[22:23]
	s_mov_b64 s[22:23], -1
	s_cbranch_vccnz .LBB38_272
.LBB38_268:                             ;   in Loop: Header=BB38_269 Depth=2
	s_and_b64 s[42:43], exec, s[42:43]
	s_or_b64 s[38:39], s[42:43], s[38:39]
	s_andn2_b64 s[40:41], s[40:41], exec
	s_and_b64 s[22:23], s[22:23], exec
	s_or_b64 s[40:41], s[40:41], s[22:23]
	s_andn2_b64 exec, exec, s[38:39]
	s_cbranch_execz .LBB38_273
.LBB38_269:                             ;   Parent Loop BB38_34 Depth=1
                                        ; =>  This Inner Loop Header: Depth=2
	v_cmp_gt_u64_e32 vcc, s[28:29], v[4:5]
	s_and_saveexec_b64 s[42:43], vcc
	s_cbranch_execz .LBB38_267
; %bb.270:                              ;   in Loop: Header=BB38_269 Depth=2
	ds_read_u16 v9, v8
	s_waitcnt lgkmcnt(0)
	v_add_u32_sdwa v10, sext(v9), s73 dst_sel:DWORD dst_unused:UNUSED_PAD src0_sel:WORD_0 src1_sel:DWORD
	v_and_b32_e32 v10, v10, v48
	v_cmp_eq_u32_e32 vcc, v10, v44
	s_and_b64 exec, exec, vcc
	s_cbranch_execz .LBB38_267
; %bb.271:                              ;   in Loop: Header=BB38_269 Depth=2
	v_perm_b32 v9, v9, 1, v47
	ds_write_b32 v3, v9 offset:3072
	s_branch .LBB38_267
.LBB38_272:                             ;   in Loop: Header=BB38_269 Depth=2
	v_add_co_u32_e32 v4, vcc, s33, v4
	v_addc_co_u32_e32 v5, vcc, 0, v5, vcc
	v_cmp_le_i64_e32 vcc, s[36:37], v[4:5]
	v_add_u32_e32 v8, s72, v8
	s_mov_b64 s[22:23], 0
	s_orn2_b64 s[42:43], vcc, exec
	s_branch .LBB38_268
.LBB38_273:                             ;   in Loop: Header=BB38_34 Depth=1
	s_or_b64 exec, exec, s[38:39]
	s_andn2_b64 s[22:23], s[80:81], exec
	s_and_b64 s[28:29], s[40:41], exec
	v_lshrrev_b32_e32 v49, 16, v9
	s_or_b64 s[80:81], s[22:23], s[28:29]
.LBB38_274:                             ;   in Loop: Header=BB38_34 Depth=1
	s_or_b64 exec, exec, s[8:9]
	s_mov_b64 s[52:53], 0
	s_mov_b64 s[78:79], -1
.LBB38_275:                             ;   in Loop: Header=BB38_34 Depth=1
	s_orn2_b64 s[8:9], s[80:81], exec
.LBB38_276:                             ;   in Loop: Header=BB38_34 Depth=1
	s_or_b64 exec, exec, s[62:63]
	s_mov_b64 s[36:37], 0
	s_and_saveexec_b64 s[28:29], s[8:9]
	s_cbranch_execz .LBB38_287
; %bb.277:                              ;   in Loop: Header=BB38_34 Depth=1
	v_mov_b32_e32 v4, 1
	s_xor_b64 s[22:23], s[54:55], -1
	v_mov_b32_e32 v5, 0
	v_mov_b32_e32 v2, 1
	s_and_saveexec_b64 s[8:9], s[22:23]
	s_cbranch_execz .LBB38_286
; %bb.278:                              ;   in Loop: Header=BB38_34 Depth=1
	v_cmp_ge_i64_e32 vcc, s[16:17], v[6:7]
	s_and_saveexec_b64 s[22:23], vcc
	s_xor_b64 s[36:37], exec, s[22:23]
	s_cbranch_execz .LBB38_283
; %bb.279:                              ;   in Loop: Header=BB38_34 Depth=1
	ds_read_b64 v[4:5], v3 offset:5120
	v_or_b32_e32 v44, s12, v44
	v_or_b32_e32 v48, s12, v48
	s_waitcnt lgkmcnt(0)
	v_cmp_ne_u64_e32 vcc, 0, v[4:5]
	s_cbranch_vccnz .LBB38_283
; %bb.280:                              ;   in Loop: Header=BB38_34 Depth=1
	s_mov_b64 s[22:23], exec
	v_readlane_b32 s12, v53, 32
	v_readlane_b32 s13, v53, 33
	s_and_b64 s[12:13], s[22:23], s[12:13]
	s_mov_b64 exec, s[12:13]
; %bb.281:                              ;   in Loop: Header=BB38_34 Depth=1
	v_mov_b32_e32 v4, s16
	v_mov_b32_e32 v5, s17
	ds_write_b64 v3, v[4:5] offset:5128
; %bb.282:                              ;   in Loop: Header=BB38_34 Depth=1
	s_or_b64 exec, exec, s[22:23]
	s_waitcnt lgkmcnt(0)
	s_barrier
.LBB38_283:                             ;   in Loop: Header=BB38_34 Depth=1
	s_andn2_saveexec_b64 s[36:37], s[36:37]
; %bb.284:                              ;   in Loop: Header=BB38_34 Depth=1
	v_mov_b32_e32 v2, s17
	v_subrev_co_u32_e32 v6, vcc, s16, v6
	v_subb_co_u32_e32 v7, vcc, v7, v2, vcc
; %bb.285:                              ;   in Loop: Header=BB38_34 Depth=1
	s_or_b64 exec, exec, s[36:37]
	v_mov_b32_e32 v4, v6
	v_mov_b32_e32 v2, 8
	;; [unrolled: 1-line block ×3, first 2 shown]
.LBB38_286:                             ;   in Loop: Header=BB38_34 Depth=1
	s_or_b64 exec, exec, s[8:9]
	v_mov_b32_e32 v7, v5
	s_mov_b64 s[36:37], exec
	v_mov_b32_e32 v6, v4
.LBB38_287:                             ;   in Loop: Header=BB38_34 Depth=1
	s_or_b64 exec, exec, s[28:29]
	s_orn2_b64 s[8:9], s[36:37], exec
.LBB38_288:                             ;   in Loop: Header=BB38_34 Depth=1
	s_or_b64 exec, exec, s[34:35]
	s_andn2_b64 s[6:7], s[6:7], exec
	s_and_b64 s[12:13], s[78:79], exec
	s_or_b64 s[6:7], s[6:7], s[12:13]
	s_andn2_b64 s[12:13], s[50:51], exec
	s_and_b64 s[16:17], s[52:53], exec
	v_mov_b32_e32 v4, v6
	s_or_b64 s[50:51], s[12:13], s[16:17]
	s_and_b64 s[28:29], s[8:9], exec
	v_mov_b32_e32 v5, v7
.LBB38_289:                             ;   in Loop: Header=BB38_34 Depth=1
	s_or_b64 exec, exec, s[4:5]
	s_orn2_b64 s[4:5], s[28:29], exec
.LBB38_290:                             ;   in Loop: Header=BB38_34 Depth=1
	s_or_b64 exec, exec, s[48:49]
	s_andn2_b64 s[8:9], s[44:45], exec
	s_and_b64 s[6:7], s[6:7], exec
	s_or_b64 s[44:45], s[8:9], s[6:7]
	s_andn2_b64 s[6:7], s[14:15], exec
	s_and_b64 s[8:9], s[50:51], exec
	v_mov_b32_e32 v9, v5
	s_or_b64 s[14:15], s[6:7], s[8:9]
	s_and_b64 s[6:7], s[4:5], exec
	v_mov_b32_e32 v8, v4
.LBB38_291:                             ;   in Loop: Header=BB38_34 Depth=1
	s_or_b64 exec, exec, s[46:47]
	s_orn2_b64 s[4:5], s[6:7], exec
.LBB38_292:                             ;   in Loop: Header=BB38_34 Depth=1
	s_or_b64 exec, exec, s[26:27]
	s_mov_b64 s[6:7], 0
	s_and_saveexec_b64 s[8:9], s[4:5]
	s_xor_b64 s[4:5], exec, s[8:9]
	s_cbranch_execz .LBB38_32
; %bb.293:                              ;   in Loop: Header=BB38_34 Depth=1
	v_and_b32_e32 v2, 7, v2
	v_cmp_eq_u32_e32 vcc, 0, v2
	s_mov_b64 s[8:9], -1
	s_mov_b64 s[6:7], -1
	s_and_saveexec_b64 s[16:17], vcc
	s_cbranch_execz .LBB38_31
; %bb.294:                              ;   in Loop: Header=BB38_34 Depth=1
	s_xor_b32 s83, s83, 1
	s_add_i32 s12, s82, -2
	s_cmp_eq_u32 s82, 0
	s_cselect_b64 s[8:9], -1, 0
	s_xor_b64 s[6:7], exec, -1
	s_orn2_b64 s[8:9], s[8:9], exec
	s_mov_b32 s82, s12
	s_branch .LBB38_31
.LBB38_295:                             ;   in Loop: Header=BB38_34 Depth=1
                                        ; implicit-def: $sgpr8_sgpr9
	s_branch .LBB38_248
.LBB38_296:                             ;   in Loop: Header=BB38_34 Depth=1
                                        ; implicit-def: $sgpr8_sgpr9
	s_branch .LBB38_264
.LBB38_297:
	s_or_b64 exec, exec, s[88:89]
	s_xor_b64 s[6:7], s[94:95], -1
	s_xor_b64 s[0:1], s[90:91], -1
	;; [unrolled: 1-line block ×3, first 2 shown]
	s_mov_b64 s[2:3], 0
	s_and_saveexec_b64 s[4:5], s[0:1]
	s_xor_b64 s[4:5], exec, s[4:5]
	s_cbranch_execnz .LBB38_302
; %bb.298:
	s_andn2_saveexec_b64 s[0:1], s[4:5]
	s_cbranch_execnz .LBB38_324
.LBB38_299:
	s_or_b64 exec, exec, s[0:1]
	s_and_saveexec_b64 s[0:1], s[2:3]
.LBB38_300:
	; divergent unreachable
.LBB38_301:
	s_endpgm
.LBB38_302:
	s_and_saveexec_b64 s[0:1], s[6:7]
	s_xor_b64 s[6:7], exec, s[0:1]
	s_cbranch_execz .LBB38_322
; %bb.303:
	s_and_saveexec_b64 s[0:1], s[8:9]
	s_xor_b64 s[2:3], exec, s[0:1]
; %bb.304:
	v_xor_b32_e32 v49, 0xffff8000, v44
; %bb.305:
	s_or_b64 exec, exec, s[2:3]
	s_mov_b64 s[2:3], exec
	v_readlane_b32 s0, v53, 32
	v_readlane_b32 s1, v53, 33
	s_and_b64 s[0:1], s[2:3], s[0:1]
	v_readlane_b32 s22, v53, 34
	v_readlane_b32 s23, v53, 35
	s_mov_b64 exec, s[0:1]
; %bb.306:
	v_mov_b32_e32 v2, 0
	v_mov_b32_e32 v3, s24
	ds_write_b32 v2, v3 offset:5140
; %bb.307:
	s_or_b64 exec, exec, s[2:3]
	s_waitcnt lgkmcnt(0)
	s_barrier
	s_mov_b64 s[10:11], exec
	v_readlane_b32 s0, v53, 55
	v_readlane_b32 s1, v53, 56
	s_and_b64 s[0:1], s[10:11], s[0:1]
	s_mov_b64 exec, s[0:1]
	s_cbranch_execz .LBB38_319
; %bb.308:
	v_mov_b32_e32 v2, 0
	ds_read_b32 v4, v2 offset:5140
	s_mov_b64 s[8:9], 0
                                        ; implicit-def: $sgpr12_sgpr13
                                        ; implicit-def: $sgpr14_sgpr15
                                        ; implicit-def: $sgpr16_sgpr17
	s_waitcnt lgkmcnt(0)
	v_ashrrev_i32_e32 v5, 31, v4
	s_branch .LBB38_311
.LBB38_309:                             ;   in Loop: Header=BB38_311 Depth=1
	s_or_b64 exec, exec, s[26:27]
	s_andn2_b64 s[0:1], s[16:17], exec
	s_and_b64 s[16:17], s[20:21], exec
	s_or_b64 s[16:17], s[0:1], s[16:17]
	s_andn2_b64 s[0:1], s[14:15], exec
	s_and_b64 s[2:3], s[2:3], exec
	s_or_b64 s[14:15], s[0:1], s[2:3]
.LBB38_310:                             ;   in Loop: Header=BB38_311 Depth=1
	s_or_b64 exec, exec, s[18:19]
	s_and_b64 s[0:1], exec, s[14:15]
	s_or_b64 s[8:9], s[0:1], s[8:9]
	s_andn2_b64 s[0:1], s[12:13], exec
	s_and_b64 s[2:3], s[16:17], exec
	s_or_b64 s[12:13], s[0:1], s[2:3]
	s_andn2_b64 exec, exec, s[8:9]
	s_cbranch_execz .LBB38_314
.LBB38_311:                             ; =>This Inner Loop Header: Depth=1
	v_mov_b32_e32 v3, v1
	v_mov_b32_e32 v2, v0
	v_cmp_lt_i64_e32 vcc, v[2:3], v[4:5]
	s_or_b64 s[16:17], s[16:17], exec
	s_or_b64 s[14:15], s[14:15], exec
                                        ; implicit-def: $vgpr0_vgpr1
	s_and_saveexec_b64 s[18:19], vcc
	s_cbranch_execz .LBB38_310
; %bb.312:                              ;   in Loop: Header=BB38_311 Depth=1
	global_load_ushort v0, v[12:13], off
	s_mov_b64 s[2:3], -1
	s_mov_b64 s[20:21], 0
	s_waitcnt vmcnt(0)
	v_cmp_ne_u16_e32 vcc, v0, v49
                                        ; implicit-def: $vgpr0_vgpr1
	s_and_saveexec_b64 s[26:27], vcc
	s_cbranch_execz .LBB38_309
; %bb.313:                              ;   in Loop: Header=BB38_311 Depth=1
	v_add_co_u32_e32 v0, vcc, s33, v2
	v_addc_co_u32_e32 v1, vcc, 0, v3, vcc
	v_mov_b32_e32 v3, s71
	v_cmp_le_i64_e32 vcc, s[24:25], v[0:1]
	v_add_co_u32_e64 v12, s[2:3], s70, v12
	v_addc_co_u32_e64 v13, s[2:3], v13, v3, s[2:3]
	s_mov_b64 s[20:21], exec
	s_orn2_b64 s[2:3], vcc, exec
	s_branch .LBB38_309
.LBB38_314:
	s_or_b64 exec, exec, s[8:9]
	s_xor_b64 s[0:1], s[12:13], -1
	s_and_saveexec_b64 s[2:3], s[0:1]
	s_xor_b64 s[2:3], exec, s[2:3]
	s_cbranch_execz .LBB38_319
; %bb.315:
	s_mov_b64 s[2:3], exec
	s_brev_b32 s0, -2
.LBB38_316:                             ; =>This Inner Loop Header: Depth=1
	s_ff1_i32_b64 s1, s[2:3]
	v_readlane_b32 s12, v2, s1
	s_lshl_b64 s[8:9], 1, s1
	s_min_i32 s0, s0, s12
	s_andn2_b64 s[2:3], s[2:3], s[8:9]
	s_cmp_lg_u64 s[2:3], 0
	s_cbranch_scc1 .LBB38_316
; %bb.317:
	v_mbcnt_lo_u32_b32 v0, exec_lo, 0
	v_mbcnt_hi_u32_b32 v0, exec_hi, v0
	v_cmp_eq_u32_e32 vcc, 0, v0
	s_and_saveexec_b64 s[2:3], vcc
	s_xor_b64 s[2:3], exec, s[2:3]
; %bb.318:
	v_mov_b32_e32 v0, 0
	v_mov_b32_e32 v1, s0
	ds_min_i32 v0, v1 offset:5140
.LBB38_319:
	s_or_b64 exec, exec, s[10:11]
	s_waitcnt lgkmcnt(0)
	s_barrier
	s_mov_b64 s[2:3], exec
	v_readlane_b32 s0, v53, 32
	v_readlane_b32 s1, v53, 33
	s_and_b64 s[0:1], s[2:3], s[0:1]
	s_mov_b64 exec, s[0:1]
	s_cbranch_execz .LBB38_321
; %bb.320:
	v_readlane_b32 s24, v53, 6
	v_readlane_b32 s26, v53, 8
	;; [unrolled: 1-line block ×5, first 2 shown]
	s_mul_i32 s0, s20, s27
	s_mul_hi_u32 s1, s20, s26
	s_add_i32 s0, s1, s0
	s_mul_i32 s1, s21, s26
	s_add_i32 s0, s0, s1
	s_mul_i32 s1, s20, s26
	v_readlane_b32 s10, v53, 14
	s_sub_u32 s8, s22, s1
	v_readlane_b32 s11, v53, 15
	s_subb_u32 s0, 0, s0
	s_mul_i32 s1, s8, s11
	s_mul_hi_u32 s9, s8, s10
	v_readlane_b32 s12, v53, 0
	s_add_i32 s1, s9, s1
	s_mul_i32 s0, s0, s10
	v_readlane_b32 s13, v53, 1
	v_readlane_b32 s18, v53, 10
	s_add_i32 s1, s1, s0
	s_mul_i32 s0, s8, s10
	v_readlane_b32 s19, v53, 11
	s_mul_i32 s8, s18, s13
	s_mul_hi_u32 s9, s18, s12
	s_add_i32 s8, s9, s8
	s_mul_i32 s9, s19, s12
	s_add_i32 s8, s8, s9
	s_mul_i32 s9, s18, s12
	v_readlane_b32 s16, v53, 4
	v_readlane_b32 s28, v53, 22
	;; [unrolled: 1-line block ×3, first 2 shown]
	s_sub_u32 s10, s16, s9
	v_readlane_b32 s30, v53, 24
	v_readlane_b32 s31, v53, 25
	s_subb_u32 s8, s17, s8
	s_mul_i32 s9, s10, s31
	s_mul_hi_u32 s11, s10, s30
	v_readlane_b32 s14, v53, 2
	v_readlane_b32 s15, v53, 3
	;; [unrolled: 1-line block ×3, first 2 shown]
	s_add_i32 s9, s11, s9
	s_mul_i32 s8, s8, s30
	s_add_i32 s9, s9, s8
	s_mul_i32 s8, s10, s30
	s_mul_i32 s10, s18, s29
	s_mul_hi_u32 s11, s18, s28
	s_mul_i32 s12, s16, s15
	s_mul_hi_u32 s13, s16, s14
	s_add_i32 s10, s11, s10
	s_mul_i32 s11, s19, s28
	s_add_i32 s12, s13, s12
	s_mul_i32 s13, s17, s14
	s_add_i32 s11, s10, s11
	s_add_i32 s12, s12, s13
	s_mul_i32 s13, s16, s14
	v_readlane_b32 s16, v53, 20
	s_sub_u32 s14, s22, s13
	v_readlane_b32 s17, v53, 21
	s_subb_u32 s12, 0, s12
	s_mul_i32 s13, s14, s17
	s_mul_hi_u32 s15, s14, s16
	v_readlane_b32 s25, v53, 7
	s_mul_i32 s10, s18, s28
	s_add_i32 s13, s15, s13
	s_mul_i32 s12, s12, s16
	v_readlane_b32 s18, v53, 26
	s_add_i32 s13, s13, s12
	s_mul_i32 s12, s14, s16
	v_readlane_b32 s19, v53, 27
	s_mul_i32 s14, s18, s25
	s_mul_hi_u32 s15, s18, s24
	s_add_i32 s14, s15, s14
	s_mul_i32 s15, s19, s24
	s_add_i32 s14, s14, s15
	s_mul_i32 s15, s18, s24
	s_sub_u32 s16, s20, s15
	s_subb_u32 s14, s21, s14
	v_readlane_b32 s20, v53, 16
	v_readlane_b32 s22, v53, 18
	;; [unrolled: 1-line block ×3, first 2 shown]
	s_mul_i32 s15, s16, s23
	s_mul_hi_u32 s17, s16, s22
	v_readlane_b32 s21, v53, 17
	s_add_i32 s15, s17, s15
	s_mul_i32 s14, s14, s22
	s_add_i32 s15, s15, s14
	s_mul_i32 s14, s16, s22
	s_mul_i32 s16, s18, s21
	s_mul_hi_u32 s17, s18, s20
	s_add_i32 s16, s17, s16
	s_mul_i32 s17, s19, s20
	s_add_i32 s17, s16, s17
	s_mul_i32 s16, s18, s20
	s_lshl_b64 s[10:11], s[10:11], 1
	v_readlane_b32 s18, v53, 30
	v_readlane_b32 s19, v53, 31
	s_add_u32 s10, s18, s10
	s_addc_u32 s11, s19, s11
	s_lshl_b64 s[8:9], s[8:9], 1
	s_add_u32 s10, s10, s8
	s_addc_u32 s11, s11, s9
	s_lshl_b64 s[8:9], s[12:13], 1
	;; [unrolled: 3-line block ×3, first 2 shown]
	v_readlane_b32 s12, v53, 28
	v_mov_b32_e32 v2, 0
	v_readlane_b32 s13, v53, 29
	s_add_u32 s12, s12, s10
	ds_read_b32 v0, v2 offset:5140
	s_addc_u32 s13, s13, s11
	s_lshl_b64 s[10:11], s[14:15], 3
	s_add_u32 s10, s12, s10
	s_addc_u32 s11, s13, s11
	s_lshl_b64 s[0:1], s[0:1], 3
	s_add_u32 s0, s10, s0
	s_addc_u32 s1, s11, s1
	s_waitcnt lgkmcnt(0)
	v_ashrrev_i32_e32 v1, 31, v0
	global_store_dwordx2 v2, v[0:1], s[0:1]
	global_store_short v2, v49, s[8:9]
.LBB38_321:
	s_or_b64 exec, exec, s[2:3]
.LBB38_322:
	s_or_saveexec_b64 s[0:1], s[6:7]
	s_mov_b64 s[2:3], 0
	s_xor_b64 exec, exec, s[0:1]
	s_cbranch_execnz .LBB38_325
.LBB38_323:
	s_or_b64 exec, exec, s[0:1]
	s_and_b64 s[2:3], s[2:3], exec
	s_andn2_saveexec_b64 s[0:1], s[4:5]
	s_cbranch_execz .LBB38_299
.LBB38_324:
	s_or_b64 s[2:3], s[2:3], exec
	s_trap 2
	s_or_b64 exec, exec, s[0:1]
	s_and_saveexec_b64 s[0:1], s[2:3]
	s_cbranch_execnz .LBB38_300
	s_branch .LBB38_301
.LBB38_325:
	s_mov_b64 s[2:3], exec
	s_trap 2
	s_branch .LBB38_323
	.section	.rodata,"a",@progbits
	.p2align	6, 0x0
	.amdhsa_kernel _ZN2at6native12_GLOBAL__N_114gatherKthValueIslLi3EEEvNS_4cuda6detail10TensorInfoIKT_T0_EES8_S8_S8_S8_NS5_IS6_S8_EENS5_IlS8_EE
		.amdhsa_group_segment_fixed_size 5144
		.amdhsa_private_segment_fixed_size 0
		.amdhsa_kernarg_size 1536
		.amdhsa_user_sgpr_count 6
		.amdhsa_user_sgpr_private_segment_buffer 1
		.amdhsa_user_sgpr_dispatch_ptr 0
		.amdhsa_user_sgpr_queue_ptr 0
		.amdhsa_user_sgpr_kernarg_segment_ptr 1
		.amdhsa_user_sgpr_dispatch_id 0
		.amdhsa_user_sgpr_flat_scratch_init 0
		.amdhsa_user_sgpr_private_segment_size 0
		.amdhsa_uses_dynamic_stack 0
		.amdhsa_system_sgpr_private_segment_wavefront_offset 0
		.amdhsa_system_sgpr_workgroup_id_x 1
		.amdhsa_system_sgpr_workgroup_id_y 1
		.amdhsa_system_sgpr_workgroup_id_z 1
		.amdhsa_system_sgpr_workgroup_info 0
		.amdhsa_system_vgpr_workitem_id 0
		.amdhsa_next_free_vgpr 54
		.amdhsa_next_free_sgpr 96
		.amdhsa_reserve_vcc 1
		.amdhsa_reserve_flat_scratch 0
		.amdhsa_float_round_mode_32 0
		.amdhsa_float_round_mode_16_64 0
		.amdhsa_float_denorm_mode_32 3
		.amdhsa_float_denorm_mode_16_64 3
		.amdhsa_dx10_clamp 1
		.amdhsa_ieee_mode 1
		.amdhsa_fp16_overflow 0
		.amdhsa_exception_fp_ieee_invalid_op 0
		.amdhsa_exception_fp_denorm_src 0
		.amdhsa_exception_fp_ieee_div_zero 0
		.amdhsa_exception_fp_ieee_overflow 0
		.amdhsa_exception_fp_ieee_underflow 0
		.amdhsa_exception_fp_ieee_inexact 0
		.amdhsa_exception_int_div_zero 0
	.end_amdhsa_kernel
	.section	.text._ZN2at6native12_GLOBAL__N_114gatherKthValueIslLi3EEEvNS_4cuda6detail10TensorInfoIKT_T0_EES8_S8_S8_S8_NS5_IS6_S8_EENS5_IlS8_EE,"axG",@progbits,_ZN2at6native12_GLOBAL__N_114gatherKthValueIslLi3EEEvNS_4cuda6detail10TensorInfoIKT_T0_EES8_S8_S8_S8_NS5_IS6_S8_EENS5_IlS8_EE,comdat
.Lfunc_end38:
	.size	_ZN2at6native12_GLOBAL__N_114gatherKthValueIslLi3EEEvNS_4cuda6detail10TensorInfoIKT_T0_EES8_S8_S8_S8_NS5_IS6_S8_EENS5_IlS8_EE, .Lfunc_end38-_ZN2at6native12_GLOBAL__N_114gatherKthValueIslLi3EEEvNS_4cuda6detail10TensorInfoIKT_T0_EES8_S8_S8_S8_NS5_IS6_S8_EENS5_IlS8_EE
                                        ; -- End function
	.set _ZN2at6native12_GLOBAL__N_114gatherKthValueIslLi3EEEvNS_4cuda6detail10TensorInfoIKT_T0_EES8_S8_S8_S8_NS5_IS6_S8_EENS5_IlS8_EE.num_vgpr, 54
	.set _ZN2at6native12_GLOBAL__N_114gatherKthValueIslLi3EEEvNS_4cuda6detail10TensorInfoIKT_T0_EES8_S8_S8_S8_NS5_IS6_S8_EENS5_IlS8_EE.num_agpr, 0
	.set _ZN2at6native12_GLOBAL__N_114gatherKthValueIslLi3EEEvNS_4cuda6detail10TensorInfoIKT_T0_EES8_S8_S8_S8_NS5_IS6_S8_EENS5_IlS8_EE.numbered_sgpr, 96
	.set _ZN2at6native12_GLOBAL__N_114gatherKthValueIslLi3EEEvNS_4cuda6detail10TensorInfoIKT_T0_EES8_S8_S8_S8_NS5_IS6_S8_EENS5_IlS8_EE.num_named_barrier, 0
	.set _ZN2at6native12_GLOBAL__N_114gatherKthValueIslLi3EEEvNS_4cuda6detail10TensorInfoIKT_T0_EES8_S8_S8_S8_NS5_IS6_S8_EENS5_IlS8_EE.private_seg_size, 0
	.set _ZN2at6native12_GLOBAL__N_114gatherKthValueIslLi3EEEvNS_4cuda6detail10TensorInfoIKT_T0_EES8_S8_S8_S8_NS5_IS6_S8_EENS5_IlS8_EE.uses_vcc, 1
	.set _ZN2at6native12_GLOBAL__N_114gatherKthValueIslLi3EEEvNS_4cuda6detail10TensorInfoIKT_T0_EES8_S8_S8_S8_NS5_IS6_S8_EENS5_IlS8_EE.uses_flat_scratch, 0
	.set _ZN2at6native12_GLOBAL__N_114gatherKthValueIslLi3EEEvNS_4cuda6detail10TensorInfoIKT_T0_EES8_S8_S8_S8_NS5_IS6_S8_EENS5_IlS8_EE.has_dyn_sized_stack, 0
	.set _ZN2at6native12_GLOBAL__N_114gatherKthValueIslLi3EEEvNS_4cuda6detail10TensorInfoIKT_T0_EES8_S8_S8_S8_NS5_IS6_S8_EENS5_IlS8_EE.has_recursion, 0
	.set _ZN2at6native12_GLOBAL__N_114gatherKthValueIslLi3EEEvNS_4cuda6detail10TensorInfoIKT_T0_EES8_S8_S8_S8_NS5_IS6_S8_EENS5_IlS8_EE.has_indirect_call, 0
	.section	.AMDGPU.csdata,"",@progbits
; Kernel info:
; codeLenInByte = 21076
; TotalNumSgprs: 100
; NumVgprs: 54
; ScratchSize: 0
; MemoryBound: 0
; FloatMode: 240
; IeeeMode: 1
; LDSByteSize: 5144 bytes/workgroup (compile time only)
; SGPRBlocks: 12
; VGPRBlocks: 13
; NumSGPRsForWavesPerEU: 100
; NumVGPRsForWavesPerEU: 54
; Occupancy: 4
; WaveLimiterHint : 1
; COMPUTE_PGM_RSRC2:SCRATCH_EN: 0
; COMPUTE_PGM_RSRC2:USER_SGPR: 6
; COMPUTE_PGM_RSRC2:TRAP_HANDLER: 0
; COMPUTE_PGM_RSRC2:TGID_X_EN: 1
; COMPUTE_PGM_RSRC2:TGID_Y_EN: 1
; COMPUTE_PGM_RSRC2:TGID_Z_EN: 1
; COMPUTE_PGM_RSRC2:TIDIG_COMP_CNT: 0
	.section	.text._ZN2at6native12_GLOBAL__N_114gatherKthValueIslLin1EEEvNS_4cuda6detail10TensorInfoIKT_T0_EES8_S8_S8_S8_NS5_IS6_S8_EENS5_IlS8_EE,"axG",@progbits,_ZN2at6native12_GLOBAL__N_114gatherKthValueIslLin1EEEvNS_4cuda6detail10TensorInfoIKT_T0_EES8_S8_S8_S8_NS5_IS6_S8_EENS5_IlS8_EE,comdat
	.globl	_ZN2at6native12_GLOBAL__N_114gatherKthValueIslLin1EEEvNS_4cuda6detail10TensorInfoIKT_T0_EES8_S8_S8_S8_NS5_IS6_S8_EENS5_IlS8_EE ; -- Begin function _ZN2at6native12_GLOBAL__N_114gatherKthValueIslLin1EEEvNS_4cuda6detail10TensorInfoIKT_T0_EES8_S8_S8_S8_NS5_IS6_S8_EENS5_IlS8_EE
	.p2align	8
	.type	_ZN2at6native12_GLOBAL__N_114gatherKthValueIslLin1EEEvNS_4cuda6detail10TensorInfoIKT_T0_EES8_S8_S8_S8_NS5_IS6_S8_EENS5_IlS8_EE,@function
_ZN2at6native12_GLOBAL__N_114gatherKthValueIslLin1EEEvNS_4cuda6detail10TensorInfoIKT_T0_EES8_S8_S8_S8_NS5_IS6_S8_EENS5_IlS8_EE: ; @_ZN2at6native12_GLOBAL__N_114gatherKthValueIslLin1EEEvNS_4cuda6detail10TensorInfoIKT_T0_EES8_S8_S8_S8_NS5_IS6_S8_EENS5_IlS8_EE
; %bb.0:
	s_load_dwordx2 s[12:13], s[4:5], 0x500
	s_load_dwordx8 s[24:31], s[4:5], 0x1a0
	s_add_u32 s10, s4, 0x500
	s_addc_u32 s11, s5, 0
	s_mov_b32 s1, 0
	s_waitcnt lgkmcnt(0)
	s_mul_i32 s0, s13, s8
	s_add_i32 s0, s0, s7
	s_mul_i32 s0, s0, s12
	s_add_i32 s0, s0, s6
	v_mov_b32_e32 v2, s1
	v_mov_b32_e32 v1, s0
	v_cmp_le_i64_e32 vcc, s[28:29], v[1:2]
	s_cbranch_vccnz .LBB39_304
; %bb.1:
	s_load_dword s13, s[4:5], 0x198
	s_mov_b64 s[2:3], 0
	s_mov_b64 s[8:9], s[0:1]
	s_waitcnt lgkmcnt(0)
	s_cmp_lt_i32 s13, 2
	s_cbranch_scc1 .LBB39_9
; %bb.2:
	s_mov_b32 s14, 0
	s_add_i32 s2, s13, -1
	s_mov_b32 s3, s14
	s_add_i32 s7, s13, 1
	s_lshl_b64 s[2:3], s[2:3], 3
	s_add_u32 s2, s4, s2
	s_addc_u32 s3, s5, s3
	s_add_u32 s16, s2, 8
	s_addc_u32 s17, s3, 0
	s_mov_b64 s[2:3], 0
	s_mov_b64 s[18:19], s[0:1]
.LBB39_3:                               ; =>This Inner Loop Header: Depth=1
	s_load_dwordx2 s[20:21], s[16:17], 0x0
	s_waitcnt lgkmcnt(0)
	s_or_b64 s[8:9], s[18:19], s[20:21]
	s_mov_b32 s15, s9
	s_cmp_lg_u64 s[14:15], 0
	s_cbranch_scc0 .LBB39_8
; %bb.4:                                ;   in Loop: Header=BB39_3 Depth=1
	s_ashr_i32 s8, s21, 31
	s_add_u32 s22, s20, s8
	s_mov_b32 s9, s8
	s_addc_u32 s23, s21, s8
	s_xor_b64 s[22:23], s[22:23], s[8:9]
	v_cvt_f32_u32_e32 v1, s22
	v_cvt_f32_u32_e32 v2, s23
	s_sub_u32 s13, 0, s22
	s_subb_u32 s15, 0, s23
	v_mac_f32_e32 v1, 0x4f800000, v2
	v_rcp_f32_e32 v1, v1
	v_mul_f32_e32 v1, 0x5f7ffffc, v1
	v_mul_f32_e32 v2, 0x2f800000, v1
	v_trunc_f32_e32 v2, v2
	v_mac_f32_e32 v1, 0xcf800000, v2
	v_cvt_u32_f32_e32 v2, v2
	v_cvt_u32_f32_e32 v1, v1
	v_readfirstlane_b32 s33, v2
	v_readfirstlane_b32 s28, v1
	s_mul_i32 s29, s13, s33
	s_mul_hi_u32 s35, s13, s28
	s_mul_i32 s34, s15, s28
	s_add_i32 s29, s35, s29
	s_add_i32 s29, s29, s34
	s_mul_i32 s36, s13, s28
	s_mul_i32 s35, s28, s29
	s_mul_hi_u32 s37, s28, s36
	s_mul_hi_u32 s34, s28, s29
	s_add_u32 s35, s37, s35
	s_addc_u32 s34, 0, s34
	s_mul_hi_u32 s38, s33, s36
	s_mul_i32 s36, s33, s36
	s_add_u32 s35, s35, s36
	s_mul_hi_u32 s37, s33, s29
	s_addc_u32 s34, s34, s38
	s_addc_u32 s35, s37, 0
	s_mul_i32 s29, s33, s29
	s_add_u32 s29, s34, s29
	s_addc_u32 s34, 0, s35
	s_add_u32 s35, s28, s29
	s_cselect_b64 s[28:29], -1, 0
	s_cmp_lg_u64 s[28:29], 0
	s_addc_u32 s33, s33, s34
	s_mul_i32 s28, s13, s33
	s_mul_hi_u32 s29, s13, s35
	s_add_i32 s28, s29, s28
	s_mul_i32 s15, s15, s35
	s_add_i32 s28, s28, s15
	s_mul_i32 s13, s13, s35
	s_mul_hi_u32 s29, s33, s13
	s_mul_i32 s34, s33, s13
	s_mul_i32 s37, s35, s28
	s_mul_hi_u32 s13, s35, s13
	s_mul_hi_u32 s36, s35, s28
	s_add_u32 s13, s13, s37
	s_addc_u32 s36, 0, s36
	s_add_u32 s13, s13, s34
	s_mul_hi_u32 s15, s33, s28
	s_addc_u32 s13, s36, s29
	s_addc_u32 s15, s15, 0
	s_mul_i32 s28, s33, s28
	s_add_u32 s13, s13, s28
	s_addc_u32 s15, 0, s15
	s_add_u32 s13, s35, s13
	s_cselect_b64 s[28:29], -1, 0
	s_cmp_lg_u64 s[28:29], 0
	s_addc_u32 s15, s33, s15
	s_ashr_i32 s28, s19, 31
	s_add_u32 s34, s18, s28
	s_mov_b32 s29, s28
	s_addc_u32 s35, s19, s28
	s_xor_b64 s[34:35], s[34:35], s[28:29]
	s_mul_i32 s36, s34, s15
	s_mul_hi_u32 s37, s34, s13
	s_mul_hi_u32 s33, s34, s15
	s_add_u32 s36, s37, s36
	s_addc_u32 s33, 0, s33
	s_mul_hi_u32 s38, s35, s13
	s_mul_i32 s13, s35, s13
	s_add_u32 s13, s36, s13
	s_mul_hi_u32 s37, s35, s15
	s_addc_u32 s13, s33, s38
	s_addc_u32 s33, s37, 0
	s_mul_i32 s15, s35, s15
	s_add_u32 s13, s13, s15
	s_addc_u32 s15, 0, s33
	s_mul_i32 s33, s22, s15
	s_mul_hi_u32 s36, s22, s13
	s_add_i32 s33, s36, s33
	s_mul_i32 s36, s23, s13
	s_add_i32 s33, s33, s36
	s_sub_i32 s38, s35, s33
	s_mul_i32 s36, s22, s13
	s_sub_u32 s34, s34, s36
	s_cselect_b64 s[36:37], -1, 0
	s_cmp_lg_u64 s[36:37], 0
	s_subb_u32 s40, s38, s23
	s_sub_u32 s41, s34, s22
	s_cselect_b64 s[38:39], -1, 0
	s_cmp_lg_u64 s[38:39], 0
	s_subb_u32 s38, s40, 0
	s_cmp_ge_u32 s38, s23
	s_cselect_b32 s39, -1, 0
	s_cmp_ge_u32 s41, s22
	s_cselect_b32 s40, -1, 0
	s_cmp_eq_u32 s38, s23
	s_cselect_b32 s38, s40, s39
	s_add_u32 s39, s13, 1
	s_addc_u32 s40, s15, 0
	s_add_u32 s41, s13, 2
	s_addc_u32 s42, s15, 0
	s_cmp_lg_u32 s38, 0
	s_cselect_b32 s38, s41, s39
	s_cselect_b32 s39, s42, s40
	s_cmp_lg_u64 s[36:37], 0
	s_subb_u32 s33, s35, s33
	s_cmp_ge_u32 s33, s23
	s_cselect_b32 s35, -1, 0
	s_cmp_ge_u32 s34, s22
	s_cselect_b32 s22, -1, 0
	s_cmp_eq_u32 s33, s23
	s_cselect_b32 s22, s22, s35
	s_cmp_lg_u32 s22, 0
	s_cselect_b32 s23, s39, s15
	s_cselect_b32 s22, s38, s13
	s_xor_b64 s[8:9], s[28:29], s[8:9]
	s_xor_b64 s[22:23], s[22:23], s[8:9]
	s_sub_u32 s8, s22, s8
	s_subb_u32 s9, s23, s9
	s_cbranch_execnz .LBB39_6
.LBB39_5:                               ;   in Loop: Header=BB39_3 Depth=1
	v_cvt_f32_u32_e32 v1, s20
	s_sub_i32 s8, 0, s20
	v_rcp_iflag_f32_e32 v1, v1
	v_mul_f32_e32 v1, 0x4f7ffffe, v1
	v_cvt_u32_f32_e32 v1, v1
	v_readfirstlane_b32 s9, v1
	s_mul_i32 s8, s8, s9
	s_mul_hi_u32 s8, s9, s8
	s_add_i32 s9, s9, s8
	s_mul_hi_u32 s8, s18, s9
	s_mul_i32 s13, s8, s20
	s_sub_i32 s13, s18, s13
	s_add_i32 s9, s8, 1
	s_sub_i32 s15, s13, s20
	s_cmp_ge_u32 s13, s20
	s_cselect_b32 s8, s9, s8
	s_cselect_b32 s13, s15, s13
	s_add_i32 s9, s8, 1
	s_cmp_ge_u32 s13, s20
	s_cselect_b32 s8, s9, s8
	s_mov_b32 s9, s14
.LBB39_6:                               ;   in Loop: Header=BB39_3 Depth=1
	s_mul_i32 s13, s8, s21
	s_mul_hi_u32 s15, s8, s20
	s_load_dwordx2 s[22:23], s[16:17], 0xc8
	s_add_i32 s13, s15, s13
	s_mul_i32 s15, s9, s20
	s_add_i32 s13, s13, s15
	s_mul_i32 s15, s8, s20
	s_sub_u32 s15, s18, s15
	s_subb_u32 s13, s19, s13
	s_waitcnt lgkmcnt(0)
	s_mul_i32 s13, s22, s13
	s_mul_hi_u32 s18, s22, s15
	s_add_i32 s13, s18, s13
	s_mul_i32 s18, s23, s15
	s_add_i32 s13, s13, s18
	s_mul_i32 s15, s22, s15
	s_add_u32 s2, s15, s2
	s_addc_u32 s3, s13, s3
	s_add_i32 s7, s7, -1
	s_add_u32 s16, s16, -8
	s_addc_u32 s17, s17, -1
	s_cmp_gt_u32 s7, 2
	s_cbranch_scc0 .LBB39_9
; %bb.7:                                ;   in Loop: Header=BB39_3 Depth=1
	s_mov_b64 s[18:19], s[8:9]
	s_branch .LBB39_3
.LBB39_8:                               ;   in Loop: Header=BB39_3 Depth=1
                                        ; implicit-def: $sgpr8_sgpr9
	s_branch .LBB39_5
.LBB39_9:
	s_load_dword s13, s[4:5], 0x358
	s_load_dwordx2 s[14:15], s[4:5], 0xd0
	s_add_u32 s16, s4, 0x1c0
	s_addc_u32 s17, s5, 0
	s_mov_b64 s[22:23], 0
	s_waitcnt lgkmcnt(0)
	s_cmp_lt_i32 s13, 2
	s_mov_b64 s[28:29], s[0:1]
	s_cbranch_scc1 .LBB39_17
; %bb.10:
	s_mov_b32 s18, 0
	s_add_i32 s20, s13, -1
	s_mov_b32 s21, s18
	s_add_i32 s7, s13, 1
	s_lshl_b64 s[20:21], s[20:21], 3
	s_add_u32 s13, s16, s20
	s_addc_u32 s19, s17, s21
	s_add_u32 s20, s13, 8
	s_addc_u32 s21, s19, 0
	s_mov_b64 s[34:35], s[0:1]
.LBB39_11:                              ; =>This Inner Loop Header: Depth=1
	s_load_dwordx2 s[36:37], s[20:21], 0x0
	s_waitcnt lgkmcnt(0)
	s_or_b64 s[28:29], s[34:35], s[36:37]
	s_mov_b32 s19, s29
	s_cmp_lg_u64 s[18:19], 0
	s_cbranch_scc0 .LBB39_16
; %bb.12:                               ;   in Loop: Header=BB39_11 Depth=1
	s_ashr_i32 s28, s37, 31
	s_add_u32 s38, s36, s28
	s_mov_b32 s29, s28
	s_addc_u32 s39, s37, s28
	s_xor_b64 s[38:39], s[38:39], s[28:29]
	v_cvt_f32_u32_e32 v1, s38
	v_cvt_f32_u32_e32 v2, s39
	s_sub_u32 s13, 0, s38
	s_subb_u32 s19, 0, s39
	v_mac_f32_e32 v1, 0x4f800000, v2
	v_rcp_f32_e32 v1, v1
	v_mul_f32_e32 v1, 0x5f7ffffc, v1
	v_mul_f32_e32 v2, 0x2f800000, v1
	v_trunc_f32_e32 v2, v2
	v_mac_f32_e32 v1, 0xcf800000, v2
	v_cvt_u32_f32_e32 v2, v2
	v_cvt_u32_f32_e32 v1, v1
	v_readfirstlane_b32 s33, v2
	v_readfirstlane_b32 s40, v1
	s_mul_i32 s41, s13, s33
	s_mul_hi_u32 s43, s13, s40
	s_mul_i32 s42, s19, s40
	s_add_i32 s41, s43, s41
	s_add_i32 s41, s41, s42
	s_mul_i32 s44, s13, s40
	s_mul_i32 s43, s40, s41
	s_mul_hi_u32 s45, s40, s44
	s_mul_hi_u32 s42, s40, s41
	s_add_u32 s43, s45, s43
	s_addc_u32 s42, 0, s42
	s_mul_hi_u32 s46, s33, s44
	s_mul_i32 s44, s33, s44
	s_add_u32 s43, s43, s44
	s_mul_hi_u32 s45, s33, s41
	s_addc_u32 s42, s42, s46
	s_addc_u32 s43, s45, 0
	s_mul_i32 s41, s33, s41
	s_add_u32 s41, s42, s41
	s_addc_u32 s42, 0, s43
	s_add_u32 s43, s40, s41
	s_cselect_b64 s[40:41], -1, 0
	s_cmp_lg_u64 s[40:41], 0
	s_addc_u32 s33, s33, s42
	s_mul_i32 s40, s13, s33
	s_mul_hi_u32 s41, s13, s43
	s_add_i32 s40, s41, s40
	s_mul_i32 s19, s19, s43
	s_add_i32 s40, s40, s19
	s_mul_i32 s13, s13, s43
	s_mul_hi_u32 s41, s33, s13
	s_mul_i32 s42, s33, s13
	s_mul_i32 s45, s43, s40
	s_mul_hi_u32 s13, s43, s13
	s_mul_hi_u32 s44, s43, s40
	s_add_u32 s13, s13, s45
	s_addc_u32 s44, 0, s44
	s_add_u32 s13, s13, s42
	s_mul_hi_u32 s19, s33, s40
	s_addc_u32 s13, s44, s41
	s_addc_u32 s19, s19, 0
	s_mul_i32 s40, s33, s40
	s_add_u32 s13, s13, s40
	s_addc_u32 s19, 0, s19
	s_add_u32 s13, s43, s13
	s_cselect_b64 s[40:41], -1, 0
	s_cmp_lg_u64 s[40:41], 0
	s_addc_u32 s19, s33, s19
	s_ashr_i32 s40, s35, 31
	s_add_u32 s42, s34, s40
	s_mov_b32 s41, s40
	s_addc_u32 s43, s35, s40
	s_xor_b64 s[42:43], s[42:43], s[40:41]
	s_mul_i32 s44, s42, s19
	s_mul_hi_u32 s45, s42, s13
	s_mul_hi_u32 s33, s42, s19
	s_add_u32 s44, s45, s44
	s_addc_u32 s33, 0, s33
	s_mul_hi_u32 s46, s43, s13
	s_mul_i32 s13, s43, s13
	s_add_u32 s13, s44, s13
	s_mul_hi_u32 s45, s43, s19
	s_addc_u32 s13, s33, s46
	s_addc_u32 s33, s45, 0
	s_mul_i32 s19, s43, s19
	s_add_u32 s13, s13, s19
	s_addc_u32 s19, 0, s33
	s_mul_i32 s33, s38, s19
	s_mul_hi_u32 s44, s38, s13
	s_add_i32 s33, s44, s33
	s_mul_i32 s44, s39, s13
	s_add_i32 s33, s33, s44
	s_sub_i32 s46, s43, s33
	s_mul_i32 s44, s38, s13
	s_sub_u32 s42, s42, s44
	s_cselect_b64 s[44:45], -1, 0
	s_cmp_lg_u64 s[44:45], 0
	s_subb_u32 s48, s46, s39
	s_sub_u32 s49, s42, s38
	s_cselect_b64 s[46:47], -1, 0
	s_cmp_lg_u64 s[46:47], 0
	s_subb_u32 s46, s48, 0
	s_cmp_ge_u32 s46, s39
	s_cselect_b32 s47, -1, 0
	s_cmp_ge_u32 s49, s38
	s_cselect_b32 s48, -1, 0
	s_cmp_eq_u32 s46, s39
	s_cselect_b32 s46, s48, s47
	s_add_u32 s47, s13, 1
	s_addc_u32 s48, s19, 0
	s_add_u32 s49, s13, 2
	s_addc_u32 s50, s19, 0
	s_cmp_lg_u32 s46, 0
	s_cselect_b32 s46, s49, s47
	s_cselect_b32 s47, s50, s48
	s_cmp_lg_u64 s[44:45], 0
	s_subb_u32 s33, s43, s33
	s_cmp_ge_u32 s33, s39
	s_cselect_b32 s43, -1, 0
	s_cmp_ge_u32 s42, s38
	s_cselect_b32 s38, -1, 0
	s_cmp_eq_u32 s33, s39
	s_cselect_b32 s33, s38, s43
	s_cmp_lg_u32 s33, 0
	s_cselect_b32 s39, s47, s19
	s_cselect_b32 s38, s46, s13
	s_xor_b64 s[28:29], s[40:41], s[28:29]
	s_xor_b64 s[38:39], s[38:39], s[28:29]
	s_sub_u32 s28, s38, s28
	s_subb_u32 s29, s39, s29
	s_cbranch_execnz .LBB39_14
.LBB39_13:                              ;   in Loop: Header=BB39_11 Depth=1
	v_cvt_f32_u32_e32 v1, s36
	s_sub_i32 s13, 0, s36
	v_rcp_iflag_f32_e32 v1, v1
	v_mul_f32_e32 v1, 0x4f7ffffe, v1
	v_cvt_u32_f32_e32 v1, v1
	v_readfirstlane_b32 s19, v1
	s_mul_i32 s13, s13, s19
	s_mul_hi_u32 s13, s19, s13
	s_add_i32 s19, s19, s13
	s_mul_hi_u32 s13, s34, s19
	s_mul_i32 s28, s13, s36
	s_sub_i32 s28, s34, s28
	s_add_i32 s19, s13, 1
	s_sub_i32 s29, s28, s36
	s_cmp_ge_u32 s28, s36
	s_cselect_b32 s13, s19, s13
	s_cselect_b32 s28, s29, s28
	s_add_i32 s19, s13, 1
	s_cmp_ge_u32 s28, s36
	s_cselect_b32 s28, s19, s13
	s_mov_b32 s29, s18
.LBB39_14:                              ;   in Loop: Header=BB39_11 Depth=1
	s_mul_i32 s13, s28, s37
	s_mul_hi_u32 s19, s28, s36
	s_load_dwordx2 s[38:39], s[20:21], 0xc8
	s_add_i32 s13, s19, s13
	s_mul_i32 s19, s29, s36
	s_add_i32 s13, s13, s19
	s_mul_i32 s19, s28, s36
	s_sub_u32 s19, s34, s19
	s_subb_u32 s13, s35, s13
	s_waitcnt lgkmcnt(0)
	s_mul_i32 s13, s38, s13
	s_mul_hi_u32 s33, s38, s19
	s_add_i32 s13, s33, s13
	s_mul_i32 s33, s39, s19
	s_add_i32 s13, s13, s33
	s_mul_i32 s19, s38, s19
	s_add_u32 s22, s19, s22
	s_addc_u32 s23, s13, s23
	s_add_i32 s7, s7, -1
	s_add_u32 s20, s20, -8
	s_addc_u32 s21, s21, -1
	s_cmp_gt_u32 s7, 2
	s_cbranch_scc0 .LBB39_17
; %bb.15:                               ;   in Loop: Header=BB39_11 Depth=1
	s_mov_b64 s[34:35], s[28:29]
	s_branch .LBB39_11
.LBB39_16:                              ;   in Loop: Header=BB39_11 Depth=1
                                        ; implicit-def: $sgpr28_sgpr29
	s_branch .LBB39_13
.LBB39_17:
	s_load_dword s18, s[4:5], 0x4f8
	s_load_dwordx2 s[20:21], s[16:17], 0xd0
	s_add_u32 s13, s4, 0x360
                                        ; implicit-def: $vgpr60 : SGPR spill to VGPR lane
                                        ; kill: killed $sgpr16 killed $sgpr17
	s_addc_u32 s17, s5, 0
	s_mov_b64 s[34:35], 0
	s_waitcnt lgkmcnt(0)
	s_cmp_lt_i32 s18, 2
	v_writelane_b32 v60, s20, 0
	v_writelane_b32 v60, s21, 1
	s_cbranch_scc1 .LBB39_25
; %bb.18:
	s_mov_b32 s16, 0
	s_add_i32 s7, s18, 1
	s_add_i32 s18, s18, -1
	s_mov_b32 s19, s16
	s_lshl_b64 s[18:19], s[18:19], 3
	s_add_u32 s13, s13, s18
	s_addc_u32 s17, s17, s19
	s_add_u32 s18, s13, 8
	s_addc_u32 s19, s17, 0
.LBB39_19:                              ; =>This Inner Loop Header: Depth=1
	s_load_dwordx2 s[20:21], s[18:19], 0x0
	s_waitcnt lgkmcnt(0)
	s_or_b64 s[36:37], s[0:1], s[20:21]
	s_mov_b32 s17, s37
	s_cmp_lg_u64 s[16:17], 0
	s_cbranch_scc0 .LBB39_24
; %bb.20:                               ;   in Loop: Header=BB39_19 Depth=1
	s_ashr_i32 s36, s21, 31
	s_add_u32 s38, s20, s36
	s_mov_b32 s37, s36
	s_addc_u32 s39, s21, s36
	s_xor_b64 s[38:39], s[38:39], s[36:37]
	v_cvt_f32_u32_e32 v1, s38
	v_cvt_f32_u32_e32 v2, s39
	s_sub_u32 s13, 0, s38
	s_subb_u32 s17, 0, s39
	v_mac_f32_e32 v1, 0x4f800000, v2
	v_rcp_f32_e32 v1, v1
	v_mul_f32_e32 v1, 0x5f7ffffc, v1
	v_mul_f32_e32 v2, 0x2f800000, v1
	v_trunc_f32_e32 v2, v2
	v_mac_f32_e32 v1, 0xcf800000, v2
	v_cvt_u32_f32_e32 v2, v2
	v_cvt_u32_f32_e32 v1, v1
	v_readfirstlane_b32 s33, v2
	v_readfirstlane_b32 s40, v1
	s_mul_i32 s41, s13, s33
	s_mul_hi_u32 s43, s13, s40
	s_mul_i32 s42, s17, s40
	s_add_i32 s41, s43, s41
	s_add_i32 s41, s41, s42
	s_mul_i32 s44, s13, s40
	s_mul_i32 s43, s40, s41
	s_mul_hi_u32 s45, s40, s44
	s_mul_hi_u32 s42, s40, s41
	s_add_u32 s43, s45, s43
	s_addc_u32 s42, 0, s42
	s_mul_hi_u32 s46, s33, s44
	s_mul_i32 s44, s33, s44
	s_add_u32 s43, s43, s44
	s_mul_hi_u32 s45, s33, s41
	s_addc_u32 s42, s42, s46
	s_addc_u32 s43, s45, 0
	s_mul_i32 s41, s33, s41
	s_add_u32 s41, s42, s41
	s_addc_u32 s42, 0, s43
	s_add_u32 s43, s40, s41
	s_cselect_b64 s[40:41], -1, 0
	s_cmp_lg_u64 s[40:41], 0
	s_addc_u32 s33, s33, s42
	s_mul_i32 s40, s13, s33
	s_mul_hi_u32 s41, s13, s43
	s_add_i32 s40, s41, s40
	s_mul_i32 s17, s17, s43
	s_add_i32 s40, s40, s17
	s_mul_i32 s13, s13, s43
	s_mul_hi_u32 s41, s33, s13
	s_mul_i32 s42, s33, s13
	s_mul_i32 s45, s43, s40
	s_mul_hi_u32 s13, s43, s13
	s_mul_hi_u32 s44, s43, s40
	s_add_u32 s13, s13, s45
	s_addc_u32 s44, 0, s44
	s_add_u32 s13, s13, s42
	s_mul_hi_u32 s17, s33, s40
	s_addc_u32 s13, s44, s41
	s_addc_u32 s17, s17, 0
	s_mul_i32 s40, s33, s40
	s_add_u32 s13, s13, s40
	s_addc_u32 s17, 0, s17
	s_add_u32 s13, s43, s13
	s_cselect_b64 s[40:41], -1, 0
	s_cmp_lg_u64 s[40:41], 0
	s_addc_u32 s17, s33, s17
	s_ashr_i32 s40, s1, 31
	s_add_u32 s42, s0, s40
	s_mov_b32 s41, s40
	s_addc_u32 s43, s1, s40
	s_xor_b64 s[42:43], s[42:43], s[40:41]
	s_mul_i32 s44, s42, s17
	s_mul_hi_u32 s45, s42, s13
	s_mul_hi_u32 s33, s42, s17
	s_add_u32 s44, s45, s44
	s_addc_u32 s33, 0, s33
	s_mul_hi_u32 s46, s43, s13
	s_mul_i32 s13, s43, s13
	s_add_u32 s13, s44, s13
	s_mul_hi_u32 s45, s43, s17
	s_addc_u32 s13, s33, s46
	s_addc_u32 s33, s45, 0
	s_mul_i32 s17, s43, s17
	s_add_u32 s13, s13, s17
	s_addc_u32 s17, 0, s33
	s_mul_i32 s33, s38, s17
	s_mul_hi_u32 s44, s38, s13
	s_add_i32 s33, s44, s33
	s_mul_i32 s44, s39, s13
	s_add_i32 s33, s33, s44
	s_sub_i32 s46, s43, s33
	s_mul_i32 s44, s38, s13
	s_sub_u32 s42, s42, s44
	s_cselect_b64 s[44:45], -1, 0
	s_cmp_lg_u64 s[44:45], 0
	s_subb_u32 s48, s46, s39
	s_sub_u32 s49, s42, s38
	s_cselect_b64 s[46:47], -1, 0
	s_cmp_lg_u64 s[46:47], 0
	s_subb_u32 s46, s48, 0
	s_cmp_ge_u32 s46, s39
	s_cselect_b32 s47, -1, 0
	s_cmp_ge_u32 s49, s38
	s_cselect_b32 s48, -1, 0
	s_cmp_eq_u32 s46, s39
	s_cselect_b32 s46, s48, s47
	s_add_u32 s47, s13, 1
	s_addc_u32 s48, s17, 0
	s_add_u32 s49, s13, 2
	s_addc_u32 s50, s17, 0
	s_cmp_lg_u32 s46, 0
	s_cselect_b32 s46, s49, s47
	s_cselect_b32 s47, s50, s48
	s_cmp_lg_u64 s[44:45], 0
	s_subb_u32 s33, s43, s33
	s_cmp_ge_u32 s33, s39
	s_cselect_b32 s43, -1, 0
	s_cmp_ge_u32 s42, s38
	s_cselect_b32 s38, -1, 0
	s_cmp_eq_u32 s33, s39
	s_cselect_b32 s33, s38, s43
	s_cmp_lg_u32 s33, 0
	s_cselect_b32 s39, s47, s17
	s_cselect_b32 s38, s46, s13
	s_xor_b64 s[36:37], s[40:41], s[36:37]
	s_xor_b64 s[38:39], s[38:39], s[36:37]
	s_sub_u32 s38, s38, s36
	s_subb_u32 s39, s39, s37
	s_cbranch_execnz .LBB39_22
.LBB39_21:                              ;   in Loop: Header=BB39_19 Depth=1
	v_cvt_f32_u32_e32 v1, s20
	s_sub_i32 s13, 0, s20
	s_mov_b32 s39, s16
	v_rcp_iflag_f32_e32 v1, v1
	v_mul_f32_e32 v1, 0x4f7ffffe, v1
	v_cvt_u32_f32_e32 v1, v1
	v_readfirstlane_b32 s17, v1
	s_mul_i32 s13, s13, s17
	s_mul_hi_u32 s13, s17, s13
	s_add_i32 s17, s17, s13
	s_mul_hi_u32 s13, s0, s17
	s_mul_i32 s33, s13, s20
	s_sub_i32 s33, s0, s33
	s_add_i32 s17, s13, 1
	s_sub_i32 s36, s33, s20
	s_cmp_ge_u32 s33, s20
	s_cselect_b32 s13, s17, s13
	s_cselect_b32 s33, s36, s33
	s_add_i32 s17, s13, 1
	s_cmp_ge_u32 s33, s20
	s_cselect_b32 s38, s17, s13
.LBB39_22:                              ;   in Loop: Header=BB39_19 Depth=1
	s_mul_i32 s13, s38, s21
	s_mul_hi_u32 s17, s38, s20
	s_load_dwordx2 s[36:37], s[18:19], 0xc8
	s_add_i32 s13, s17, s13
	s_mul_i32 s17, s39, s20
	s_add_i32 s13, s13, s17
	s_mul_i32 s17, s38, s20
	s_sub_u32 s0, s0, s17
	s_subb_u32 s1, s1, s13
	s_waitcnt lgkmcnt(0)
	s_mul_i32 s1, s36, s1
	s_mul_hi_u32 s13, s36, s0
	s_add_i32 s1, s13, s1
	s_mul_i32 s13, s37, s0
	s_add_i32 s1, s1, s13
	s_mul_i32 s0, s36, s0
	s_add_u32 s34, s0, s34
	s_addc_u32 s35, s1, s35
	s_add_i32 s7, s7, -1
	s_add_u32 s18, s18, -8
	s_addc_u32 s19, s19, -1
	s_cmp_gt_u32 s7, 2
	s_cbranch_scc0 .LBB39_26
; %bb.23:                               ;   in Loop: Header=BB39_19 Depth=1
	s_mov_b64 s[0:1], s[38:39]
	s_branch .LBB39_19
.LBB39_24:                              ;   in Loop: Header=BB39_19 Depth=1
                                        ; implicit-def: $sgpr38_sgpr39
	s_branch .LBB39_21
.LBB39_25:
	s_mov_b64 s[38:39], s[0:1]
.LBB39_26:
	s_load_dwordx2 s[0:1], s[4:5], 0x430
	s_mov_b32 s47, 0
	v_cmp_eq_u32_e64 s[64:65], 0, v0
                                        ; kill: killed $sgpr4 killed $sgpr5
	s_waitcnt lgkmcnt(0)
	v_writelane_b32 v60, s0, 2
	v_writelane_b32 v60, s1, 3
	s_load_dwordx2 s[18:19], s[4:5], 0x0
	s_load_dwordx2 s[0:1], s[4:5], 0x1c0
	s_waitcnt lgkmcnt(0)
	v_writelane_b32 v60, s0, 4
	v_writelane_b32 v60, s1, 5
	s_load_dwordx2 s[0:1], s[4:5], 0x360
	s_waitcnt lgkmcnt(0)
	v_writelane_b32 v60, s0, 6
	v_writelane_b32 v60, s1, 7
	s_and_saveexec_b64 s[0:1], s[64:65]
	s_cbranch_execz .LBB39_28
; %bb.27:
	v_mov_b32_e32 v1, 0
	v_mov_b32_e32 v3, s24
	;; [unrolled: 1-line block ×4, first 2 shown]
	ds_write_b32 v1, v1 offset:5136
	ds_write_b128 v1, v[1:4] offset:5120
.LBB39_28:
	s_or_b64 exec, exec, s[0:1]
	s_mul_i32 s0, s14, s9
	s_mul_hi_u32 s1, s14, s8
	s_add_i32 s0, s1, s0
	s_mul_i32 s1, s15, s8
	s_add_i32 s1, s0, s1
	s_mul_i32 s0, s14, s8
	s_lshl_b64 s[14:15], s[0:1], 1
	s_add_u32 s20, s18, s14
	v_mbcnt_lo_u32_b32 v1, -1, 0
	s_addc_u32 s21, s19, s15
	s_lshl_b64 s[48:49], s[2:3], 1
	v_mbcnt_hi_u32_b32 v41, -1, v1
	s_add_u32 s54, s20, s48
	v_cmp_gt_u32_e32 vcc, 64, v0
	v_cmp_gt_i32_e64 s[2:3], 4, v41
	v_mad_u64_u32 v[6:7], s[0:1], s30, v0, 0
	s_addc_u32 s55, s21, s49
	s_and_b64 s[0:1], vcc, s[2:3]
	v_writelane_b32 v60, s0, 8
	v_writelane_b32 v60, s1, 9
	v_cmp_gt_u32_e64 s[0:1], 2, v0
	v_writelane_b32 v60, s0, 10
	v_mov_b32_e32 v1, v7
	v_mov_b32_e32 v7, 0x600
	v_writelane_b32 v60, s1, 11
	v_mad_u64_u32 v[4:5], s[0:1], s31, v0, v[1:2]
	v_mov_b32_e32 v8, 0
	v_cmp_gt_i64_e64 s[0:1], s[24:25], v[7:8]
	s_waitcnt lgkmcnt(0)
	v_writelane_b32 v60, s0, 12
	s_barrier
	v_mov_b32_e32 v3, 0
	v_writelane_b32 v60, s1, 13
	s_load_dword s0, s[10:11], 0xc
	v_mov_b32_e32 v1, v3
	v_cmp_gt_i64_e64 s[2:3], s[24:25], v[0:1]
	v_mov_b32_e32 v7, v4
	v_writelane_b32 v60, s2, 14
	v_lshlrev_b64 v[4:5], 1, v[6:7]
	v_writelane_b32 v60, s3, 15
	s_waitcnt lgkmcnt(0)
	s_and_b32 s33, s0, 0xffff
	s_bfe_u32 s2, s0, 0xa0006
	s_cmp_gt_u32 s33, 63
	v_mov_b32_e32 v2, s55
	v_add_co_u32_e32 v14, vcc, s54, v4
	s_cselect_b64 s[0:1], -1, 0
	v_addc_co_u32_e32 v15, vcc, v2, v5, vcc
	v_writelane_b32 v60, s0, 16
	v_add_u32_e32 v2, 2, v0
	v_writelane_b32 v60, s1, 17
	s_add_u32 s0, s33, -1
	v_cmp_gt_i64_e32 vcc, s[24:25], v[2:3]
	s_addc_u32 s1, 0, -1
	v_mov_b32_e32 v9, s25
	v_writelane_b32 v60, s0, 18
	s_add_u32 s0, s0, s24
	v_cndmask_b32_e32 v10, 0, v9, vcc
	v_mov_b32_e32 v9, s24
	s_addc_u32 s57, s1, s25
	v_cndmask_b32_e32 v2, v2, v9, vcc
	v_not_b32_e32 v9, v0
	s_cmp_lt_u32 s6, s12
	v_add_co_u32_e32 v9, vcc, v2, v9
	v_writelane_b32 v60, s0, 19
	s_cselect_b32 s0, 12, 18
	v_addc_co_u32_e32 v10, vcc, -1, v10, vcc
	v_writelane_b32 v60, s1, 20
	s_add_u32 s58, s10, s0
	v_cmp_lt_u64_e64 s[0:1], 1, v[9:10]
	v_and_b32_e32 v18, -2, v9
	v_writelane_b32 v60, s0, 21
	v_mov_b32_e32 v19, v10
	v_writelane_b32 v60, s1, 22
	v_cmp_ne_u64_e64 s[0:1], v[9:10], v[18:19]
	s_addc_u32 s59, s11, 0
	v_writelane_b32 v60, s0, 23
	v_writelane_b32 v60, s1, 24
	s_add_i32 s0, s2, -1
	v_lshlrev_b32_e32 v42, 3, v0
	v_mov_b32_e32 v9, s20
	s_bfe_u32 s3, s33, 0x30006
	s_and_b32 s0, s0, 0xffff
	v_or_b32_e32 v11, 6, v42
	v_mov_b32_e32 v10, s21
	s_cmp_gt_u32 s0, 6
	v_mad_u64_u32 v[20:21], s[0:1], s30, v11, v[9:10]
	s_cselect_b64 s[0:1], -1, 0
	v_writelane_b32 v60, s0, 25
	v_mov_b32_e32 v2, v21
	v_writelane_b32 v60, s1, 26
	v_mad_u64_u32 v[11:12], s[0:1], s31, v11, v[2:3]
	v_or_b32_e32 v12, 4, v42
	v_mad_u64_u32 v[22:23], s[0:1], s30, v12, v[9:10]
	s_and_b32 s17, s2, 0x3f8
	s_cmp_lg_u32 s3, 0
	v_writelane_b32 v60, s3, 27
	s_cselect_b64 s[0:1], -1, 0
	v_writelane_b32 v60, s0, 28
	v_mov_b32_e32 v2, v23
	v_writelane_b32 v60, s1, 29
	v_mov_b32_e32 v21, v11
	v_mad_u64_u32 v[11:12], s[0:1], s31, v12, v[2:3]
	v_or_b32_e32 v12, 2, v42
	v_mad_u64_u32 v[24:25], s[0:1], s30, v12, v[9:10]
	s_add_u32 s2, s14, s48
	s_addc_u32 s3, s15, s49
	s_add_u32 s2, s18, s2
	v_mov_b32_e32 v2, v25
	s_addc_u32 s3, s19, s3
	v_mad_u64_u32 v[9:10], s[0:1], s31, v12, v[2:3]
	v_writelane_b32 v60, s2, 30
	v_writelane_b32 v60, s3, 31
	s_lshl_b64 s[0:1], s[30:31], 3
	s_lshl_b64 s[66:67], s[30:31], 1
	v_writelane_b32 v60, s0, 32
	v_writelane_b32 v60, s1, 33
	v_lshlrev_b64 v[6:7], 3, v[6:7]
	s_add_u32 s0, s18, s48
	s_addc_u32 s1, s19, s49
	v_mov_b32_e32 v2, s21
	v_add_co_u32_e32 v26, vcc, s20, v6
	s_add_u32 s0, s0, s14
	v_addc_co_u32_e32 v27, vcc, v2, v7, vcc
	s_addc_u32 s1, s1, s15
	v_mov_b32_e32 v2, s1
	v_add_co_u32_e32 v12, vcc, s0, v4
	v_addc_co_u32_e32 v13, vcc, v2, v5, vcc
	v_lshrrev_b32_e32 v2, 1, v0
	v_and_b32_e32 v2, 0x1e0, v2
	v_lshlrev_b64 v[4:5], v41, -1
	v_or_b32_e32 v46, 0xc00, v2
	v_mov_b32_e32 v2, s25
	v_add_co_u32_e32 v47, vcc, s24, v0
	s_mul_i32 s0, s31, s33
	s_mul_hi_u32 s1, s30, s33
	v_lshlrev_b32_e32 v8, 2, v41
	v_addc_co_u32_e32 v48, vcc, 0, v2, vcc
	v_mov_b32_e32 v2, 0xc00
	s_add_i32 s1, s1, s0
	s_mul_i32 s0, s30, s33
	v_lshlrev_b32_e32 v51, 1, v0
	v_mov_b32_e32 v30, s27
	v_writelane_b32 v60, s64, 34
	v_cmp_eq_u32_e64 s[4:5], 0, v41
	v_lshlrev_b32_e32 v16, 2, v0
	v_mov_b32_e32 v17, v3
	v_mov_b32_e32 v23, v11
	;; [unrolled: 1-line block ×3, first 2 shown]
	v_and_b32_e32 v43, 0x100, v8
	v_not_b32_e32 v44, v5
	v_not_b32_e32 v45, v4
	s_mov_b32 s68, s30
	s_mov_b32 s56, s31
	v_lshl_or_b32 v49, v41, 3, v2
	s_lshl_b64 s[52:53], s[0:1], 1
	s_lshl_b32 s16, s33, 1
	s_mov_b32 s51, 14
	s_mov_b64 s[70:71], 0
	s_mov_b32 s50, 0x8000
	s_mov_b32 s69, 0
	v_add_u32_e32 v52, 0xc00, v51
	v_mov_b32_e32 v53, 0x5040100
	v_mov_b32_e32 v55, 0
	;; [unrolled: 1-line block ×4, first 2 shown]
	v_add_co_u32_e32 v28, vcc, v18, v0
	v_mov_b32_e32 v29, s26
	v_writelane_b32 v60, s65, 35
                                        ; implicit-def: $sgpr72_sgpr73
                                        ; implicit-def: $sgpr76_sgpr77
                                        ; implicit-def: $sgpr74_sgpr75
                                        ; implicit-def: $sgpr80_sgpr81
                                        ; implicit-def: $sgpr82_sgpr83
                                        ; implicit-def: $sgpr78_sgpr79
	v_writelane_b32 v60, s56, 36
	s_branch .LBB39_32
.LBB39_29:                              ;   in Loop: Header=BB39_32 Depth=1
	s_or_b64 exec, exec, s[12:13]
	s_and_b64 s[2:3], s[2:3], exec
	s_andn2_b64 s[86:87], s[86:87], exec
	s_andn2_b64 s[6:7], s[6:7], exec
	s_orn2_b64 s[20:21], s[10:11], exec
.LBB39_30:                              ;   in Loop: Header=BB39_32 Depth=1
	s_or_b64 exec, exec, s[0:1]
	s_andn2_b64 s[0:1], s[78:79], exec
	s_and_b64 s[2:3], s[2:3], exec
	s_or_b64 s[78:79], s[0:1], s[2:3]
	s_andn2_b64 s[0:1], s[82:83], exec
	s_and_b64 s[2:3], s[86:87], exec
	s_or_b64 s[82:83], s[0:1], s[2:3]
	;; [unrolled: 3-line block ×3, first 2 shown]
	s_orn2_b64 s[6:7], s[20:21], exec
.LBB39_31:                              ;   in Loop: Header=BB39_32 Depth=1
	s_or_b64 exec, exec, s[18:19]
	s_and_b64 s[0:1], exec, s[6:7]
	s_or_b64 s[70:71], s[0:1], s[70:71]
	s_andn2_b64 s[0:1], s[74:75], exec
	s_and_b64 s[2:3], s[78:79], exec
	s_or_b64 s[74:75], s[0:1], s[2:3]
	s_andn2_b64 s[0:1], s[76:77], exec
	s_and_b64 s[2:3], s[82:83], exec
	;; [unrolled: 3-line block ×3, first 2 shown]
	v_mov_b32_e32 v30, v9
	s_or_b64 s[72:73], s[0:1], s[2:3]
	v_mov_b32_e32 v29, v8
	s_andn2_b64 exec, exec, s[70:71]
	s_cbranch_execz .LBB39_300
.LBB39_32:                              ; =>This Loop Header: Depth=1
                                        ;     Child Loop BB39_37 Depth 2
                                        ;     Child Loop BB39_51 Depth 2
	;; [unrolled: 1-line block ×17, first 2 shown]
	ds_read_b128 v[4:7], v3 offset:5120
	s_waitcnt lgkmcnt(0)
	v_readfirstlane_b32 s27, v5
	v_readfirstlane_b32 s26, v4
	v_cmp_gt_i64_e64 s[0:1], s[26:27], 0
	s_and_b64 vcc, exec, s[0:1]
	s_cbranch_vccnz .LBB39_64
; %bb.33:                               ;   in Loop: Header=BB39_32 Depth=1
	v_readlane_b32 s0, v60, 12
	v_readlane_b32 s1, v60, 13
	s_and_b64 vcc, exec, s[0:1]
	s_cbranch_vccz .LBB39_45
; %bb.34:                               ;   in Loop: Header=BB39_32 Depth=1
	s_mov_b64 s[0:1], 0x601
	v_cmp_gt_i64_e32 vcc, s[0:1], v[6:7]
	s_mov_b64 s[10:11], 0
	s_mov_b64 s[0:1], 0
	s_cbranch_vccz .LBB39_46
; %bb.35:                               ;   in Loop: Header=BB39_32 Depth=1
	global_load_ushort v6, v3, s[58:59]
	global_load_ushort v2, v[14:15], off
	v_readlane_b32 s0, v60, 30
	v_readlane_b32 s1, v60, 31
	v_mov_b32_e32 v5, s1
	v_mov_b32_e32 v4, s0
	s_mov_b64 s[12:13], 0
	s_waitcnt vmcnt(1)
	v_and_b32_e32 v8, 0xffff, v6
	v_readfirstlane_b32 s2, v6
	v_add_co_u32_e32 v6, vcc, v0, v8
	v_addc_co_u32_e64 v7, s[0:1], 0, 0, vcc
	v_mul_lo_u32 v7, s66, v7
	v_mul_lo_u32 v9, s67, v6
	v_mad_u64_u32 v[4:5], s[0:1], s66, v6, v[4:5]
	s_and_b32 s2, 0xffff, s2
	s_mul_i32 s0, s67, s2
	s_mul_hi_u32 s1, s66, s2
	v_add3_u32 v5, v9, v5, v7
	v_mov_b32_e32 v7, v1
	s_mul_i32 s18, s66, s2
	s_add_i32 s19, s1, s0
	v_mov_b32_e32 v6, v0
	s_branch .LBB39_37
.LBB39_36:                              ;   in Loop: Header=BB39_37 Depth=2
	s_or_b64 exec, exec, s[0:1]
	v_mov_b32_e32 v2, s19
	v_add_co_u32_e32 v4, vcc, s18, v4
	v_addc_co_u32_e32 v5, vcc, v5, v2, vcc
	v_mov_b32_e32 v2, v9
	s_andn2_b64 exec, exec, s[12:13]
	s_cbranch_execz .LBB39_98
.LBB39_37:                              ;   Parent Loop BB39_32 Depth=1
                                        ; =>  This Inner Loop Header: Depth=2
	v_add_co_u32_e32 v6, vcc, v6, v8
	v_addc_co_u32_e32 v7, vcc, 0, v7, vcc
	v_cmp_gt_i64_e64 s[6:7], s[24:25], v[6:7]
	v_cmp_le_i64_e32 vcc, s[24:25], v[6:7]
	s_waitcnt lgkmcnt(0)
	v_mov_b32_e32 v10, 0
	v_mov_b32_e32 v9, 0
	s_and_saveexec_b64 s[0:1], s[6:7]
	s_cbranch_execz .LBB39_39
; %bb.38:                               ;   in Loop: Header=BB39_37 Depth=2
	global_load_ushort v9, v[4:5], off
.LBB39_39:                              ;   in Loop: Header=BB39_37 Depth=2
	s_or_b64 exec, exec, s[0:1]
	s_waitcnt vmcnt(0)
	v_add_u32_sdwa v11, sext(v2), s50 dst_sel:DWORD dst_unused:UNUSED_PAD src0_sel:WORD_0 src1_sel:DWORD
	v_and_b32_e32 v11, v11, v54
	v_cmp_eq_u32_e64 s[14:15], v11, v50
	s_cmp_lg_u64 s[14:15], 0
	s_cselect_b64 s[0:1], -1, 0
	s_and_b64 s[2:3], s[4:5], s[0:1]
	s_and_saveexec_b64 s[0:1], s[2:3]
	s_cbranch_execz .LBB39_43
; %bb.40:                               ;   in Loop: Header=BB39_37 Depth=2
	s_mov_b64 s[8:9], exec
	v_mbcnt_lo_u32_b32 v10, s8, 0
	v_mbcnt_hi_u32_b32 v10, s9, v10
	s_bcnt1_i32_b64 s20, s[14:15]
	v_cmp_eq_u32_e64 s[6:7], 0, v10
                                        ; implicit-def: $vgpr11
	s_and_saveexec_b64 s[2:3], s[6:7]
; %bb.41:                               ;   in Loop: Header=BB39_37 Depth=2
	s_bcnt1_i32_b64 s6, s[8:9]
	s_mul_i32 s6, s20, s6
	v_mov_b32_e32 v11, s6
	ds_add_rtn_u32 v11, v3, v11 offset:5136
; %bb.42:                               ;   in Loop: Header=BB39_37 Depth=2
	s_or_b64 exec, exec, s[2:3]
	s_waitcnt lgkmcnt(0)
	v_readfirstlane_b32 s2, v11
	v_mov_b32_e32 v11, s2
	v_mad_u32_u24 v10, s20, v10, v11
.LBB39_43:                              ;   in Loop: Header=BB39_37 Depth=2
	s_or_b64 exec, exec, s[0:1]
	ds_bpermute_b32 v10, v43, v10
	s_and_b64 s[0:1], exec, vcc
	s_or_b64 s[12:13], s[0:1], s[12:13]
	s_and_saveexec_b64 s[0:1], s[14:15]
	s_cbranch_execz .LBB39_36
; %bb.44:                               ;   in Loop: Header=BB39_37 Depth=2
	v_and_b32_e32 v31, s14, v45
	v_and_b32_e32 v11, s15, v44
	v_bcnt_u32_b32 v31, v31, 0
	v_bcnt_u32_b32 v11, v11, v31
	v_lshlrev_b32_e32 v11, 1, v11
	s_waitcnt lgkmcnt(0)
	v_lshl_add_u32 v10, v10, 1, v11
	ds_write_b16 v10, v2
	s_branch .LBB39_36
.LBB39_45:                              ;   in Loop: Header=BB39_32 Depth=1
	s_mov_b64 s[10:11], -1
	s_mov_b64 s[0:1], 0
.LBB39_46:                              ;   in Loop: Header=BB39_32 Depth=1
	s_and_b64 vcc, exec, s[10:11]
	s_cbranch_vccz .LBB39_62
.LBB39_47:                              ;   in Loop: Header=BB39_32 Depth=1
	s_mov_b64 s[10:11], exec
	v_readlane_b32 s0, v60, 14
	v_readlane_b32 s1, v60, 15
	s_and_b64 s[0:1], s[10:11], s[0:1]
	s_mov_b64 exec, s[0:1]
	s_cbranch_execz .LBB39_59
; %bb.48:                               ;   in Loop: Header=BB39_32 Depth=1
	global_load_ushort v2, v3, s[58:59]
	global_load_ushort v11, v[14:15], off
	v_mov_b32_e32 v8, v0
	s_waitcnt vmcnt(1)
	v_readfirstlane_b32 s0, v2
	v_add_u32_sdwa v2, v2, v0 dst_sel:DWORD dst_unused:UNUSED_PAD src0_sel:WORD_0 src1_sel:DWORD
	v_cmp_gt_i64_e32 vcc, s[24:25], v[2:3]
	s_and_saveexec_b64 s[12:13], vcc
	s_cbranch_execz .LBB39_58
; %bb.49:                               ;   in Loop: Header=BB39_32 Depth=1
	s_and_b32 s8, s0, 0xffff
	s_cmp_eq_u32 s8, 1
	v_readlane_b32 s2, v60, 21
                                        ; implicit-def: $vgpr8_vgpr9
	s_cselect_b64 s[0:1], -1, 0
	v_readlane_b32 s3, v60, 22
	v_mov_b32_e32 v10, v1
	v_mov_b32_e32 v5, v3
	s_and_b64 s[2:3], s[2:3], s[0:1]
	s_mov_b64 s[0:1], -1
	v_mov_b32_e32 v9, v0
	v_mov_b32_e32 v4, v2
	s_and_saveexec_b64 s[6:7], s[2:3]
	s_cbranch_execz .LBB39_53
; %bb.50:                               ;   in Loop: Header=BB39_32 Depth=1
	v_add_co_u32_e32 v4, vcc, 1, v2
	v_addc_co_u32_e64 v5, s[0:1], 0, 0, vcc
	v_mov_b32_e32 v8, v18
	v_mov_b32_e32 v7, v5
	s_waitcnt vmcnt(0)
	v_lshlrev_b32_e32 v31, 16, v11
	s_mov_b64 s[2:3], 0
	v_mov_b32_e32 v9, v19
	v_mov_b32_e32 v10, v51
	;; [unrolled: 1-line block ×5, first 2 shown]
.LBB39_51:                              ;   Parent Loop BB39_32 Depth=1
                                        ; =>  This Inner Loop Header: Depth=2
	v_mul_lo_u32 v37, v5, s68
	v_mul_lo_u32 v38, v4, s56
	v_mad_u64_u32 v[34:35], s[0:1], v4, s68, 0
	v_mul_lo_u32 v11, v7, s30
	v_mul_lo_u32 v36, v6, s31
	v_mad_u64_u32 v[32:33], s[0:1], v6, s30, 0
	v_add3_u32 v35, v35, v38, v37
	v_lshlrev_b64 v[34:35], 1, v[34:35]
	v_add3_u32 v33, v33, v36, v11
	v_mov_b32_e32 v39, s55
	v_lshlrev_b64 v[32:33], 1, v[32:33]
	v_add_co_u32_e32 v34, vcc, s54, v34
	v_addc_co_u32_e32 v35, vcc, v39, v35, vcc
	v_add_co_u32_e32 v32, vcc, s54, v32
	v_addc_co_u32_e32 v33, vcc, v39, v33, vcc
	global_load_ushort v34, v[34:35], off
	s_nop 0
	global_load_ushort v11, v[32:33], off
	v_add_co_u32_e32 v6, vcc, 2, v6
	v_addc_co_u32_e32 v7, vcc, 0, v7, vcc
	v_add_co_u32_e32 v4, vcc, 2, v4
	v_addc_co_u32_e32 v5, vcc, 0, v5, vcc
	v_add_co_u32_e32 v8, vcc, -2, v8
	v_addc_co_u32_e32 v9, vcc, -1, v9, vcc
	v_cmp_eq_u64_e32 vcc, 0, v[8:9]
	s_mov_b32 s0, 0x5040100
	s_or_b64 s[2:3], vcc, s[2:3]
	s_waitcnt vmcnt(1)
	v_alignbit_b32 v31, v34, v31, 16
	s_waitcnt vmcnt(0)
	v_perm_b32 v32, v11, v34, s0
	ds_write_b32 v10, v31
	v_add_u32_e32 v10, 4, v10
	v_mov_b32_e32 v31, v32
	s_andn2_b64 exec, exec, s[2:3]
	s_cbranch_execnz .LBB39_51
; %bb.52:                               ;   in Loop: Header=BB39_32 Depth=1
	s_or_b64 exec, exec, s[2:3]
	v_readlane_b32 s0, v60, 23
	v_add_co_u32_e32 v4, vcc, v2, v18
	v_readlane_b32 s1, v60, 24
	v_addc_co_u32_e32 v5, vcc, 0, v19, vcc
	v_add_co_u32_e32 v8, vcc, -1, v4
	s_orn2_b64 s[0:1], s[0:1], exec
	v_mov_b32_e32 v9, v28
	v_mov_b32_e32 v10, v29
.LBB39_53:                              ;   in Loop: Header=BB39_32 Depth=1
	s_or_b64 exec, exec, s[6:7]
	s_and_saveexec_b64 s[14:15], s[0:1]
	s_cbranch_execz .LBB39_57
; %bb.54:                               ;   in Loop: Header=BB39_32 Depth=1
	v_readlane_b32 s0, v60, 30
	v_readlane_b32 s1, v60, 31
	v_mov_b32_e32 v7, s1
	v_mov_b32_e32 v6, s0
	v_mad_u64_u32 v[6:7], s[0:1], s66, v4, v[6:7]
	v_mul_lo_u32 v2, s66, v5
	v_mul_lo_u32 v8, s67, v4
	s_mul_i32 s1, s67, s8
	s_mul_hi_u32 s2, s66, s8
	s_mov_b64 s[18:19], 0
	s_sub_u32 s0, 0, s8
	v_add3_u32 v7, v8, v7, v2
	s_add_i32 s1, s2, s1
	s_mul_i32 s2, s66, s8
.LBB39_55:                              ;   Parent Loop BB39_32 Depth=1
                                        ; =>  This Inner Loop Header: Depth=2
	global_load_ushort v2, v[6:7], off
	v_mov_b32_e32 v32, v5
	v_mov_b32_e32 v31, v4
	v_lshlrev_b32_e32 v4, 1, v9
	s_waitcnt vmcnt(1)
	ds_write_b16 v4, v11
	v_add_co_u32_e32 v4, vcc, s8, v31
	v_addc_co_u32_e32 v5, vcc, 0, v32, vcc
	v_add_co_u32_e32 v6, vcc, s2, v6
	v_mov_b32_e32 v8, s1
	v_addc_co_u32_e32 v7, vcc, v7, v8, vcc
	v_cmp_le_i64_e32 vcc, s[24:25], v[4:5]
	v_add_co_u32_e64 v8, s[6:7], s0, v4
	s_or_b64 s[18:19], vcc, s[18:19]
	v_mov_b32_e32 v9, v31
	v_mov_b32_e32 v10, v32
	s_waitcnt vmcnt(0)
	v_mov_b32_e32 v11, v2
	s_andn2_b64 exec, exec, s[18:19]
	s_cbranch_execnz .LBB39_55
; %bb.56:                               ;   in Loop: Header=BB39_32 Depth=1
	s_or_b64 exec, exec, s[18:19]
	v_mov_b32_e32 v11, v2
.LBB39_57:                              ;   in Loop: Header=BB39_32 Depth=1
	s_or_b64 exec, exec, s[14:15]
.LBB39_58:                              ;   in Loop: Header=BB39_32 Depth=1
	s_or_b64 exec, exec, s[12:13]
	v_lshlrev_b32_e32 v2, 1, v8
	s_waitcnt vmcnt(0)
	ds_write_b16 v2, v11
.LBB39_59:                              ;   in Loop: Header=BB39_32 Depth=1
	s_or_b64 exec, exec, s[10:11]
	s_waitcnt lgkmcnt(0)
	s_barrier
	s_and_saveexec_b64 s[0:1], s[64:65]
; %bb.60:                               ;   in Loop: Header=BB39_32 Depth=1
	v_mov_b32_e32 v4, s24
	v_mov_b32_e32 v5, s25
	ds_write_b64 v3, v[4:5] offset:5120
; %bb.61:                               ;   in Loop: Header=BB39_32 Depth=1
	s_or_b64 exec, exec, s[0:1]
	s_waitcnt lgkmcnt(0)
	s_barrier
	s_mov_b64 s[0:1], -1
.LBB39_62:                              ;   in Loop: Header=BB39_32 Depth=1
	s_and_b64 vcc, exec, s[0:1]
	s_cbranch_vccz .LBB39_64
; %bb.63:                               ;   in Loop: Header=BB39_32 Depth=1
	ds_read_b64 v[4:5], v3 offset:5120
	s_waitcnt lgkmcnt(0)
	v_readfirstlane_b32 s26, v4
.LBB39_64:                              ;   in Loop: Header=BB39_32 Depth=1
	s_cmp_lt_i32 s26, 1
	s_mov_b64 s[0:1], -1
                                        ; implicit-def: $vgpr4_vgpr5
                                        ; implicit-def: $vgpr8_vgpr9
	s_cbranch_scc1 .LBB39_74
; %bb.65:                               ;   in Loop: Header=BB39_32 Depth=1
	s_and_b64 vcc, exec, s[0:1]
	s_cbranch_vccnz .LBB39_88
.LBB39_66:                              ;   in Loop: Header=BB39_32 Depth=1
	s_lshl_b32 s2, s69, 6
	s_and_saveexec_b64 s[0:1], s[4:5]
	s_cbranch_execz .LBB39_68
.LBB39_67:                              ;   in Loop: Header=BB39_32 Depth=1
	v_lshl_add_u32 v2, s2, 3, v46
	ds_write_b128 v2, v[4:7]
	ds_write_b128 v2, v[8:11] offset:16
.LBB39_68:                              ;   in Loop: Header=BB39_32 Depth=1
	s_or_b64 exec, exec, s[0:1]
	s_waitcnt lgkmcnt(0)
	s_barrier
	s_mov_b64 s[6:7], exec
	v_readlane_b32 s0, v60, 8
	v_readlane_b32 s1, v60, 9
	s_and_b64 s[0:1], s[6:7], s[0:1]
	s_mov_b64 exec, s[0:1]
	s_cbranch_execz .LBB39_106
; %bb.69:                               ;   in Loop: Header=BB39_32 Depth=1
	v_readlane_b32 s0, v60, 16
	v_mov_b32_e32 v4, 0
	v_readlane_b32 s1, v60, 17
	v_mov_b32_e32 v5, 0
	s_andn2_b64 vcc, exec, s[0:1]
	s_cbranch_vccnz .LBB39_105
; %bb.70:                               ;   in Loop: Header=BB39_32 Depth=1
	v_readlane_b32 s0, v60, 25
	v_readlane_b32 s1, v60, 26
	s_andn2_b64 vcc, exec, s[0:1]
	s_cbranch_vccnz .LBB39_101
; %bb.71:                               ;   in Loop: Header=BB39_32 Depth=1
	v_mov_b32_e32 v4, 0
	v_lshl_add_u32 v2, s69, 9, v49
	v_mov_b32_e32 v5, 0
	s_mov_b32 s0, 0
.LBB39_72:                              ;   Parent Loop BB39_32 Depth=1
                                        ; =>  This Inner Loop Header: Depth=2
	ds_read2_b64 v[6:9], v2 offset1:4
	ds_read2_b64 v[31:34], v2 offset0:8 offset1:12
	ds_read2_b64 v[35:38], v2 offset0:16 offset1:20
	;; [unrolled: 1-line block ×3, first 2 shown]
	s_add_i32 s0, s0, 8
	s_waitcnt lgkmcnt(3)
	v_add_co_u32_e32 v4, vcc, v6, v4
	v_addc_co_u32_e32 v5, vcc, v7, v5, vcc
	v_add_co_u32_e32 v4, vcc, v8, v4
	v_addc_co_u32_e32 v5, vcc, v9, v5, vcc
	s_waitcnt lgkmcnt(2)
	v_add_co_u32_e32 v4, vcc, v31, v4
	v_addc_co_u32_e32 v5, vcc, v32, v5, vcc
	v_add_co_u32_e32 v4, vcc, v33, v4
	v_addc_co_u32_e32 v5, vcc, v34, v5, vcc
	;; [unrolled: 5-line block ×3, first 2 shown]
	s_waitcnt lgkmcnt(0)
	v_add_co_u32_e32 v4, vcc, v56, v4
	v_addc_co_u32_e32 v5, vcc, v57, v5, vcc
	v_add_co_u32_e32 v4, vcc, v58, v4
	v_add_u32_e32 v2, 0x100, v2
	s_cmp_eq_u32 s17, s0
	v_addc_co_u32_e32 v5, vcc, v59, v5, vcc
	s_cbranch_scc0 .LBB39_72
; %bb.73:                               ;   in Loop: Header=BB39_32 Depth=1
	s_mov_b32 s0, s17
	s_branch .LBB39_102
.LBB39_74:                              ;   in Loop: Header=BB39_32 Depth=1
	global_load_ushort v2, v3, s[58:59]
	s_mov_b32 s0, s47
	s_waitcnt vmcnt(0)
	v_readfirstlane_b32 s1, v2
	s_and_b32 s8, s1, 0xffff
	s_lshl_b32 s2, s8, 2
	s_mov_b32 s1, s25
	s_cmp_lg_u64 s[0:1], 0
	s_cbranch_scc0 .LBB39_97
; %bb.75:                               ;   in Loop: Header=BB39_32 Depth=1
	s_add_u32 s0, s2, 0
	s_addc_u32 s1, 0, 0
	s_xor_b64 s[6:7], s[0:1], 0
	v_cvt_f32_u32_e32 v2, s6
	v_cvt_f32_u32_e32 v4, s7
	s_sub_u32 s3, 0, s6
	s_subb_u32 s9, 0, s7
	v_mac_f32_e32 v2, 0x4f800000, v4
	v_rcp_f32_e32 v2, v2
	v_mul_f32_e32 v2, 0x5f7ffffc, v2
	v_mul_f32_e32 v4, 0x2f800000, v2
	v_trunc_f32_e32 v4, v4
	v_mac_f32_e32 v2, 0xcf800000, v4
	v_cvt_u32_f32_e32 v4, v4
	v_cvt_u32_f32_e32 v2, v2
	v_readfirstlane_b32 s10, v4
	v_readfirstlane_b32 s0, v2
	s_mul_i32 s1, s3, s10
	s_mul_hi_u32 s12, s3, s0
	s_mul_i32 s11, s9, s0
	s_add_i32 s1, s12, s1
	s_mul_i32 s13, s3, s0
	s_add_i32 s1, s1, s11
	s_mul_i32 s12, s0, s1
	s_mul_hi_u32 s14, s0, s13
	s_mul_hi_u32 s11, s0, s1
	s_add_u32 s12, s14, s12
	s_addc_u32 s11, 0, s11
	s_mul_hi_u32 s15, s10, s13
	s_mul_i32 s13, s10, s13
	s_add_u32 s12, s12, s13
	s_mul_hi_u32 s14, s10, s1
	s_addc_u32 s11, s11, s15
	s_addc_u32 s12, s14, 0
	s_mul_i32 s1, s10, s1
	s_add_u32 s1, s11, s1
	s_addc_u32 s11, 0, s12
	s_add_u32 s12, s0, s1
	s_cselect_b64 s[0:1], -1, 0
	s_cmp_lg_u64 s[0:1], 0
	s_addc_u32 s10, s10, s11
	s_mul_i32 s0, s3, s10
	s_mul_hi_u32 s1, s3, s12
	s_add_i32 s0, s1, s0
	s_mul_i32 s9, s9, s12
	s_add_i32 s0, s0, s9
	s_mul_i32 s3, s3, s12
	s_mul_hi_u32 s9, s10, s3
	s_mul_i32 s11, s10, s3
	s_mul_i32 s14, s12, s0
	s_mul_hi_u32 s3, s12, s3
	s_mul_hi_u32 s13, s12, s0
	s_add_u32 s3, s3, s14
	s_addc_u32 s13, 0, s13
	s_add_u32 s3, s3, s11
	s_mul_hi_u32 s1, s10, s0
	s_addc_u32 s3, s13, s9
	s_addc_u32 s1, s1, 0
	s_mul_i32 s0, s10, s0
	s_add_u32 s0, s3, s0
	s_addc_u32 s3, 0, s1
	s_add_u32 s9, s12, s0
	s_cselect_b64 s[0:1], -1, 0
	s_cmp_lg_u64 s[0:1], 0
	s_addc_u32 s3, s10, s3
	s_ashr_i32 s0, s25, 31
	s_add_u32 s10, s24, s0
	s_mov_b32 s1, s0
	s_addc_u32 s11, s25, s0
	s_xor_b64 s[10:11], s[10:11], s[0:1]
	s_mul_i32 s13, s10, s3
	s_mul_hi_u32 s14, s10, s9
	s_mul_hi_u32 s12, s10, s3
	s_add_u32 s13, s14, s13
	s_addc_u32 s12, 0, s12
	s_mul_hi_u32 s15, s11, s9
	s_mul_i32 s9, s11, s9
	s_add_u32 s9, s13, s9
	s_mul_hi_u32 s14, s11, s3
	s_addc_u32 s9, s12, s15
	s_addc_u32 s12, s14, 0
	s_mul_i32 s3, s11, s3
	s_add_u32 s3, s9, s3
	s_addc_u32 s9, 0, s12
	s_mul_i32 s9, s6, s9
	s_mul_hi_u32 s12, s6, s3
	s_add_i32 s9, s12, s9
	s_mul_i32 s12, s7, s3
	s_add_i32 s9, s9, s12
	s_sub_i32 s14, s11, s9
	s_mul_i32 s3, s6, s3
	s_sub_u32 s3, s10, s3
	s_cselect_b64 s[12:13], -1, 0
	s_cmp_lg_u64 s[12:13], 0
	s_subb_u32 s10, s14, s7
	s_sub_u32 s18, s3, s6
	s_cselect_b64 s[14:15], -1, 0
	s_cmp_lg_u64 s[14:15], 0
	s_subb_u32 s19, s10, 0
	s_cmp_ge_u32 s19, s7
	s_cselect_b32 s20, -1, 0
	s_cmp_ge_u32 s18, s6
	s_cselect_b32 s21, -1, 0
	s_cmp_eq_u32 s19, s7
	s_cselect_b32 s20, s21, s20
	s_cmp_lg_u64 s[14:15], 0
	s_subb_u32 s10, s10, s7
	s_sub_u32 s21, s18, s6
	s_cselect_b64 s[14:15], -1, 0
	s_cmp_lg_u64 s[14:15], 0
	s_subb_u32 s10, s10, 0
	s_cmp_lg_u32 s20, 0
	s_cselect_b32 s14, s21, s18
	s_cselect_b32 s10, s10, s19
	s_cmp_lg_u64 s[12:13], 0
	s_subb_u32 s9, s11, s9
	s_cmp_ge_u32 s9, s7
	s_cselect_b32 s11, -1, 0
	s_cmp_ge_u32 s3, s6
	s_cselect_b32 s6, -1, 0
	s_cmp_eq_u32 s9, s7
	s_cselect_b32 s6, s6, s11
	s_cmp_lg_u32 s6, 0
	s_cselect_b32 s7, s10, s9
	s_cselect_b32 s6, s14, s3
	s_xor_b64 s[6:7], s[6:7], s[0:1]
	s_sub_u32 s84, s6, s0
	s_subb_u32 s85, s7, s0
	s_cbranch_execnz .LBB39_77
.LBB39_76:                              ;   in Loop: Header=BB39_32 Depth=1
	v_cvt_f32_u32_e32 v2, s2
	s_sub_i32 s0, 0, s2
	v_rcp_iflag_f32_e32 v2, v2
	v_mul_f32_e32 v2, 0x4f7ffffe, v2
	v_cvt_u32_f32_e32 v2, v2
	v_readfirstlane_b32 s1, v2
	s_mul_i32 s0, s0, s1
	s_mul_hi_u32 s0, s1, s0
	s_add_i32 s1, s1, s0
	s_mul_hi_u32 s0, s24, s1
	s_mul_i32 s0, s0, s2
	s_sub_i32 s0, s24, s0
	s_sub_i32 s1, s0, s2
	s_cmp_ge_u32 s0, s2
	s_cselect_b32 s0, s1, s0
	s_sub_i32 s1, s0, s2
	s_cmp_ge_u32 s0, s2
	s_cselect_b32 s46, s1, s0
	s_mov_b64 s[84:85], s[46:47]
.LBB39_77:                              ;   in Loop: Header=BB39_32 Depth=1
	s_sub_u32 s86, s24, s84
	s_subb_u32 s87, s25, s85
	v_cmp_gt_i64_e32 vcc, s[86:87], v[16:17]
	v_mov_b32_e32 v4, 0
	v_mov_b32_e32 v6, 0
	;; [unrolled: 1-line block ×8, first 2 shown]
	s_and_saveexec_b64 s[88:89], vcc
	s_cbranch_execz .LBB39_81
; %bb.78:                               ;   in Loop: Header=BB39_32 Depth=1
	v_readlane_b32 s6, v60, 32
	v_readlane_b32 s7, v60, 33
	s_mul_i32 s0, s7, s8
	s_mul_hi_u32 s1, s6, s8
	v_mov_b32_e32 v32, v27
	v_mov_b32_e32 v34, v25
	;; [unrolled: 1-line block ×5, first 2 shown]
	s_add_i32 s0, s1, s0
	s_mul_i32 s1, s6, s8
	s_mov_b64 s[90:91], 0
	v_mov_b32_e32 v31, v26
	v_mov_b32_e32 v33, v24
	;; [unrolled: 1-line block ×4, first 2 shown]
	s_mov_b64 s[92:93], 0
	s_mov_b64 s[94:95], 0
	;; [unrolled: 1-line block ×4, first 2 shown]
	v_mov_b32_e32 v39, v16
.LBB39_79:                              ;   Parent Loop BB39_32 Depth=1
                                        ; =>  This Inner Loop Header: Depth=2
	v_add_co_u32_e32 v4, vcc, s48, v31
	v_mov_b32_e32 v2, s49
	v_addc_co_u32_e32 v5, vcc, v32, v2, vcc
	global_load_sshort v6, v[4:5], off
	v_add_co_u32_e32 v4, vcc, s48, v33
	v_addc_co_u32_e32 v5, vcc, v34, v2, vcc
	global_load_sshort v7, v[4:5], off
	v_add_co_u32_e32 v4, vcc, s48, v35
	;; [unrolled: 3-line block ×3, first 2 shown]
	v_addc_co_u32_e32 v5, vcc, v38, v2, vcc
	global_load_sshort v2, v[4:5], off
	s_waitcnt vmcnt(3)
	v_add_u32_e32 v4, 0x8000, v6
	s_waitcnt vmcnt(2)
	v_add_u32_e32 v5, 0x8000, v7
	v_and_b32_e32 v7, v4, v54
	v_bfe_u32 v4, v4, s51, 2
	v_cmp_eq_u32_e32 vcc, v7, v50
	v_and_b32_e32 v7, v5, v54
	s_waitcnt vmcnt(1)
	v_add_u32_e32 v6, 0x8000, v8
	v_bfe_u32 v5, v5, s51, 2
	v_cmp_eq_u32_e64 s[20:21], 0, v4
	v_cmp_eq_u32_e64 s[6:7], v7, v50
	v_and_b32_e32 v7, v6, v54
	s_waitcnt vmcnt(0)
	v_add_u32_e32 v2, 0x8000, v2
	v_bfe_u32 v6, v6, s51, 2
	s_and_b64 s[10:11], vcc, s[20:21]
	v_cmp_eq_u32_e64 s[20:21], 0, v5
	v_cmp_eq_u32_e64 s[14:15], v7, v50
	v_and_b32_e32 v7, v2, v54
	v_bfe_u32 v2, v2, s51, 2
	s_and_b64 s[12:13], s[6:7], s[20:21]
	v_cmp_eq_u32_e64 s[20:21], 0, v6
	v_cmp_eq_u32_e64 s[18:19], v7, v50
	s_and_b64 s[36:37], s[14:15], s[20:21]
	v_cmp_eq_u32_e64 s[20:21], 0, v2
	v_cndmask_b32_e64 v7, 0, 1, s[10:11]
	s_and_b64 s[44:45], s[18:19], s[20:21]
	v_cmp_ne_u32_e64 s[20:21], 0, v7
	v_cndmask_b32_e64 v7, 0, 1, s[12:13]
	s_bcnt1_i32_b64 s3, s[20:21]
	v_cmp_ne_u32_e64 s[20:21], 0, v7
	v_cndmask_b32_e64 v7, 0, 1, s[36:37]
	s_bcnt1_i32_b64 s9, s[20:21]
	;; [unrolled: 3-line block ×3, first 2 shown]
	v_cmp_ne_u32_e64 s[20:21], 0, v7
	s_bcnt1_i32_b64 s11, s[20:21]
	s_add_u32 s3, s3, s42
	s_addc_u32 s12, 0, s43
	s_add_u32 s3, s3, s9
	s_addc_u32 s9, s12, 0
	;; [unrolled: 2-line block ×3, first 2 shown]
	s_add_u32 s42, s3, s11
	v_cmp_eq_u32_e64 s[20:21], 1, v4
	s_addc_u32 s43, s9, 0
	s_and_b64 s[10:11], vcc, s[20:21]
	v_cmp_eq_u32_e64 s[20:21], 1, v5
	s_and_b64 s[12:13], s[6:7], s[20:21]
	v_cmp_eq_u32_e64 s[20:21], 1, v6
	s_and_b64 s[36:37], s[14:15], s[20:21]
	v_cmp_eq_u32_e64 s[20:21], 1, v2
	v_cndmask_b32_e64 v7, 0, 1, s[10:11]
	s_and_b64 s[44:45], s[18:19], s[20:21]
	v_cmp_ne_u32_e64 s[20:21], 0, v7
	v_cndmask_b32_e64 v7, 0, 1, s[12:13]
	s_bcnt1_i32_b64 s3, s[20:21]
	v_cmp_ne_u32_e64 s[20:21], 0, v7
	v_cndmask_b32_e64 v7, 0, 1, s[36:37]
	s_bcnt1_i32_b64 s9, s[20:21]
	;; [unrolled: 3-line block ×3, first 2 shown]
	v_cmp_ne_u32_e64 s[20:21], 0, v7
	s_bcnt1_i32_b64 s11, s[20:21]
	s_add_u32 s3, s3, s40
	s_addc_u32 s12, 0, s41
	s_add_u32 s3, s3, s9
	s_addc_u32 s9, s12, 0
	;; [unrolled: 2-line block ×3, first 2 shown]
	s_add_u32 s40, s3, s11
	v_cmp_eq_u32_e64 s[20:21], 2, v4
	s_addc_u32 s41, s9, 0
	s_and_b64 s[10:11], vcc, s[20:21]
	v_cmp_eq_u32_e64 s[20:21], 2, v5
	s_and_b64 s[12:13], s[6:7], s[20:21]
	v_cmp_eq_u32_e64 s[20:21], 2, v6
	s_and_b64 s[36:37], s[14:15], s[20:21]
	v_cmp_eq_u32_e64 s[20:21], 2, v2
	v_cndmask_b32_e64 v7, 0, 1, s[10:11]
	s_and_b64 s[44:45], s[18:19], s[20:21]
	v_cmp_ne_u32_e64 s[20:21], 0, v7
	v_cndmask_b32_e64 v7, 0, 1, s[12:13]
	s_bcnt1_i32_b64 s3, s[20:21]
	v_cmp_ne_u32_e64 s[20:21], 0, v7
	v_cndmask_b32_e64 v7, 0, 1, s[36:37]
	s_bcnt1_i32_b64 s9, s[20:21]
	;; [unrolled: 3-line block ×3, first 2 shown]
	v_cmp_ne_u32_e64 s[20:21], 0, v7
	s_bcnt1_i32_b64 s11, s[20:21]
	s_add_u32 s3, s3, s94
	s_addc_u32 s12, 0, s95
	s_add_u32 s3, s3, s9
	s_addc_u32 s9, s12, 0
	;; [unrolled: 2-line block ×3, first 2 shown]
	s_add_u32 s94, s3, s11
	v_cmp_eq_u32_e64 s[20:21], 3, v4
	s_addc_u32 s95, s9, 0
	s_and_b64 s[10:11], vcc, s[20:21]
	v_cmp_eq_u32_e32 vcc, 3, v5
	s_and_b64 s[6:7], s[6:7], vcc
	v_cmp_eq_u32_e32 vcc, 3, v6
	s_and_b64 s[12:13], s[14:15], vcc
	v_cmp_eq_u32_e32 vcc, 3, v2
	v_cndmask_b32_e64 v2, 0, 1, s[10:11]
	s_and_b64 s[14:15], s[18:19], vcc
	v_cmp_ne_u32_e32 vcc, 0, v2
	v_cndmask_b32_e64 v2, 0, 1, s[6:7]
	s_bcnt1_i32_b64 s3, vcc
	v_cmp_ne_u32_e32 vcc, 0, v2
	v_cndmask_b32_e64 v2, 0, 1, s[12:13]
	s_bcnt1_i32_b64 s6, vcc
	;; [unrolled: 3-line block ×3, first 2 shown]
	v_cmp_ne_u32_e32 vcc, 0, v2
	s_bcnt1_i32_b64 s9, vcc
	v_add_co_u32_e32 v39, vcc, s2, v39
	v_addc_co_u32_e32 v40, vcc, 0, v40, vcc
	v_add_co_u32_e32 v37, vcc, s1, v37
	v_mov_b32_e32 v2, s0
	v_addc_co_u32_e32 v38, vcc, v38, v2, vcc
	s_add_u32 s3, s3, s92
	v_add_co_u32_e32 v35, vcc, s1, v35
	s_addc_u32 s10, 0, s93
	v_addc_co_u32_e32 v36, vcc, v36, v2, vcc
	s_add_u32 s3, s3, s6
	v_add_co_u32_e32 v33, vcc, s1, v33
	s_addc_u32 s6, s10, 0
	;; [unrolled: 4-line block ×3, first 2 shown]
	v_addc_co_u32_e32 v32, vcc, v32, v2, vcc
	s_add_u32 s92, s3, s9
	v_cmp_le_i64_e32 vcc, s[86:87], v[39:40]
	s_addc_u32 s93, s6, 0
	v_mov_b32_e32 v4, s42
	v_mov_b32_e32 v6, s40
	;; [unrolled: 1-line block ×4, first 2 shown]
	s_or_b64 s[90:91], vcc, s[90:91]
	v_mov_b32_e32 v5, s43
	v_mov_b32_e32 v7, s41
	v_mov_b32_e32 v9, s95
	v_mov_b32_e32 v11, s93
	s_andn2_b64 exec, exec, s[90:91]
	s_cbranch_execnz .LBB39_79
; %bb.80:                               ;   in Loop: Header=BB39_32 Depth=1
	s_or_b64 exec, exec, s[90:91]
.LBB39_81:                              ;   in Loop: Header=BB39_32 Depth=1
	s_or_b64 exec, exec, s[88:89]
	v_mov_b32_e32 v2, s87
	v_add_co_u32_e32 v31, vcc, s86, v0
	v_addc_co_u32_e32 v32, vcc, 0, v2, vcc
	v_cmp_gt_i64_e32 vcc, s[24:25], v[31:32]
	s_and_saveexec_b64 s[10:11], vcc
	s_cbranch_execz .LBB39_87
; %bb.82:                               ;   in Loop: Header=BB39_32 Depth=1
	v_mul_lo_u32 v2, v32, s30
	v_mul_lo_u32 v35, v31, s31
	v_mad_u64_u32 v[33:34], s[0:1], v31, s30, 0
	v_readlane_b32 s0, v60, 30
	v_readlane_b32 s1, v60, 31
	v_add3_u32 v34, v34, v35, v2
	v_lshlrev_b64 v[33:34], 1, v[33:34]
	v_mov_b32_e32 v2, s55
	v_add_co_u32_e32 v33, vcc, s54, v33
	v_addc_co_u32_e32 v34, vcc, v2, v34, vcc
	global_load_ushort v2, v[33:34], off
	v_add_co_u32_e32 v33, vcc, s8, v47
	v_addc_co_u32_e32 v34, vcc, 0, v48, vcc
	v_mov_b32_e32 v35, s85
	v_subrev_co_u32_e32 v36, vcc, s84, v33
	v_subb_co_u32_e32 v33, vcc, v34, v35, vcc
	v_mul_lo_u32 v35, s66, v33
	v_mov_b32_e32 v34, s1
	v_mov_b32_e32 v33, s0
	v_mul_lo_u32 v37, s67, v36
	v_mad_u64_u32 v[33:34], s[0:1], s66, v36, v[33:34]
	s_mul_i32 s0, s67, s8
	s_mul_hi_u32 s1, s66, s8
	v_add3_u32 v34, v37, v34, v35
	s_add_i32 s9, s1, s0
	s_mul_i32 s12, s66, s8
	s_mov_b64 s[2:3], 0
	s_branch .LBB39_84
.LBB39_83:                              ;   in Loop: Header=BB39_84 Depth=2
	s_or_b64 exec, exec, s[0:1]
	s_waitcnt vmcnt(0)
	v_add_u32_sdwa v2, sext(v2), s50 dst_sel:DWORD dst_unused:UNUSED_PAD src0_sel:WORD_0 src1_sel:DWORD
	s_and_b64 s[0:1], exec, vcc
	v_and_b32_e32 v36, v2, v54
	v_bfe_u32 v2, v2, s51, 2
	s_or_b64 s[2:3], s[0:1], s[2:3]
	v_cmp_eq_u32_e32 vcc, v36, v50
	v_cmp_eq_u32_e64 s[6:7], 0, v2
	s_and_b64 s[0:1], vcc, s[6:7]
	v_cndmask_b32_e64 v36, 0, 1, s[0:1]
	v_cmp_ne_u32_e64 s[6:7], 0, v36
	s_bcnt1_i32_b64 s0, s[6:7]
	v_add_co_u32_e64 v4, s[6:7], s0, v4
	v_addc_co_u32_e64 v5, s[6:7], 0, v5, s[6:7]
	v_cmp_eq_u32_e64 s[6:7], 1, v2
	s_and_b64 s[0:1], vcc, s[6:7]
	v_cndmask_b32_e64 v36, 0, 1, s[0:1]
	v_cmp_ne_u32_e64 s[6:7], 0, v36
	s_bcnt1_i32_b64 s0, s[6:7]
	v_add_co_u32_e64 v6, s[6:7], s0, v6
	v_addc_co_u32_e64 v7, s[6:7], 0, v7, s[6:7]
	;; [unrolled: 7-line block ×3, first 2 shown]
	v_cmp_eq_u32_e64 s[6:7], 3, v2
	s_and_b64 s[0:1], vcc, s[6:7]
	v_cndmask_b32_e64 v2, 0, 1, s[0:1]
	v_cmp_ne_u32_e32 vcc, 0, v2
	s_bcnt1_i32_b64 s0, vcc
	v_add_co_u32_e32 v10, vcc, s0, v10
	v_addc_co_u32_e32 v11, vcc, 0, v11, vcc
	v_mov_b32_e32 v2, s9
	v_add_co_u32_e32 v33, vcc, s12, v33
	v_addc_co_u32_e32 v34, vcc, v34, v2, vcc
	v_mov_b32_e32 v2, v35
	s_andn2_b64 exec, exec, s[2:3]
	s_cbranch_execz .LBB39_86
.LBB39_84:                              ;   Parent Loop BB39_32 Depth=1
                                        ; =>  This Inner Loop Header: Depth=2
	v_add_co_u32_e32 v31, vcc, s8, v31
	v_addc_co_u32_e32 v32, vcc, 0, v32, vcc
	v_cmp_gt_i64_e64 s[6:7], s[24:25], v[31:32]
	v_cmp_le_i64_e32 vcc, s[24:25], v[31:32]
	v_mov_b32_e32 v35, 0
	s_and_saveexec_b64 s[0:1], s[6:7]
	s_cbranch_execz .LBB39_83
; %bb.85:                               ;   in Loop: Header=BB39_84 Depth=2
	global_load_ushort v35, v[33:34], off
	s_branch .LBB39_83
.LBB39_86:                              ;   in Loop: Header=BB39_32 Depth=1
	s_or_b64 exec, exec, s[2:3]
.LBB39_87:                              ;   in Loop: Header=BB39_32 Depth=1
	s_or_b64 exec, exec, s[10:11]
	s_branch .LBB39_66
.LBB39_88:                              ;   in Loop: Header=BB39_32 Depth=1
	global_load_ushort v2, v3, s[58:59]
	v_mov_b32_e32 v8, 0
	v_mov_b32_e32 v9, 0
	s_waitcnt vmcnt(0)
	v_readfirstlane_b32 s0, v2
	s_and_b32 s0, 0xffff, s0
	s_lshl_b32 s1, s0, 2
	v_cvt_f32_u32_e32 v4, s1
	s_sub_i32 s2, 0, s1
	v_rcp_iflag_f32_e32 v6, v4
	v_mov_b32_e32 v4, 0
	v_mov_b32_e32 v5, 0
	v_mul_f32_e32 v6, 0x4f7ffffe, v6
	v_cvt_u32_f32_e32 v10, v6
	v_mov_b32_e32 v6, 0
	v_mov_b32_e32 v7, 0
	v_readfirstlane_b32 s3, v10
	s_mul_i32 s2, s2, s3
	s_mul_hi_u32 s2, s3, s2
	s_add_i32 s3, s3, s2
	s_mul_hi_u32 s2, s26, s3
	s_mul_i32 s3, s2, s1
	s_sub_i32 s3, s26, s3
	s_add_i32 s6, s2, 1
	s_sub_i32 s7, s3, s1
	s_cmp_ge_u32 s3, s1
	s_cselect_b32 s2, s6, s2
	s_cselect_b32 s3, s7, s3
	s_add_i32 s6, s2, 1
	s_cmp_ge_u32 s3, s1
	s_cselect_b32 s2, s6, s2
	s_mul_hi_u32 s41, s0, s2
	s_mul_i32 s40, s0, s2
	s_lshl_b64 s[42:43], s[40:41], 2
	v_cmp_gt_u64_e32 vcc, s[42:43], v[16:17]
	v_mov_b32_e32 v10, 0
	v_mov_b32_e32 v11, 0
	s_and_saveexec_b64 s[84:85], vcc
	s_cbranch_execz .LBB39_92
; %bb.89:                               ;   in Loop: Header=BB39_32 Depth=1
	v_mov_b32_e32 v32, v17
	s_lshl_b32 s2, s0, 3
	s_mov_b64 s[86:87], 0
	v_mov_b32_e32 v33, v42
	s_mov_b64 s[88:89], 0
	s_mov_b64 s[90:91], 0
	;; [unrolled: 1-line block ×4, first 2 shown]
	v_mov_b32_e32 v31, v16
.LBB39_90:                              ;   Parent Loop BB39_32 Depth=1
                                        ; =>  This Inner Loop Header: Depth=2
	ds_read_b64 v[4:5], v33
	v_add_u32_e32 v33, s2, v33
	s_waitcnt lgkmcnt(0)
	v_add_u32_sdwa v6, sext(v4), s50 dst_sel:DWORD dst_unused:UNUSED_PAD src0_sel:WORD_0 src1_sel:DWORD
	v_add_u32_sdwa v4, sext(v4), s50 dst_sel:DWORD dst_unused:UNUSED_PAD src0_sel:WORD_1 src1_sel:DWORD
	v_and_b32_e32 v8, v6, v54
	v_bfe_u32 v6, v6, s51, 2
	v_add_u32_sdwa v7, sext(v5), s50 dst_sel:DWORD dst_unused:UNUSED_PAD src0_sel:WORD_0 src1_sel:DWORD
	v_cmp_eq_u32_e32 vcc, v8, v50
	v_and_b32_e32 v8, v4, v54
	v_bfe_u32 v4, v4, s51, 2
	v_cmp_eq_u32_e64 s[20:21], 0, v6
	v_add_u32_sdwa v5, sext(v5), s50 dst_sel:DWORD dst_unused:UNUSED_PAD src0_sel:WORD_1 src1_sel:DWORD
	v_cmp_eq_u32_e64 s[6:7], v8, v50
	v_and_b32_e32 v8, v7, v54
	v_bfe_u32 v7, v7, s51, 2
	s_and_b64 s[8:9], vcc, s[20:21]
	v_cmp_eq_u32_e64 s[20:21], 0, v4
	v_cmp_eq_u32_e64 s[14:15], v8, v50
	v_and_b32_e32 v8, v5, v54
	v_bfe_u32 v5, v5, s51, 2
	s_and_b64 s[10:11], s[6:7], s[20:21]
	v_cmp_eq_u32_e64 s[20:21], 0, v7
	v_cmp_eq_u32_e64 s[18:19], v8, v50
	s_and_b64 s[12:13], s[14:15], s[20:21]
	v_cmp_eq_u32_e64 s[20:21], 0, v5
	v_cndmask_b32_e64 v8, 0, 1, s[8:9]
	s_and_b64 s[36:37], s[18:19], s[20:21]
	v_cmp_ne_u32_e64 s[20:21], 0, v8
	v_cndmask_b32_e64 v8, 0, 1, s[10:11]
	s_bcnt1_i32_b64 s3, s[20:21]
	v_cmp_ne_u32_e64 s[20:21], 0, v8
	v_cndmask_b32_e64 v8, 0, 1, s[12:13]
	s_bcnt1_i32_b64 s8, s[20:21]
	;; [unrolled: 3-line block ×3, first 2 shown]
	v_cmp_ne_u32_e64 s[20:21], 0, v8
	s_bcnt1_i32_b64 s10, s[20:21]
	s_add_u32 s3, s3, s94
	s_addc_u32 s11, 0, s95
	s_add_u32 s3, s3, s8
	s_addc_u32 s8, s11, 0
	;; [unrolled: 2-line block ×3, first 2 shown]
	s_add_u32 s94, s3, s10
	v_cmp_eq_u32_e64 s[20:21], 1, v6
	s_addc_u32 s95, s8, 0
	s_and_b64 s[8:9], vcc, s[20:21]
	v_cmp_eq_u32_e64 s[20:21], 1, v4
	s_and_b64 s[10:11], s[6:7], s[20:21]
	v_cmp_eq_u32_e64 s[20:21], 1, v7
	s_and_b64 s[12:13], s[14:15], s[20:21]
	v_cmp_eq_u32_e64 s[20:21], 1, v5
	v_cndmask_b32_e64 v8, 0, 1, s[8:9]
	s_and_b64 s[36:37], s[18:19], s[20:21]
	v_cmp_ne_u32_e64 s[20:21], 0, v8
	v_cndmask_b32_e64 v8, 0, 1, s[10:11]
	s_bcnt1_i32_b64 s3, s[20:21]
	v_cmp_ne_u32_e64 s[20:21], 0, v8
	v_cndmask_b32_e64 v8, 0, 1, s[12:13]
	s_bcnt1_i32_b64 s8, s[20:21]
	;; [unrolled: 3-line block ×3, first 2 shown]
	v_cmp_ne_u32_e64 s[20:21], 0, v8
	s_bcnt1_i32_b64 s10, s[20:21]
	s_add_u32 s3, s3, s92
	s_addc_u32 s11, 0, s93
	s_add_u32 s3, s3, s8
	s_addc_u32 s8, s11, 0
	;; [unrolled: 2-line block ×3, first 2 shown]
	s_add_u32 s92, s3, s10
	v_cmp_eq_u32_e64 s[20:21], 2, v6
	s_addc_u32 s93, s8, 0
	s_and_b64 s[8:9], vcc, s[20:21]
	v_cmp_eq_u32_e64 s[20:21], 2, v4
	s_and_b64 s[10:11], s[6:7], s[20:21]
	v_cmp_eq_u32_e64 s[20:21], 2, v7
	s_and_b64 s[12:13], s[14:15], s[20:21]
	v_cmp_eq_u32_e64 s[20:21], 2, v5
	v_cndmask_b32_e64 v8, 0, 1, s[8:9]
	s_and_b64 s[36:37], s[18:19], s[20:21]
	v_cmp_ne_u32_e64 s[20:21], 0, v8
	v_cndmask_b32_e64 v8, 0, 1, s[10:11]
	s_bcnt1_i32_b64 s3, s[20:21]
	v_cmp_ne_u32_e64 s[20:21], 0, v8
	v_cndmask_b32_e64 v8, 0, 1, s[12:13]
	s_bcnt1_i32_b64 s8, s[20:21]
	;; [unrolled: 3-line block ×3, first 2 shown]
	v_cmp_ne_u32_e64 s[20:21], 0, v8
	s_bcnt1_i32_b64 s10, s[20:21]
	s_add_u32 s3, s3, s90
	s_addc_u32 s11, 0, s91
	s_add_u32 s3, s3, s8
	s_addc_u32 s8, s11, 0
	;; [unrolled: 2-line block ×3, first 2 shown]
	s_add_u32 s90, s3, s10
	v_cmp_eq_u32_e64 s[20:21], 3, v6
	s_addc_u32 s91, s8, 0
	s_and_b64 s[8:9], vcc, s[20:21]
	v_cmp_eq_u32_e32 vcc, 3, v4
	s_and_b64 s[6:7], s[6:7], vcc
	v_cmp_eq_u32_e32 vcc, 3, v7
	s_and_b64 s[10:11], s[14:15], vcc
	v_cmp_eq_u32_e32 vcc, 3, v5
	v_cndmask_b32_e64 v4, 0, 1, s[8:9]
	s_and_b64 s[12:13], s[18:19], vcc
	v_cmp_ne_u32_e32 vcc, 0, v4
	v_cndmask_b32_e64 v4, 0, 1, s[6:7]
	s_bcnt1_i32_b64 s3, vcc
	v_cmp_ne_u32_e32 vcc, 0, v4
	v_cndmask_b32_e64 v4, 0, 1, s[10:11]
	s_bcnt1_i32_b64 s6, vcc
	;; [unrolled: 3-line block ×3, first 2 shown]
	v_cmp_ne_u32_e32 vcc, 0, v4
	s_bcnt1_i32_b64 s8, vcc
	s_add_u32 s3, s3, s88
	s_addc_u32 s9, 0, s89
	s_add_u32 s3, s3, s6
	s_addc_u32 s6, s9, 0
	s_add_u32 s3, s3, s7
	v_add_co_u32_e32 v31, vcc, s1, v31
	s_addc_u32 s6, s6, 0
	v_addc_co_u32_e32 v32, vcc, 0, v32, vcc
	s_add_u32 s88, s3, s8
	v_cmp_le_u64_e32 vcc, s[42:43], v[31:32]
	s_addc_u32 s89, s6, 0
	v_mov_b32_e32 v4, s94
	v_mov_b32_e32 v6, s92
	;; [unrolled: 1-line block ×4, first 2 shown]
	s_or_b64 s[86:87], vcc, s[86:87]
	v_mov_b32_e32 v5, s95
	v_mov_b32_e32 v7, s93
	;; [unrolled: 1-line block ×4, first 2 shown]
	s_andn2_b64 exec, exec, s[86:87]
	s_cbranch_execnz .LBB39_90
; %bb.91:                               ;   in Loop: Header=BB39_32 Depth=1
	s_or_b64 exec, exec, s[86:87]
.LBB39_92:                              ;   in Loop: Header=BB39_32 Depth=1
	s_or_b64 exec, exec, s[84:85]
	v_mov_b32_e32 v32, s43
	v_add_co_u32_e32 v31, vcc, s42, v0
	s_and_b32 s46, s26, 0x7fffffff
	v_addc_co_u32_e32 v32, vcc, 0, v32, vcc
	v_cmp_gt_u64_e32 vcc, s[46:47], v[31:32]
	s_and_saveexec_b64 s[10:11], vcc
	s_cbranch_execz .LBB39_96
; %bb.93:                               ;   in Loop: Header=BB39_32 Depth=1
	v_lshl_add_u32 v33, s40, 3, v51
	s_lshl_b32 s0, s0, 1
	s_mov_b64 s[12:13], 0
.LBB39_94:                              ;   Parent Loop BB39_32 Depth=1
                                        ; =>  This Inner Loop Header: Depth=2
	ds_read_i16 v34, v33
	v_add_u32_e32 v33, s0, v33
	s_waitcnt lgkmcnt(0)
	v_add_u32_e32 v34, 0x8000, v34
	v_and_b32_e32 v35, v34, v54
	v_bfe_u32 v34, v34, s51, 2
	v_cmp_eq_u32_e32 vcc, v35, v50
	v_cmp_eq_u32_e64 s[6:7], 0, v34
	s_and_b64 s[2:3], vcc, s[6:7]
	v_cndmask_b32_e64 v35, 0, 1, s[2:3]
	v_cmp_ne_u32_e64 s[6:7], 0, v35
	s_bcnt1_i32_b64 s1, s[6:7]
	v_add_co_u32_e64 v4, s[6:7], s1, v4
	v_addc_co_u32_e64 v5, s[6:7], 0, v5, s[6:7]
	v_cmp_eq_u32_e64 s[6:7], 1, v34
	s_and_b64 s[2:3], vcc, s[6:7]
	v_cndmask_b32_e64 v35, 0, 1, s[2:3]
	v_cmp_ne_u32_e64 s[6:7], 0, v35
	s_bcnt1_i32_b64 s1, s[6:7]
	v_add_co_u32_e64 v6, s[6:7], s1, v6
	v_addc_co_u32_e64 v7, s[6:7], 0, v7, s[6:7]
	;; [unrolled: 7-line block ×3, first 2 shown]
	v_cmp_eq_u32_e64 s[6:7], 3, v34
	s_and_b64 s[2:3], vcc, s[6:7]
	v_cndmask_b32_e64 v34, 0, 1, s[2:3]
	v_cmp_ne_u32_e32 vcc, 0, v34
	s_bcnt1_i32_b64 s1, vcc
	v_add_co_u32_e32 v10, vcc, s1, v10
	v_addc_co_u32_e32 v11, vcc, 0, v11, vcc
	v_add_co_u32_sdwa v31, vcc, v31, v2 dst_sel:DWORD dst_unused:UNUSED_PAD src0_sel:DWORD src1_sel:WORD_0
	v_addc_co_u32_e32 v32, vcc, 0, v32, vcc
	v_cmp_le_u64_e32 vcc, s[46:47], v[31:32]
	s_or_b64 s[12:13], vcc, s[12:13]
	s_andn2_b64 exec, exec, s[12:13]
	s_cbranch_execnz .LBB39_94
; %bb.95:                               ;   in Loop: Header=BB39_32 Depth=1
	s_or_b64 exec, exec, s[12:13]
.LBB39_96:                              ;   in Loop: Header=BB39_32 Depth=1
	s_or_b64 exec, exec, s[10:11]
	s_lshl_b32 s2, s69, 6
	s_and_saveexec_b64 s[0:1], s[4:5]
	s_cbranch_execnz .LBB39_67
	s_branch .LBB39_68
.LBB39_97:                              ;   in Loop: Header=BB39_32 Depth=1
                                        ; implicit-def: $sgpr84_sgpr85
	s_branch .LBB39_76
.LBB39_98:                              ;   in Loop: Header=BB39_32 Depth=1
	s_or_b64 exec, exec, s[12:13]
	s_waitcnt lgkmcnt(0)
	s_barrier
	s_and_saveexec_b64 s[0:1], s[64:65]
	s_cbranch_execz .LBB39_100
; %bb.99:                               ;   in Loop: Header=BB39_32 Depth=1
	ds_read_b32 v4, v3 offset:5136
	s_waitcnt lgkmcnt(0)
	v_ashrrev_i32_e32 v5, 31, v4
	ds_write_b64 v3, v[4:5] offset:5120
.LBB39_100:                             ;   in Loop: Header=BB39_32 Depth=1
	s_or_b64 exec, exec, s[0:1]
	s_waitcnt lgkmcnt(0)
	s_barrier
	s_mov_b64 s[0:1], -1
	s_and_b64 vcc, exec, s[10:11]
	s_cbranch_vccnz .LBB39_47
	s_branch .LBB39_62
.LBB39_101:                             ;   in Loop: Header=BB39_32 Depth=1
	v_mov_b32_e32 v4, 0
	v_mov_b32_e32 v5, 0
	s_mov_b32 s0, 0
.LBB39_102:                             ;   in Loop: Header=BB39_32 Depth=1
	v_readlane_b32 s8, v60, 28
	v_readlane_b32 s9, v60, 29
	s_andn2_b64 vcc, exec, s[8:9]
	s_cbranch_vccnz .LBB39_105
; %bb.103:                              ;   in Loop: Header=BB39_32 Depth=1
	s_lshl_b32 s1, s69, 9
	s_lshl_b32 s0, s0, 5
	s_add_i32 s1, s1, s0
	v_add_u32_e32 v2, s1, v49
	v_readlane_b32 s0, v60, 27
.LBB39_104:                             ;   Parent Loop BB39_32 Depth=1
                                        ; =>  This Inner Loop Header: Depth=2
	ds_read_b64 v[6:7], v2
	s_add_i32 s0, s0, -1
	v_add_u32_e32 v2, 32, v2
	s_cmp_lg_u32 s0, 0
	s_waitcnt lgkmcnt(0)
	v_add_co_u32_e32 v4, vcc, v6, v4
	v_addc_co_u32_e32 v5, vcc, v7, v5, vcc
	s_cbranch_scc1 .LBB39_104
.LBB39_105:                             ;   in Loop: Header=BB39_32 Depth=1
	v_add_lshl_u32 v2, s2, v41, 3
	ds_write_b64 v2, v[4:5] offset:3072
.LBB39_106:                             ;   in Loop: Header=BB39_32 Depth=1
	s_or_b64 exec, exec, s[6:7]
	s_lshl_b32 s0, s2, 3
	v_mov_b32_e32 v2, s0
	s_waitcnt lgkmcnt(0)
	s_barrier
	ds_read_b128 v[8:11], v2 offset:3088
	ds_read_b128 v[4:7], v2 offset:3072
	v_cmp_eq_u64_e64 s[6:7], 1, v[29:30]
	s_lshl_b32 s92, 3, s51
	s_not_b32 s8, s92
	s_waitcnt lgkmcnt(1)
	v_readfirstlane_b32 s84, v8
	s_waitcnt lgkmcnt(0)
	v_cmp_eq_u64_e32 vcc, 1, v[4:5]
	v_readfirstlane_b32 s85, v9
	v_readfirstlane_b32 s14, v10
	;; [unrolled: 1-line block ×3, first 2 shown]
	s_and_b64 s[20:21], vcc, s[6:7]
	s_mov_b64 s[6:7], -1
	s_mov_b64 s[0:1], -1
                                        ; implicit-def: $sgpr12_sgpr13
                                        ; implicit-def: $sgpr10_sgpr11
	s_and_saveexec_b64 s[18:19], s[20:21]
	s_cbranch_execz .LBB39_140
; %bb.107:                              ;   in Loop: Header=BB39_32 Depth=1
	ds_read_b64 v[8:9], v3 offset:5120
	s_waitcnt lgkmcnt(0)
	s_barrier
	v_readfirstlane_b32 s26, v8
	v_readfirstlane_b32 s27, v9
	s_mov_b64 s[0:1], exec
	v_readlane_b32 s2, v60, 10
	v_readlane_b32 s3, v60, 11
	s_and_b64 s[2:3], s[0:1], s[2:3]
	s_mov_b64 exec, s[2:3]
; %bb.108:                              ;   in Loop: Header=BB39_32 Depth=1
	ds_write_b16 v52, v3
; %bb.109:                              ;   in Loop: Header=BB39_32 Depth=1
	s_or_b64 exec, exec, s[0:1]
	v_cmp_lt_i64_e64 s[0:1], s[26:27], 1
	v_and_b32_e32 v50, s8, v50
	v_or_b32_e32 v54, s92, v54
	s_mov_b64 s[10:11], -1
	s_mov_b64 s[12:13], 0
	s_and_b64 vcc, exec, s[0:1]
	s_mov_b64 s[36:37], 0
	s_mov_b64 s[40:41], -1
	s_waitcnt lgkmcnt(0)
	s_barrier
                                        ; implicit-def: $vgpr55
	s_cbranch_vccz .LBB39_125
; %bb.110:                              ;   in Loop: Header=BB39_32 Depth=1
	s_mov_b32 s56, s47
	s_cmp_lg_u64 s[56:57], 0
	s_cbranch_scc0 .LBB39_112
; %bb.111:                              ;   in Loop: Header=BB39_32 Depth=1
	s_add_u32 s0, s33, 0
	s_addc_u32 s1, 0, 0
	s_xor_b64 s[36:37], s[0:1], 0
	v_cvt_f32_u32_e32 v2, s36
	v_cvt_f32_u32_e32 v8, s37
	s_sub_u32 s2, 0, s36
	s_subb_u32 s3, 0, s37
	v_mac_f32_e32 v2, 0x4f800000, v8
	v_rcp_f32_e32 v2, v2
	v_mul_f32_e32 v2, 0x5f7ffffc, v2
	v_mul_f32_e32 v8, 0x2f800000, v2
	v_trunc_f32_e32 v8, v8
	v_mac_f32_e32 v2, 0xcf800000, v8
	v_cvt_u32_f32_e32 v8, v8
	v_cvt_u32_f32_e32 v2, v2
	v_readfirstlane_b32 s9, v8
	v_readfirstlane_b32 s0, v2
	s_mul_i32 s1, s2, s9
	s_mul_hi_u32 s41, s2, s0
	s_mul_i32 s40, s3, s0
	s_add_i32 s1, s41, s1
	s_mul_i32 s42, s2, s0
	s_add_i32 s1, s1, s40
	s_mul_i32 s41, s0, s1
	s_mul_hi_u32 s43, s0, s42
	s_mul_hi_u32 s40, s0, s1
	s_add_u32 s41, s43, s41
	s_addc_u32 s40, 0, s40
	s_mul_hi_u32 s44, s9, s42
	s_mul_i32 s42, s9, s42
	s_add_u32 s41, s41, s42
	s_mul_hi_u32 s43, s9, s1
	s_addc_u32 s40, s40, s44
	s_addc_u32 s41, s43, 0
	s_mul_i32 s1, s9, s1
	s_add_u32 s1, s40, s1
	s_addc_u32 s40, 0, s41
	s_add_u32 s41, s0, s1
	s_cselect_b64 s[0:1], -1, 0
	s_cmp_lg_u64 s[0:1], 0
	s_addc_u32 s9, s9, s40
	s_mul_i32 s0, s2, s9
	s_mul_hi_u32 s1, s2, s41
	s_add_i32 s0, s1, s0
	s_mul_i32 s3, s3, s41
	s_add_i32 s0, s0, s3
	s_mul_i32 s2, s2, s41
	s_mul_hi_u32 s3, s9, s2
	s_mul_i32 s40, s9, s2
	s_mul_i32 s43, s41, s0
	s_mul_hi_u32 s2, s41, s2
	s_mul_hi_u32 s42, s41, s0
	s_add_u32 s2, s2, s43
	s_addc_u32 s42, 0, s42
	s_add_u32 s2, s2, s40
	s_mul_hi_u32 s1, s9, s0
	s_addc_u32 s2, s42, s3
	s_addc_u32 s1, s1, 0
	s_mul_i32 s0, s9, s0
	s_add_u32 s0, s2, s0
	s_addc_u32 s2, 0, s1
	s_add_u32 s40, s41, s0
	s_cselect_b64 s[0:1], -1, 0
	s_cmp_lg_u64 s[0:1], 0
	s_addc_u32 s9, s9, s2
	s_ashr_i32 s2, s57, 31
	v_readlane_b32 s0, v60, 19
	s_add_u32 s0, s0, s2
	s_mov_b32 s3, s2
	s_addc_u32 s1, s57, s2
	s_xor_b64 s[0:1], s[0:1], s[2:3]
	s_mul_i32 s42, s0, s9
	s_mul_hi_u32 s43, s0, s40
	s_mul_hi_u32 s41, s0, s9
	s_add_u32 s42, s43, s42
	s_addc_u32 s41, 0, s41
	s_mul_hi_u32 s44, s1, s40
	s_mul_i32 s40, s1, s40
	s_add_u32 s40, s42, s40
	s_mul_hi_u32 s43, s1, s9
	s_addc_u32 s40, s41, s44
	s_addc_u32 s41, s43, 0
	s_mul_i32 s9, s1, s9
	s_add_u32 s9, s40, s9
	s_addc_u32 s40, 0, s41
	s_mul_i32 s40, s36, s40
	s_mul_hi_u32 s41, s36, s9
	s_add_i32 s40, s41, s40
	s_mul_i32 s41, s37, s9
	s_add_i32 s44, s40, s41
	s_sub_i32 s42, s1, s44
	s_mul_i32 s9, s36, s9
	s_sub_u32 s0, s0, s9
	s_cselect_b64 s[40:41], -1, 0
	s_cmp_lg_u64 s[40:41], 0
	s_subb_u32 s9, s42, s37
	s_sub_u32 s45, s0, s36
	s_cselect_b64 s[42:43], -1, 0
	s_cmp_lg_u64 s[42:43], 0
	s_subb_u32 s46, s9, 0
	s_cmp_ge_u32 s46, s37
	s_cselect_b32 s56, -1, 0
	s_cmp_ge_u32 s45, s36
	s_cselect_b32 s60, -1, 0
	s_cmp_eq_u32 s46, s37
	s_cselect_b32 s56, s60, s56
	s_cmp_lg_u64 s[42:43], 0
	s_subb_u32 s9, s9, s37
	s_sub_u32 s60, s45, s36
	s_cselect_b64 s[42:43], -1, 0
	s_cmp_lg_u64 s[42:43], 0
	s_subb_u32 s9, s9, 0
	s_cmp_lg_u32 s56, 0
	s_cselect_b32 s42, s60, s45
	s_cselect_b32 s9, s9, s46
	s_cmp_lg_u64 s[40:41], 0
	s_subb_u32 s1, s1, s44
	s_cmp_ge_u32 s1, s37
	s_cselect_b32 s40, -1, 0
	s_cmp_ge_u32 s0, s36
	s_cselect_b32 s36, -1, 0
	s_cmp_eq_u32 s1, s37
	s_cselect_b32 s36, s36, s40
	s_cmp_lg_u32 s36, 0
	s_cselect_b32 s1, s9, s1
	s_cselect_b32 s0, s42, s0
	s_xor_b64 s[0:1], s[0:1], s[2:3]
	s_sub_u32 s0, s0, s2
	s_subb_u32 s1, s1, s2
	s_mov_b64 s[2:3], 0
	s_branch .LBB39_113
.LBB39_112:                             ;   in Loop: Header=BB39_32 Depth=1
	s_mov_b64 s[2:3], -1
                                        ; implicit-def: $sgpr0_sgpr1
.LBB39_113:                             ;   in Loop: Header=BB39_32 Depth=1
	s_andn2_b64 vcc, exec, s[2:3]
	v_readlane_b32 s56, v60, 36
	s_cbranch_vccnz .LBB39_115
; %bb.114:                              ;   in Loop: Header=BB39_32 Depth=1
	v_cvt_f32_u32_e32 v2, s33
	s_sub_i32 s0, 0, s33
	v_readlane_b32 s2, v60, 19
	v_rcp_iflag_f32_e32 v2, v2
	v_mul_f32_e32 v2, 0x4f7ffffe, v2
	v_cvt_u32_f32_e32 v2, v2
	v_readfirstlane_b32 s1, v2
	s_mul_i32 s0, s0, s1
	s_mul_hi_u32 s0, s1, s0
	s_add_i32 s1, s1, s0
	s_mul_hi_u32 s0, s2, s1
	s_mul_i32 s0, s0, s33
	s_sub_i32 s0, s2, s0
	s_sub_i32 s1, s0, s33
	s_cmp_ge_u32 s0, s33
	s_cselect_b32 s0, s1, s0
	s_sub_i32 s1, s0, s33
	s_cmp_ge_u32 s0, s33
	s_cselect_b32 s46, s1, s0
	s_mov_b64 s[0:1], s[46:47]
.LBB39_115:                             ;   in Loop: Header=BB39_32 Depth=1
	v_readlane_b32 s2, v60, 19
	s_sub_u32 s42, s2, s0
	s_subb_u32 s43, s57, s1
	v_cmp_gt_i64_e32 vcc, s[42:43], v[0:1]
	s_mov_b64 s[40:41], 0
	s_mov_b64 s[36:37], 0
                                        ; implicit-def: $vgpr55
	s_and_saveexec_b64 s[2:3], vcc
	s_cbranch_execz .LBB39_124
; %bb.116:                              ;   in Loop: Header=BB39_32 Depth=1
	v_mov_b32_e32 v8, v12
	v_mov_b32_e32 v11, v1
	;; [unrolled: 1-line block ×4, first 2 shown]
                                        ; implicit-def: $sgpr0_sgpr1
	s_branch .LBB39_119
.LBB39_117:                             ;   in Loop: Header=BB39_119 Depth=2
	s_or_b64 exec, exec, s[44:45]
	s_waitcnt lgkmcnt(0)
	s_barrier
	ds_read_b32 v2, v3 offset:3072
	s_mov_b64 s[44:45], -1
	s_waitcnt lgkmcnt(0)
	s_barrier
	v_cmp_ne_u32_sdwa s[60:61], v2, v3 src0_sel:WORD_0 src1_sel:DWORD
	s_and_b64 vcc, exec, s[60:61]
	s_mov_b64 s[60:61], -1
	s_cbranch_vccz .LBB39_122
.LBB39_118:                             ;   in Loop: Header=BB39_119 Depth=2
	s_and_b64 s[44:45], exec, s[44:45]
	s_or_b64 s[36:37], s[44:45], s[36:37]
	s_andn2_b64 s[0:1], s[0:1], exec
	s_and_b64 s[44:45], s[60:61], exec
	s_or_b64 s[0:1], s[0:1], s[44:45]
	s_andn2_b64 exec, exec, s[36:37]
	s_cbranch_execz .LBB39_123
.LBB39_119:                             ;   Parent Loop BB39_32 Depth=1
                                        ; =>  This Inner Loop Header: Depth=2
	v_cmp_gt_i64_e32 vcc, s[24:25], v[10:11]
	s_and_saveexec_b64 s[44:45], vcc
	s_cbranch_execz .LBB39_117
; %bb.120:                              ;   in Loop: Header=BB39_119 Depth=2
	global_load_ushort v2, v[8:9], off
	s_waitcnt vmcnt(0)
	v_add_u32_sdwa v31, sext(v2), s50 dst_sel:DWORD dst_unused:UNUSED_PAD src0_sel:WORD_0 src1_sel:DWORD
	v_and_b32_e32 v31, v31, v54
	v_cmp_eq_u32_e32 vcc, v31, v50
	s_and_b64 exec, exec, vcc
	s_cbranch_execz .LBB39_117
; %bb.121:                              ;   in Loop: Header=BB39_119 Depth=2
	v_perm_b32 v2, v2, 1, v53
	ds_write_b32 v3, v2 offset:3072
	s_branch .LBB39_117
.LBB39_122:                             ;   in Loop: Header=BB39_119 Depth=2
	v_add_co_u32_e32 v10, vcc, s33, v10
	v_addc_co_u32_e32 v11, vcc, 0, v11, vcc
	v_mov_b32_e32 v31, s53
	v_add_co_u32_e32 v8, vcc, s52, v8
	v_addc_co_u32_e32 v9, vcc, v9, v31, vcc
	v_cmp_le_i64_e32 vcc, s[42:43], v[10:11]
	s_mov_b64 s[60:61], 0
	s_orn2_b64 s[44:45], vcc, exec
	s_branch .LBB39_118
.LBB39_123:                             ;   in Loop: Header=BB39_32 Depth=1
	s_or_b64 exec, exec, s[36:37]
	v_lshrrev_b32_e32 v55, 16, v2
	s_and_b64 s[36:37], s[0:1], exec
.LBB39_124:                             ;   in Loop: Header=BB39_32 Depth=1
	s_or_b64 exec, exec, s[2:3]
.LBB39_125:                             ;   in Loop: Header=BB39_32 Depth=1
	s_and_b64 vcc, exec, s[40:41]
	s_cbranch_vccz .LBB39_139
; %bb.126:                              ;   in Loop: Header=BB39_32 Depth=1
	v_readlane_b32 s0, v60, 18
	s_add_u32 s9, s26, s0
	v_readlane_b32 s0, v60, 20
	s_addc_u32 s11, s27, s0
	s_mov_b32 s10, s47
	s_cmp_lg_u64 s[10:11], 0
	s_cbranch_scc0 .LBB39_157
; %bb.127:                              ;   in Loop: Header=BB39_32 Depth=1
	s_add_u32 s0, s33, 0
	s_addc_u32 s1, 0, 0
	s_xor_b64 s[12:13], s[0:1], 0
	v_cvt_f32_u32_e32 v2, s12
	v_cvt_f32_u32_e32 v8, s13
	s_sub_u32 s2, 0, s12
	s_subb_u32 s3, 0, s13
	v_mac_f32_e32 v2, 0x4f800000, v8
	v_rcp_f32_e32 v2, v2
	v_mul_f32_e32 v2, 0x5f7ffffc, v2
	v_mul_f32_e32 v8, 0x2f800000, v2
	v_trunc_f32_e32 v8, v8
	v_mac_f32_e32 v2, 0xcf800000, v8
	v_cvt_u32_f32_e32 v8, v8
	v_cvt_u32_f32_e32 v2, v2
	v_readfirstlane_b32 s10, v8
	v_readfirstlane_b32 s0, v2
	s_mul_i32 s1, s2, s10
	s_mul_hi_u32 s41, s2, s0
	s_mul_i32 s40, s3, s0
	s_add_i32 s1, s41, s1
	s_mul_i32 s42, s2, s0
	s_add_i32 s1, s1, s40
	s_mul_i32 s41, s0, s1
	s_mul_hi_u32 s43, s0, s42
	s_mul_hi_u32 s40, s0, s1
	s_add_u32 s41, s43, s41
	s_addc_u32 s40, 0, s40
	s_mul_hi_u32 s44, s10, s42
	s_mul_i32 s42, s10, s42
	s_add_u32 s41, s41, s42
	s_mul_hi_u32 s43, s10, s1
	s_addc_u32 s40, s40, s44
	s_addc_u32 s41, s43, 0
	s_mul_i32 s1, s10, s1
	s_add_u32 s1, s40, s1
	s_addc_u32 s40, 0, s41
	s_add_u32 s41, s0, s1
	s_cselect_b64 s[0:1], -1, 0
	s_cmp_lg_u64 s[0:1], 0
	s_addc_u32 s10, s10, s40
	s_mul_i32 s0, s2, s10
	s_mul_hi_u32 s1, s2, s41
	s_add_i32 s0, s1, s0
	s_mul_i32 s3, s3, s41
	s_add_i32 s0, s0, s3
	s_mul_i32 s2, s2, s41
	s_mul_hi_u32 s3, s10, s2
	s_mul_i32 s40, s10, s2
	s_mul_i32 s43, s41, s0
	s_mul_hi_u32 s2, s41, s2
	s_mul_hi_u32 s42, s41, s0
	s_add_u32 s2, s2, s43
	s_addc_u32 s42, 0, s42
	s_add_u32 s2, s2, s40
	s_mul_hi_u32 s1, s10, s0
	s_addc_u32 s2, s42, s3
	s_addc_u32 s1, s1, 0
	s_mul_i32 s0, s10, s0
	s_add_u32 s0, s2, s0
	s_addc_u32 s2, 0, s1
	s_add_u32 s40, s41, s0
	s_cselect_b64 s[0:1], -1, 0
	s_cmp_lg_u64 s[0:1], 0
	s_addc_u32 s10, s10, s2
	s_ashr_i32 s2, s11, 31
	s_add_u32 s0, s9, s2
	s_mov_b32 s3, s2
	s_addc_u32 s1, s11, s2
	s_xor_b64 s[0:1], s[0:1], s[2:3]
	s_mul_i32 s42, s0, s10
	s_mul_hi_u32 s43, s0, s40
	s_mul_hi_u32 s41, s0, s10
	s_add_u32 s42, s43, s42
	s_addc_u32 s41, 0, s41
	s_mul_hi_u32 s44, s1, s40
	s_mul_i32 s40, s1, s40
	s_add_u32 s40, s42, s40
	s_mul_hi_u32 s43, s1, s10
	s_addc_u32 s40, s41, s44
	s_addc_u32 s41, s43, 0
	s_mul_i32 s10, s1, s10
	s_add_u32 s10, s40, s10
	s_addc_u32 s40, 0, s41
	s_mul_i32 s40, s12, s40
	s_mul_hi_u32 s41, s12, s10
	s_add_i32 s40, s41, s40
	s_mul_i32 s41, s13, s10
	s_add_i32 s44, s40, s41
	s_sub_i32 s42, s1, s44
	s_mul_i32 s10, s12, s10
	s_sub_u32 s0, s0, s10
	s_cselect_b64 s[40:41], -1, 0
	s_cmp_lg_u64 s[40:41], 0
	s_subb_u32 s10, s42, s13
	s_sub_u32 s45, s0, s12
	s_cselect_b64 s[42:43], -1, 0
	s_cmp_lg_u64 s[42:43], 0
	s_subb_u32 s46, s10, 0
	s_cmp_ge_u32 s46, s13
	s_cselect_b32 s56, -1, 0
	s_cmp_ge_u32 s45, s12
	s_cselect_b32 s60, -1, 0
	s_cmp_eq_u32 s46, s13
	s_cselect_b32 s56, s60, s56
	s_cmp_lg_u64 s[42:43], 0
	s_subb_u32 s10, s10, s13
	s_sub_u32 s60, s45, s12
	s_cselect_b64 s[42:43], -1, 0
	s_cmp_lg_u64 s[42:43], 0
	s_subb_u32 s10, s10, 0
	s_cmp_lg_u32 s56, 0
	s_cselect_b32 s42, s60, s45
	s_cselect_b32 s10, s10, s46
	s_cmp_lg_u64 s[40:41], 0
	s_subb_u32 s1, s1, s44
	s_cmp_ge_u32 s1, s13
	s_cselect_b32 s40, -1, 0
	s_cmp_ge_u32 s0, s12
	s_cselect_b32 s12, -1, 0
	s_cmp_eq_u32 s1, s13
	s_cselect_b32 s12, s12, s40
	s_cmp_lg_u32 s12, 0
	s_cselect_b32 s1, s10, s1
	s_cselect_b32 s0, s42, s0
	s_xor_b64 s[0:1], s[0:1], s[2:3]
	s_sub_u32 s0, s0, s2
	v_readlane_b32 s56, v60, 36
	s_subb_u32 s1, s1, s2
	s_cbranch_execnz .LBB39_129
.LBB39_128:                             ;   in Loop: Header=BB39_32 Depth=1
	v_cvt_f32_u32_e32 v2, s33
	s_sub_i32 s0, 0, s33
	v_rcp_iflag_f32_e32 v2, v2
	v_mul_f32_e32 v2, 0x4f7ffffe, v2
	v_cvt_u32_f32_e32 v2, v2
	v_readfirstlane_b32 s1, v2
	s_mul_i32 s0, s0, s1
	s_mul_hi_u32 s0, s1, s0
	s_add_i32 s1, s1, s0
	s_mul_hi_u32 s0, s9, s1
	s_mul_i32 s0, s0, s33
	s_sub_i32 s0, s9, s0
	s_sub_i32 s1, s0, s33
	s_cmp_ge_u32 s0, s33
	s_cselect_b32 s0, s1, s0
	s_sub_i32 s1, s0, s33
	s_cmp_ge_u32 s0, s33
	s_cselect_b32 s46, s1, s0
	s_mov_b64 s[0:1], s[46:47]
.LBB39_129:                             ;   in Loop: Header=BB39_32 Depth=1
	s_sub_u32 s10, s9, s0
	s_subb_u32 s11, s11, s1
	v_cmp_gt_i64_e32 vcc, s[10:11], v[0:1]
                                        ; implicit-def: $vgpr55
	s_and_saveexec_b64 s[2:3], vcc
	s_cbranch_execz .LBB39_138
; %bb.130:                              ;   in Loop: Header=BB39_32 Depth=1
	v_mov_b32_e32 v9, v1
	s_mov_b64 s[0:1], 0
	v_mov_b32_e32 v2, v51
	v_mov_b32_e32 v8, v0
                                        ; implicit-def: $sgpr12_sgpr13
	s_branch .LBB39_133
.LBB39_131:                             ;   in Loop: Header=BB39_133 Depth=2
	s_or_b64 exec, exec, s[40:41]
	s_waitcnt lgkmcnt(0)
	s_barrier
	ds_read_b32 v10, v3 offset:3072
	s_mov_b64 s[40:41], -1
	s_waitcnt lgkmcnt(0)
	s_barrier
	v_cmp_ne_u32_sdwa s[42:43], v10, v3 src0_sel:WORD_0 src1_sel:DWORD
	s_and_b64 vcc, exec, s[42:43]
	s_mov_b64 s[42:43], -1
	s_cbranch_vccz .LBB39_136
.LBB39_132:                             ;   in Loop: Header=BB39_133 Depth=2
	s_and_b64 s[40:41], exec, s[40:41]
	s_or_b64 s[0:1], s[40:41], s[0:1]
	s_andn2_b64 s[12:13], s[12:13], exec
	s_and_b64 s[40:41], s[42:43], exec
	s_or_b64 s[12:13], s[12:13], s[40:41]
	s_andn2_b64 exec, exec, s[0:1]
	s_cbranch_execz .LBB39_137
.LBB39_133:                             ;   Parent Loop BB39_32 Depth=1
                                        ; =>  This Inner Loop Header: Depth=2
	v_cmp_gt_u64_e32 vcc, s[26:27], v[8:9]
	s_and_saveexec_b64 s[40:41], vcc
	s_cbranch_execz .LBB39_131
; %bb.134:                              ;   in Loop: Header=BB39_133 Depth=2
	ds_read_u16 v10, v2
	s_waitcnt lgkmcnt(0)
	v_add_u32_sdwa v11, sext(v10), s50 dst_sel:DWORD dst_unused:UNUSED_PAD src0_sel:WORD_0 src1_sel:DWORD
	v_and_b32_e32 v11, v11, v54
	v_cmp_eq_u32_e32 vcc, v11, v50
	s_and_b64 exec, exec, vcc
	s_cbranch_execz .LBB39_131
; %bb.135:                              ;   in Loop: Header=BB39_133 Depth=2
	v_perm_b32 v10, v10, 1, v53
	ds_write_b32 v3, v10 offset:3072
	s_branch .LBB39_131
.LBB39_136:                             ;   in Loop: Header=BB39_133 Depth=2
	v_add_co_u32_e32 v8, vcc, s33, v8
	v_addc_co_u32_e32 v9, vcc, 0, v9, vcc
	v_cmp_le_i64_e32 vcc, s[10:11], v[8:9]
	v_add_u32_e32 v2, s16, v2
	s_mov_b64 s[42:43], 0
	s_orn2_b64 s[40:41], vcc, exec
	s_branch .LBB39_132
.LBB39_137:                             ;   in Loop: Header=BB39_32 Depth=1
	s_or_b64 exec, exec, s[0:1]
	s_andn2_b64 s[0:1], s[36:37], exec
	s_and_b64 s[10:11], s[12:13], exec
	v_lshrrev_b32_e32 v55, 16, v10
	s_or_b64 s[36:37], s[0:1], s[10:11]
.LBB39_138:                             ;   in Loop: Header=BB39_32 Depth=1
	s_or_b64 exec, exec, s[2:3]
	s_mov_b64 s[10:11], 0
	s_mov_b64 s[12:13], -1
.LBB39_139:                             ;   in Loop: Header=BB39_32 Depth=1
	s_orn2_b64 s[0:1], s[36:37], exec
.LBB39_140:                             ;   in Loop: Header=BB39_32 Depth=1
	s_or_b64 exec, exec, s[18:19]
	s_andn2_b64 s[2:3], s[82:83], exec
	s_and_b64 s[12:13], s[12:13], exec
	s_or_b64 s[82:83], s[2:3], s[12:13]
	s_andn2_b64 s[2:3], s[80:81], exec
	s_and_b64 s[10:11], s[10:11], exec
	s_andn2_b64 s[78:79], s[78:79], exec
	s_or_b64 s[80:81], s[2:3], s[10:11]
                                        ; implicit-def: $vgpr8_vgpr9
	s_and_saveexec_b64 s[18:19], s[0:1]
	s_cbranch_execz .LBB39_31
; %bb.141:                              ;   in Loop: Header=BB39_32 Depth=1
	v_mov_b32_e32 v8, 1
	s_xor_b64 s[0:1], s[20:21], -1
	v_mov_b32_e32 v2, 1
	v_mov_b32_e32 v9, 0
	s_mov_b64 s[2:3], 0
	s_and_saveexec_b64 s[6:7], s[0:1]
	s_cbranch_execz .LBB39_150
; %bb.142:                              ;   in Loop: Header=BB39_32 Depth=1
	v_cmp_le_i64_e32 vcc, v[29:30], v[4:5]
	s_and_saveexec_b64 s[0:1], vcc
	s_xor_b64 s[0:1], exec, s[0:1]
	s_cbranch_execz .LBB39_147
; %bb.143:                              ;   in Loop: Header=BB39_32 Depth=1
	ds_read_b64 v[8:9], v3 offset:5120
	v_and_b32_e32 v50, s8, v50
	v_or_b32_e32 v54, s92, v54
	s_waitcnt lgkmcnt(0)
	v_cmp_ne_u64_e32 vcc, 0, v[8:9]
	s_cbranch_vccnz .LBB39_147
; %bb.144:                              ;   in Loop: Header=BB39_32 Depth=1
	s_and_saveexec_b64 s[2:3], s[64:65]
; %bb.145:                              ;   in Loop: Header=BB39_32 Depth=1
	ds_write_b64 v3, v[4:5] offset:5128
; %bb.146:                              ;   in Loop: Header=BB39_32 Depth=1
	s_or_b64 exec, exec, s[2:3]
	s_waitcnt lgkmcnt(0)
	s_barrier
.LBB39_147:                             ;   in Loop: Header=BB39_32 Depth=1
	s_or_saveexec_b64 s[0:1], s[0:1]
	s_mov_b64 s[2:3], 0
	v_mov_b32_e32 v2, 8
	s_xor_b64 exec, exec, s[0:1]
; %bb.148:                              ;   in Loop: Header=BB39_32 Depth=1
	v_sub_co_u32_e32 v29, vcc, v29, v4
	v_subb_co_u32_e32 v30, vcc, v30, v5, vcc
	v_mov_b32_e32 v2, 0
	s_mov_b64 s[2:3], exec
; %bb.149:                              ;   in Loop: Header=BB39_32 Depth=1
	s_or_b64 exec, exec, s[0:1]
	v_mov_b32_e32 v8, v29
	s_and_b64 s[2:3], s[2:3], exec
	v_mov_b32_e32 v9, v30
.LBB39_150:                             ;   in Loop: Header=BB39_32 Depth=1
	s_or_b64 exec, exec, s[6:7]
	s_mov_b64 s[20:21], -1
	s_mov_b64 s[0:1], -1
                                        ; implicit-def: $sgpr6_sgpr7
                                        ; implicit-def: $sgpr86_sgpr87
	s_and_saveexec_b64 s[10:11], s[2:3]
	s_xor_b64 s[26:27], exec, s[10:11]
	s_cbranch_execz .LBB39_296
; %bb.151:                              ;   in Loop: Header=BB39_32 Depth=1
	v_cmp_eq_u64_e32 vcc, 1, v[6:7]
	v_cmp_eq_u64_e64 s[6:7], 1, v[8:9]
                                        ; implicit-def: $sgpr86_sgpr87
	s_and_b64 s[40:41], vcc, s[6:7]
                                        ; implicit-def: $sgpr6_sgpr7
	s_and_saveexec_b64 s[42:43], s[40:41]
	s_cbranch_execz .LBB39_186
; %bb.152:                              ;   in Loop: Header=BB39_32 Depth=1
	ds_read_b64 v[4:5], v3 offset:5120
	s_waitcnt lgkmcnt(0)
	s_barrier
	v_readfirstlane_b32 s36, v4
	v_readfirstlane_b32 s37, v5
	s_mov_b64 s[0:1], exec
	v_readlane_b32 s2, v60, 10
	v_readlane_b32 s3, v60, 11
	s_and_b64 s[2:3], s[0:1], s[2:3]
	s_mov_b64 exec, s[2:3]
; %bb.153:                              ;   in Loop: Header=BB39_32 Depth=1
	ds_write_b16 v52, v3
; %bb.154:                              ;   in Loop: Header=BB39_32 Depth=1
	s_or_b64 exec, exec, s[0:1]
	v_cmp_gt_i64_e64 s[0:1], s[36:37], 0
	v_and_b32_e32 v4, s8, v50
	v_lshl_or_b32 v50, 1, s51, v4
	v_or_b32_e32 v54, s92, v54
	s_mov_b64 s[6:7], -1
	s_mov_b64 s[86:87], 0
	s_and_b64 vcc, exec, s[0:1]
	s_mov_b64 s[10:11], 0
	s_mov_b64 s[12:13], -1
	s_waitcnt lgkmcnt(0)
	s_barrier
                                        ; implicit-def: $vgpr55
	s_cbranch_vccnz .LBB39_171
; %bb.155:                              ;   in Loop: Header=BB39_32 Depth=1
	s_mov_b32 s56, s47
	s_cmp_lg_u64 s[56:57], 0
	s_cbranch_scc0 .LBB39_158
; %bb.156:                              ;   in Loop: Header=BB39_32 Depth=1
	s_add_u32 s0, s33, 0
	s_addc_u32 s1, 0, 0
	s_xor_b64 s[10:11], s[0:1], 0
	v_cvt_f32_u32_e32 v4, s10
	v_cvt_f32_u32_e32 v5, s11
	s_sub_u32 s2, 0, s10
	s_subb_u32 s3, 0, s11
	v_mac_f32_e32 v4, 0x4f800000, v5
	v_rcp_f32_e32 v4, v4
	v_mul_f32_e32 v4, 0x5f7ffffc, v4
	v_mul_f32_e32 v5, 0x2f800000, v4
	v_trunc_f32_e32 v5, v5
	v_mac_f32_e32 v4, 0xcf800000, v5
	v_cvt_u32_f32_e32 v5, v5
	v_cvt_u32_f32_e32 v4, v4
	v_readfirstlane_b32 s9, v5
	v_readfirstlane_b32 s0, v4
	s_mul_i32 s1, s2, s9
	s_mul_hi_u32 s13, s2, s0
	s_mul_i32 s12, s3, s0
	s_add_i32 s1, s13, s1
	s_mul_i32 s44, s2, s0
	s_add_i32 s1, s1, s12
	s_mul_i32 s13, s0, s1
	s_mul_hi_u32 s45, s0, s44
	s_mul_hi_u32 s12, s0, s1
	s_add_u32 s13, s45, s13
	s_addc_u32 s12, 0, s12
	s_mul_hi_u32 s46, s9, s44
	s_mul_i32 s44, s9, s44
	s_add_u32 s13, s13, s44
	s_mul_hi_u32 s45, s9, s1
	s_addc_u32 s12, s12, s46
	s_addc_u32 s13, s45, 0
	s_mul_i32 s1, s9, s1
	s_add_u32 s1, s12, s1
	s_addc_u32 s12, 0, s13
	s_add_u32 s13, s0, s1
	s_cselect_b64 s[0:1], -1, 0
	s_cmp_lg_u64 s[0:1], 0
	s_addc_u32 s9, s9, s12
	s_mul_i32 s0, s2, s9
	s_mul_hi_u32 s1, s2, s13
	s_add_i32 s0, s1, s0
	s_mul_i32 s3, s3, s13
	s_add_i32 s0, s0, s3
	s_mul_i32 s2, s2, s13
	s_mul_hi_u32 s3, s9, s2
	s_mul_i32 s12, s9, s2
	s_mul_i32 s45, s13, s0
	s_mul_hi_u32 s2, s13, s2
	s_mul_hi_u32 s44, s13, s0
	s_add_u32 s2, s2, s45
	s_addc_u32 s44, 0, s44
	s_add_u32 s2, s2, s12
	s_mul_hi_u32 s1, s9, s0
	s_addc_u32 s2, s44, s3
	s_addc_u32 s1, s1, 0
	s_mul_i32 s0, s9, s0
	s_add_u32 s0, s2, s0
	s_addc_u32 s2, 0, s1
	s_add_u32 s12, s13, s0
	s_cselect_b64 s[0:1], -1, 0
	s_cmp_lg_u64 s[0:1], 0
	s_addc_u32 s9, s9, s2
	s_ashr_i32 s2, s57, 31
	v_readlane_b32 s0, v60, 19
	s_add_u32 s0, s0, s2
	s_mov_b32 s3, s2
	s_addc_u32 s1, s57, s2
	s_xor_b64 s[0:1], s[0:1], s[2:3]
	s_mul_i32 s44, s0, s9
	s_mul_hi_u32 s45, s0, s12
	s_mul_hi_u32 s13, s0, s9
	s_add_u32 s44, s45, s44
	s_addc_u32 s13, 0, s13
	s_mul_hi_u32 s46, s1, s12
	s_mul_i32 s12, s1, s12
	s_add_u32 s12, s44, s12
	s_mul_hi_u32 s45, s1, s9
	s_addc_u32 s12, s13, s46
	s_addc_u32 s13, s45, 0
	s_mul_i32 s9, s1, s9
	s_add_u32 s9, s12, s9
	s_addc_u32 s12, 0, s13
	s_mul_i32 s12, s10, s12
	s_mul_hi_u32 s13, s10, s9
	s_add_i32 s12, s13, s12
	s_mul_i32 s13, s11, s9
	s_add_i32 s46, s12, s13
	s_sub_i32 s44, s1, s46
	s_mul_i32 s9, s10, s9
	s_sub_u32 s0, s0, s9
	s_cselect_b64 s[12:13], -1, 0
	s_cmp_lg_u64 s[12:13], 0
	s_subb_u32 s9, s44, s11
	s_sub_u32 s56, s0, s10
	s_cselect_b64 s[44:45], -1, 0
	s_cmp_lg_u64 s[44:45], 0
	s_subb_u32 s60, s9, 0
	s_cmp_ge_u32 s60, s11
	s_cselect_b32 s61, -1, 0
	s_cmp_ge_u32 s56, s10
	s_cselect_b32 s62, -1, 0
	s_cmp_eq_u32 s60, s11
	s_cselect_b32 s61, s62, s61
	s_cmp_lg_u64 s[44:45], 0
	s_subb_u32 s9, s9, s11
	s_sub_u32 s62, s56, s10
	s_cselect_b64 s[44:45], -1, 0
	s_cmp_lg_u64 s[44:45], 0
	s_subb_u32 s9, s9, 0
	s_cmp_lg_u32 s61, 0
	s_cselect_b32 s44, s62, s56
	s_cselect_b32 s9, s9, s60
	s_cmp_lg_u64 s[12:13], 0
	s_subb_u32 s1, s1, s46
	s_cmp_ge_u32 s1, s11
	s_cselect_b32 s12, -1, 0
	s_cmp_ge_u32 s0, s10
	s_cselect_b32 s10, -1, 0
	s_cmp_eq_u32 s1, s11
	s_cselect_b32 s10, s10, s12
	s_cmp_lg_u32 s10, 0
	s_cselect_b32 s1, s9, s1
	s_cselect_b32 s0, s44, s0
	s_xor_b64 s[0:1], s[0:1], s[2:3]
	s_sub_u32 s0, s0, s2
	s_subb_u32 s1, s1, s2
	s_mov_b64 s[2:3], 0
	s_branch .LBB39_159
.LBB39_157:                             ;   in Loop: Header=BB39_32 Depth=1
                                        ; implicit-def: $sgpr0_sgpr1
	s_branch .LBB39_128
.LBB39_158:                             ;   in Loop: Header=BB39_32 Depth=1
	s_mov_b64 s[2:3], -1
                                        ; implicit-def: $sgpr0_sgpr1
.LBB39_159:                             ;   in Loop: Header=BB39_32 Depth=1
	s_andn2_b64 vcc, exec, s[2:3]
	v_readlane_b32 s56, v60, 36
	s_cbranch_vccnz .LBB39_161
; %bb.160:                              ;   in Loop: Header=BB39_32 Depth=1
	v_cvt_f32_u32_e32 v4, s33
	s_sub_i32 s0, 0, s33
	v_readlane_b32 s2, v60, 19
	v_rcp_iflag_f32_e32 v4, v4
	v_mul_f32_e32 v4, 0x4f7ffffe, v4
	v_cvt_u32_f32_e32 v4, v4
	v_readfirstlane_b32 s1, v4
	s_mul_i32 s0, s0, s1
	s_mul_hi_u32 s0, s1, s0
	s_add_i32 s1, s1, s0
	s_mul_hi_u32 s0, s2, s1
	s_mul_i32 s0, s0, s33
	s_sub_i32 s0, s2, s0
	s_sub_i32 s1, s0, s33
	s_cmp_ge_u32 s0, s33
	s_cselect_b32 s0, s1, s0
	s_sub_i32 s1, s0, s33
	s_cmp_ge_u32 s0, s33
	s_cselect_b32 s46, s1, s0
	s_mov_b64 s[0:1], s[46:47]
.LBB39_161:                             ;   in Loop: Header=BB39_32 Depth=1
	v_readlane_b32 s2, v60, 19
	s_sub_u32 s2, s2, s0
	s_subb_u32 s3, s57, s1
	v_cmp_gt_i64_e32 vcc, s[2:3], v[0:1]
	s_mov_b64 s[12:13], 0
	s_mov_b64 s[10:11], 0
                                        ; implicit-def: $vgpr55
	s_and_saveexec_b64 s[44:45], vcc
	s_cbranch_execz .LBB39_170
; %bb.162:                              ;   in Loop: Header=BB39_32 Depth=1
	v_mov_b32_e32 v4, v12
	v_mov_b32_e32 v11, v1
	;; [unrolled: 1-line block ×4, first 2 shown]
                                        ; implicit-def: $sgpr60_sgpr61
	s_branch .LBB39_165
.LBB39_163:                             ;   in Loop: Header=BB39_165 Depth=2
	s_or_b64 exec, exec, s[0:1]
	s_waitcnt lgkmcnt(0)
	s_barrier
	ds_read_b32 v29, v3 offset:3072
	s_mov_b64 s[0:1], -1
	s_waitcnt lgkmcnt(0)
	s_barrier
	v_cmp_ne_u32_sdwa s[62:63], v29, v3 src0_sel:WORD_0 src1_sel:DWORD
	s_and_b64 vcc, exec, s[62:63]
	s_mov_b64 s[62:63], -1
	s_cbranch_vccz .LBB39_168
.LBB39_164:                             ;   in Loop: Header=BB39_165 Depth=2
	s_and_b64 s[0:1], exec, s[0:1]
	s_or_b64 s[10:11], s[0:1], s[10:11]
	s_andn2_b64 s[0:1], s[60:61], exec
	s_and_b64 s[60:61], s[62:63], exec
	s_or_b64 s[60:61], s[0:1], s[60:61]
	s_andn2_b64 exec, exec, s[10:11]
	s_cbranch_execz .LBB39_169
.LBB39_165:                             ;   Parent Loop BB39_32 Depth=1
                                        ; =>  This Inner Loop Header: Depth=2
	v_cmp_gt_i64_e32 vcc, s[24:25], v[10:11]
	s_and_saveexec_b64 s[0:1], vcc
	s_cbranch_execz .LBB39_163
; %bb.166:                              ;   in Loop: Header=BB39_165 Depth=2
	global_load_ushort v29, v[4:5], off
	s_waitcnt vmcnt(0)
	v_add_u32_sdwa v30, sext(v29), s50 dst_sel:DWORD dst_unused:UNUSED_PAD src0_sel:WORD_0 src1_sel:DWORD
	v_and_b32_e32 v30, v30, v54
	v_cmp_eq_u32_e32 vcc, v30, v50
	s_and_b64 exec, exec, vcc
	s_cbranch_execz .LBB39_163
; %bb.167:                              ;   in Loop: Header=BB39_165 Depth=2
	v_perm_b32 v29, v29, 1, v53
	ds_write_b32 v3, v29 offset:3072
	s_branch .LBB39_163
.LBB39_168:                             ;   in Loop: Header=BB39_165 Depth=2
	v_add_co_u32_e32 v10, vcc, s33, v10
	v_addc_co_u32_e32 v11, vcc, 0, v11, vcc
	v_mov_b32_e32 v30, s53
	v_add_co_u32_e32 v4, vcc, s52, v4
	v_addc_co_u32_e32 v5, vcc, v5, v30, vcc
	v_cmp_le_i64_e32 vcc, s[2:3], v[10:11]
	s_mov_b64 s[62:63], 0
	s_orn2_b64 s[0:1], vcc, exec
	s_branch .LBB39_164
.LBB39_169:                             ;   in Loop: Header=BB39_32 Depth=1
	s_or_b64 exec, exec, s[10:11]
	v_lshrrev_b32_e32 v55, 16, v29
	s_and_b64 s[10:11], s[60:61], exec
.LBB39_170:                             ;   in Loop: Header=BB39_32 Depth=1
	s_or_b64 exec, exec, s[44:45]
.LBB39_171:                             ;   in Loop: Header=BB39_32 Depth=1
	s_and_b64 vcc, exec, s[12:13]
	s_cbranch_vccz .LBB39_185
; %bb.172:                              ;   in Loop: Header=BB39_32 Depth=1
	v_readlane_b32 s0, v60, 18
	s_add_u32 s9, s36, s0
	v_readlane_b32 s0, v60, 20
	s_addc_u32 s7, s37, s0
	s_mov_b32 s6, s47
	s_cmp_lg_u64 s[6:7], 0
	s_cbranch_scc0 .LBB39_204
; %bb.173:                              ;   in Loop: Header=BB39_32 Depth=1
	s_add_u32 s0, s33, 0
	s_addc_u32 s1, 0, 0
	s_xor_b64 s[12:13], s[0:1], 0
	v_cvt_f32_u32_e32 v4, s12
	v_cvt_f32_u32_e32 v5, s13
	s_sub_u32 s2, 0, s12
	s_subb_u32 s3, 0, s13
	v_mac_f32_e32 v4, 0x4f800000, v5
	v_rcp_f32_e32 v4, v4
	v_mul_f32_e32 v4, 0x5f7ffffc, v4
	v_mul_f32_e32 v5, 0x2f800000, v4
	v_trunc_f32_e32 v5, v5
	v_mac_f32_e32 v4, 0xcf800000, v5
	v_cvt_u32_f32_e32 v5, v5
	v_cvt_u32_f32_e32 v4, v4
	v_readfirstlane_b32 s6, v5
	v_readfirstlane_b32 s0, v4
	s_mul_i32 s1, s2, s6
	s_mul_hi_u32 s45, s2, s0
	s_mul_i32 s44, s3, s0
	s_add_i32 s1, s45, s1
	s_mul_i32 s46, s2, s0
	s_add_i32 s1, s1, s44
	s_mul_i32 s45, s0, s1
	s_mul_hi_u32 s56, s0, s46
	s_mul_hi_u32 s44, s0, s1
	s_add_u32 s45, s56, s45
	s_addc_u32 s44, 0, s44
	s_mul_hi_u32 s60, s6, s46
	s_mul_i32 s46, s6, s46
	s_add_u32 s45, s45, s46
	s_mul_hi_u32 s56, s6, s1
	s_addc_u32 s44, s44, s60
	s_addc_u32 s45, s56, 0
	s_mul_i32 s1, s6, s1
	s_add_u32 s1, s44, s1
	s_addc_u32 s44, 0, s45
	s_add_u32 s45, s0, s1
	s_cselect_b64 s[0:1], -1, 0
	s_cmp_lg_u64 s[0:1], 0
	s_addc_u32 s6, s6, s44
	s_mul_i32 s0, s2, s6
	s_mul_hi_u32 s1, s2, s45
	s_add_i32 s0, s1, s0
	s_mul_i32 s3, s3, s45
	s_add_i32 s0, s0, s3
	s_mul_i32 s2, s2, s45
	s_mul_hi_u32 s3, s6, s2
	s_mul_i32 s44, s6, s2
	s_mul_i32 s56, s45, s0
	s_mul_hi_u32 s2, s45, s2
	s_mul_hi_u32 s46, s45, s0
	s_add_u32 s2, s2, s56
	s_addc_u32 s46, 0, s46
	s_add_u32 s2, s2, s44
	s_mul_hi_u32 s1, s6, s0
	s_addc_u32 s2, s46, s3
	s_addc_u32 s1, s1, 0
	s_mul_i32 s0, s6, s0
	s_add_u32 s0, s2, s0
	s_addc_u32 s2, 0, s1
	s_add_u32 s44, s45, s0
	s_cselect_b64 s[0:1], -1, 0
	s_cmp_lg_u64 s[0:1], 0
	s_addc_u32 s6, s6, s2
	s_ashr_i32 s2, s7, 31
	s_add_u32 s0, s9, s2
	s_mov_b32 s3, s2
	s_addc_u32 s1, s7, s2
	s_xor_b64 s[0:1], s[0:1], s[2:3]
	s_mul_i32 s46, s0, s6
	s_mul_hi_u32 s56, s0, s44
	s_mul_hi_u32 s45, s0, s6
	s_add_u32 s46, s56, s46
	s_addc_u32 s45, 0, s45
	s_mul_hi_u32 s60, s1, s44
	s_mul_i32 s44, s1, s44
	s_add_u32 s44, s46, s44
	s_mul_hi_u32 s56, s1, s6
	s_addc_u32 s44, s45, s60
	s_addc_u32 s45, s56, 0
	s_mul_i32 s6, s1, s6
	s_add_u32 s6, s44, s6
	s_addc_u32 s44, 0, s45
	s_mul_i32 s44, s12, s44
	s_mul_hi_u32 s45, s12, s6
	s_add_i32 s44, s45, s44
	s_mul_i32 s45, s13, s6
	s_add_i32 s46, s44, s45
	s_sub_i32 s56, s1, s46
	s_mul_i32 s6, s12, s6
	s_sub_u32 s0, s0, s6
	s_cselect_b64 s[44:45], -1, 0
	s_cmp_lg_u64 s[44:45], 0
	s_subb_u32 s6, s56, s13
	s_sub_u32 s56, s0, s12
	s_cselect_b64 s[60:61], -1, 0
	s_cmp_lg_u64 s[60:61], 0
	s_subb_u32 s62, s6, 0
	s_cmp_ge_u32 s62, s13
	s_cselect_b32 s63, -1, 0
	s_cmp_ge_u32 s56, s12
	s_cselect_b32 s64, -1, 0
	s_cmp_eq_u32 s62, s13
	s_cselect_b32 s63, s64, s63
	s_cmp_lg_u64 s[60:61], 0
	s_subb_u32 s6, s6, s13
	s_sub_u32 s64, s56, s12
	s_cselect_b64 s[60:61], -1, 0
	s_cmp_lg_u64 s[60:61], 0
	s_subb_u32 s6, s6, 0
	s_cmp_lg_u32 s63, 0
	s_cselect_b32 s56, s64, s56
	s_cselect_b32 s6, s6, s62
	s_cmp_lg_u64 s[44:45], 0
	s_subb_u32 s1, s1, s46
	s_cmp_ge_u32 s1, s13
	s_cselect_b32 s44, -1, 0
	s_cmp_ge_u32 s0, s12
	s_cselect_b32 s12, -1, 0
	s_cmp_eq_u32 s1, s13
	s_cselect_b32 s12, s12, s44
	s_cmp_lg_u32 s12, 0
	s_cselect_b32 s1, s6, s1
	s_cselect_b32 s0, s56, s0
	s_xor_b64 s[0:1], s[0:1], s[2:3]
	v_readlane_b32 s64, v60, 34
	s_sub_u32 s0, s0, s2
	v_readlane_b32 s65, v60, 35
	v_readlane_b32 s56, v60, 36
	s_subb_u32 s1, s1, s2
	s_cbranch_execnz .LBB39_175
.LBB39_174:                             ;   in Loop: Header=BB39_32 Depth=1
	v_cvt_f32_u32_e32 v4, s33
	s_sub_i32 s0, 0, s33
	v_rcp_iflag_f32_e32 v4, v4
	v_mul_f32_e32 v4, 0x4f7ffffe, v4
	v_cvt_u32_f32_e32 v4, v4
	v_readfirstlane_b32 s1, v4
	s_mul_i32 s0, s0, s1
	s_mul_hi_u32 s0, s1, s0
	s_add_i32 s1, s1, s0
	s_mul_hi_u32 s0, s9, s1
	s_mul_i32 s0, s0, s33
	s_sub_i32 s0, s9, s0
	s_sub_i32 s1, s0, s33
	s_cmp_ge_u32 s0, s33
	s_cselect_b32 s0, s1, s0
	s_sub_i32 s1, s0, s33
	s_cmp_ge_u32 s0, s33
	s_cselect_b32 s46, s1, s0
	s_mov_b64 s[0:1], s[46:47]
.LBB39_175:                             ;   in Loop: Header=BB39_32 Depth=1
	s_sub_u32 s6, s9, s0
	s_subb_u32 s7, s7, s1
	v_cmp_gt_i64_e32 vcc, s[6:7], v[0:1]
                                        ; implicit-def: $vgpr55
	s_and_saveexec_b64 s[2:3], vcc
	s_cbranch_execz .LBB39_184
; %bb.176:                              ;   in Loop: Header=BB39_32 Depth=1
	v_mov_b32_e32 v5, v1
	s_mov_b64 s[0:1], 0
	v_mov_b32_e32 v10, v51
	v_mov_b32_e32 v4, v0
                                        ; implicit-def: $sgpr12_sgpr13
	s_branch .LBB39_179
.LBB39_177:                             ;   in Loop: Header=BB39_179 Depth=2
	s_or_b64 exec, exec, s[44:45]
	s_waitcnt lgkmcnt(0)
	s_barrier
	ds_read_b32 v11, v3 offset:3072
	s_mov_b64 s[44:45], -1
	s_waitcnt lgkmcnt(0)
	s_barrier
	v_cmp_eq_u32_sdwa s[60:61], v11, v3 src0_sel:WORD_0 src1_sel:DWORD
	s_and_b64 vcc, exec, s[60:61]
	s_mov_b64 s[60:61], -1
	s_cbranch_vccnz .LBB39_182
.LBB39_178:                             ;   in Loop: Header=BB39_179 Depth=2
	s_and_b64 s[44:45], exec, s[44:45]
	s_or_b64 s[0:1], s[44:45], s[0:1]
	s_andn2_b64 s[12:13], s[12:13], exec
	s_and_b64 s[44:45], s[60:61], exec
	s_or_b64 s[12:13], s[12:13], s[44:45]
	s_andn2_b64 exec, exec, s[0:1]
	s_cbranch_execz .LBB39_183
.LBB39_179:                             ;   Parent Loop BB39_32 Depth=1
                                        ; =>  This Inner Loop Header: Depth=2
	v_cmp_gt_u64_e32 vcc, s[36:37], v[4:5]
	s_and_saveexec_b64 s[44:45], vcc
	s_cbranch_execz .LBB39_177
; %bb.180:                              ;   in Loop: Header=BB39_179 Depth=2
	ds_read_u16 v11, v10
	s_waitcnt lgkmcnt(0)
	v_add_u32_sdwa v29, sext(v11), s50 dst_sel:DWORD dst_unused:UNUSED_PAD src0_sel:WORD_0 src1_sel:DWORD
	v_and_b32_e32 v29, v29, v54
	v_cmp_eq_u32_e32 vcc, v29, v50
	s_and_b64 exec, exec, vcc
	s_cbranch_execz .LBB39_177
; %bb.181:                              ;   in Loop: Header=BB39_179 Depth=2
	v_perm_b32 v11, v11, 1, v53
	ds_write_b32 v3, v11 offset:3072
	s_branch .LBB39_177
.LBB39_182:                             ;   in Loop: Header=BB39_179 Depth=2
	v_add_co_u32_e32 v4, vcc, s33, v4
	v_addc_co_u32_e32 v5, vcc, 0, v5, vcc
	v_cmp_le_i64_e32 vcc, s[6:7], v[4:5]
	v_add_u32_e32 v10, s16, v10
	s_mov_b64 s[60:61], 0
	s_orn2_b64 s[44:45], vcc, exec
	s_branch .LBB39_178
.LBB39_183:                             ;   in Loop: Header=BB39_32 Depth=1
	s_or_b64 exec, exec, s[0:1]
	s_andn2_b64 s[0:1], s[10:11], exec
	s_and_b64 s[6:7], s[12:13], exec
	v_lshrrev_b32_e32 v55, 16, v11
	s_or_b64 s[10:11], s[0:1], s[6:7]
.LBB39_184:                             ;   in Loop: Header=BB39_32 Depth=1
	s_or_b64 exec, exec, s[2:3]
	s_mov_b64 s[6:7], 0
	s_mov_b64 s[86:87], -1
.LBB39_185:                             ;   in Loop: Header=BB39_32 Depth=1
	s_orn2_b64 s[0:1], s[10:11], exec
.LBB39_186:                             ;   in Loop: Header=BB39_32 Depth=1
	s_or_b64 exec, exec, s[42:43]
	s_mov_b64 s[2:3], 0
	s_and_saveexec_b64 s[88:89], s[0:1]
	s_cbranch_execz .LBB39_295
; %bb.187:                              ;   in Loop: Header=BB39_32 Depth=1
	v_mov_b32_e32 v4, 1
	s_xor_b64 s[0:1], s[40:41], -1
	v_mov_b32_e32 v2, 1
	v_mov_b32_e32 v5, 0
	s_and_saveexec_b64 s[10:11], s[0:1]
	s_cbranch_execz .LBB39_197
; %bb.188:                              ;   in Loop: Header=BB39_32 Depth=1
	v_cmp_le_i64_e32 vcc, v[8:9], v[6:7]
	s_and_saveexec_b64 s[0:1], vcc
	s_xor_b64 s[0:1], exec, s[0:1]
	s_cbranch_execz .LBB39_194
; %bb.189:                              ;   in Loop: Header=BB39_32 Depth=1
	ds_read_b64 v[4:5], v3 offset:5120
	v_and_b32_e32 v2, s8, v50
	v_lshl_or_b32 v50, 1, s51, v2
	v_or_b32_e32 v54, s92, v54
	s_waitcnt lgkmcnt(0)
	v_cmp_ne_u64_e32 vcc, 0, v[4:5]
	s_cbranch_vccnz .LBB39_193
; %bb.190:                              ;   in Loop: Header=BB39_32 Depth=1
	s_and_saveexec_b64 s[2:3], s[64:65]
; %bb.191:                              ;   in Loop: Header=BB39_32 Depth=1
	ds_write_b64 v3, v[6:7] offset:5128
; %bb.192:                              ;   in Loop: Header=BB39_32 Depth=1
	s_or_b64 exec, exec, s[2:3]
	s_waitcnt lgkmcnt(0)
	s_barrier
.LBB39_193:                             ;   in Loop: Header=BB39_32 Depth=1
                                        ; implicit-def: $vgpr4_vgpr5_vgpr6_vgpr7
.LBB39_194:                             ;   in Loop: Header=BB39_32 Depth=1
	s_or_saveexec_b64 s[0:1], s[0:1]
	s_mov_b64 s[2:3], 0
	v_mov_b32_e32 v2, 8
	s_xor_b64 exec, exec, s[0:1]
; %bb.195:                              ;   in Loop: Header=BB39_32 Depth=1
	v_sub_co_u32_e32 v8, vcc, v8, v6
	v_subb_co_u32_e32 v9, vcc, v9, v7, vcc
	v_mov_b32_e32 v2, 0
	s_mov_b64 s[2:3], exec
; %bb.196:                              ;   in Loop: Header=BB39_32 Depth=1
	s_or_b64 exec, exec, s[0:1]
	v_mov_b32_e32 v4, v8
	s_and_b64 s[2:3], s[2:3], exec
	v_mov_b32_e32 v5, v9
.LBB39_197:                             ;   in Loop: Header=BB39_32 Depth=1
	s_or_b64 exec, exec, s[10:11]
	s_mov_b64 s[0:1], -1
                                        ; implicit-def: $sgpr60_sgpr61
                                        ; implicit-def: $sgpr94_sgpr95
	s_and_saveexec_b64 s[90:91], s[2:3]
	s_cbranch_execz .LBB39_294
; %bb.198:                              ;   in Loop: Header=BB39_32 Depth=1
	s_cmp_eq_u64 s[84:85], 1
	v_cmp_eq_u64_e32 vcc, 1, v[4:5]
	s_cselect_b64 s[0:1], -1, 0
	s_and_b64 s[42:43], s[0:1], vcc
	s_mov_b64 s[0:1], -1
                                        ; implicit-def: $sgpr94_sgpr95
                                        ; implicit-def: $sgpr60_sgpr61
	s_and_saveexec_b64 s[40:41], s[42:43]
	s_cbranch_execz .LBB39_234
; %bb.199:                              ;   in Loop: Header=BB39_32 Depth=1
	ds_read_b64 v[6:7], v3 offset:5120
	s_waitcnt lgkmcnt(0)
	s_barrier
	v_readfirstlane_b32 s36, v6
	v_readfirstlane_b32 s37, v7
	s_mov_b64 s[0:1], exec
	v_readlane_b32 s2, v60, 10
	v_readlane_b32 s3, v60, 11
	s_and_b64 s[2:3], s[0:1], s[2:3]
	s_mov_b64 exec, s[2:3]
; %bb.200:                              ;   in Loop: Header=BB39_32 Depth=1
	ds_write_b16 v52, v3
; %bb.201:                              ;   in Loop: Header=BB39_32 Depth=1
	s_or_b64 exec, exec, s[0:1]
	v_cmp_gt_i64_e64 s[0:1], s[36:37], 0
	v_and_b32_e32 v6, s8, v50
	v_lshl_or_b32 v50, 2, s51, v6
	v_or_b32_e32 v54, s92, v54
	s_mov_b64 s[94:95], 0
	s_and_b64 vcc, exec, s[0:1]
	s_mov_b64 s[10:11], 0
	s_mov_b64 s[12:13], -1
	s_waitcnt lgkmcnt(0)
	s_barrier
                                        ; implicit-def: $vgpr55
	s_cbranch_vccnz .LBB39_218
; %bb.202:                              ;   in Loop: Header=BB39_32 Depth=1
	s_mov_b32 s56, s47
	s_cmp_lg_u64 s[56:57], 0
	s_cbranch_scc0 .LBB39_205
; %bb.203:                              ;   in Loop: Header=BB39_32 Depth=1
	s_add_u32 s0, s33, 0
	s_addc_u32 s1, 0, 0
	s_xor_b64 s[10:11], s[0:1], 0
	v_cvt_f32_u32_e32 v6, s10
	v_cvt_f32_u32_e32 v7, s11
	s_sub_u32 s2, 0, s10
	s_subb_u32 s3, 0, s11
	v_mac_f32_e32 v6, 0x4f800000, v7
	v_rcp_f32_e32 v6, v6
	v_mul_f32_e32 v6, 0x5f7ffffc, v6
	v_mul_f32_e32 v7, 0x2f800000, v6
	v_trunc_f32_e32 v7, v7
	v_mac_f32_e32 v6, 0xcf800000, v7
	v_cvt_u32_f32_e32 v7, v7
	v_cvt_u32_f32_e32 v6, v6
	v_readfirstlane_b32 s9, v7
	v_readfirstlane_b32 s0, v6
	s_mul_i32 s1, s2, s9
	s_mul_hi_u32 s13, s2, s0
	s_mul_i32 s12, s3, s0
	s_add_i32 s1, s13, s1
	s_mul_i32 s44, s2, s0
	s_add_i32 s1, s1, s12
	s_mul_i32 s13, s0, s1
	s_mul_hi_u32 s45, s0, s44
	s_mul_hi_u32 s12, s0, s1
	s_add_u32 s13, s45, s13
	s_addc_u32 s12, 0, s12
	s_mul_hi_u32 s46, s9, s44
	s_mul_i32 s44, s9, s44
	s_add_u32 s13, s13, s44
	s_mul_hi_u32 s45, s9, s1
	s_addc_u32 s12, s12, s46
	s_addc_u32 s13, s45, 0
	s_mul_i32 s1, s9, s1
	s_add_u32 s1, s12, s1
	s_addc_u32 s12, 0, s13
	s_add_u32 s13, s0, s1
	s_cselect_b64 s[0:1], -1, 0
	s_cmp_lg_u64 s[0:1], 0
	s_addc_u32 s9, s9, s12
	s_mul_i32 s0, s2, s9
	s_mul_hi_u32 s1, s2, s13
	s_add_i32 s0, s1, s0
	s_mul_i32 s3, s3, s13
	s_add_i32 s0, s0, s3
	s_mul_i32 s2, s2, s13
	s_mul_hi_u32 s3, s9, s2
	s_mul_i32 s12, s9, s2
	s_mul_i32 s45, s13, s0
	s_mul_hi_u32 s2, s13, s2
	s_mul_hi_u32 s44, s13, s0
	s_add_u32 s2, s2, s45
	s_addc_u32 s44, 0, s44
	s_add_u32 s2, s2, s12
	s_mul_hi_u32 s1, s9, s0
	s_addc_u32 s2, s44, s3
	s_addc_u32 s1, s1, 0
	s_mul_i32 s0, s9, s0
	s_add_u32 s0, s2, s0
	s_addc_u32 s2, 0, s1
	s_add_u32 s12, s13, s0
	s_cselect_b64 s[0:1], -1, 0
	s_cmp_lg_u64 s[0:1], 0
	s_addc_u32 s9, s9, s2
	s_ashr_i32 s2, s57, 31
	v_readlane_b32 s0, v60, 19
	s_add_u32 s0, s0, s2
	s_mov_b32 s3, s2
	s_addc_u32 s1, s57, s2
	s_xor_b64 s[0:1], s[0:1], s[2:3]
	s_mul_i32 s44, s0, s9
	s_mul_hi_u32 s45, s0, s12
	s_mul_hi_u32 s13, s0, s9
	s_add_u32 s44, s45, s44
	s_addc_u32 s13, 0, s13
	s_mul_hi_u32 s46, s1, s12
	s_mul_i32 s12, s1, s12
	s_add_u32 s12, s44, s12
	s_mul_hi_u32 s45, s1, s9
	s_addc_u32 s12, s13, s46
	s_addc_u32 s13, s45, 0
	s_mul_i32 s9, s1, s9
	s_add_u32 s9, s12, s9
	s_addc_u32 s12, 0, s13
	s_mul_i32 s12, s10, s12
	s_mul_hi_u32 s13, s10, s9
	s_add_i32 s12, s13, s12
	s_mul_i32 s13, s11, s9
	s_add_i32 s46, s12, s13
	s_sub_i32 s44, s1, s46
	s_mul_i32 s9, s10, s9
	s_sub_u32 s0, s0, s9
	s_cselect_b64 s[12:13], -1, 0
	s_cmp_lg_u64 s[12:13], 0
	s_subb_u32 s9, s44, s11
	s_sub_u32 s56, s0, s10
	s_cselect_b64 s[44:45], -1, 0
	s_cmp_lg_u64 s[44:45], 0
	s_subb_u32 s60, s9, 0
	s_cmp_ge_u32 s60, s11
	s_cselect_b32 s61, -1, 0
	s_cmp_ge_u32 s56, s10
	s_cselect_b32 s62, -1, 0
	s_cmp_eq_u32 s60, s11
	s_cselect_b32 s61, s62, s61
	s_cmp_lg_u64 s[44:45], 0
	s_subb_u32 s9, s9, s11
	s_sub_u32 s62, s56, s10
	s_cselect_b64 s[44:45], -1, 0
	s_cmp_lg_u64 s[44:45], 0
	s_subb_u32 s9, s9, 0
	s_cmp_lg_u32 s61, 0
	s_cselect_b32 s44, s62, s56
	s_cselect_b32 s9, s9, s60
	s_cmp_lg_u64 s[12:13], 0
	s_subb_u32 s1, s1, s46
	s_cmp_ge_u32 s1, s11
	s_cselect_b32 s12, -1, 0
	s_cmp_ge_u32 s0, s10
	s_cselect_b32 s10, -1, 0
	s_cmp_eq_u32 s1, s11
	s_cselect_b32 s10, s10, s12
	s_cmp_lg_u32 s10, 0
	s_cselect_b32 s1, s9, s1
	s_cselect_b32 s0, s44, s0
	s_xor_b64 s[0:1], s[0:1], s[2:3]
	s_sub_u32 s0, s0, s2
	s_subb_u32 s1, s1, s2
	s_mov_b64 s[2:3], 0
	s_branch .LBB39_206
.LBB39_204:                             ;   in Loop: Header=BB39_32 Depth=1
                                        ; implicit-def: $sgpr0_sgpr1
	s_branch .LBB39_174
.LBB39_205:                             ;   in Loop: Header=BB39_32 Depth=1
	s_mov_b64 s[2:3], -1
                                        ; implicit-def: $sgpr0_sgpr1
.LBB39_206:                             ;   in Loop: Header=BB39_32 Depth=1
	s_andn2_b64 vcc, exec, s[2:3]
	v_readlane_b32 s56, v60, 36
	s_cbranch_vccnz .LBB39_208
; %bb.207:                              ;   in Loop: Header=BB39_32 Depth=1
	v_cvt_f32_u32_e32 v6, s33
	s_sub_i32 s0, 0, s33
	v_readlane_b32 s2, v60, 19
	v_rcp_iflag_f32_e32 v6, v6
	v_mul_f32_e32 v6, 0x4f7ffffe, v6
	v_cvt_u32_f32_e32 v6, v6
	v_readfirstlane_b32 s1, v6
	s_mul_i32 s0, s0, s1
	s_mul_hi_u32 s0, s1, s0
	s_add_i32 s1, s1, s0
	s_mul_hi_u32 s0, s2, s1
	s_mul_i32 s0, s0, s33
	s_sub_i32 s0, s2, s0
	s_sub_i32 s1, s0, s33
	s_cmp_ge_u32 s0, s33
	s_cselect_b32 s0, s1, s0
	s_sub_i32 s1, s0, s33
	s_cmp_ge_u32 s0, s33
	s_cselect_b32 s46, s1, s0
	s_mov_b64 s[0:1], s[46:47]
.LBB39_208:                             ;   in Loop: Header=BB39_32 Depth=1
	v_readlane_b32 s2, v60, 19
	s_sub_u32 s2, s2, s0
	s_subb_u32 s3, s57, s1
	v_cmp_gt_i64_e32 vcc, s[2:3], v[0:1]
	s_mov_b64 s[12:13], 0
	s_mov_b64 s[10:11], 0
                                        ; implicit-def: $vgpr55
	s_and_saveexec_b64 s[44:45], vcc
	s_cbranch_execz .LBB39_217
; %bb.209:                              ;   in Loop: Header=BB39_32 Depth=1
	v_mov_b32_e32 v6, v12
	v_mov_b32_e32 v9, v1
	;; [unrolled: 1-line block ×4, first 2 shown]
                                        ; implicit-def: $sgpr60_sgpr61
	s_branch .LBB39_212
.LBB39_210:                             ;   in Loop: Header=BB39_212 Depth=2
	s_or_b64 exec, exec, s[0:1]
	s_waitcnt lgkmcnt(0)
	s_barrier
	ds_read_b32 v10, v3 offset:3072
	s_mov_b64 s[0:1], -1
	s_waitcnt lgkmcnt(0)
	s_barrier
	v_cmp_ne_u32_sdwa s[62:63], v10, v3 src0_sel:WORD_0 src1_sel:DWORD
	s_and_b64 vcc, exec, s[62:63]
	s_mov_b64 s[62:63], -1
	s_cbranch_vccz .LBB39_215
.LBB39_211:                             ;   in Loop: Header=BB39_212 Depth=2
	s_and_b64 s[0:1], exec, s[0:1]
	s_or_b64 s[10:11], s[0:1], s[10:11]
	s_andn2_b64 s[0:1], s[60:61], exec
	s_and_b64 s[60:61], s[62:63], exec
	s_or_b64 s[60:61], s[0:1], s[60:61]
	s_andn2_b64 exec, exec, s[10:11]
	s_cbranch_execz .LBB39_216
.LBB39_212:                             ;   Parent Loop BB39_32 Depth=1
                                        ; =>  This Inner Loop Header: Depth=2
	v_cmp_gt_i64_e32 vcc, s[24:25], v[8:9]
	s_and_saveexec_b64 s[0:1], vcc
	s_cbranch_execz .LBB39_210
; %bb.213:                              ;   in Loop: Header=BB39_212 Depth=2
	global_load_ushort v10, v[6:7], off
	s_waitcnt vmcnt(0)
	v_add_u32_sdwa v11, sext(v10), s50 dst_sel:DWORD dst_unused:UNUSED_PAD src0_sel:WORD_0 src1_sel:DWORD
	v_and_b32_e32 v11, v11, v54
	v_cmp_eq_u32_e32 vcc, v11, v50
	s_and_b64 exec, exec, vcc
	s_cbranch_execz .LBB39_210
; %bb.214:                              ;   in Loop: Header=BB39_212 Depth=2
	v_perm_b32 v10, v10, 1, v53
	ds_write_b32 v3, v10 offset:3072
	s_branch .LBB39_210
.LBB39_215:                             ;   in Loop: Header=BB39_212 Depth=2
	v_add_co_u32_e32 v8, vcc, s33, v8
	v_addc_co_u32_e32 v9, vcc, 0, v9, vcc
	v_mov_b32_e32 v11, s53
	v_add_co_u32_e32 v6, vcc, s52, v6
	v_addc_co_u32_e32 v7, vcc, v7, v11, vcc
	v_cmp_le_i64_e32 vcc, s[2:3], v[8:9]
	s_mov_b64 s[62:63], 0
	s_orn2_b64 s[0:1], vcc, exec
	s_branch .LBB39_211
.LBB39_216:                             ;   in Loop: Header=BB39_32 Depth=1
	s_or_b64 exec, exec, s[10:11]
	v_lshrrev_b32_e32 v55, 16, v10
	s_and_b64 s[10:11], s[60:61], exec
.LBB39_217:                             ;   in Loop: Header=BB39_32 Depth=1
	s_or_b64 exec, exec, s[44:45]
.LBB39_218:                             ;   in Loop: Header=BB39_32 Depth=1
	s_and_b64 vcc, exec, s[12:13]
	s_cbranch_vccz .LBB39_230
; %bb.219:                              ;   in Loop: Header=BB39_32 Depth=1
	v_readlane_b32 s0, v60, 18
	s_add_u32 s9, s36, s0
	v_readlane_b32 s0, v60, 20
	s_addc_u32 s13, s37, s0
	s_mov_b32 s12, s47
	s_cmp_lg_u64 s[12:13], 0
	s_cbranch_scc0 .LBB39_251
; %bb.220:                              ;   in Loop: Header=BB39_32 Depth=1
	s_add_u32 s0, s33, 0
	s_addc_u32 s1, 0, 0
	s_xor_b64 s[44:45], s[0:1], 0
	v_cvt_f32_u32_e32 v6, s44
	v_cvt_f32_u32_e32 v7, s45
	s_sub_u32 s2, 0, s44
	s_subb_u32 s3, 0, s45
	v_mac_f32_e32 v6, 0x4f800000, v7
	v_rcp_f32_e32 v6, v6
	v_mul_f32_e32 v6, 0x5f7ffffc, v6
	v_mul_f32_e32 v7, 0x2f800000, v6
	v_trunc_f32_e32 v7, v7
	v_mac_f32_e32 v6, 0xcf800000, v7
	v_cvt_u32_f32_e32 v7, v7
	v_cvt_u32_f32_e32 v6, v6
	v_readfirstlane_b32 s12, v7
	v_readfirstlane_b32 s0, v6
	s_mul_i32 s1, s2, s12
	s_mul_hi_u32 s56, s2, s0
	s_mul_i32 s46, s3, s0
	s_add_i32 s1, s56, s1
	s_mul_i32 s60, s2, s0
	s_add_i32 s1, s1, s46
	s_mul_i32 s56, s0, s1
	s_mul_hi_u32 s61, s0, s60
	s_mul_hi_u32 s46, s0, s1
	s_add_u32 s56, s61, s56
	s_addc_u32 s46, 0, s46
	s_mul_hi_u32 s62, s12, s60
	s_mul_i32 s60, s12, s60
	s_add_u32 s56, s56, s60
	s_mul_hi_u32 s61, s12, s1
	s_addc_u32 s46, s46, s62
	s_addc_u32 s56, s61, 0
	s_mul_i32 s1, s12, s1
	s_add_u32 s1, s46, s1
	s_addc_u32 s46, 0, s56
	s_add_u32 s56, s0, s1
	s_cselect_b64 s[0:1], -1, 0
	s_cmp_lg_u64 s[0:1], 0
	s_addc_u32 s12, s12, s46
	s_mul_i32 s0, s2, s12
	s_mul_hi_u32 s1, s2, s56
	s_add_i32 s0, s1, s0
	s_mul_i32 s3, s3, s56
	s_add_i32 s0, s0, s3
	s_mul_i32 s2, s2, s56
	s_mul_hi_u32 s3, s12, s2
	s_mul_i32 s46, s12, s2
	s_mul_i32 s61, s56, s0
	s_mul_hi_u32 s2, s56, s2
	s_mul_hi_u32 s60, s56, s0
	s_add_u32 s2, s2, s61
	s_addc_u32 s60, 0, s60
	s_add_u32 s2, s2, s46
	s_mul_hi_u32 s1, s12, s0
	s_addc_u32 s2, s60, s3
	s_addc_u32 s1, s1, 0
	s_mul_i32 s0, s12, s0
	s_add_u32 s0, s2, s0
	s_addc_u32 s2, 0, s1
	s_add_u32 s46, s56, s0
	s_cselect_b64 s[0:1], -1, 0
	s_cmp_lg_u64 s[0:1], 0
	s_addc_u32 s12, s12, s2
	s_ashr_i32 s2, s13, 31
	s_add_u32 s0, s9, s2
	s_mov_b32 s3, s2
	s_addc_u32 s1, s13, s2
	s_xor_b64 s[0:1], s[0:1], s[2:3]
	s_mul_i32 s60, s0, s12
	s_mul_hi_u32 s61, s0, s46
	s_mul_hi_u32 s56, s0, s12
	s_add_u32 s60, s61, s60
	s_addc_u32 s56, 0, s56
	s_mul_hi_u32 s62, s1, s46
	s_mul_i32 s46, s1, s46
	s_add_u32 s46, s60, s46
	s_mul_hi_u32 s61, s1, s12
	s_addc_u32 s46, s56, s62
	s_addc_u32 s56, s61, 0
	s_mul_i32 s12, s1, s12
	s_add_u32 s12, s46, s12
	s_addc_u32 s46, 0, s56
	s_mul_i32 s46, s44, s46
	s_mul_hi_u32 s56, s44, s12
	s_add_i32 s46, s56, s46
	s_mul_i32 s56, s45, s12
	s_add_i32 s46, s46, s56
	s_sub_i32 s56, s1, s46
	s_mul_i32 s12, s44, s12
	s_sub_u32 s0, s0, s12
	s_cselect_b64 s[60:61], -1, 0
	s_cmp_lg_u64 s[60:61], 0
	s_subb_u32 s12, s56, s45
	s_sub_u32 s56, s0, s44
	s_cselect_b64 s[62:63], -1, 0
	s_cmp_lg_u64 s[62:63], 0
	s_subb_u32 s64, s12, 0
	s_cmp_ge_u32 s64, s45
	s_cselect_b32 s65, -1, 0
	s_cmp_ge_u32 s56, s44
	s_cselect_b32 s93, -1, 0
	s_cmp_eq_u32 s64, s45
	s_cselect_b32 s65, s93, s65
	s_cmp_lg_u64 s[62:63], 0
	s_subb_u32 s12, s12, s45
	s_sub_u32 s93, s56, s44
	s_cselect_b64 s[62:63], -1, 0
	s_cmp_lg_u64 s[62:63], 0
	s_subb_u32 s12, s12, 0
	s_cmp_lg_u32 s65, 0
	s_cselect_b32 s56, s93, s56
	s_cselect_b32 s12, s12, s64
	s_cmp_lg_u64 s[60:61], 0
	s_subb_u32 s1, s1, s46
	s_cmp_ge_u32 s1, s45
	s_cselect_b32 s46, -1, 0
	s_cmp_ge_u32 s0, s44
	s_cselect_b32 s44, -1, 0
	s_cmp_eq_u32 s1, s45
	s_cselect_b32 s44, s44, s46
	s_cmp_lg_u32 s44, 0
	s_cselect_b32 s1, s12, s1
	s_cselect_b32 s0, s56, s0
	s_xor_b64 s[0:1], s[0:1], s[2:3]
	v_readlane_b32 s64, v60, 34
	s_sub_u32 s0, s0, s2
	v_readlane_b32 s65, v60, 35
	v_readlane_b32 s56, v60, 36
	s_subb_u32 s1, s1, s2
	s_cbranch_execnz .LBB39_222
.LBB39_221:                             ;   in Loop: Header=BB39_32 Depth=1
	v_cvt_f32_u32_e32 v6, s33
	s_sub_i32 s0, 0, s33
	v_rcp_iflag_f32_e32 v6, v6
	v_mul_f32_e32 v6, 0x4f7ffffe, v6
	v_cvt_u32_f32_e32 v6, v6
	v_readfirstlane_b32 s1, v6
	s_mul_i32 s0, s0, s1
	s_mul_hi_u32 s0, s1, s0
	s_add_i32 s1, s1, s0
	s_mul_hi_u32 s0, s9, s1
	s_mul_i32 s0, s0, s33
	s_sub_i32 s0, s9, s0
	s_sub_i32 s1, s0, s33
	s_cmp_ge_u32 s0, s33
	s_cselect_b32 s0, s1, s0
	s_sub_i32 s1, s0, s33
	s_cmp_ge_u32 s0, s33
	s_cselect_b32 s46, s1, s0
	s_mov_b64 s[0:1], s[46:47]
.LBB39_222:                             ;   in Loop: Header=BB39_32 Depth=1
	s_sub_u32 s12, s9, s0
	s_subb_u32 s13, s13, s1
	v_cmp_gt_i64_e32 vcc, s[12:13], v[0:1]
                                        ; implicit-def: $vgpr55
	s_and_saveexec_b64 s[2:3], vcc
	s_cbranch_execz .LBB39_232
; %bb.223:                              ;   in Loop: Header=BB39_32 Depth=1
	v_mov_b32_e32 v7, v1
	s_mov_b64 s[0:1], 0
	v_mov_b32_e32 v8, v51
	v_mov_b32_e32 v6, v0
                                        ; implicit-def: $sgpr44_sgpr45
	s_branch .LBB39_226
.LBB39_224:                             ;   in Loop: Header=BB39_226 Depth=2
	s_or_b64 exec, exec, s[60:61]
	s_waitcnt lgkmcnt(0)
	s_barrier
	ds_read_b32 v9, v3 offset:3072
	s_mov_b64 s[60:61], -1
	s_waitcnt lgkmcnt(0)
	s_barrier
	v_cmp_eq_u32_sdwa s[62:63], v9, v3 src0_sel:WORD_0 src1_sel:DWORD
	s_and_b64 vcc, exec, s[62:63]
	s_mov_b64 s[62:63], -1
	s_cbranch_vccnz .LBB39_229
.LBB39_225:                             ;   in Loop: Header=BB39_226 Depth=2
	s_and_b64 s[60:61], exec, s[60:61]
	s_or_b64 s[0:1], s[60:61], s[0:1]
	s_andn2_b64 s[44:45], s[44:45], exec
	s_and_b64 s[60:61], s[62:63], exec
	s_or_b64 s[44:45], s[44:45], s[60:61]
	s_andn2_b64 exec, exec, s[0:1]
	s_cbranch_execz .LBB39_231
.LBB39_226:                             ;   Parent Loop BB39_32 Depth=1
                                        ; =>  This Inner Loop Header: Depth=2
	v_cmp_gt_u64_e32 vcc, s[36:37], v[6:7]
	s_and_saveexec_b64 s[60:61], vcc
	s_cbranch_execz .LBB39_224
; %bb.227:                              ;   in Loop: Header=BB39_226 Depth=2
	ds_read_u16 v9, v8
	s_waitcnt lgkmcnt(0)
	v_add_u32_sdwa v10, sext(v9), s50 dst_sel:DWORD dst_unused:UNUSED_PAD src0_sel:WORD_0 src1_sel:DWORD
	v_and_b32_e32 v10, v10, v54
	v_cmp_eq_u32_e32 vcc, v10, v50
	s_and_b64 exec, exec, vcc
	s_cbranch_execz .LBB39_224
; %bb.228:                              ;   in Loop: Header=BB39_226 Depth=2
	v_perm_b32 v9, v9, 1, v53
	ds_write_b32 v3, v9 offset:3072
	s_branch .LBB39_224
.LBB39_229:                             ;   in Loop: Header=BB39_226 Depth=2
	v_add_co_u32_e32 v6, vcc, s33, v6
	v_addc_co_u32_e32 v7, vcc, 0, v7, vcc
	v_cmp_le_i64_e32 vcc, s[12:13], v[6:7]
	v_add_u32_e32 v8, s16, v8
	s_mov_b64 s[62:63], 0
	s_orn2_b64 s[60:61], vcc, exec
	s_branch .LBB39_225
.LBB39_230:                             ;   in Loop: Header=BB39_32 Depth=1
	s_mov_b64 s[60:61], -1
	s_branch .LBB39_233
.LBB39_231:                             ;   in Loop: Header=BB39_32 Depth=1
	s_or_b64 exec, exec, s[0:1]
	s_andn2_b64 s[0:1], s[10:11], exec
	s_and_b64 s[10:11], s[44:45], exec
	v_lshrrev_b32_e32 v55, 16, v9
	s_or_b64 s[10:11], s[0:1], s[10:11]
.LBB39_232:                             ;   in Loop: Header=BB39_32 Depth=1
	s_or_b64 exec, exec, s[2:3]
	s_mov_b64 s[60:61], 0
	s_mov_b64 s[94:95], -1
.LBB39_233:                             ;   in Loop: Header=BB39_32 Depth=1
	s_orn2_b64 s[0:1], s[10:11], exec
.LBB39_234:                             ;   in Loop: Header=BB39_32 Depth=1
	s_or_b64 exec, exec, s[40:41]
	s_mov_b64 s[2:3], 0
	s_and_saveexec_b64 s[40:41], s[0:1]
	s_cbranch_execz .LBB39_293
; %bb.235:                              ;   in Loop: Header=BB39_32 Depth=1
	v_mov_b32_e32 v6, 1
	s_xor_b64 s[0:1], s[42:43], -1
	v_mov_b32_e32 v2, 1
	v_mov_b32_e32 v7, 0
	s_and_saveexec_b64 s[10:11], s[0:1]
	s_cbranch_execz .LBB39_244
; %bb.236:                              ;   in Loop: Header=BB39_32 Depth=1
	v_cmp_ge_i64_e32 vcc, s[84:85], v[4:5]
	s_and_saveexec_b64 s[0:1], vcc
	s_xor_b64 s[0:1], exec, s[0:1]
	s_cbranch_execz .LBB39_241
; %bb.237:                              ;   in Loop: Header=BB39_32 Depth=1
	ds_read_b64 v[6:7], v3 offset:5120
	v_and_b32_e32 v2, s8, v50
	v_lshl_or_b32 v50, 2, s51, v2
	v_or_b32_e32 v54, s92, v54
	s_waitcnt lgkmcnt(0)
	v_cmp_ne_u64_e32 vcc, 0, v[6:7]
	s_cbranch_vccnz .LBB39_241
; %bb.238:                              ;   in Loop: Header=BB39_32 Depth=1
	s_and_saveexec_b64 s[2:3], s[64:65]
; %bb.239:                              ;   in Loop: Header=BB39_32 Depth=1
	v_mov_b32_e32 v6, s84
	v_mov_b32_e32 v7, s85
	ds_write_b64 v3, v[6:7] offset:5128
; %bb.240:                              ;   in Loop: Header=BB39_32 Depth=1
	s_or_b64 exec, exec, s[2:3]
	s_waitcnt lgkmcnt(0)
	s_barrier
.LBB39_241:                             ;   in Loop: Header=BB39_32 Depth=1
	s_or_saveexec_b64 s[0:1], s[0:1]
	s_mov_b64 s[2:3], 0
	v_mov_b32_e32 v2, 8
	s_xor_b64 exec, exec, s[0:1]
; %bb.242:                              ;   in Loop: Header=BB39_32 Depth=1
	v_subrev_co_u32_e32 v4, vcc, s84, v4
	v_mov_b32_e32 v2, s85
	v_subb_co_u32_e32 v5, vcc, v5, v2, vcc
	v_mov_b32_e32 v2, 0
	s_mov_b64 s[2:3], exec
; %bb.243:                              ;   in Loop: Header=BB39_32 Depth=1
	s_or_b64 exec, exec, s[0:1]
	v_mov_b32_e32 v7, v5
	s_and_b64 s[2:3], s[2:3], exec
	v_mov_b32_e32 v6, v4
.LBB39_244:                             ;   in Loop: Header=BB39_32 Depth=1
	s_or_b64 exec, exec, s[10:11]
	s_mov_b64 s[0:1], -1
                                        ; implicit-def: $sgpr10_sgpr11
                                        ; implicit-def: $sgpr12_sgpr13
	s_and_saveexec_b64 s[42:43], s[2:3]
	s_cbranch_execz .LBB39_292
; %bb.245:                              ;   in Loop: Header=BB39_32 Depth=1
	s_cmp_eq_u64 s[14:15], 1
	v_cmp_eq_u64_e32 vcc, 1, v[6:7]
	s_cselect_b64 s[0:1], -1, 0
	v_writelane_b32 v60, s60, 37
	s_and_b64 s[2:3], s[0:1], vcc
	s_mov_b64 s[0:1], -1
	v_writelane_b32 v60, s61, 38
                                        ; implicit-def: $sgpr10_sgpr11
                                        ; implicit-def: $sgpr12_sgpr13
	s_mov_b64 s[36:37], exec
	v_writelane_b32 v60, s2, 39
	v_writelane_b32 v60, s3, 40
	s_and_b64 s[2:3], s[36:37], s[2:3]
	s_mov_b64 exec, s[2:3]
	s_cbranch_execz .LBB39_280
; %bb.246:                              ;   in Loop: Header=BB39_32 Depth=1
	ds_read_b64 v[4:5], v3 offset:5120
	s_waitcnt lgkmcnt(0)
	s_barrier
	v_readfirstlane_b32 s44, v4
	v_readfirstlane_b32 s45, v5
	s_mov_b64 s[0:1], exec
	v_readlane_b32 s2, v60, 10
	v_readlane_b32 s3, v60, 11
	s_and_b64 s[2:3], s[0:1], s[2:3]
	s_mov_b64 exec, s[2:3]
; %bb.247:                              ;   in Loop: Header=BB39_32 Depth=1
	ds_write_b16 v52, v3
; %bb.248:                              ;   in Loop: Header=BB39_32 Depth=1
	s_or_b64 exec, exec, s[0:1]
	v_cmp_gt_i64_e64 s[0:1], s[44:45], 0
	v_or_b32_e32 v50, s92, v50
	v_or_b32_e32 v54, s92, v54
	s_mov_b64 s[12:13], -1
	s_mov_b64 s[10:11], 0
	s_and_b64 vcc, exec, s[0:1]
	s_mov_b64 s[60:61], 0
	s_mov_b64 s[62:63], -1
	s_waitcnt lgkmcnt(0)
	s_barrier
                                        ; implicit-def: $vgpr55
	s_cbranch_vccnz .LBB39_265
; %bb.249:                              ;   in Loop: Header=BB39_32 Depth=1
	s_mov_b32 s56, s47
	s_cmp_lg_u64 s[56:57], 0
	s_cbranch_scc0 .LBB39_252
; %bb.250:                              ;   in Loop: Header=BB39_32 Depth=1
	s_add_u32 s0, s33, 0
	s_addc_u32 s1, 0, 0
	s_xor_b64 s[60:61], s[0:1], 0
	v_cvt_f32_u32_e32 v4, s60
	v_cvt_f32_u32_e32 v5, s61
	s_sub_u32 s2, 0, s60
	s_subb_u32 s3, 0, s61
	v_mac_f32_e32 v4, 0x4f800000, v5
	v_rcp_f32_e32 v4, v4
	v_mul_f32_e32 v4, 0x5f7ffffc, v4
	v_mul_f32_e32 v5, 0x2f800000, v4
	v_trunc_f32_e32 v5, v5
	v_mac_f32_e32 v4, 0xcf800000, v5
	v_cvt_u32_f32_e32 v5, v5
	v_cvt_u32_f32_e32 v4, v4
	v_readfirstlane_b32 s8, v5
	v_readfirstlane_b32 s0, v4
	s_mul_i32 s1, s2, s8
	s_mul_hi_u32 s46, s2, s0
	s_mul_i32 s9, s3, s0
	s_add_i32 s1, s46, s1
	s_mul_i32 s56, s2, s0
	s_add_i32 s1, s1, s9
	s_mul_i32 s46, s0, s1
	s_mul_hi_u32 s62, s0, s56
	s_mul_hi_u32 s9, s0, s1
	s_add_u32 s46, s62, s46
	s_addc_u32 s9, 0, s9
	s_mul_hi_u32 s63, s8, s56
	s_mul_i32 s56, s8, s56
	s_add_u32 s46, s46, s56
	s_mul_hi_u32 s62, s8, s1
	s_addc_u32 s9, s9, s63
	s_addc_u32 s46, s62, 0
	s_mul_i32 s1, s8, s1
	s_add_u32 s1, s9, s1
	s_addc_u32 s9, 0, s46
	s_add_u32 s46, s0, s1
	s_cselect_b64 s[0:1], -1, 0
	s_cmp_lg_u64 s[0:1], 0
	s_addc_u32 s8, s8, s9
	s_mul_i32 s0, s2, s8
	s_mul_hi_u32 s1, s2, s46
	s_add_i32 s0, s1, s0
	s_mul_i32 s3, s3, s46
	s_add_i32 s0, s0, s3
	s_mul_i32 s2, s2, s46
	s_mul_hi_u32 s3, s8, s2
	s_mul_i32 s9, s8, s2
	s_mul_i32 s62, s46, s0
	s_mul_hi_u32 s2, s46, s2
	s_mul_hi_u32 s56, s46, s0
	s_add_u32 s2, s2, s62
	s_addc_u32 s56, 0, s56
	s_add_u32 s2, s2, s9
	s_mul_hi_u32 s1, s8, s0
	s_addc_u32 s2, s56, s3
	s_addc_u32 s1, s1, 0
	s_mul_i32 s0, s8, s0
	s_add_u32 s0, s2, s0
	s_addc_u32 s2, 0, s1
	s_add_u32 s9, s46, s0
	s_cselect_b64 s[0:1], -1, 0
	s_cmp_lg_u64 s[0:1], 0
	s_addc_u32 s8, s8, s2
	s_ashr_i32 s2, s57, 31
	v_readlane_b32 s0, v60, 19
	s_add_u32 s0, s0, s2
	s_mov_b32 s3, s2
	s_addc_u32 s1, s57, s2
	s_xor_b64 s[0:1], s[0:1], s[2:3]
	s_mul_i32 s56, s0, s8
	s_mul_hi_u32 s62, s0, s9
	s_mul_hi_u32 s46, s0, s8
	s_add_u32 s56, s62, s56
	s_addc_u32 s46, 0, s46
	s_mul_hi_u32 s63, s1, s9
	s_mul_i32 s9, s1, s9
	s_add_u32 s9, s56, s9
	s_mul_hi_u32 s62, s1, s8
	s_addc_u32 s9, s46, s63
	s_addc_u32 s46, s62, 0
	s_mul_i32 s8, s1, s8
	s_add_u32 s8, s9, s8
	s_addc_u32 s9, 0, s46
	s_mul_i32 s9, s60, s9
	s_mul_hi_u32 s46, s60, s8
	s_add_i32 s9, s46, s9
	s_mul_i32 s46, s61, s8
	s_add_i32 s46, s9, s46
	s_sub_i32 s56, s1, s46
	s_mul_i32 s8, s60, s8
	s_sub_u32 s0, s0, s8
	s_cselect_b64 s[8:9], -1, 0
	s_cmp_lg_u64 s[8:9], 0
	s_subb_u32 s56, s56, s61
	s_sub_u32 s64, s0, s60
	s_cselect_b64 s[62:63], -1, 0
	s_cmp_lg_u64 s[62:63], 0
	s_subb_u32 s65, s56, 0
	s_cmp_ge_u32 s65, s61
	s_cselect_b32 s84, -1, 0
	s_cmp_ge_u32 s64, s60
	s_cselect_b32 s85, -1, 0
	s_cmp_eq_u32 s65, s61
	s_cselect_b32 s84, s85, s84
	s_cmp_lg_u64 s[62:63], 0
	s_subb_u32 s56, s56, s61
	s_sub_u32 s85, s64, s60
	s_cselect_b64 s[62:63], -1, 0
	s_cmp_lg_u64 s[62:63], 0
	s_subb_u32 s56, s56, 0
	s_cmp_lg_u32 s84, 0
	s_cselect_b32 s62, s85, s64
	s_cselect_b32 s56, s56, s65
	s_cmp_lg_u64 s[8:9], 0
	s_subb_u32 s1, s1, s46
	s_cmp_ge_u32 s1, s61
	s_cselect_b32 s8, -1, 0
	s_cmp_ge_u32 s0, s60
	s_cselect_b32 s9, -1, 0
	s_cmp_eq_u32 s1, s61
	s_cselect_b32 s8, s9, s8
	s_cmp_lg_u32 s8, 0
	s_cselect_b32 s1, s56, s1
	s_cselect_b32 s0, s62, s0
	s_xor_b64 s[0:1], s[0:1], s[2:3]
	s_sub_u32 s0, s0, s2
	s_subb_u32 s1, s1, s2
	s_mov_b64 s[2:3], 0
	s_branch .LBB39_253
.LBB39_251:                             ;   in Loop: Header=BB39_32 Depth=1
                                        ; implicit-def: $sgpr0_sgpr1
	s_branch .LBB39_221
.LBB39_252:                             ;   in Loop: Header=BB39_32 Depth=1
	s_mov_b64 s[2:3], -1
                                        ; implicit-def: $sgpr0_sgpr1
.LBB39_253:                             ;   in Loop: Header=BB39_32 Depth=1
	s_andn2_b64 vcc, exec, s[2:3]
	v_readlane_b32 s56, v60, 36
	s_cbranch_vccnz .LBB39_255
; %bb.254:                              ;   in Loop: Header=BB39_32 Depth=1
	v_cvt_f32_u32_e32 v4, s33
	s_sub_i32 s0, 0, s33
	v_readlane_b32 s2, v60, 19
	v_rcp_iflag_f32_e32 v4, v4
	v_mul_f32_e32 v4, 0x4f7ffffe, v4
	v_cvt_u32_f32_e32 v4, v4
	v_readfirstlane_b32 s1, v4
	s_mul_i32 s0, s0, s1
	s_mul_hi_u32 s0, s1, s0
	s_add_i32 s1, s1, s0
	s_mul_hi_u32 s0, s2, s1
	s_mul_i32 s0, s0, s33
	s_sub_i32 s0, s2, s0
	s_sub_i32 s1, s0, s33
	s_cmp_ge_u32 s0, s33
	s_cselect_b32 s0, s1, s0
	s_sub_i32 s1, s0, s33
	s_cmp_ge_u32 s0, s33
	s_cselect_b32 s46, s1, s0
	s_mov_b64 s[0:1], s[46:47]
.LBB39_255:                             ;   in Loop: Header=BB39_32 Depth=1
	v_readlane_b32 s2, v60, 19
	s_sub_u32 s84, s2, s0
	s_subb_u32 s85, s57, s1
	v_cmp_gt_i64_e32 vcc, s[84:85], v[0:1]
	s_mov_b64 s[62:63], 0
	s_mov_b64 s[60:61], 0
                                        ; implicit-def: $vgpr55
	s_and_saveexec_b64 s[2:3], vcc
	s_cbranch_execz .LBB39_264
; %bb.256:                              ;   in Loop: Header=BB39_32 Depth=1
	v_mov_b32_e32 v4, v12
	v_mov_b32_e32 v9, v1
	;; [unrolled: 1-line block ×4, first 2 shown]
                                        ; implicit-def: $sgpr0_sgpr1
	s_branch .LBB39_259
.LBB39_257:                             ;   in Loop: Header=BB39_259 Depth=2
	s_or_b64 exec, exec, s[64:65]
	s_waitcnt lgkmcnt(0)
	s_barrier
	ds_read_b32 v10, v3 offset:3072
	s_mov_b64 s[64:65], -1
	s_waitcnt lgkmcnt(0)
	s_barrier
	v_cmp_ne_u32_sdwa s[8:9], v10, v3 src0_sel:WORD_0 src1_sel:DWORD
	s_and_b64 vcc, exec, s[8:9]
	s_mov_b64 s[8:9], -1
	s_cbranch_vccz .LBB39_262
.LBB39_258:                             ;   in Loop: Header=BB39_259 Depth=2
	s_and_b64 s[64:65], exec, s[64:65]
	s_or_b64 s[60:61], s[64:65], s[60:61]
	s_andn2_b64 s[0:1], s[0:1], exec
	s_and_b64 s[8:9], s[8:9], exec
	s_or_b64 s[0:1], s[0:1], s[8:9]
	s_andn2_b64 exec, exec, s[60:61]
	s_cbranch_execz .LBB39_263
.LBB39_259:                             ;   Parent Loop BB39_32 Depth=1
                                        ; =>  This Inner Loop Header: Depth=2
	v_cmp_gt_i64_e32 vcc, s[24:25], v[8:9]
	s_and_saveexec_b64 s[64:65], vcc
	s_cbranch_execz .LBB39_257
; %bb.260:                              ;   in Loop: Header=BB39_259 Depth=2
	global_load_ushort v10, v[4:5], off
	s_waitcnt vmcnt(0)
	v_add_u32_sdwa v11, sext(v10), s50 dst_sel:DWORD dst_unused:UNUSED_PAD src0_sel:WORD_0 src1_sel:DWORD
	v_and_b32_e32 v11, v11, v54
	v_cmp_eq_u32_e32 vcc, v11, v50
	s_and_b64 exec, exec, vcc
	s_cbranch_execz .LBB39_257
; %bb.261:                              ;   in Loop: Header=BB39_259 Depth=2
	v_perm_b32 v10, v10, 1, v53
	ds_write_b32 v3, v10 offset:3072
	s_branch .LBB39_257
.LBB39_262:                             ;   in Loop: Header=BB39_259 Depth=2
	v_add_co_u32_e32 v8, vcc, s33, v8
	v_addc_co_u32_e32 v9, vcc, 0, v9, vcc
	v_mov_b32_e32 v11, s53
	v_add_co_u32_e32 v4, vcc, s52, v4
	v_addc_co_u32_e32 v5, vcc, v5, v11, vcc
	v_cmp_le_i64_e32 vcc, s[84:85], v[8:9]
	s_mov_b64 s[8:9], 0
	s_orn2_b64 s[64:65], vcc, exec
	s_branch .LBB39_258
.LBB39_263:                             ;   in Loop: Header=BB39_32 Depth=1
	s_or_b64 exec, exec, s[60:61]
	v_lshrrev_b32_e32 v55, 16, v10
	s_and_b64 s[60:61], s[0:1], exec
.LBB39_264:                             ;   in Loop: Header=BB39_32 Depth=1
	s_or_b64 exec, exec, s[2:3]
	v_readlane_b32 s64, v60, 34
	v_readlane_b32 s65, v60, 35
.LBB39_265:                             ;   in Loop: Header=BB39_32 Depth=1
	s_and_b64 vcc, exec, s[62:63]
	s_cbranch_vccz .LBB39_279
; %bb.266:                              ;   in Loop: Header=BB39_32 Depth=1
	v_readlane_b32 s0, v60, 18
	s_add_u32 s8, s44, s0
	v_readlane_b32 s0, v60, 20
	s_addc_u32 s11, s45, s0
	s_mov_b32 s10, s47
	s_cmp_lg_u64 s[10:11], 0
	s_cbranch_scc0 .LBB39_299
; %bb.267:                              ;   in Loop: Header=BB39_32 Depth=1
	s_add_u32 s0, s33, 0
	s_addc_u32 s1, 0, 0
	s_xor_b64 s[12:13], s[0:1], 0
	v_cvt_f32_u32_e32 v4, s12
	v_cvt_f32_u32_e32 v5, s13
	s_sub_u32 s2, 0, s12
	s_subb_u32 s3, 0, s13
	v_mac_f32_e32 v4, 0x4f800000, v5
	v_rcp_f32_e32 v4, v4
	v_mul_f32_e32 v4, 0x5f7ffffc, v4
	v_mul_f32_e32 v5, 0x2f800000, v4
	v_trunc_f32_e32 v5, v5
	v_mac_f32_e32 v4, 0xcf800000, v5
	v_cvt_u32_f32_e32 v5, v5
	v_cvt_u32_f32_e32 v4, v4
	v_readfirstlane_b32 s9, v5
	v_readfirstlane_b32 s0, v4
	s_mul_i32 s1, s2, s9
	s_mul_hi_u32 s46, s2, s0
	s_mul_i32 s10, s3, s0
	s_add_i32 s1, s46, s1
	s_mul_i32 s56, s2, s0
	s_add_i32 s1, s1, s10
	s_mul_i32 s46, s0, s1
	s_mul_hi_u32 s62, s0, s56
	s_mul_hi_u32 s10, s0, s1
	s_add_u32 s46, s62, s46
	s_addc_u32 s10, 0, s10
	s_mul_hi_u32 s63, s9, s56
	s_mul_i32 s56, s9, s56
	s_add_u32 s46, s46, s56
	s_mul_hi_u32 s62, s9, s1
	s_addc_u32 s10, s10, s63
	s_addc_u32 s46, s62, 0
	s_mul_i32 s1, s9, s1
	s_add_u32 s1, s10, s1
	s_addc_u32 s10, 0, s46
	s_add_u32 s46, s0, s1
	s_cselect_b64 s[0:1], -1, 0
	s_cmp_lg_u64 s[0:1], 0
	s_addc_u32 s9, s9, s10
	s_mul_i32 s0, s2, s9
	s_mul_hi_u32 s1, s2, s46
	s_add_i32 s0, s1, s0
	s_mul_i32 s3, s3, s46
	s_add_i32 s0, s0, s3
	s_mul_i32 s2, s2, s46
	s_mul_hi_u32 s3, s9, s2
	s_mul_i32 s10, s9, s2
	s_mul_i32 s62, s46, s0
	s_mul_hi_u32 s2, s46, s2
	s_mul_hi_u32 s56, s46, s0
	s_add_u32 s2, s2, s62
	s_addc_u32 s56, 0, s56
	s_add_u32 s2, s2, s10
	s_mul_hi_u32 s1, s9, s0
	s_addc_u32 s2, s56, s3
	s_addc_u32 s1, s1, 0
	s_mul_i32 s0, s9, s0
	s_add_u32 s0, s2, s0
	s_addc_u32 s2, 0, s1
	s_add_u32 s10, s46, s0
	s_cselect_b64 s[0:1], -1, 0
	s_cmp_lg_u64 s[0:1], 0
	s_addc_u32 s9, s9, s2
	s_ashr_i32 s2, s11, 31
	s_add_u32 s0, s8, s2
	s_mov_b32 s3, s2
	s_addc_u32 s1, s11, s2
	s_xor_b64 s[0:1], s[0:1], s[2:3]
	s_mul_i32 s56, s0, s9
	s_mul_hi_u32 s62, s0, s10
	s_mul_hi_u32 s46, s0, s9
	s_add_u32 s56, s62, s56
	s_addc_u32 s46, 0, s46
	s_mul_hi_u32 s63, s1, s10
	s_mul_i32 s10, s1, s10
	s_add_u32 s10, s56, s10
	s_mul_hi_u32 s62, s1, s9
	s_addc_u32 s10, s46, s63
	s_addc_u32 s46, s62, 0
	s_mul_i32 s9, s1, s9
	s_add_u32 s9, s10, s9
	s_addc_u32 s10, 0, s46
	s_mul_i32 s10, s12, s10
	s_mul_hi_u32 s46, s12, s9
	s_add_i32 s10, s46, s10
	s_mul_i32 s46, s13, s9
	s_add_i32 s10, s10, s46
	s_sub_i32 s46, s1, s10
	s_mul_i32 s9, s12, s9
	s_sub_u32 s0, s0, s9
	s_cselect_b64 s[62:63], -1, 0
	s_cmp_lg_u64 s[62:63], 0
	s_subb_u32 s9, s46, s13
	s_sub_u32 s46, s0, s12
	s_cselect_b64 s[64:65], -1, 0
	s_cmp_lg_u64 s[64:65], 0
	s_subb_u32 s56, s9, 0
	s_cmp_ge_u32 s56, s13
	s_cselect_b32 s84, -1, 0
	s_cmp_ge_u32 s46, s12
	s_cselect_b32 s85, -1, 0
	s_cmp_eq_u32 s56, s13
	s_cselect_b32 s84, s85, s84
	s_cmp_lg_u64 s[64:65], 0
	s_subb_u32 s9, s9, s13
	s_sub_u32 s85, s46, s12
	s_cselect_b64 s[64:65], -1, 0
	s_cmp_lg_u64 s[64:65], 0
	s_subb_u32 s9, s9, 0
	s_cmp_lg_u32 s84, 0
	s_cselect_b32 s46, s85, s46
	s_cselect_b32 s9, s9, s56
	s_cmp_lg_u64 s[62:63], 0
	s_subb_u32 s1, s1, s10
	s_cmp_ge_u32 s1, s13
	s_cselect_b32 s10, -1, 0
	s_cmp_ge_u32 s0, s12
	s_cselect_b32 s12, -1, 0
	s_cmp_eq_u32 s1, s13
	s_cselect_b32 s10, s12, s10
	s_cmp_lg_u32 s10, 0
	s_cselect_b32 s1, s9, s1
	s_cselect_b32 s0, s46, s0
	s_xor_b64 s[0:1], s[0:1], s[2:3]
	v_readlane_b32 s64, v60, 34
	s_sub_u32 s0, s0, s2
	v_readlane_b32 s65, v60, 35
	v_readlane_b32 s56, v60, 36
	s_subb_u32 s1, s1, s2
	s_cbranch_execnz .LBB39_269
.LBB39_268:                             ;   in Loop: Header=BB39_32 Depth=1
	v_cvt_f32_u32_e32 v4, s33
	s_sub_i32 s0, 0, s33
	v_rcp_iflag_f32_e32 v4, v4
	v_mul_f32_e32 v4, 0x4f7ffffe, v4
	v_cvt_u32_f32_e32 v4, v4
	v_readfirstlane_b32 s1, v4
	s_mul_i32 s0, s0, s1
	s_mul_hi_u32 s0, s1, s0
	s_add_i32 s1, s1, s0
	s_mul_hi_u32 s0, s8, s1
	s_mul_i32 s0, s0, s33
	s_sub_i32 s0, s8, s0
	s_sub_i32 s1, s0, s33
	s_cmp_ge_u32 s0, s33
	s_cselect_b32 s0, s1, s0
	s_sub_i32 s1, s0, s33
	s_cmp_ge_u32 s0, s33
	s_cselect_b32 s46, s1, s0
	s_mov_b64 s[0:1], s[46:47]
.LBB39_269:                             ;   in Loop: Header=BB39_32 Depth=1
	s_sub_u32 s10, s8, s0
	s_subb_u32 s11, s11, s1
	v_cmp_gt_i64_e32 vcc, s[10:11], v[0:1]
                                        ; implicit-def: $vgpr55
	s_and_saveexec_b64 s[2:3], vcc
	s_cbranch_execz .LBB39_278
; %bb.270:                              ;   in Loop: Header=BB39_32 Depth=1
	v_mov_b32_e32 v5, v1
	s_mov_b64 s[0:1], 0
	v_mov_b32_e32 v8, v51
	v_mov_b32_e32 v4, v0
                                        ; implicit-def: $sgpr12_sgpr13
	s_branch .LBB39_273
.LBB39_271:                             ;   in Loop: Header=BB39_273 Depth=2
	s_or_b64 exec, exec, s[62:63]
	s_waitcnt lgkmcnt(0)
	s_barrier
	ds_read_b32 v9, v3 offset:3072
	s_mov_b64 s[62:63], -1
	s_waitcnt lgkmcnt(0)
	s_barrier
	v_cmp_eq_u32_sdwa s[8:9], v9, v3 src0_sel:WORD_0 src1_sel:DWORD
	s_and_b64 vcc, exec, s[8:9]
	s_mov_b64 s[8:9], -1
	s_cbranch_vccnz .LBB39_276
.LBB39_272:                             ;   in Loop: Header=BB39_273 Depth=2
	s_and_b64 s[62:63], exec, s[62:63]
	s_or_b64 s[0:1], s[62:63], s[0:1]
	s_andn2_b64 s[12:13], s[12:13], exec
	s_and_b64 s[8:9], s[8:9], exec
	s_or_b64 s[12:13], s[12:13], s[8:9]
	s_andn2_b64 exec, exec, s[0:1]
	s_cbranch_execz .LBB39_277
.LBB39_273:                             ;   Parent Loop BB39_32 Depth=1
                                        ; =>  This Inner Loop Header: Depth=2
	v_cmp_gt_u64_e32 vcc, s[44:45], v[4:5]
	s_and_saveexec_b64 s[62:63], vcc
	s_cbranch_execz .LBB39_271
; %bb.274:                              ;   in Loop: Header=BB39_273 Depth=2
	ds_read_u16 v9, v8
	s_waitcnt lgkmcnt(0)
	v_add_u32_sdwa v10, sext(v9), s50 dst_sel:DWORD dst_unused:UNUSED_PAD src0_sel:WORD_0 src1_sel:DWORD
	v_and_b32_e32 v10, v10, v54
	v_cmp_eq_u32_e32 vcc, v10, v50
	s_and_b64 exec, exec, vcc
	s_cbranch_execz .LBB39_271
; %bb.275:                              ;   in Loop: Header=BB39_273 Depth=2
	v_perm_b32 v9, v9, 1, v53
	ds_write_b32 v3, v9 offset:3072
	s_branch .LBB39_271
.LBB39_276:                             ;   in Loop: Header=BB39_273 Depth=2
	v_add_co_u32_e32 v4, vcc, s33, v4
	v_addc_co_u32_e32 v5, vcc, 0, v5, vcc
	v_cmp_le_i64_e32 vcc, s[10:11], v[4:5]
	v_add_u32_e32 v8, s16, v8
	s_mov_b64 s[8:9], 0
	s_orn2_b64 s[62:63], vcc, exec
	s_branch .LBB39_272
.LBB39_277:                             ;   in Loop: Header=BB39_32 Depth=1
	s_or_b64 exec, exec, s[0:1]
	s_andn2_b64 s[0:1], s[60:61], exec
	s_and_b64 s[8:9], s[12:13], exec
	v_lshrrev_b32_e32 v55, 16, v9
	s_or_b64 s[60:61], s[0:1], s[8:9]
.LBB39_278:                             ;   in Loop: Header=BB39_32 Depth=1
	s_or_b64 exec, exec, s[2:3]
	s_mov_b64 s[12:13], 0
	s_mov_b64 s[10:11], -1
.LBB39_279:                             ;   in Loop: Header=BB39_32 Depth=1
	s_orn2_b64 s[0:1], s[60:61], exec
.LBB39_280:                             ;   in Loop: Header=BB39_32 Depth=1
	s_or_b64 exec, exec, s[36:37]
	s_mov_b64 s[2:3], 0
	s_and_saveexec_b64 s[36:37], s[0:1]
	v_readlane_b32 s60, v60, 37
	v_readlane_b32 s61, v60, 38
	s_cbranch_execz .LBB39_291
; %bb.281:                              ;   in Loop: Header=BB39_32 Depth=1
	v_readlane_b32 s0, v60, 39
	v_readlane_b32 s1, v60, 40
	v_mov_b32_e32 v4, 1
	s_xor_b64 s[0:1], s[0:1], -1
	v_mov_b32_e32 v5, 0
	v_mov_b32_e32 v2, 1
	s_and_saveexec_b64 s[44:45], s[0:1]
	s_cbranch_execz .LBB39_290
; %bb.282:                              ;   in Loop: Header=BB39_32 Depth=1
	v_cmp_ge_i64_e32 vcc, s[14:15], v[6:7]
	s_and_saveexec_b64 s[0:1], vcc
	s_xor_b64 s[0:1], exec, s[0:1]
	s_cbranch_execz .LBB39_287
; %bb.283:                              ;   in Loop: Header=BB39_32 Depth=1
	ds_read_b64 v[4:5], v3 offset:5120
	v_or_b32_e32 v50, s92, v50
	v_or_b32_e32 v54, s92, v54
	s_waitcnt lgkmcnt(0)
	v_cmp_ne_u64_e32 vcc, 0, v[4:5]
	s_cbranch_vccnz .LBB39_287
; %bb.284:                              ;   in Loop: Header=BB39_32 Depth=1
	s_and_saveexec_b64 s[2:3], s[64:65]
; %bb.285:                              ;   in Loop: Header=BB39_32 Depth=1
	v_mov_b32_e32 v4, s14
	v_mov_b32_e32 v5, s15
	ds_write_b64 v3, v[4:5] offset:5128
; %bb.286:                              ;   in Loop: Header=BB39_32 Depth=1
	s_or_b64 exec, exec, s[2:3]
	s_waitcnt lgkmcnt(0)
	s_barrier
.LBB39_287:                             ;   in Loop: Header=BB39_32 Depth=1
	s_andn2_saveexec_b64 s[0:1], s[0:1]
; %bb.288:                              ;   in Loop: Header=BB39_32 Depth=1
	v_mov_b32_e32 v2, s15
	v_subrev_co_u32_e32 v6, vcc, s14, v6
	v_subb_co_u32_e32 v7, vcc, v7, v2, vcc
; %bb.289:                              ;   in Loop: Header=BB39_32 Depth=1
	s_or_b64 exec, exec, s[0:1]
	v_mov_b32_e32 v4, v6
	v_readlane_b32 s60, v60, 37
	v_mov_b32_e32 v2, 8
	v_mov_b32_e32 v5, v7
	v_readlane_b32 s61, v60, 38
.LBB39_290:                             ;   in Loop: Header=BB39_32 Depth=1
	s_or_b64 exec, exec, s[44:45]
	v_mov_b32_e32 v7, v5
	s_mov_b64 s[2:3], exec
	v_mov_b32_e32 v6, v4
.LBB39_291:                             ;   in Loop: Header=BB39_32 Depth=1
	s_or_b64 exec, exec, s[36:37]
	s_orn2_b64 s[0:1], s[2:3], exec
.LBB39_292:                             ;   in Loop: Header=BB39_32 Depth=1
	s_or_b64 exec, exec, s[42:43]
	s_andn2_b64 s[2:3], s[94:95], exec
	s_and_b64 s[8:9], s[10:11], exec
	s_or_b64 s[94:95], s[2:3], s[8:9]
	s_andn2_b64 s[2:3], s[60:61], exec
	s_and_b64 s[8:9], s[12:13], exec
	v_mov_b32_e32 v4, v6
	s_or_b64 s[60:61], s[2:3], s[8:9]
	s_and_b64 s[2:3], s[0:1], exec
	v_mov_b32_e32 v5, v7
.LBB39_293:                             ;   in Loop: Header=BB39_32 Depth=1
	s_or_b64 exec, exec, s[40:41]
	s_orn2_b64 s[0:1], s[2:3], exec
.LBB39_294:                             ;   in Loop: Header=BB39_32 Depth=1
	s_or_b64 exec, exec, s[90:91]
	s_andn2_b64 s[2:3], s[86:87], exec
	s_and_b64 s[8:9], s[94:95], exec
	s_or_b64 s[86:87], s[2:3], s[8:9]
	s_andn2_b64 s[2:3], s[6:7], exec
	s_and_b64 s[6:7], s[60:61], exec
	v_mov_b32_e32 v9, v5
	s_or_b64 s[6:7], s[2:3], s[6:7]
	s_and_b64 s[2:3], s[0:1], exec
	v_mov_b32_e32 v8, v4
.LBB39_295:                             ;   in Loop: Header=BB39_32 Depth=1
	s_or_b64 exec, exec, s[88:89]
	s_orn2_b64 s[0:1], s[2:3], exec
.LBB39_296:                             ;   in Loop: Header=BB39_32 Depth=1
	s_or_b64 exec, exec, s[26:27]
	s_mov_b64 s[2:3], 0
	s_and_saveexec_b64 s[8:9], s[0:1]
	s_xor_b64 s[0:1], exec, s[8:9]
	s_cbranch_execz .LBB39_30
; %bb.297:                              ;   in Loop: Header=BB39_32 Depth=1
	v_and_b32_e32 v2, 7, v2
	v_cmp_eq_u32_e32 vcc, 0, v2
	s_mov_b64 s[10:11], -1
	s_mov_b64 s[2:3], -1
	s_and_saveexec_b64 s[12:13], vcc
	s_cbranch_execz .LBB39_29
; %bb.298:                              ;   in Loop: Header=BB39_32 Depth=1
	s_xor_b32 s69, s69, 1
	s_add_i32 s14, s51, -2
	s_cmp_eq_u32 s51, 0
	s_cselect_b64 s[8:9], -1, 0
	s_xor_b64 s[2:3], exec, -1
	s_orn2_b64 s[10:11], s[8:9], exec
	s_mov_b32 s51, s14
	s_branch .LBB39_29
.LBB39_299:                             ;   in Loop: Header=BB39_32 Depth=1
                                        ; implicit-def: $sgpr0_sgpr1
	s_branch .LBB39_268
.LBB39_300:
	s_or_b64 exec, exec, s[70:71]
	s_xor_b64 s[6:7], s[76:77], -1
	s_xor_b64 s[4:5], s[72:73], -1
	;; [unrolled: 1-line block ×3, first 2 shown]
	s_mov_b64 s[0:1], 0
	s_and_saveexec_b64 s[8:9], s[4:5]
	s_xor_b64 s[4:5], exec, s[8:9]
	s_cbranch_execnz .LBB39_305
; %bb.301:
	s_andn2_saveexec_b64 s[2:3], s[4:5]
	s_cbranch_execnz .LBB39_327
.LBB39_302:
	s_or_b64 exec, exec, s[2:3]
	s_and_saveexec_b64 s[2:3], s[0:1]
.LBB39_303:
	; divergent unreachable
.LBB39_304:
	s_endpgm
.LBB39_305:
	s_and_saveexec_b64 s[0:1], s[6:7]
	s_xor_b64 s[6:7], exec, s[0:1]
	s_cbranch_execz .LBB39_325
; %bb.306:
	s_and_saveexec_b64 s[0:1], s[2:3]
	s_xor_b64 s[0:1], exec, s[0:1]
; %bb.307:
	v_xor_b32_e32 v55, 0xffff8000, v50
; %bb.308:
	s_or_b64 exec, exec, s[0:1]
	s_and_saveexec_b64 s[0:1], s[64:65]
; %bb.309:
	v_mov_b32_e32 v2, 0
	v_mov_b32_e32 v3, s24
	ds_write_b32 v2, v3 offset:5140
; %bb.310:
	s_or_b64 exec, exec, s[0:1]
	s_waitcnt lgkmcnt(0)
	s_barrier
	s_mov_b64 s[8:9], exec
	v_readlane_b32 s0, v60, 14
	v_readlane_b32 s1, v60, 15
	s_and_b64 s[0:1], s[8:9], s[0:1]
	s_mov_b64 exec, s[0:1]
	s_cbranch_execz .LBB39_322
; %bb.311:
	v_mov_b32_e32 v2, 0
	ds_read_b32 v4, v2 offset:5140
	s_mov_b64 s[10:11], 0
                                        ; implicit-def: $sgpr12_sgpr13
                                        ; implicit-def: $sgpr14_sgpr15
                                        ; implicit-def: $sgpr16_sgpr17
	s_waitcnt lgkmcnt(0)
	v_ashrrev_i32_e32 v5, 31, v4
	s_branch .LBB39_314
.LBB39_312:                             ;   in Loop: Header=BB39_314 Depth=1
	s_or_b64 exec, exec, s[20:21]
	s_andn2_b64 s[16:17], s[16:17], exec
	s_and_b64 s[18:19], s[18:19], exec
	s_andn2_b64 s[14:15], s[14:15], exec
	s_and_b64 s[2:3], s[2:3], exec
	s_or_b64 s[16:17], s[16:17], s[18:19]
	s_or_b64 s[14:15], s[14:15], s[2:3]
.LBB39_313:                             ;   in Loop: Header=BB39_314 Depth=1
	s_or_b64 exec, exec, s[0:1]
	s_and_b64 s[0:1], exec, s[14:15]
	s_or_b64 s[10:11], s[0:1], s[10:11]
	s_andn2_b64 s[0:1], s[12:13], exec
	s_and_b64 s[2:3], s[16:17], exec
	s_or_b64 s[12:13], s[0:1], s[2:3]
	s_andn2_b64 exec, exec, s[10:11]
	s_cbranch_execz .LBB39_317
.LBB39_314:                             ; =>This Inner Loop Header: Depth=1
	v_mov_b32_e32 v3, v1
	v_mov_b32_e32 v2, v0
	v_cmp_lt_i64_e32 vcc, v[2:3], v[4:5]
	s_or_b64 s[16:17], s[16:17], exec
	s_or_b64 s[14:15], s[14:15], exec
                                        ; implicit-def: $vgpr0_vgpr1
	s_and_saveexec_b64 s[0:1], vcc
	s_cbranch_execz .LBB39_313
; %bb.315:                              ;   in Loop: Header=BB39_314 Depth=1
	global_load_ushort v0, v[12:13], off
	s_mov_b64 s[2:3], -1
	s_mov_b64 s[18:19], 0
	s_waitcnt vmcnt(0)
	v_cmp_ne_u16_e32 vcc, v0, v55
                                        ; implicit-def: $vgpr0_vgpr1
	s_and_saveexec_b64 s[20:21], vcc
	s_cbranch_execz .LBB39_312
; %bb.316:                              ;   in Loop: Header=BB39_314 Depth=1
	v_add_co_u32_e32 v0, vcc, s33, v2
	v_addc_co_u32_e32 v1, vcc, 0, v3, vcc
	v_mov_b32_e32 v3, s53
	v_cmp_le_i64_e32 vcc, s[24:25], v[0:1]
	v_add_co_u32_e64 v12, s[2:3], s52, v12
	v_addc_co_u32_e64 v13, s[2:3], v13, v3, s[2:3]
	s_mov_b64 s[18:19], exec
	s_orn2_b64 s[2:3], vcc, exec
	s_branch .LBB39_312
.LBB39_317:
	s_or_b64 exec, exec, s[10:11]
	s_xor_b64 s[0:1], s[12:13], -1
	s_and_saveexec_b64 s[2:3], s[0:1]
	s_xor_b64 s[2:3], exec, s[2:3]
	s_cbranch_execz .LBB39_322
; %bb.318:
	s_mov_b64 s[0:1], exec
	s_brev_b32 s2, -2
.LBB39_319:                             ; =>This Inner Loop Header: Depth=1
	s_ff1_i32_b64 s3, s[0:1]
	v_readlane_b32 s12, v2, s3
	s_lshl_b64 s[10:11], 1, s3
	s_min_i32 s2, s2, s12
	s_andn2_b64 s[0:1], s[0:1], s[10:11]
	s_cmp_lg_u64 s[0:1], 0
	s_cbranch_scc1 .LBB39_319
; %bb.320:
	v_mbcnt_lo_u32_b32 v0, exec_lo, 0
	v_mbcnt_hi_u32_b32 v0, exec_hi, v0
	v_cmp_eq_u32_e32 vcc, 0, v0
	s_and_saveexec_b64 s[0:1], vcc
	s_xor_b64 s[0:1], exec, s[0:1]
; %bb.321:
	v_mov_b32_e32 v0, 0
	v_mov_b32_e32 v1, s2
	ds_min_i32 v0, v1 offset:5140
.LBB39_322:
	s_or_b64 exec, exec, s[8:9]
	s_waitcnt lgkmcnt(0)
	s_barrier
	s_and_saveexec_b64 s[0:1], s[64:65]
	s_cbranch_execz .LBB39_324
; %bb.323:
	v_readlane_b32 s8, v60, 0
	v_readlane_b32 s9, v60, 1
	s_mul_i32 s2, s8, s29
	s_mul_hi_u32 s3, s8, s28
	s_add_i32 s2, s3, s2
	s_mul_i32 s3, s9, s28
	v_readlane_b32 s10, v60, 2
	s_add_i32 s3, s2, s3
	s_mul_i32 s2, s8, s28
	v_readlane_b32 s11, v60, 3
	s_mul_i32 s8, s10, s39
	s_mul_hi_u32 s9, s10, s38
	s_add_i32 s8, s9, s8
	s_mul_i32 s9, s11, s38
	s_add_i32 s9, s8, s9
	s_mul_i32 s8, s10, s38
	s_lshl_b64 s[2:3], s[2:3], 1
	v_readlane_b32 s10, v60, 4
	v_readlane_b32 s11, v60, 5
	s_add_u32 s10, s10, s2
	s_addc_u32 s11, s11, s3
	s_lshl_b64 s[2:3], s[22:23], 1
	v_mov_b32_e32 v2, 0
	s_add_u32 s2, s10, s2
	ds_read_b32 v0, v2 offset:5140
	s_addc_u32 s3, s11, s3
	s_lshl_b64 s[8:9], s[8:9], 3
	v_readlane_b32 s10, v60, 6
	v_readlane_b32 s11, v60, 7
	s_add_u32 s10, s10, s8
	s_addc_u32 s11, s11, s9
	s_lshl_b64 s[8:9], s[34:35], 3
	s_add_u32 s8, s10, s8
	s_addc_u32 s9, s11, s9
	s_waitcnt lgkmcnt(0)
	v_ashrrev_i32_e32 v1, 31, v0
	global_store_dwordx2 v2, v[0:1], s[8:9]
	global_store_short v2, v55, s[2:3]
.LBB39_324:
	s_or_b64 exec, exec, s[0:1]
.LBB39_325:
	s_or_saveexec_b64 s[0:1], s[6:7]
	s_mov_b64 s[2:3], 0
	s_xor_b64 exec, exec, s[0:1]
	s_cbranch_execnz .LBB39_328
.LBB39_326:
	s_or_b64 exec, exec, s[0:1]
	s_and_b64 s[0:1], s[2:3], exec
	s_andn2_saveexec_b64 s[2:3], s[4:5]
	s_cbranch_execz .LBB39_302
.LBB39_327:
	s_or_b64 s[0:1], s[0:1], exec
	s_trap 2
	s_or_b64 exec, exec, s[2:3]
	s_and_saveexec_b64 s[2:3], s[0:1]
	s_cbranch_execnz .LBB39_303
	s_branch .LBB39_304
.LBB39_328:
	s_mov_b64 s[2:3], exec
	s_trap 2
	s_branch .LBB39_326
	.section	.rodata,"a",@progbits
	.p2align	6, 0x0
	.amdhsa_kernel _ZN2at6native12_GLOBAL__N_114gatherKthValueIslLin1EEEvNS_4cuda6detail10TensorInfoIKT_T0_EES8_S8_S8_S8_NS5_IS6_S8_EENS5_IlS8_EE
		.amdhsa_group_segment_fixed_size 5144
		.amdhsa_private_segment_fixed_size 0
		.amdhsa_kernarg_size 1536
		.amdhsa_user_sgpr_count 6
		.amdhsa_user_sgpr_private_segment_buffer 1
		.amdhsa_user_sgpr_dispatch_ptr 0
		.amdhsa_user_sgpr_queue_ptr 0
		.amdhsa_user_sgpr_kernarg_segment_ptr 1
		.amdhsa_user_sgpr_dispatch_id 0
		.amdhsa_user_sgpr_flat_scratch_init 0
		.amdhsa_user_sgpr_private_segment_size 0
		.amdhsa_uses_dynamic_stack 0
		.amdhsa_system_sgpr_private_segment_wavefront_offset 0
		.amdhsa_system_sgpr_workgroup_id_x 1
		.amdhsa_system_sgpr_workgroup_id_y 1
		.amdhsa_system_sgpr_workgroup_id_z 1
		.amdhsa_system_sgpr_workgroup_info 0
		.amdhsa_system_vgpr_workitem_id 0
		.amdhsa_next_free_vgpr 61
		.amdhsa_next_free_sgpr 96
		.amdhsa_reserve_vcc 1
		.amdhsa_reserve_flat_scratch 0
		.amdhsa_float_round_mode_32 0
		.amdhsa_float_round_mode_16_64 0
		.amdhsa_float_denorm_mode_32 3
		.amdhsa_float_denorm_mode_16_64 3
		.amdhsa_dx10_clamp 1
		.amdhsa_ieee_mode 1
		.amdhsa_fp16_overflow 0
		.amdhsa_exception_fp_ieee_invalid_op 0
		.amdhsa_exception_fp_denorm_src 0
		.amdhsa_exception_fp_ieee_div_zero 0
		.amdhsa_exception_fp_ieee_overflow 0
		.amdhsa_exception_fp_ieee_underflow 0
		.amdhsa_exception_fp_ieee_inexact 0
		.amdhsa_exception_int_div_zero 0
	.end_amdhsa_kernel
	.section	.text._ZN2at6native12_GLOBAL__N_114gatherKthValueIslLin1EEEvNS_4cuda6detail10TensorInfoIKT_T0_EES8_S8_S8_S8_NS5_IS6_S8_EENS5_IlS8_EE,"axG",@progbits,_ZN2at6native12_GLOBAL__N_114gatherKthValueIslLin1EEEvNS_4cuda6detail10TensorInfoIKT_T0_EES8_S8_S8_S8_NS5_IS6_S8_EENS5_IlS8_EE,comdat
.Lfunc_end39:
	.size	_ZN2at6native12_GLOBAL__N_114gatherKthValueIslLin1EEEvNS_4cuda6detail10TensorInfoIKT_T0_EES8_S8_S8_S8_NS5_IS6_S8_EENS5_IlS8_EE, .Lfunc_end39-_ZN2at6native12_GLOBAL__N_114gatherKthValueIslLin1EEEvNS_4cuda6detail10TensorInfoIKT_T0_EES8_S8_S8_S8_NS5_IS6_S8_EENS5_IlS8_EE
                                        ; -- End function
	.set _ZN2at6native12_GLOBAL__N_114gatherKthValueIslLin1EEEvNS_4cuda6detail10TensorInfoIKT_T0_EES8_S8_S8_S8_NS5_IS6_S8_EENS5_IlS8_EE.num_vgpr, 61
	.set _ZN2at6native12_GLOBAL__N_114gatherKthValueIslLin1EEEvNS_4cuda6detail10TensorInfoIKT_T0_EES8_S8_S8_S8_NS5_IS6_S8_EENS5_IlS8_EE.num_agpr, 0
	.set _ZN2at6native12_GLOBAL__N_114gatherKthValueIslLin1EEEvNS_4cuda6detail10TensorInfoIKT_T0_EES8_S8_S8_S8_NS5_IS6_S8_EENS5_IlS8_EE.numbered_sgpr, 96
	.set _ZN2at6native12_GLOBAL__N_114gatherKthValueIslLin1EEEvNS_4cuda6detail10TensorInfoIKT_T0_EES8_S8_S8_S8_NS5_IS6_S8_EENS5_IlS8_EE.num_named_barrier, 0
	.set _ZN2at6native12_GLOBAL__N_114gatherKthValueIslLin1EEEvNS_4cuda6detail10TensorInfoIKT_T0_EES8_S8_S8_S8_NS5_IS6_S8_EENS5_IlS8_EE.private_seg_size, 0
	.set _ZN2at6native12_GLOBAL__N_114gatherKthValueIslLin1EEEvNS_4cuda6detail10TensorInfoIKT_T0_EES8_S8_S8_S8_NS5_IS6_S8_EENS5_IlS8_EE.uses_vcc, 1
	.set _ZN2at6native12_GLOBAL__N_114gatherKthValueIslLin1EEEvNS_4cuda6detail10TensorInfoIKT_T0_EES8_S8_S8_S8_NS5_IS6_S8_EENS5_IlS8_EE.uses_flat_scratch, 0
	.set _ZN2at6native12_GLOBAL__N_114gatherKthValueIslLin1EEEvNS_4cuda6detail10TensorInfoIKT_T0_EES8_S8_S8_S8_NS5_IS6_S8_EENS5_IlS8_EE.has_dyn_sized_stack, 0
	.set _ZN2at6native12_GLOBAL__N_114gatherKthValueIslLin1EEEvNS_4cuda6detail10TensorInfoIKT_T0_EES8_S8_S8_S8_NS5_IS6_S8_EENS5_IlS8_EE.has_recursion, 0
	.set _ZN2at6native12_GLOBAL__N_114gatherKthValueIslLin1EEEvNS_4cuda6detail10TensorInfoIKT_T0_EES8_S8_S8_S8_NS5_IS6_S8_EENS5_IlS8_EE.has_indirect_call, 0
	.section	.AMDGPU.csdata,"",@progbits
; Kernel info:
; codeLenInByte = 18916
; TotalNumSgprs: 100
; NumVgprs: 61
; ScratchSize: 0
; MemoryBound: 0
; FloatMode: 240
; IeeeMode: 1
; LDSByteSize: 5144 bytes/workgroup (compile time only)
; SGPRBlocks: 12
; VGPRBlocks: 15
; NumSGPRsForWavesPerEU: 100
; NumVGPRsForWavesPerEU: 61
; Occupancy: 4
; WaveLimiterHint : 1
; COMPUTE_PGM_RSRC2:SCRATCH_EN: 0
; COMPUTE_PGM_RSRC2:USER_SGPR: 6
; COMPUTE_PGM_RSRC2:TRAP_HANDLER: 0
; COMPUTE_PGM_RSRC2:TGID_X_EN: 1
; COMPUTE_PGM_RSRC2:TGID_Y_EN: 1
; COMPUTE_PGM_RSRC2:TGID_Z_EN: 1
; COMPUTE_PGM_RSRC2:TIDIG_COMP_CNT: 0
	.section	.text._ZN2at6native12_GLOBAL__N_114gatherKthValueIdiLi1EEEvNS_4cuda6detail10TensorInfoIKT_T0_EES8_S8_S8_S8_NS5_IS6_S8_EENS5_IlS8_EE,"axG",@progbits,_ZN2at6native12_GLOBAL__N_114gatherKthValueIdiLi1EEEvNS_4cuda6detail10TensorInfoIKT_T0_EES8_S8_S8_S8_NS5_IS6_S8_EENS5_IlS8_EE,comdat
	.globl	_ZN2at6native12_GLOBAL__N_114gatherKthValueIdiLi1EEEvNS_4cuda6detail10TensorInfoIKT_T0_EES8_S8_S8_S8_NS5_IS6_S8_EENS5_IlS8_EE ; -- Begin function _ZN2at6native12_GLOBAL__N_114gatherKthValueIdiLi1EEEvNS_4cuda6detail10TensorInfoIKT_T0_EES8_S8_S8_S8_NS5_IS6_S8_EENS5_IlS8_EE
	.p2align	8
	.type	_ZN2at6native12_GLOBAL__N_114gatherKthValueIdiLi1EEEvNS_4cuda6detail10TensorInfoIKT_T0_EES8_S8_S8_S8_NS5_IS6_S8_EENS5_IlS8_EE,@function
_ZN2at6native12_GLOBAL__N_114gatherKthValueIdiLi1EEEvNS_4cuda6detail10TensorInfoIKT_T0_EES8_S8_S8_S8_NS5_IS6_S8_EENS5_IlS8_EE: ; @_ZN2at6native12_GLOBAL__N_114gatherKthValueIdiLi1EEEvNS_4cuda6detail10TensorInfoIKT_T0_EES8_S8_S8_S8_NS5_IS6_S8_EENS5_IlS8_EE
; %bb.0:
	s_load_dwordx2 s[12:13], s[4:5], 0x298
	s_load_dwordx4 s[28:31], s[4:5], 0xd8
	s_add_u32 s10, s4, 0x298
	s_addc_u32 s11, s5, 0
	s_waitcnt lgkmcnt(0)
	s_mul_i32 s0, s13, s8
	s_add_i32 s0, s0, s7
	s_mul_i32 s0, s0, s12
	s_add_i32 s13, s0, s6
	s_cmp_ge_i32 s13, s30
	s_cbranch_scc1 .LBB40_243
; %bb.1:
	s_load_dwordx2 s[94:95], s[4:5], 0x1c0
	s_load_dwordx2 s[0:1], s[4:5], 0xe8
	s_load_dword s7, s[4:5], 0x6c
	s_load_dwordx2 s[2:3], s[4:5], 0x0
                                        ; implicit-def: $vgpr47 : SGPR spill to VGPR lane
	s_mov_b32 s44, 0
	s_waitcnt lgkmcnt(0)
	v_writelane_b32 v47, s0, 0
	v_writelane_b32 v47, s1, 1
	v_cmp_eq_u32_e64 s[0:1], 0, v0
	s_and_saveexec_b64 s[8:9], s[0:1]
; %bb.2:
	v_mov_b32_e32 v1, 0
	v_mov_b32_e32 v2, s28
	;; [unrolled: 1-line block ×3, first 2 shown]
	ds_write_b96 v1, v[1:3] offset:4096
; %bb.3:
	s_or_b64 exec, exec, s[8:9]
	s_load_dword s8, s[4:5], 0x22c
	v_mul_lo_u32 v11, s31, v0
                                        ; kill: killed $sgpr4 killed $sgpr5
	s_waitcnt lgkmcnt(0)
	s_barrier
	v_writelane_b32 v47, s8, 2
	s_load_dword s8, s[4:5], 0x154
	s_mul_i32 s4, s7, s13
	s_load_dword s7, s[10:11], 0xc
	s_ashr_i32 s5, s4, 31
	v_mov_b32_e32 v13, 0
	s_lshl_b64 s[4:5], s[4:5], 3
	v_mbcnt_lo_u32_b32 v1, -1, 0
	v_mov_b32_e32 v12, v13
	s_add_u32 s30, s2, s4
	v_mbcnt_hi_u32_b32 v27, -1, v1
	v_lshlrev_b64 v[1:2], 3, v[11:12]
	s_addc_u32 s35, s3, s5
	v_cmp_gt_u32_e32 vcc, 64, v0
	v_cmp_gt_i32_e64 s[4:5], 4, v27
	s_and_b64 s[38:39], vcc, s[4:5]
	v_mov_b32_e32 v3, s35
	v_add_co_u32_e32 v14, vcc, s30, v1
	s_waitcnt lgkmcnt(0)
	s_and_b32 s34, s7, 0xffff
	v_addc_co_u32_e32 v15, vcc, v3, v2, vcc
	v_lshlrev_b64 v[2:3], v27, -1
	s_add_i32 s90, s34, -1
	s_lshl_b32 s37, s34, 2
	s_bfe_u32 s7, s7, 0xa0006
	s_add_i32 s47, s90, s28
	v_not_b32_e32 v32, v2
	v_lshrrev_b32_e32 v2, 2, v0
	s_cmpk_gt_i32 s28, 0x180
	v_and_b32_e32 v2, 0xf0, v2
	v_writelane_b32 v47, s8, 3
	s_cselect_b64 s[40:41], -1, 0
	s_cmp_gt_u32 s34, 63
	v_or_b32_e32 v33, 0xc00, v2
	v_cvt_f32_u32_e32 v2, s37
	v_writelane_b32 v47, s13, 4
	v_cmp_gt_i32_e64 s[8:9], s28, v0
	s_cselect_b64 s[42:43], -1, 0
	s_cmp_lt_u32 s6, s12
	v_writelane_b32 v47, s8, 5
	s_cselect_b32 s6, 12, 18
	v_writelane_b32 v47, s9, 6
	s_add_u32 s8, s10, s6
	s_addc_u32 s9, s11, 0
	v_rcp_iflag_f32_e32 v2, v2
	v_writelane_b32 v47, s8, 7
	s_add_i32 s6, s7, -1
	v_writelane_b32 v47, s9, 8
	s_bfe_u32 s8, s34, 0x30006
	s_and_b32 s6, s6, 0xffff
	s_cmp_gt_u32 s6, 6
	s_cselect_b64 s[10:11], -1, 0
	v_mul_f32_e32 v2, 0x4f7ffffe, v2
	v_writelane_b32 v47, s10, 9
	s_and_b32 s45, s7, 0x3f8
	v_cvt_u32_f32_e32 v2, v2
	v_writelane_b32 v47, s11, 10
	s_cmp_lg_u32 s8, 0
	v_writelane_b32 v47, s8, 11
	s_cselect_b64 s[6:7], -1, 0
	v_writelane_b32 v47, s6, 12
	v_writelane_b32 v47, s7, 13
	s_sub_i32 s6, 0, s37
	v_readfirstlane_b32 s7, v2
	s_mul_i32 s6, s6, s7
	s_mul_hi_u32 s6, s7, s6
	s_add_i32 s8, s7, s6
	s_mul_hi_u32 s6, s28, s8
	s_mul_i32 s6, s6, s37
	s_sub_i32 s6, s28, s6
	s_sub_i32 s7, s6, s37
	s_cmp_ge_u32 s6, s37
	s_cselect_b32 s6, s7, s6
	s_sub_i32 s7, s6, s37
	s_cmp_ge_u32 s6, s37
	s_cselect_b32 s6, s7, s6
	s_sub_i32 s9, s28, s6
	v_add_u32_e32 v34, s9, v0
	v_cvt_f32_u32_e32 v4, s34
	v_mul_lo_u32 v2, v34, s31
	v_not_b32_e32 v31, v3
	s_sub_i32 s17, 0, s34
	v_rcp_iflag_f32_e32 v4, v4
	v_ashrrev_i32_e32 v3, 31, v2
	v_lshlrev_b64 v[2:3], 3, v[2:3]
	s_abs_i32 s16, s47
	v_add_co_u32_e32 v16, vcc, s30, v2
	v_mul_f32_e32 v2, 0x4f7ffffe, v4
	v_cvt_u32_f32_e32 v2, v2
	s_ashr_i32 s7, s47, 31
	v_lshlrev_b32_e32 v26, 2, v0
	v_mov_b32_e32 v5, s35
	v_readfirstlane_b32 s18, v2
	s_mul_i32 s17, s17, s18
	s_mul_hi_u32 s17, s18, s17
	s_add_i32 s46, s18, s17
	s_mul_hi_u32 s17, s16, s46
	s_mul_i32 s17, s17, s34
	s_sub_i32 s16, s16, s17
	s_sub_i32 s17, s16, s34
	s_cmp_ge_u32 s16, s34
	s_cselect_b32 s16, s17, s16
	s_sub_i32 s17, s16, s34
	v_mul_lo_u32 v2, s31, v26
	s_cmp_ge_u32 s16, s34
	s_cselect_b32 s16, s17, s16
	s_xor_b32 s16, s16, s7
	s_sub_i32 s7, s7, s16
	v_add_u32_e32 v35, s31, v2
	v_or_b32_e32 v2, 2, v26
	s_add_i32 s47, s47, s7
	v_mul_lo_u32 v36, s31, v2
	v_or_b32_e32 v2, 3, v26
	s_add_i32 s7, s34, s28
	v_mul_lo_u32 v37, s31, v2
	v_add_u32_e32 v2, s7, v0
	v_subrev_u32_e32 v2, s6, v2
	v_mul_lo_u32 v39, s31, v2
	v_cmp_gt_i32_e64 s[16:17], s47, v0
	v_lshlrev_b32_e32 v28, 3, v0
	v_lshlrev_b32_e32 v1, 2, v27
	v_addc_co_u32_e32 v17, vcc, v5, v3, vcc
	v_writelane_b32 v47, s16, 14
	s_mul_i32 s36, s31, s34
	v_mov_b32_e32 v18, 0
	v_mov_b32_e32 v20, 0
	;; [unrolled: 1-line block ×3, first 2 shown]
	v_cmp_eq_u32_e64 s[2:3], 0, v27
	v_cmp_gt_u32_e64 s[4:5], 2, v0
	v_add_u32_e32 v29, 0xc00, v28
	v_cmp_gt_u32_e64 s[24:25], s28, v0
	v_and_b32_e32 v30, 0x100, v1
	v_cmp_gt_i32_e64 s[10:11], s9, v26
	v_cmp_gt_u32_e64 s[12:13], s28, v34
	v_cmp_gt_i32_e64 s[14:15], s28, v34
	v_writelane_b32 v47, s17, 15
	s_lshl_b32 s48, s36, 2
	v_lshlrev_b32_e32 v38, 2, v11
	v_lshlrev_b32_e32 v40, 5, v0
	s_lshl_b32 s49, s34, 5
	s_lshl_b32 s16, s34, 3
	v_or_b32_e32 v41, 0xc00, v1
	s_mov_b32 s17, 62
	s_mov_b64 s[50:51], 0
	v_mov_b32_e32 v42, s29
	v_mov_b32_e32 v19, 0
	;; [unrolled: 1-line block ×5, first 2 shown]
                                        ; implicit-def: $sgpr52_sgpr53
                                        ; implicit-def: $sgpr56_sgpr57
                                        ; implicit-def: $sgpr54_sgpr55
                                        ; implicit-def: $sgpr60_sgpr61
                                        ; implicit-def: $sgpr62_sgpr63
                                        ; implicit-def: $sgpr58_sgpr59
	v_writelane_b32 v47, s90, 16
	s_branch .LBB40_7
.LBB40_4:                               ;   in Loop: Header=BB40_7 Depth=1
	s_or_b64 exec, exec, s[66:67]
	s_and_b64 s[22:23], s[22:23], exec
	s_andn2_b64 s[64:65], s[64:65], exec
	s_andn2_b64 s[26:27], s[26:27], exec
	s_orn2_b64 s[20:21], s[20:21], exec
.LBB40_5:                               ;   in Loop: Header=BB40_7 Depth=1
	s_or_b64 exec, exec, s[6:7]
	s_andn2_b64 s[6:7], s[58:59], exec
	s_and_b64 s[22:23], s[22:23], exec
	s_or_b64 s[58:59], s[6:7], s[22:23]
	s_andn2_b64 s[6:7], s[62:63], exec
	s_and_b64 s[22:23], s[64:65], exec
	s_or_b64 s[62:63], s[6:7], s[22:23]
	;; [unrolled: 3-line block ×3, first 2 shown]
	s_orn2_b64 s[20:21], s[20:21], exec
.LBB40_6:                               ;   in Loop: Header=BB40_7 Depth=1
	s_or_b64 exec, exec, s[18:19]
	s_and_b64 s[6:7], exec, s[20:21]
	s_or_b64 s[50:51], s[6:7], s[50:51]
	s_andn2_b64 s[6:7], s[54:55], exec
	s_and_b64 s[18:19], s[58:59], exec
	s_or_b64 s[54:55], s[6:7], s[18:19]
	s_andn2_b64 s[6:7], s[56:57], exec
	s_and_b64 s[18:19], s[62:63], exec
	;; [unrolled: 3-line block ×3, first 2 shown]
	s_or_b64 s[52:53], s[6:7], s[18:19]
	s_mov_b32 s44, s70
	s_mov_b32 s17, s33
	v_mov_b32_e32 v42, v10
	s_andn2_b64 exec, exec, s[50:51]
	s_cbranch_execz .LBB40_239
.LBB40_7:                               ; =>This Loop Header: Depth=1
                                        ;     Child Loop BB40_13 Depth 2
                                        ;     Child Loop BB40_28 Depth 2
	;; [unrolled: 1-line block ×16, first 2 shown]
	ds_read_b64 v[3:4], v13 offset:4096
	s_waitcnt lgkmcnt(0)
	v_readfirstlane_b32 s29, v3
	s_cmp_gt_i32 s29, 0
	s_cbranch_scc1 .LBB40_35
; %bb.8:                                ;   in Loop: Header=BB40_7 Depth=1
	s_and_b64 vcc, exec, s[40:41]
	s_cbranch_vccz .LBB40_21
; %bb.9:                                ;   in Loop: Header=BB40_7 Depth=1
	s_movk_i32 s6, 0x181
	v_cmp_gt_i32_e32 vcc, s6, v4
	s_mov_b64 s[18:19], 0
	s_mov_b64 s[6:7], 0
	s_cbranch_vccz .LBB40_22
; %bb.10:                               ;   in Loop: Header=BB40_7 Depth=1
	s_and_saveexec_b64 s[20:21], s[24:25]
	s_cbranch_execz .LBB40_67
; %bb.11:                               ;   in Loop: Header=BB40_7 Depth=1
	v_readlane_b32 s6, v47, 7
	v_readlane_b32 s7, v47, 8
	s_nop 4
	global_load_ushort v1, v13, s[6:7]
	global_load_dwordx2 v[3:4], v[14:15], off
	s_mov_b64 s[22:23], 0
	v_mov_b32_e32 v10, v0
	s_waitcnt vmcnt(1)
	v_add_u32_e32 v7, v0, v1
	v_mul_lo_u32 v12, s31, v7
	v_mul_lo_u32 v9, s31, v1
	s_branch .LBB40_13
.LBB40_12:                              ;   in Loop: Header=BB40_13 Depth=2
	s_or_b64 exec, exec, s[6:7]
	v_cmp_le_i32_e32 vcc, s28, v10
	v_mov_b32_e32 v3, v7
	v_add_u32_e32 v12, v12, v9
	s_or_b64 s[22:23], vcc, s[22:23]
	v_mov_b32_e32 v4, v8
	s_andn2_b64 exec, exec, s[22:23]
	s_cbranch_execz .LBB40_67
.LBB40_13:                              ;   Parent Loop BB40_7 Depth=1
                                        ; =>  This Inner Loop Header: Depth=2
	v_add_u32_e32 v10, v10, v1
	v_mov_b32_e32 v7, 0
	v_mov_b32_e32 v8, 0
	v_cmp_gt_u32_e32 vcc, s28, v10
	s_and_saveexec_b64 s[6:7], vcc
	s_cbranch_execz .LBB40_15
; %bb.14:                               ;   in Loop: Header=BB40_13 Depth=2
	v_lshlrev_b64 v[7:8], 3, v[12:13]
	s_waitcnt lgkmcnt(0)
	v_mov_b32_e32 v22, s35
	v_add_co_u32_e32 v7, vcc, s30, v7
	v_addc_co_u32_e32 v8, vcc, v22, v8, vcc
	global_load_dwordx2 v[7:8], v[7:8], off
.LBB40_15:                              ;   in Loop: Header=BB40_13 Depth=2
	s_or_b64 exec, exec, s[6:7]
	s_waitcnt vmcnt(0)
	v_cmp_o_f64_e32 vcc, v[3:4], v[3:4]
	s_waitcnt lgkmcnt(0)
	v_ashrrev_i32_e32 v22, 31, v4
	v_or_b32_e32 v23, 0x80000000, v22
	v_xor_b32_e32 v23, v23, v4
	v_xor_b32_e32 v22, v22, v3
	v_cndmask_b32_e32 v23, -1, v23, vcc
	v_cndmask_b32_e32 v22, -1, v22, vcc
	v_and_b32_e32 v23, v23, v21
	v_and_b32_e32 v22, v22, v20
	v_cmp_eq_u64_e32 vcc, v[22:23], v[18:19]
	v_mov_b32_e32 v22, 0
	s_cmp_lg_u64 vcc, 0
	s_cselect_b64 s[6:7], -1, 0
	s_and_b64 s[6:7], s[2:3], s[6:7]
	s_and_saveexec_b64 s[26:27], s[6:7]
	s_cbranch_execz .LBB40_19
; %bb.16:                               ;   in Loop: Header=BB40_13 Depth=2
	s_mov_b64 s[66:67], exec
	v_mbcnt_lo_u32_b32 v22, s66, 0
	v_mbcnt_hi_u32_b32 v22, s67, v22
	s_bcnt1_i32_b64 s33, vcc
	v_cmp_eq_u32_e64 s[6:7], 0, v22
                                        ; implicit-def: $vgpr23
	s_and_saveexec_b64 s[64:65], s[6:7]
; %bb.17:                               ;   in Loop: Header=BB40_13 Depth=2
	s_bcnt1_i32_b64 s6, s[66:67]
	s_mul_i32 s6, s33, s6
	v_mov_b32_e32 v23, s6
	ds_add_rtn_u32 v23, v13, v23 offset:4104
; %bb.18:                               ;   in Loop: Header=BB40_13 Depth=2
	s_or_b64 exec, exec, s[64:65]
	s_waitcnt lgkmcnt(0)
	v_readfirstlane_b32 s6, v23
	v_mov_b32_e32 v23, s6
	v_mad_u32_u24 v22, s33, v22, v23
.LBB40_19:                              ;   in Loop: Header=BB40_13 Depth=2
	s_or_b64 exec, exec, s[26:27]
	ds_bpermute_b32 v22, v30, v22
	s_and_saveexec_b64 s[6:7], vcc
	s_cbranch_execz .LBB40_12
; %bb.20:                               ;   in Loop: Header=BB40_13 Depth=2
	v_and_b32_e32 v24, vcc_lo, v32
	v_and_b32_e32 v23, vcc_hi, v31
	v_bcnt_u32_b32 v24, v24, 0
	v_bcnt_u32_b32 v23, v23, v24
	v_lshlrev_b32_e32 v23, 3, v23
	s_waitcnt lgkmcnt(0)
	v_lshl_add_u32 v22, v22, 3, v23
	ds_write_b64 v22, v[3:4]
	s_branch .LBB40_12
.LBB40_21:                              ;   in Loop: Header=BB40_7 Depth=1
	s_mov_b64 s[18:19], -1
	s_mov_b64 s[6:7], 0
.LBB40_22:                              ;   in Loop: Header=BB40_7 Depth=1
	s_and_b64 vcc, exec, s[18:19]
	s_cbranch_vccz .LBB40_33
.LBB40_23:                              ;   in Loop: Header=BB40_7 Depth=1
	v_mov_b32_e32 v3, 0
	v_mov_b32_e32 v4, 0
	s_and_saveexec_b64 s[6:7], s[24:25]
	s_cbranch_execz .LBB40_25
; %bb.24:                               ;   in Loop: Header=BB40_7 Depth=1
	global_load_dwordx2 v[3:4], v[14:15], off
.LBB40_25:                              ;   in Loop: Header=BB40_7 Depth=1
	s_or_b64 exec, exec, s[6:7]
	s_mov_b64 s[6:7], exec
	v_readlane_b32 s18, v47, 5
	v_readlane_b32 s19, v47, 6
	s_and_b64 s[18:19], s[6:7], s[18:19]
	s_mov_b64 exec, s[18:19]
	s_cbranch_execz .LBB40_30
; %bb.26:                               ;   in Loop: Header=BB40_7 Depth=1
	v_readlane_b32 s18, v47, 7
	v_readlane_b32 s19, v47, 8
	v_mov_b32_e32 v22, v28
	v_mov_b32_e32 v23, v0
	s_nop 2
	global_load_ushort v1, v13, s[18:19]
	s_mov_b64 s[18:19], 0
	s_waitcnt vmcnt(0)
	v_add_u32_e32 v7, v0, v1
	v_mul_lo_u32 v12, s31, v7
	v_mul_lo_u32 v10, s31, v1
	v_lshlrev_b32_e32 v9, 3, v1
	s_branch .LBB40_28
.LBB40_27:                              ;   in Loop: Header=BB40_28 Depth=2
	s_or_b64 exec, exec, s[20:21]
	ds_write_b64 v22, v[3:4]
	v_cmp_le_i32_e32 vcc, s28, v23
	s_waitcnt vmcnt(0)
	v_mov_b32_e32 v3, v7
	v_add_u32_e32 v22, v22, v9
	v_add_u32_e32 v12, v12, v10
	s_or_b64 s[18:19], vcc, s[18:19]
	v_mov_b32_e32 v4, v8
	s_andn2_b64 exec, exec, s[18:19]
	s_cbranch_execz .LBB40_30
.LBB40_28:                              ;   Parent Loop BB40_7 Depth=1
                                        ; =>  This Inner Loop Header: Depth=2
	v_add_u32_e32 v23, v23, v1
	v_mov_b32_e32 v7, 0
	v_mov_b32_e32 v8, 0
	v_cmp_gt_u32_e32 vcc, s28, v23
	s_and_saveexec_b64 s[20:21], vcc
	s_cbranch_execz .LBB40_27
; %bb.29:                               ;   in Loop: Header=BB40_28 Depth=2
	v_lshlrev_b64 v[7:8], 3, v[12:13]
	v_mov_b32_e32 v24, s35
	v_add_co_u32_e32 v7, vcc, s30, v7
	v_addc_co_u32_e32 v8, vcc, v24, v8, vcc
	global_load_dwordx2 v[7:8], v[7:8], off
	s_branch .LBB40_27
.LBB40_30:                              ;   in Loop: Header=BB40_7 Depth=1
	s_or_b64 exec, exec, s[6:7]
	s_waitcnt vmcnt(0) lgkmcnt(0)
	s_barrier
	s_and_saveexec_b64 s[6:7], s[0:1]
; %bb.31:                               ;   in Loop: Header=BB40_7 Depth=1
	v_mov_b32_e32 v1, s28
	ds_write_b32 v13, v1 offset:4096
; %bb.32:                               ;   in Loop: Header=BB40_7 Depth=1
	s_or_b64 exec, exec, s[6:7]
	s_mov_b64 s[6:7], -1
	s_waitcnt lgkmcnt(0)
	s_barrier
.LBB40_33:                              ;   in Loop: Header=BB40_7 Depth=1
	s_and_b64 vcc, exec, s[6:7]
	s_cbranch_vccz .LBB40_35
; %bb.34:                               ;   in Loop: Header=BB40_7 Depth=1
	ds_read_b32 v1, v13 offset:4096
	s_waitcnt lgkmcnt(0)
	v_readfirstlane_b32 s29, v1
.LBB40_35:                              ;   in Loop: Header=BB40_7 Depth=1
	s_cmp_lt_i32 s29, 1
	s_mov_b64 s[6:7], -1
                                        ; implicit-def: $vgpr7
	s_cbranch_scc1 .LBB40_45
; %bb.36:                               ;   in Loop: Header=BB40_7 Depth=1
	s_and_b64 vcc, exec, s[6:7]
	s_cbranch_vccnz .LBB40_58
.LBB40_37:                              ;   in Loop: Header=BB40_7 Depth=1
	s_lshl_b32 s18, s44, 6
	s_and_saveexec_b64 s[6:7], s[2:3]
.LBB40_38:                              ;   in Loop: Header=BB40_7 Depth=1
	v_lshl_add_u32 v1, s18, 2, v33
	ds_write_b128 v1, v[7:10]
.LBB40_39:                              ;   in Loop: Header=BB40_7 Depth=1
	s_or_b64 exec, exec, s[6:7]
	s_waitcnt vmcnt(0) lgkmcnt(0)
	s_barrier
	s_and_saveexec_b64 s[6:7], s[38:39]
	s_cbranch_execz .LBB40_75
; %bb.40:                               ;   in Loop: Header=BB40_7 Depth=1
	s_andn2_b64 vcc, exec, s[42:43]
	v_mov_b32_e32 v1, 0
	s_cbranch_vccnz .LBB40_74
; %bb.41:                               ;   in Loop: Header=BB40_7 Depth=1
	v_readlane_b32 s20, v47, 9
	v_readlane_b32 s21, v47, 10
	s_andn2_b64 vcc, exec, s[20:21]
	s_cbranch_vccnz .LBB40_70
; %bb.42:                               ;   in Loop: Header=BB40_7 Depth=1
	v_lshl_add_u32 v3, s44, 8, v41
	s_mov_b32 s19, 0
	v_mov_b32_e32 v1, 0
.LBB40_43:                              ;   Parent Loop BB40_7 Depth=1
                                        ; =>  This Inner Loop Header: Depth=2
	ds_read2_b32 v[7:8], v3 offset1:4
	ds_read2_b32 v[9:10], v3 offset0:8 offset1:12
	ds_read2_b32 v[22:23], v3 offset0:16 offset1:20
	;; [unrolled: 1-line block ×3, first 2 shown]
	s_add_i32 s19, s19, 8
	s_waitcnt lgkmcnt(3)
	v_add3_u32 v1, v7, v1, v8
	s_waitcnt lgkmcnt(2)
	v_add3_u32 v1, v9, v1, v10
	;; [unrolled: 2-line block ×3, first 2 shown]
	v_add_u32_e32 v3, 0x80, v3
	s_cmp_eq_u32 s45, s19
	s_waitcnt lgkmcnt(0)
	v_add3_u32 v1, v24, v1, v25
	s_cbranch_scc0 .LBB40_43
; %bb.44:                               ;   in Loop: Header=BB40_7 Depth=1
	s_mov_b32 s19, s45
	s_branch .LBB40_71
.LBB40_45:                              ;   in Loop: Header=BB40_7 Depth=1
	v_mov_b32_e32 v7, 0
	v_mov_b32_e32 v8, 0
	;; [unrolled: 1-line block ×4, first 2 shown]
	s_and_saveexec_b64 s[26:27], s[10:11]
	s_cbranch_execz .LBB40_49
; %bb.46:                               ;   in Loop: Header=BB40_7 Depth=1
	s_mov_b32 s66, 0
	s_mov_b64 s[64:65], 0
	s_mov_b32 s67, 0
	s_mov_b32 s68, 0
	;; [unrolled: 1-line block ×4, first 2 shown]
	v_mov_b32_e32 v1, v26
.LBB40_47:                              ;   Parent Loop BB40_7 Depth=1
                                        ; =>  This Inner Loop Header: Depth=2
	v_add_u32_e32 v3, s66, v38
	v_ashrrev_i32_e32 v4, 31, v3
	v_lshlrev_b64 v[3:4], 3, v[3:4]
	v_mov_b32_e32 v12, s35
	v_add_co_u32_e32 v3, vcc, s30, v3
	v_addc_co_u32_e32 v4, vcc, v12, v4, vcc
	global_load_dwordx2 v[3:4], v[3:4], off
	v_add_u32_e32 v7, s66, v35
	v_ashrrev_i32_e32 v8, 31, v7
	v_lshlrev_b64 v[7:8], 3, v[7:8]
	v_add_u32_e32 v9, s66, v36
	v_add_co_u32_e32 v7, vcc, s30, v7
	v_addc_co_u32_e32 v8, vcc, v12, v8, vcc
	global_load_dwordx2 v[7:8], v[7:8], off
	v_ashrrev_i32_e32 v10, 31, v9
	v_lshlrev_b64 v[9:10], 3, v[9:10]
	v_add_u32_e32 v22, s66, v37
	v_add_co_u32_e32 v9, vcc, s30, v9
	v_addc_co_u32_e32 v10, vcc, v12, v10, vcc
	global_load_dwordx2 v[9:10], v[9:10], off
	;; [unrolled: 6-line block ×3, first 2 shown]
	s_add_i32 s66, s66, s48
	s_waitcnt vmcnt(3)
	v_cmp_o_f64_e32 vcc, v[3:4], v[3:4]
	v_ashrrev_i32_e32 v12, 31, v4
	v_or_b32_e32 v24, 0x80000000, v12
	v_xor_b32_e32 v4, v24, v4
	v_xor_b32_e32 v3, v12, v3
	v_cndmask_b32_e32 v4, -1, v4, vcc
	v_cndmask_b32_e32 v3, -1, v3, vcc
	s_waitcnt vmcnt(2)
	v_cmp_o_f64_e32 vcc, v[7:8], v[7:8]
	v_ashrrev_i32_e32 v12, 31, v8
	v_or_b32_e32 v24, 0x80000000, v12
	v_xor_b32_e32 v8, v24, v8
	v_xor_b32_e32 v7, v12, v7
	v_cndmask_b32_e32 v25, -1, v8, vcc
	v_cndmask_b32_e32 v24, -1, v7, vcc
	;; [unrolled: 8-line block ×3, first 2 shown]
	s_waitcnt vmcnt(0)
	v_cmp_o_f64_e32 vcc, v[22:23], v[22:23]
	v_ashrrev_i32_e32 v7, 31, v23
	v_or_b32_e32 v8, 0x80000000, v7
	v_xor_b32_e32 v8, v8, v23
	v_xor_b32_e32 v7, v7, v22
	v_and_b32_e32 v23, v4, v21
	v_and_b32_e32 v22, v3, v20
	v_lshrrev_b64 v[3:4], s17, v[3:4]
	v_cndmask_b32_e32 v8, -1, v8, vcc
	v_and_b32_e32 v12, 3, v3
	v_lshrrev_b64 v[3:4], s17, v[24:25]
	v_cndmask_b32_e32 v7, -1, v7, vcc
	v_cmp_eq_u64_e32 vcc, v[22:23], v[18:19]
	v_and_b32_e32 v23, v25, v21
	v_and_b32_e32 v22, v24, v20
	v_cmp_eq_u64_e64 s[6:7], 0, v[12:13]
	v_cmp_eq_u64_e64 s[18:19], v[22:23], v[18:19]
	v_and_b32_e32 v23, v10, v21
	v_and_b32_e32 v22, v9, v20
	;; [unrolled: 1-line block ×3, first 2 shown]
	v_mov_b32_e32 v4, v13
	v_lshrrev_b64 v[9:10], s17, v[9:10]
	s_and_b64 s[72:73], vcc, s[6:7]
	v_cmp_eq_u64_e64 s[6:7], 0, v[3:4]
	v_cmp_eq_u64_e64 s[20:21], v[22:23], v[18:19]
	v_and_b32_e32 v23, v8, v21
	v_and_b32_e32 v22, v7, v20
	;; [unrolled: 1-line block ×3, first 2 shown]
	v_mov_b32_e32 v10, v13
	v_lshrrev_b64 v[7:8], s17, v[7:8]
	s_and_b64 s[74:75], s[18:19], s[6:7]
	v_cmp_eq_u64_e64 s[6:7], 0, v[9:10]
	v_and_b32_e32 v7, 3, v7
	v_mov_b32_e32 v8, v13
	v_cmp_eq_u64_e64 s[22:23], v[22:23], v[18:19]
	s_and_b64 s[76:77], s[20:21], s[6:7]
	v_cmp_eq_u64_e64 s[6:7], 0, v[7:8]
	v_cndmask_b32_e64 v22, 0, 1, s[72:73]
	s_and_b64 s[78:79], s[22:23], s[6:7]
	v_cmp_ne_u32_e64 s[6:7], 0, v22
	v_cndmask_b32_e64 v22, 0, 1, s[74:75]
	s_bcnt1_i32_b64 s33, s[6:7]
	v_cmp_ne_u32_e64 s[6:7], 0, v22
	v_cndmask_b32_e64 v22, 0, 1, s[76:77]
	s_bcnt1_i32_b64 s71, s[6:7]
	;; [unrolled: 3-line block ×3, first 2 shown]
	v_cmp_ne_u32_e64 s[6:7], 0, v22
	s_bcnt1_i32_b64 s6, s[6:7]
	s_add_i32 s7, s70, s33
	s_add_i32 s7, s7, s71
	;; [unrolled: 1-line block ×4, first 2 shown]
	v_cmp_eq_u64_e64 s[6:7], 1, v[12:13]
	s_and_b64 s[72:73], vcc, s[6:7]
	v_cmp_eq_u64_e64 s[6:7], 1, v[3:4]
	v_cndmask_b32_e64 v22, 0, 1, s[72:73]
	s_and_b64 s[74:75], s[18:19], s[6:7]
	v_cmp_eq_u64_e64 s[6:7], 1, v[9:10]
	s_and_b64 s[76:77], s[20:21], s[6:7]
	v_cmp_eq_u64_e64 s[6:7], 1, v[7:8]
	s_and_b64 s[78:79], s[22:23], s[6:7]
	v_cmp_ne_u32_e64 s[6:7], 0, v22
	v_cndmask_b32_e64 v22, 0, 1, s[74:75]
	s_bcnt1_i32_b64 s33, s[6:7]
	v_cmp_ne_u32_e64 s[6:7], 0, v22
	v_cndmask_b32_e64 v22, 0, 1, s[76:77]
	s_bcnt1_i32_b64 s71, s[6:7]
	;; [unrolled: 3-line block ×3, first 2 shown]
	v_cmp_ne_u32_e64 s[6:7], 0, v22
	s_bcnt1_i32_b64 s6, s[6:7]
	s_add_i32 s7, s69, s33
	s_add_i32 s7, s7, s71
	;; [unrolled: 1-line block ×4, first 2 shown]
	v_cmp_eq_u64_e64 s[6:7], 2, v[12:13]
	s_and_b64 s[72:73], vcc, s[6:7]
	v_cmp_eq_u64_e64 s[6:7], 2, v[3:4]
	v_cndmask_b32_e64 v22, 0, 1, s[72:73]
	s_and_b64 s[74:75], s[18:19], s[6:7]
	v_cmp_eq_u64_e64 s[6:7], 2, v[9:10]
	s_and_b64 s[76:77], s[20:21], s[6:7]
	v_cmp_eq_u64_e64 s[6:7], 2, v[7:8]
	s_and_b64 s[78:79], s[22:23], s[6:7]
	v_cmp_ne_u32_e64 s[6:7], 0, v22
	v_cndmask_b32_e64 v22, 0, 1, s[74:75]
	s_bcnt1_i32_b64 s33, s[6:7]
	v_cmp_ne_u32_e64 s[6:7], 0, v22
	v_cndmask_b32_e64 v22, 0, 1, s[76:77]
	s_bcnt1_i32_b64 s71, s[6:7]
	;; [unrolled: 3-line block ×3, first 2 shown]
	v_cmp_ne_u32_e64 s[6:7], 0, v22
	s_bcnt1_i32_b64 s6, s[6:7]
	s_add_i32 s7, s68, s33
	s_add_i32 s7, s7, s71
	;; [unrolled: 1-line block ×4, first 2 shown]
	v_cmp_eq_u64_e64 s[6:7], 3, v[12:13]
	s_and_b64 s[6:7], vcc, s[6:7]
	v_cmp_eq_u64_e32 vcc, 3, v[3:4]
	v_cndmask_b32_e64 v3, 0, 1, s[6:7]
	s_and_b64 s[18:19], s[18:19], vcc
	v_cmp_eq_u64_e32 vcc, 3, v[9:10]
	v_mov_b32_e32 v9, s68
	s_and_b64 s[20:21], s[20:21], vcc
	v_cmp_eq_u64_e32 vcc, 3, v[7:8]
	v_mov_b32_e32 v7, s70
	s_and_b64 s[22:23], s[22:23], vcc
	v_cmp_ne_u32_e32 vcc, 0, v3
	v_cndmask_b32_e64 v3, 0, 1, s[18:19]
	s_bcnt1_i32_b64 s6, vcc
	v_cmp_ne_u32_e32 vcc, 0, v3
	v_cndmask_b32_e64 v3, 0, 1, s[20:21]
	s_bcnt1_i32_b64 s7, vcc
	v_cmp_ne_u32_e32 vcc, 0, v3
	v_cndmask_b32_e64 v3, 0, 1, s[22:23]
	s_add_i32 s6, s67, s6
	s_bcnt1_i32_b64 s18, vcc
	v_cmp_ne_u32_e32 vcc, 0, v3
	s_add_i32 s6, s6, s7
	s_bcnt1_i32_b64 s19, vcc
	s_add_i32 s6, s6, s18
	s_add_i32 s67, s6, s19
	v_cmp_le_i32_e32 vcc, s9, v1
	s_or_b64 s[64:65], vcc, s[64:65]
	v_mov_b32_e32 v8, s69
	v_mov_b32_e32 v10, s67
	s_andn2_b64 exec, exec, s[64:65]
	s_cbranch_execnz .LBB40_47
; %bb.48:                               ;   in Loop: Header=BB40_7 Depth=1
	s_or_b64 exec, exec, s[64:65]
.LBB40_49:                              ;   in Loop: Header=BB40_7 Depth=1
	s_or_b64 exec, exec, s[26:27]
	v_mov_b32_e32 v22, 0
	v_mov_b32_e32 v23, 0
	s_and_saveexec_b64 s[6:7], s[12:13]
	s_cbranch_execz .LBB40_51
; %bb.50:                               ;   in Loop: Header=BB40_7 Depth=1
	global_load_dwordx2 v[22:23], v[16:17], off
.LBB40_51:                              ;   in Loop: Header=BB40_7 Depth=1
	s_or_b64 exec, exec, s[6:7]
	s_and_saveexec_b64 s[20:21], s[14:15]
	s_cbranch_execz .LBB40_57
; %bb.52:                               ;   in Loop: Header=BB40_7 Depth=1
	s_mov_b64 s[22:23], 0
	v_mov_b32_e32 v3, v39
	v_mov_b32_e32 v1, v34
	s_branch .LBB40_54
.LBB40_53:                              ;   in Loop: Header=BB40_54 Depth=2
	s_or_b64 exec, exec, s[6:7]
	s_waitcnt vmcnt(0)
	v_cmp_o_f64_e32 vcc, v[22:23], v[22:23]
	v_ashrrev_i32_e32 v4, 31, v23
	v_or_b32_e32 v12, 0x80000000, v4
	v_xor_b32_e32 v12, v12, v23
	v_xor_b32_e32 v4, v4, v22
	v_add_u32_e32 v3, s36, v3
	v_cndmask_b32_e32 v23, -1, v12, vcc
	v_cndmask_b32_e32 v22, -1, v4, vcc
	v_and_b32_e32 v44, v23, v21
	v_and_b32_e32 v43, v22, v20
	v_lshrrev_b64 v[22:23], s17, v[22:23]
	v_cmp_eq_u64_e32 vcc, v[43:44], v[18:19]
	v_and_b32_e32 v12, 3, v22
	v_cmp_eq_u64_e64 s[6:7], 0, v[12:13]
	v_cmp_eq_u64_e64 s[18:19], 1, v[12:13]
	s_and_b64 s[6:7], vcc, s[6:7]
	v_cndmask_b32_e64 v4, 0, 1, s[6:7]
	v_cmp_ne_u32_e64 s[6:7], 0, v4
	s_bcnt1_i32_b64 s6, s[6:7]
	v_add_u32_e32 v7, s6, v7
	s_and_b64 s[6:7], vcc, s[18:19]
	v_cndmask_b32_e64 v4, 0, 1, s[6:7]
	v_cmp_ne_u32_e64 s[6:7], 0, v4
	s_bcnt1_i32_b64 s18, s[6:7]
	v_cmp_eq_u64_e64 s[6:7], 2, v[12:13]
	v_add_u32_e32 v8, s18, v8
	s_and_b64 s[6:7], vcc, s[6:7]
	v_cndmask_b32_e64 v4, 0, 1, s[6:7]
	v_cmp_ne_u32_e64 s[6:7], 0, v4
	s_bcnt1_i32_b64 s18, s[6:7]
	v_cmp_eq_u64_e64 s[6:7], 3, v[12:13]
	v_mov_b32_e32 v22, v24
	s_and_b64 s[6:7], vcc, s[6:7]
	v_cndmask_b32_e64 v4, 0, 1, s[6:7]
	v_cmp_ne_u32_e32 vcc, 0, v4
	s_bcnt1_i32_b64 s6, vcc
	v_cmp_le_i32_e32 vcc, s28, v1
	v_add_u32_e32 v9, s18, v9
	v_add_u32_e32 v10, s6, v10
	s_or_b64 s[22:23], vcc, s[22:23]
	v_mov_b32_e32 v23, v25
	s_andn2_b64 exec, exec, s[22:23]
	s_cbranch_execz .LBB40_56
.LBB40_54:                              ;   Parent Loop BB40_7 Depth=1
                                        ; =>  This Inner Loop Header: Depth=2
	v_add_u32_e32 v1, s34, v1
	v_mov_b32_e32 v24, 0
	v_mov_b32_e32 v25, 0
	v_cmp_gt_u32_e32 vcc, s28, v1
	s_and_saveexec_b64 s[6:7], vcc
	s_cbranch_execz .LBB40_53
; %bb.55:                               ;   in Loop: Header=BB40_54 Depth=2
	v_ashrrev_i32_e32 v4, 31, v3
	v_lshlrev_b64 v[24:25], 3, v[3:4]
	v_mov_b32_e32 v4, s35
	v_add_co_u32_e32 v24, vcc, s30, v24
	v_addc_co_u32_e32 v25, vcc, v4, v25, vcc
	global_load_dwordx2 v[24:25], v[24:25], off
	s_branch .LBB40_53
.LBB40_56:                              ;   in Loop: Header=BB40_7 Depth=1
	s_or_b64 exec, exec, s[22:23]
.LBB40_57:                              ;   in Loop: Header=BB40_7 Depth=1
	s_or_b64 exec, exec, s[20:21]
	s_branch .LBB40_37
.LBB40_58:                              ;   in Loop: Header=BB40_7 Depth=1
	s_mul_hi_u32 s6, s29, s8
	s_mul_i32 s6, s6, s37
	s_sub_i32 s6, s29, s6
	s_sub_i32 s7, s6, s37
	s_cmp_ge_u32 s6, s37
	s_cselect_b32 s6, s7, s6
	s_sub_i32 s7, s6, s37
	s_cmp_ge_u32 s6, s37
	s_cselect_b32 s6, s7, s6
	s_sub_i32 s66, s29, s6
	v_cmp_gt_u32_e32 vcc, s66, v26
	v_mov_b32_e32 v7, 0
	v_mov_b32_e32 v8, 0
	;; [unrolled: 1-line block ×4, first 2 shown]
	s_and_saveexec_b64 s[26:27], vcc
	s_cbranch_execz .LBB40_62
; %bb.59:                               ;   in Loop: Header=BB40_7 Depth=1
	s_mov_b32 s67, 0
	s_mov_b64 s[64:65], 0
	v_mov_b32_e32 v1, v40
	s_mov_b32 s68, 0
	s_mov_b32 s69, 0
	;; [unrolled: 1-line block ×3, first 2 shown]
	s_waitcnt vmcnt(0)
	v_mov_b32_e32 v22, v26
.LBB40_60:                              ;   Parent Loop BB40_7 Depth=1
                                        ; =>  This Inner Loop Header: Depth=2
	ds_read_b128 v[7:10], v1
	ds_read_b128 v[43:46], v1 offset:16
	v_add_u32_e32 v22, s37, v22
	v_add_u32_e32 v1, s49, v1
	s_waitcnt lgkmcnt(1)
	v_cmp_o_f64_e32 vcc, v[7:8], v[7:8]
	v_ashrrev_i32_e32 v3, 31, v8
	v_or_b32_e32 v4, 0x80000000, v3
	v_xor_b32_e32 v4, v4, v8
	v_xor_b32_e32 v3, v3, v7
	v_ashrrev_i32_e32 v7, 31, v10
	v_or_b32_e32 v8, 0x80000000, v7
	v_xor_b32_e32 v8, v8, v10
	v_cndmask_b32_e32 v4, -1, v4, vcc
	v_cndmask_b32_e32 v3, -1, v3, vcc
	v_cmp_o_f64_e32 vcc, v[9:10], v[9:10]
	v_xor_b32_e32 v7, v7, v9
	v_cndmask_b32_e32 v24, -1, v8, vcc
	v_cndmask_b32_e32 v23, -1, v7, vcc
	s_waitcnt lgkmcnt(0)
	v_cmp_o_f64_e32 vcc, v[43:44], v[43:44]
	v_ashrrev_i32_e32 v7, 31, v44
	v_or_b32_e32 v8, 0x80000000, v7
	v_xor_b32_e32 v8, v8, v44
	v_xor_b32_e32 v7, v7, v43
	v_and_b32_e32 v44, v4, v21
	v_and_b32_e32 v43, v3, v20
	v_lshrrev_b64 v[3:4], s17, v[3:4]
	v_cndmask_b32_e32 v10, -1, v8, vcc
	v_cndmask_b32_e32 v9, -1, v7, vcc
	v_cmp_o_f64_e32 vcc, v[45:46], v[45:46]
	v_ashrrev_i32_e32 v7, 31, v46
	v_or_b32_e32 v8, 0x80000000, v7
	v_xor_b32_e32 v8, v8, v46
	v_xor_b32_e32 v7, v7, v45
	v_and_b32_e32 v12, 3, v3
	v_lshrrev_b64 v[3:4], s17, v[23:24]
	v_cmp_eq_u64_e64 s[6:7], 0, v[12:13]
	v_cndmask_b32_e32 v8, -1, v8, vcc
	v_cndmask_b32_e32 v7, -1, v7, vcc
	v_cmp_eq_u64_e32 vcc, v[43:44], v[18:19]
	v_and_b32_e32 v44, v24, v21
	v_and_b32_e32 v43, v23, v20
	v_cmp_eq_u64_e64 s[18:19], v[43:44], v[18:19]
	v_and_b32_e32 v44, v10, v21
	v_and_b32_e32 v43, v9, v20
	;; [unrolled: 1-line block ×3, first 2 shown]
	v_mov_b32_e32 v4, v13
	v_lshrrev_b64 v[9:10], s17, v[9:10]
	s_and_b64 s[72:73], vcc, s[6:7]
	v_cmp_eq_u64_e64 s[6:7], 0, v[3:4]
	v_cmp_eq_u64_e64 s[20:21], v[43:44], v[18:19]
	v_and_b32_e32 v44, v8, v21
	v_and_b32_e32 v43, v7, v20
	;; [unrolled: 1-line block ×3, first 2 shown]
	v_mov_b32_e32 v10, v13
	v_lshrrev_b64 v[7:8], s17, v[7:8]
	s_and_b64 s[74:75], s[18:19], s[6:7]
	v_cmp_eq_u64_e64 s[6:7], 0, v[9:10]
	v_and_b32_e32 v7, 3, v7
	v_mov_b32_e32 v8, v13
	v_cmp_eq_u64_e64 s[22:23], v[43:44], v[18:19]
	s_and_b64 s[76:77], s[20:21], s[6:7]
	v_cmp_eq_u64_e64 s[6:7], 0, v[7:8]
	v_cndmask_b32_e64 v23, 0, 1, s[72:73]
	s_and_b64 s[78:79], s[22:23], s[6:7]
	v_cmp_ne_u32_e64 s[6:7], 0, v23
	v_cndmask_b32_e64 v23, 0, 1, s[74:75]
	s_bcnt1_i32_b64 s33, s[6:7]
	v_cmp_ne_u32_e64 s[6:7], 0, v23
	v_cndmask_b32_e64 v23, 0, 1, s[76:77]
	s_bcnt1_i32_b64 s71, s[6:7]
	;; [unrolled: 3-line block ×3, first 2 shown]
	v_cmp_ne_u32_e64 s[6:7], 0, v23
	s_bcnt1_i32_b64 s6, s[6:7]
	s_add_i32 s7, s70, s33
	s_add_i32 s7, s7, s71
	;; [unrolled: 1-line block ×4, first 2 shown]
	v_cmp_eq_u64_e64 s[6:7], 1, v[12:13]
	s_and_b64 s[72:73], vcc, s[6:7]
	v_cmp_eq_u64_e64 s[6:7], 1, v[3:4]
	v_cndmask_b32_e64 v23, 0, 1, s[72:73]
	s_and_b64 s[74:75], s[18:19], s[6:7]
	v_cmp_eq_u64_e64 s[6:7], 1, v[9:10]
	s_and_b64 s[76:77], s[20:21], s[6:7]
	v_cmp_eq_u64_e64 s[6:7], 1, v[7:8]
	s_and_b64 s[78:79], s[22:23], s[6:7]
	v_cmp_ne_u32_e64 s[6:7], 0, v23
	v_cndmask_b32_e64 v23, 0, 1, s[74:75]
	s_bcnt1_i32_b64 s33, s[6:7]
	v_cmp_ne_u32_e64 s[6:7], 0, v23
	v_cndmask_b32_e64 v23, 0, 1, s[76:77]
	s_bcnt1_i32_b64 s71, s[6:7]
	;; [unrolled: 3-line block ×3, first 2 shown]
	v_cmp_ne_u32_e64 s[6:7], 0, v23
	s_bcnt1_i32_b64 s6, s[6:7]
	s_add_i32 s7, s69, s33
	s_add_i32 s7, s7, s71
	;; [unrolled: 1-line block ×4, first 2 shown]
	v_cmp_eq_u64_e64 s[6:7], 2, v[12:13]
	s_and_b64 s[72:73], vcc, s[6:7]
	v_cmp_eq_u64_e64 s[6:7], 2, v[3:4]
	v_cndmask_b32_e64 v23, 0, 1, s[72:73]
	s_and_b64 s[74:75], s[18:19], s[6:7]
	v_cmp_eq_u64_e64 s[6:7], 2, v[9:10]
	s_and_b64 s[76:77], s[20:21], s[6:7]
	v_cmp_eq_u64_e64 s[6:7], 2, v[7:8]
	s_and_b64 s[78:79], s[22:23], s[6:7]
	v_cmp_ne_u32_e64 s[6:7], 0, v23
	v_cndmask_b32_e64 v23, 0, 1, s[74:75]
	s_bcnt1_i32_b64 s33, s[6:7]
	v_cmp_ne_u32_e64 s[6:7], 0, v23
	v_cndmask_b32_e64 v23, 0, 1, s[76:77]
	s_bcnt1_i32_b64 s71, s[6:7]
	;; [unrolled: 3-line block ×3, first 2 shown]
	v_cmp_ne_u32_e64 s[6:7], 0, v23
	s_bcnt1_i32_b64 s6, s[6:7]
	s_add_i32 s7, s68, s33
	s_add_i32 s7, s7, s71
	;; [unrolled: 1-line block ×4, first 2 shown]
	v_cmp_eq_u64_e64 s[6:7], 3, v[12:13]
	s_and_b64 s[6:7], vcc, s[6:7]
	v_cmp_eq_u64_e32 vcc, 3, v[3:4]
	v_cndmask_b32_e64 v3, 0, 1, s[6:7]
	s_and_b64 s[18:19], s[18:19], vcc
	v_cmp_eq_u64_e32 vcc, 3, v[9:10]
	v_mov_b32_e32 v9, s68
	s_and_b64 s[20:21], s[20:21], vcc
	v_cmp_eq_u64_e32 vcc, 3, v[7:8]
	v_mov_b32_e32 v7, s70
	s_and_b64 s[22:23], s[22:23], vcc
	v_cmp_ne_u32_e32 vcc, 0, v3
	v_cndmask_b32_e64 v3, 0, 1, s[18:19]
	s_bcnt1_i32_b64 s6, vcc
	v_cmp_ne_u32_e32 vcc, 0, v3
	v_cndmask_b32_e64 v3, 0, 1, s[20:21]
	s_bcnt1_i32_b64 s7, vcc
	v_cmp_ne_u32_e32 vcc, 0, v3
	v_cndmask_b32_e64 v3, 0, 1, s[22:23]
	s_add_i32 s6, s67, s6
	s_bcnt1_i32_b64 s18, vcc
	v_cmp_ne_u32_e32 vcc, 0, v3
	s_add_i32 s6, s6, s7
	s_bcnt1_i32_b64 s19, vcc
	s_add_i32 s6, s6, s18
	s_add_i32 s67, s6, s19
	v_cmp_le_i32_e32 vcc, s66, v22
	s_or_b64 s[64:65], vcc, s[64:65]
	v_mov_b32_e32 v8, s69
	v_mov_b32_e32 v10, s67
	s_andn2_b64 exec, exec, s[64:65]
	s_cbranch_execnz .LBB40_60
; %bb.61:                               ;   in Loop: Header=BB40_7 Depth=1
	s_or_b64 exec, exec, s[64:65]
.LBB40_62:                              ;   in Loop: Header=BB40_7 Depth=1
	s_or_b64 exec, exec, s[26:27]
	v_add_u32_e32 v1, s66, v0
	v_cmp_gt_i32_e32 vcc, s29, v1
	s_and_saveexec_b64 s[64:65], vcc
	s_cbranch_execz .LBB40_66
; %bb.63:                               ;   in Loop: Header=BB40_7 Depth=1
	v_lshlrev_b32_e32 v3, 3, v1
	s_mov_b64 s[66:67], 0
.LBB40_64:                              ;   Parent Loop BB40_7 Depth=1
                                        ; =>  This Inner Loop Header: Depth=2
	s_waitcnt vmcnt(0)
	ds_read_b64 v[22:23], v3
	v_add_u32_e32 v1, s34, v1
	v_cmp_le_i32_e32 vcc, s29, v1
	v_add_u32_e32 v3, s16, v3
	s_waitcnt lgkmcnt(0)
	v_cmp_o_f64_e64 s[6:7], v[22:23], v[22:23]
	v_ashrrev_i32_e32 v4, 31, v23
	v_or_b32_e32 v12, 0x80000000, v4
	v_xor_b32_e32 v4, v4, v22
	v_xor_b32_e32 v12, v12, v23
	v_cndmask_b32_e64 v23, -1, v12, s[6:7]
	v_cndmask_b32_e64 v22, -1, v4, s[6:7]
	v_and_b32_e32 v25, v23, v21
	v_and_b32_e32 v24, v22, v20
	v_lshrrev_b64 v[22:23], s17, v[22:23]
	v_cmp_eq_u64_e64 s[6:7], v[24:25], v[18:19]
	v_and_b32_e32 v12, 3, v22
	v_cmp_eq_u64_e64 s[18:19], 0, v[12:13]
	v_cmp_eq_u64_e64 s[20:21], 1, v[12:13]
	;; [unrolled: 1-line block ×4, first 2 shown]
	s_and_b64 s[18:19], s[6:7], s[18:19]
	v_cndmask_b32_e64 v4, 0, 1, s[18:19]
	s_and_b64 s[18:19], s[6:7], s[20:21]
	v_cndmask_b32_e64 v12, 0, 1, s[18:19]
	s_and_b64 s[18:19], s[6:7], s[22:23]
	s_and_b64 s[6:7], s[6:7], s[26:27]
	v_cndmask_b32_e64 v22, 0, 1, s[18:19]
	v_cndmask_b32_e64 v23, 0, 1, s[6:7]
	v_cmp_ne_u32_e64 s[6:7], 0, v4
	v_cmp_ne_u32_e64 s[18:19], 0, v12
	;; [unrolled: 1-line block ×4, first 2 shown]
	s_bcnt1_i32_b64 s6, s[6:7]
	s_bcnt1_i32_b64 s7, s[18:19]
	;; [unrolled: 1-line block ×4, first 2 shown]
	v_add_u32_e32 v7, s6, v7
	v_add_u32_e32 v8, s7, v8
	;; [unrolled: 1-line block ×3, first 2 shown]
	s_or_b64 s[66:67], vcc, s[66:67]
	v_add_u32_e32 v10, s19, v10
	s_andn2_b64 exec, exec, s[66:67]
	s_cbranch_execnz .LBB40_64
; %bb.65:                               ;   in Loop: Header=BB40_7 Depth=1
	s_or_b64 exec, exec, s[66:67]
.LBB40_66:                              ;   in Loop: Header=BB40_7 Depth=1
	s_or_b64 exec, exec, s[64:65]
	s_lshl_b32 s18, s44, 6
	s_and_saveexec_b64 s[6:7], s[2:3]
	s_cbranch_execnz .LBB40_38
	s_branch .LBB40_39
.LBB40_67:                              ;   in Loop: Header=BB40_7 Depth=1
	s_or_b64 exec, exec, s[20:21]
	s_waitcnt lgkmcnt(0)
	s_barrier
	s_and_saveexec_b64 s[6:7], s[0:1]
	s_cbranch_execz .LBB40_69
; %bb.68:                               ;   in Loop: Header=BB40_7 Depth=1
	ds_read_b32 v1, v13 offset:4104
	s_waitcnt lgkmcnt(0)
	ds_write_b32 v13, v1 offset:4096
.LBB40_69:                              ;   in Loop: Header=BB40_7 Depth=1
	s_or_b64 exec, exec, s[6:7]
	s_waitcnt lgkmcnt(0)
	s_barrier
	s_mov_b64 s[6:7], -1
	s_and_b64 vcc, exec, s[18:19]
	s_cbranch_vccnz .LBB40_23
	s_branch .LBB40_33
.LBB40_70:                              ;   in Loop: Header=BB40_7 Depth=1
	v_mov_b32_e32 v1, 0
	s_mov_b32 s19, 0
.LBB40_71:                              ;   in Loop: Header=BB40_7 Depth=1
	v_readlane_b32 s20, v47, 12
	v_readlane_b32 s21, v47, 13
	s_andn2_b64 vcc, exec, s[20:21]
	s_cbranch_vccnz .LBB40_74
; %bb.72:                               ;   in Loop: Header=BB40_7 Depth=1
	s_lshl_b32 s20, s44, 8
	s_lshl_b32 s19, s19, 4
	s_add_i32 s20, s20, s19
	v_add_u32_e32 v3, s20, v41
	v_readlane_b32 s19, v47, 11
.LBB40_73:                              ;   Parent Loop BB40_7 Depth=1
                                        ; =>  This Inner Loop Header: Depth=2
	ds_read_b32 v4, v3
	s_add_i32 s19, s19, -1
	v_add_u32_e32 v3, 16, v3
	s_cmp_lg_u32 s19, 0
	s_waitcnt lgkmcnt(0)
	v_add_u32_e32 v1, v4, v1
	s_cbranch_scc1 .LBB40_73
.LBB40_74:                              ;   in Loop: Header=BB40_7 Depth=1
	v_add_lshl_u32 v3, s18, v27, 2
	ds_write_b32 v3, v1 offset:3072
.LBB40_75:                              ;   in Loop: Header=BB40_7 Depth=1
	s_or_b64 exec, exec, s[6:7]
	s_lshl_b32 s6, s18, 2
	v_mov_b32_e32 v1, s6
	s_waitcnt lgkmcnt(0)
	s_barrier
	ds_read_b128 v[7:10], v1 offset:3072
	s_lshl_b64 s[6:7], 3, s17
	s_not_b64 s[66:67], s[6:7]
	v_cmp_eq_u32_e32 vcc, 1, v42
	s_mov_b64 s[20:21], -1
	s_waitcnt lgkmcnt(0)
	v_readfirstlane_b32 s80, v7
	s_cmp_eq_u32 s80, 1
	s_cselect_b64 s[18:19], -1, 0
	v_readfirstlane_b32 s84, v8
	v_readfirstlane_b32 s92, v9
	;; [unrolled: 1-line block ×3, first 2 shown]
	s_and_b64 s[22:23], s[18:19], vcc
	s_mov_b64 s[68:69], -1
                                        ; implicit-def: $sgpr64_sgpr65
                                        ; implicit-def: $sgpr26_sgpr27
	s_and_saveexec_b64 s[18:19], s[22:23]
	s_cbranch_execz .LBB40_103
; %bb.76:                               ;   in Loop: Header=BB40_7 Depth=1
	ds_read_b32 v1, v13 offset:4096
	s_waitcnt lgkmcnt(0)
	s_barrier
	v_readfirstlane_b32 s33, v1
	s_and_saveexec_b64 s[26:27], s[4:5]
; %bb.77:                               ;   in Loop: Header=BB40_7 Depth=1
	v_mov_b32_e32 v12, v13
	ds_write_b64 v29, v[12:13]
; %bb.78:                               ;   in Loop: Header=BB40_7 Depth=1
	s_or_b64 exec, exec, s[26:27]
	v_and_b32_e32 v19, s67, v19
	v_and_b32_e32 v18, s66, v18
	v_or_b32_e32 v21, s7, v21
	v_or_b32_e32 v20, s6, v20
	s_mov_b64 s[26:27], -1
	s_mov_b64 s[64:65], 0
	s_cmp_lt_i32 s33, 1
	s_mov_b64 s[68:69], 0
	s_mov_b64 s[70:71], -1
	s_waitcnt lgkmcnt(0)
	s_barrier
                                        ; implicit-def: $vgpr5_vgpr6
	s_cbranch_scc0 .LBB40_90
; %bb.79:                               ;   in Loop: Header=BB40_7 Depth=1
	s_mov_b64 s[70:71], 0
                                        ; implicit-def: $vgpr5_vgpr6
	s_mov_b64 s[72:73], exec
	v_readlane_b32 s74, v47, 14
	v_readlane_b32 s75, v47, 15
	s_and_b64 s[74:75], s[72:73], s[74:75]
	s_mov_b64 exec, s[74:75]
	s_cbranch_execz .LBB40_89
; %bb.80:                               ;   in Loop: Header=BB40_7 Depth=1
	v_mov_b32_e32 v7, v11
	v_mov_b32_e32 v9, v0
                                        ; implicit-def: $sgpr74_sgpr75
	s_branch .LBB40_84
.LBB40_81:                              ;   in Loop: Header=BB40_84 Depth=2
	s_or_b64 exec, exec, s[76:77]
	s_waitcnt lgkmcnt(0)
	s_barrier
	ds_read_b128 v[3:6], v13 offset:3072
	s_waitcnt lgkmcnt(0)
	s_barrier
	v_cmp_neq_f64_e32 vcc, 0, v[3:4]
	s_cbranch_vccnz .LBB40_87
; %bb.82:                               ;   in Loop: Header=BB40_84 Depth=2
	v_add_u32_e32 v9, s34, v9
	v_cmp_le_i32_e32 vcc, s47, v9
	v_add_u32_e32 v7, s36, v7
	s_mov_b64 s[76:77], 0
	s_orn2_b64 s[78:79], vcc, exec
.LBB40_83:                              ;   in Loop: Header=BB40_84 Depth=2
	s_and_b64 s[78:79], exec, s[78:79]
	s_or_b64 s[68:69], s[78:79], s[68:69]
	s_andn2_b64 s[74:75], s[74:75], exec
	s_and_b64 s[76:77], s[76:77], exec
	s_or_b64 s[74:75], s[74:75], s[76:77]
	s_andn2_b64 exec, exec, s[68:69]
	s_cbranch_execz .LBB40_88
.LBB40_84:                              ;   Parent Loop BB40_7 Depth=1
                                        ; =>  This Inner Loop Header: Depth=2
	v_cmp_gt_i32_e32 vcc, s28, v9
	s_and_saveexec_b64 s[76:77], vcc
	s_cbranch_execz .LBB40_81
; %bb.85:                               ;   in Loop: Header=BB40_84 Depth=2
	v_ashrrev_i32_e32 v8, 31, v7
	v_lshlrev_b64 v[3:4], 3, v[7:8]
	v_mov_b32_e32 v1, s35
	v_add_co_u32_e32 v3, vcc, s30, v3
	v_addc_co_u32_e32 v4, vcc, v1, v4, vcc
	global_load_dwordx2 v[3:4], v[3:4], off
	s_waitcnt vmcnt(0)
	v_cmp_o_f64_e32 vcc, v[3:4], v[3:4]
	v_ashrrev_i32_e32 v1, 31, v4
	v_or_b32_e32 v5, 0x80000000, v1
	v_xor_b32_e32 v5, v5, v4
	v_xor_b32_e32 v1, v1, v3
	v_cndmask_b32_e32 v5, -1, v5, vcc
	v_cndmask_b32_e32 v1, -1, v1, vcc
	v_and_b32_e32 v6, v5, v21
	v_and_b32_e32 v5, v1, v20
	v_cmp_eq_u64_e32 vcc, v[5:6], v[18:19]
	s_and_b64 exec, exec, vcc
	s_cbranch_execz .LBB40_81
; %bb.86:                               ;   in Loop: Header=BB40_84 Depth=2
	v_mov_b32_e32 v1, v13
	ds_write_b128 v13, v[1:4] offset:3072
	s_branch .LBB40_81
.LBB40_87:                              ;   in Loop: Header=BB40_84 Depth=2
	s_mov_b64 s[78:79], -1
                                        ; implicit-def: $vgpr9
                                        ; implicit-def: $vgpr7
	s_mov_b64 s[76:77], -1
	s_branch .LBB40_83
.LBB40_88:                              ;   in Loop: Header=BB40_7 Depth=1
	s_or_b64 exec, exec, s[68:69]
	s_and_b64 s[68:69], s[74:75], exec
.LBB40_89:                              ;   in Loop: Header=BB40_7 Depth=1
	s_or_b64 exec, exec, s[72:73]
.LBB40_90:                              ;   in Loop: Header=BB40_7 Depth=1
	s_and_b64 vcc, exec, s[70:71]
	s_cbranch_vccz .LBB40_102
; %bb.91:                               ;   in Loop: Header=BB40_7 Depth=1
	s_add_i32 s76, s33, s90
	s_abs_i32 s27, s76
	s_mul_hi_u32 s64, s27, s46
	s_mul_i32 s64, s64, s34
	s_sub_i32 s27, s27, s64
	s_ashr_i32 s26, s76, 31
	s_sub_i32 s64, s27, s34
	s_cmp_ge_u32 s27, s34
	s_cselect_b32 s27, s64, s27
	s_sub_i32 s64, s27, s34
	s_cmp_ge_u32 s27, s34
	s_cselect_b32 s27, s64, s27
	s_xor_b32 s27, s27, s26
	s_sub_i32 s26, s26, s27
	s_add_i32 s76, s76, s26
	v_cmp_gt_i32_e32 vcc, s76, v0
                                        ; implicit-def: $vgpr5_vgpr6
	s_and_saveexec_b64 s[26:27], vcc
	s_cbranch_execz .LBB40_101
; %bb.92:                               ;   in Loop: Header=BB40_7 Depth=1
	s_mov_b64 s[70:71], 0
	v_mov_b32_e32 v7, v28
	v_mov_b32_e32 v8, v0
                                        ; implicit-def: $sgpr64_sgpr65
	s_branch .LBB40_96
.LBB40_93:                              ;   in Loop: Header=BB40_96 Depth=2
	s_or_b64 exec, exec, s[72:73]
	s_waitcnt lgkmcnt(0)
	s_barrier
	ds_read_b128 v[3:6], v13 offset:3072
	s_waitcnt lgkmcnt(0)
	s_barrier
	v_cmp_neq_f64_e32 vcc, 0, v[3:4]
	s_cbranch_vccnz .LBB40_99
; %bb.94:                               ;   in Loop: Header=BB40_96 Depth=2
	v_add_u32_e32 v8, s34, v8
	v_cmp_le_i32_e32 vcc, s76, v8
	v_add_u32_e32 v7, s16, v7
	s_mov_b64 s[72:73], 0
	s_orn2_b64 s[74:75], vcc, exec
.LBB40_95:                              ;   in Loop: Header=BB40_96 Depth=2
	s_and_b64 s[74:75], exec, s[74:75]
	s_or_b64 s[70:71], s[74:75], s[70:71]
	s_andn2_b64 s[64:65], s[64:65], exec
	s_and_b64 s[72:73], s[72:73], exec
	s_or_b64 s[64:65], s[64:65], s[72:73]
	s_andn2_b64 exec, exec, s[70:71]
	s_cbranch_execz .LBB40_100
.LBB40_96:                              ;   Parent Loop BB40_7 Depth=1
                                        ; =>  This Inner Loop Header: Depth=2
	v_cmp_gt_i32_e32 vcc, s33, v8
	s_and_saveexec_b64 s[72:73], vcc
	s_cbranch_execz .LBB40_93
; %bb.97:                               ;   in Loop: Header=BB40_96 Depth=2
	ds_read_b64 v[3:4], v7
	s_waitcnt lgkmcnt(0)
	v_cmp_o_f64_e32 vcc, v[3:4], v[3:4]
	v_ashrrev_i32_e32 v1, 31, v4
	v_or_b32_e32 v5, 0x80000000, v1
	v_xor_b32_e32 v5, v5, v4
	v_xor_b32_e32 v1, v1, v3
	v_cndmask_b32_e32 v5, -1, v5, vcc
	v_cndmask_b32_e32 v1, -1, v1, vcc
	v_and_b32_e32 v6, v5, v21
	v_and_b32_e32 v5, v1, v20
	v_cmp_eq_u64_e32 vcc, v[5:6], v[18:19]
	s_and_b64 exec, exec, vcc
	s_cbranch_execz .LBB40_93
; %bb.98:                               ;   in Loop: Header=BB40_96 Depth=2
	v_mov_b32_e32 v1, v13
	ds_write_b128 v13, v[1:4] offset:3072
	s_branch .LBB40_93
.LBB40_99:                              ;   in Loop: Header=BB40_96 Depth=2
	s_mov_b64 s[74:75], -1
                                        ; implicit-def: $vgpr8
                                        ; implicit-def: $vgpr7
	s_mov_b64 s[72:73], -1
	s_branch .LBB40_95
.LBB40_100:                             ;   in Loop: Header=BB40_7 Depth=1
	s_or_b64 exec, exec, s[70:71]
	s_andn2_b64 s[68:69], s[68:69], exec
	s_and_b64 s[64:65], s[64:65], exec
	s_or_b64 s[68:69], s[68:69], s[64:65]
.LBB40_101:                             ;   in Loop: Header=BB40_7 Depth=1
	s_or_b64 exec, exec, s[26:27]
	s_mov_b64 s[26:27], 0
	s_mov_b64 s[64:65], -1
.LBB40_102:                             ;   in Loop: Header=BB40_7 Depth=1
	s_orn2_b64 s[68:69], s[68:69], exec
.LBB40_103:                             ;   in Loop: Header=BB40_7 Depth=1
	s_or_b64 exec, exec, s[18:19]
	s_andn2_b64 s[18:19], s[62:63], exec
	s_and_b64 s[62:63], s[64:65], exec
	s_or_b64 s[62:63], s[18:19], s[62:63]
	s_andn2_b64 s[18:19], s[60:61], exec
	s_and_b64 s[26:27], s[26:27], exec
	v_readfirstlane_b32 s33, v0
	v_readfirstlane_b32 s70, v0
	s_andn2_b64 s[58:59], s[58:59], exec
	s_or_b64 s[60:61], s[18:19], s[26:27]
                                        ; implicit-def: $vgpr10
	s_and_saveexec_b64 s[18:19], s[68:69]
	s_cbranch_execz .LBB40_6
; %bb.104:                              ;   in Loop: Header=BB40_7 Depth=1
	s_xor_b64 s[26:27], s[22:23], -1
	s_mov_b64 s[22:23], 0
	v_mov_b32_e32 v10, 1
	v_mov_b32_e32 v9, 1
	s_and_saveexec_b64 s[20:21], s[26:27]
	s_cbranch_execz .LBB40_113
; %bb.105:                              ;   in Loop: Header=BB40_7 Depth=1
	v_cmp_ge_i32_e32 vcc, s80, v42
	s_and_saveexec_b64 s[22:23], vcc
	s_xor_b64 s[22:23], exec, s[22:23]
	s_cbranch_execz .LBB40_110
; %bb.106:                              ;   in Loop: Header=BB40_7 Depth=1
	ds_read_b32 v1, v13 offset:4096
	v_and_b32_e32 v19, s67, v19
	v_and_b32_e32 v18, s66, v18
	v_or_b32_e32 v21, s7, v21
	v_or_b32_e32 v20, s6, v20
	s_waitcnt lgkmcnt(0)
	v_cmp_ne_u32_e32 vcc, 0, v1
	s_cbranch_vccnz .LBB40_110
; %bb.107:                              ;   in Loop: Header=BB40_7 Depth=1
	s_and_saveexec_b64 s[26:27], s[0:1]
; %bb.108:                              ;   in Loop: Header=BB40_7 Depth=1
	v_mov_b32_e32 v1, s80
	ds_write_b32 v13, v1 offset:4100
; %bb.109:                              ;   in Loop: Header=BB40_7 Depth=1
	s_or_b64 exec, exec, s[26:27]
	s_waitcnt lgkmcnt(0)
	s_barrier
.LBB40_110:                             ;   in Loop: Header=BB40_7 Depth=1
	s_or_saveexec_b64 s[22:23], s[22:23]
	s_mov_b64 s[26:27], 0
	v_mov_b32_e32 v9, 8
	s_xor_b64 exec, exec, s[22:23]
; %bb.111:                              ;   in Loop: Header=BB40_7 Depth=1
	s_mov_b64 s[26:27], exec
	v_subrev_u32_e32 v42, s80, v42
	v_mov_b32_e32 v9, 0
; %bb.112:                              ;   in Loop: Header=BB40_7 Depth=1
	s_or_b64 exec, exec, s[22:23]
	s_and_b64 s[22:23], s[26:27], exec
	v_mov_b32_e32 v10, v42
.LBB40_113:                             ;   in Loop: Header=BB40_7 Depth=1
	s_or_b64 exec, exec, s[20:21]
	s_mov_b64 s[20:21], -1
	s_mov_b64 s[68:69], -1
                                        ; implicit-def: $sgpr26_sgpr27
                                        ; implicit-def: $sgpr64_sgpr65
	s_and_saveexec_b64 s[70:71], s[22:23]
	s_xor_b64 s[22:23], exec, s[70:71]
	s_cbranch_execz .LBB40_236
; %bb.114:                              ;   in Loop: Header=BB40_7 Depth=1
	s_cmp_eq_u32 s84, 1
	s_cselect_b64 s[26:27], -1, 0
	v_cmp_eq_u32_e32 vcc, 1, v10
	s_and_b64 s[70:71], s[26:27], vcc
	s_mov_b64 s[72:73], -1
                                        ; implicit-def: $sgpr64_sgpr65
                                        ; implicit-def: $sgpr26_sgpr27
	s_and_saveexec_b64 s[68:69], s[70:71]
	s_cbranch_execz .LBB40_142
; %bb.115:                              ;   in Loop: Header=BB40_7 Depth=1
	ds_read_b32 v1, v13 offset:4096
	s_waitcnt lgkmcnt(0)
	s_barrier
	v_readfirstlane_b32 s33, v1
	s_and_saveexec_b64 s[26:27], s[4:5]
; %bb.116:                              ;   in Loop: Header=BB40_7 Depth=1
	v_mov_b32_e32 v12, v13
	ds_write_b64 v29, v[12:13]
; %bb.117:                              ;   in Loop: Header=BB40_7 Depth=1
	s_or_b64 exec, exec, s[26:27]
	s_lshl_b64 s[26:27], 1, s17
	v_and_b32_e32 v1, s67, v19
	v_and_b32_e32 v3, s66, v18
	v_or_b32_e32 v19, s27, v1
	v_or_b32_e32 v18, s26, v3
	;; [unrolled: 1-line block ×4, first 2 shown]
	s_mov_b64 s[26:27], -1
	s_mov_b64 s[64:65], 0
	s_cmp_gt_i32 s33, 0
	s_mov_b64 s[72:73], 0
	s_mov_b64 s[74:75], -1
	s_waitcnt lgkmcnt(0)
	s_barrier
                                        ; implicit-def: $vgpr5_vgpr6
	s_cbranch_scc1 .LBB40_129
; %bb.118:                              ;   in Loop: Header=BB40_7 Depth=1
	s_mov_b64 s[74:75], 0
                                        ; implicit-def: $vgpr5_vgpr6
	s_mov_b64 s[76:77], exec
	v_readlane_b32 s78, v47, 14
	v_readlane_b32 s79, v47, 15
	s_and_b64 s[78:79], s[76:77], s[78:79]
	s_mov_b64 exec, s[78:79]
	s_cbranch_execz .LBB40_128
; %bb.119:                              ;   in Loop: Header=BB40_7 Depth=1
	v_mov_b32_e32 v7, v11
	v_mov_b32_e32 v12, v0
                                        ; implicit-def: $sgpr78_sgpr79
	s_branch .LBB40_123
.LBB40_120:                             ;   in Loop: Header=BB40_123 Depth=2
	s_or_b64 exec, exec, s[80:81]
	s_waitcnt lgkmcnt(0)
	s_barrier
	ds_read_b128 v[3:6], v13 offset:3072
	s_waitcnt lgkmcnt(0)
	s_barrier
	v_cmp_neq_f64_e32 vcc, 0, v[3:4]
	s_cbranch_vccnz .LBB40_126
; %bb.121:                              ;   in Loop: Header=BB40_123 Depth=2
	v_add_u32_e32 v12, s34, v12
	v_cmp_le_i32_e32 vcc, s47, v12
	v_add_u32_e32 v7, s36, v7
	s_mov_b64 s[80:81], 0
	s_orn2_b64 s[82:83], vcc, exec
.LBB40_122:                             ;   in Loop: Header=BB40_123 Depth=2
	s_and_b64 s[82:83], exec, s[82:83]
	s_or_b64 s[72:73], s[82:83], s[72:73]
	s_andn2_b64 s[78:79], s[78:79], exec
	s_and_b64 s[80:81], s[80:81], exec
	s_or_b64 s[78:79], s[78:79], s[80:81]
	s_andn2_b64 exec, exec, s[72:73]
	s_cbranch_execz .LBB40_127
.LBB40_123:                             ;   Parent Loop BB40_7 Depth=1
                                        ; =>  This Inner Loop Header: Depth=2
	v_cmp_gt_i32_e32 vcc, s28, v12
	s_and_saveexec_b64 s[80:81], vcc
	s_cbranch_execz .LBB40_120
; %bb.124:                              ;   in Loop: Header=BB40_123 Depth=2
	v_ashrrev_i32_e32 v8, 31, v7
	v_lshlrev_b64 v[3:4], 3, v[7:8]
	v_mov_b32_e32 v1, s35
	v_add_co_u32_e32 v3, vcc, s30, v3
	v_addc_co_u32_e32 v4, vcc, v1, v4, vcc
	global_load_dwordx2 v[3:4], v[3:4], off
	s_waitcnt vmcnt(0)
	v_cmp_o_f64_e32 vcc, v[3:4], v[3:4]
	v_ashrrev_i32_e32 v1, 31, v4
	v_or_b32_e32 v5, 0x80000000, v1
	v_xor_b32_e32 v5, v5, v4
	v_xor_b32_e32 v1, v1, v3
	v_cndmask_b32_e32 v5, -1, v5, vcc
	v_cndmask_b32_e32 v1, -1, v1, vcc
	v_and_b32_e32 v6, v5, v21
	v_and_b32_e32 v5, v1, v20
	v_cmp_eq_u64_e32 vcc, v[5:6], v[18:19]
	s_and_b64 exec, exec, vcc
	s_cbranch_execz .LBB40_120
; %bb.125:                              ;   in Loop: Header=BB40_123 Depth=2
	v_mov_b32_e32 v1, v13
	ds_write_b128 v13, v[1:4] offset:3072
	s_branch .LBB40_120
.LBB40_126:                             ;   in Loop: Header=BB40_123 Depth=2
	s_mov_b64 s[82:83], -1
                                        ; implicit-def: $vgpr12
                                        ; implicit-def: $vgpr7
	s_mov_b64 s[80:81], -1
	s_branch .LBB40_122
.LBB40_127:                             ;   in Loop: Header=BB40_7 Depth=1
	s_or_b64 exec, exec, s[72:73]
	s_and_b64 s[72:73], s[78:79], exec
.LBB40_128:                             ;   in Loop: Header=BB40_7 Depth=1
	s_or_b64 exec, exec, s[76:77]
.LBB40_129:                             ;   in Loop: Header=BB40_7 Depth=1
	s_and_b64 vcc, exec, s[74:75]
	s_cbranch_vccz .LBB40_141
; %bb.130:                              ;   in Loop: Header=BB40_7 Depth=1
	s_add_i32 s80, s33, s90
	s_abs_i32 s27, s80
	s_mul_hi_u32 s64, s27, s46
	s_mul_i32 s64, s64, s34
	s_sub_i32 s27, s27, s64
	s_ashr_i32 s26, s80, 31
	s_sub_i32 s64, s27, s34
	s_cmp_ge_u32 s27, s34
	s_cselect_b32 s27, s64, s27
	s_sub_i32 s64, s27, s34
	s_cmp_ge_u32 s27, s34
	s_cselect_b32 s27, s64, s27
	s_xor_b32 s27, s27, s26
	s_sub_i32 s26, s26, s27
	s_add_i32 s80, s80, s26
	v_cmp_gt_i32_e32 vcc, s80, v0
                                        ; implicit-def: $vgpr5_vgpr6
	s_and_saveexec_b64 s[26:27], vcc
	s_cbranch_execz .LBB40_140
; %bb.131:                              ;   in Loop: Header=BB40_7 Depth=1
	s_mov_b64 s[64:65], 0
	v_mov_b32_e32 v7, v28
	v_mov_b32_e32 v8, v0
                                        ; implicit-def: $sgpr74_sgpr75
	s_branch .LBB40_135
.LBB40_132:                             ;   in Loop: Header=BB40_135 Depth=2
	s_or_b64 exec, exec, s[76:77]
	s_waitcnt lgkmcnt(0)
	s_barrier
	ds_read_b128 v[3:6], v13 offset:3072
	s_waitcnt lgkmcnt(0)
	s_barrier
	v_cmp_eq_f64_e32 vcc, 0, v[3:4]
	s_cbranch_vccz .LBB40_138
; %bb.133:                              ;   in Loop: Header=BB40_135 Depth=2
	v_add_u32_e32 v8, s34, v8
	v_cmp_le_i32_e32 vcc, s80, v8
	v_add_u32_e32 v7, s16, v7
	s_mov_b64 s[76:77], 0
	s_orn2_b64 s[78:79], vcc, exec
.LBB40_134:                             ;   in Loop: Header=BB40_135 Depth=2
	s_and_b64 s[78:79], exec, s[78:79]
	s_or_b64 s[64:65], s[78:79], s[64:65]
	s_andn2_b64 s[74:75], s[74:75], exec
	s_and_b64 s[76:77], s[76:77], exec
	s_or_b64 s[74:75], s[74:75], s[76:77]
	s_andn2_b64 exec, exec, s[64:65]
	s_cbranch_execz .LBB40_139
.LBB40_135:                             ;   Parent Loop BB40_7 Depth=1
                                        ; =>  This Inner Loop Header: Depth=2
	v_cmp_gt_i32_e32 vcc, s33, v8
	s_and_saveexec_b64 s[76:77], vcc
	s_cbranch_execz .LBB40_132
; %bb.136:                              ;   in Loop: Header=BB40_135 Depth=2
	ds_read_b64 v[3:4], v7
	s_waitcnt lgkmcnt(0)
	v_cmp_o_f64_e32 vcc, v[3:4], v[3:4]
	v_ashrrev_i32_e32 v1, 31, v4
	v_or_b32_e32 v5, 0x80000000, v1
	v_xor_b32_e32 v5, v5, v4
	v_xor_b32_e32 v1, v1, v3
	v_cndmask_b32_e32 v5, -1, v5, vcc
	v_cndmask_b32_e32 v1, -1, v1, vcc
	v_and_b32_e32 v6, v5, v21
	v_and_b32_e32 v5, v1, v20
	v_cmp_eq_u64_e32 vcc, v[5:6], v[18:19]
	s_and_b64 exec, exec, vcc
	s_cbranch_execz .LBB40_132
; %bb.137:                              ;   in Loop: Header=BB40_135 Depth=2
	v_mov_b32_e32 v1, v13
	ds_write_b128 v13, v[1:4] offset:3072
	s_branch .LBB40_132
.LBB40_138:                             ;   in Loop: Header=BB40_135 Depth=2
	s_mov_b64 s[78:79], -1
                                        ; implicit-def: $vgpr8
                                        ; implicit-def: $vgpr7
	s_mov_b64 s[76:77], -1
	s_branch .LBB40_134
.LBB40_139:                             ;   in Loop: Header=BB40_7 Depth=1
	s_or_b64 exec, exec, s[64:65]
	s_andn2_b64 s[64:65], s[72:73], exec
	s_and_b64 s[72:73], s[74:75], exec
	s_or_b64 s[72:73], s[64:65], s[72:73]
.LBB40_140:                             ;   in Loop: Header=BB40_7 Depth=1
	s_or_b64 exec, exec, s[26:27]
	s_mov_b64 s[26:27], 0
	s_mov_b64 s[64:65], -1
.LBB40_141:                             ;   in Loop: Header=BB40_7 Depth=1
	s_orn2_b64 s[72:73], s[72:73], exec
.LBB40_142:                             ;   in Loop: Header=BB40_7 Depth=1
	s_or_b64 exec, exec, s[68:69]
	s_mov_b64 s[74:75], 0
	s_and_saveexec_b64 s[68:69], s[72:73]
	s_cbranch_execz .LBB40_235
; %bb.143:                              ;   in Loop: Header=BB40_7 Depth=1
	s_xor_b64 s[72:73], s[70:71], -1
	s_mov_b64 s[78:79], 0
	v_mov_b32_e32 v22, 1
	v_mov_b32_e32 v9, 1
	s_and_saveexec_b64 s[70:71], s[72:73]
	s_cbranch_execz .LBB40_152
; %bb.144:                              ;   in Loop: Header=BB40_7 Depth=1
	v_cmp_ge_i32_e32 vcc, s84, v10
	s_and_saveexec_b64 s[72:73], vcc
	s_xor_b64 s[72:73], exec, s[72:73]
	s_cbranch_execz .LBB40_149
; %bb.145:                              ;   in Loop: Header=BB40_7 Depth=1
	ds_read_b32 v3, v13 offset:4096
	s_lshl_b64 s[74:75], 1, s17
	v_and_b32_e32 v1, s67, v19
	v_and_b32_e32 v4, s66, v18
	v_or_b32_e32 v19, s75, v1
	s_waitcnt lgkmcnt(0)
	v_cmp_ne_u32_e32 vcc, 0, v3
	v_or_b32_e32 v18, s74, v4
	v_or_b32_e32 v21, s7, v21
	;; [unrolled: 1-line block ×3, first 2 shown]
	s_cbranch_vccnz .LBB40_149
; %bb.146:                              ;   in Loop: Header=BB40_7 Depth=1
	s_and_saveexec_b64 s[74:75], s[0:1]
; %bb.147:                              ;   in Loop: Header=BB40_7 Depth=1
	v_mov_b32_e32 v1, s84
	ds_write_b32 v13, v1 offset:4100
; %bb.148:                              ;   in Loop: Header=BB40_7 Depth=1
	s_or_b64 exec, exec, s[74:75]
	s_waitcnt lgkmcnt(0)
	s_barrier
.LBB40_149:                             ;   in Loop: Header=BB40_7 Depth=1
	s_or_saveexec_b64 s[72:73], s[72:73]
	s_mov_b64 s[74:75], 0
	v_mov_b32_e32 v9, 8
	s_xor_b64 exec, exec, s[72:73]
; %bb.150:                              ;   in Loop: Header=BB40_7 Depth=1
	s_mov_b64 s[74:75], exec
	v_subrev_u32_e32 v10, s84, v10
	v_mov_b32_e32 v9, 0
; %bb.151:                              ;   in Loop: Header=BB40_7 Depth=1
	s_or_b64 exec, exec, s[72:73]
	s_and_b64 s[78:79], s[74:75], exec
	v_mov_b32_e32 v22, v10
.LBB40_152:                             ;   in Loop: Header=BB40_7 Depth=1
	s_or_b64 exec, exec, s[70:71]
	s_mov_b64 s[76:77], -1
                                        ; implicit-def: $sgpr72_sgpr73
                                        ; implicit-def: $sgpr74_sgpr75
	s_and_saveexec_b64 s[70:71], s[78:79]
	s_cbranch_execz .LBB40_234
; %bb.153:                              ;   in Loop: Header=BB40_7 Depth=1
	s_cmp_eq_u32 s92, 1
	s_cselect_b64 s[72:73], -1, 0
	v_cmp_eq_u32_e32 vcc, 1, v22
	s_and_b64 s[78:79], s[72:73], vcc
	s_mov_b64 s[80:81], -1
                                        ; implicit-def: $sgpr74_sgpr75
                                        ; implicit-def: $sgpr72_sgpr73
	s_and_saveexec_b64 s[76:77], s[78:79]
	s_cbranch_execz .LBB40_181
; %bb.154:                              ;   in Loop: Header=BB40_7 Depth=1
	ds_read_b32 v1, v13 offset:4096
	s_waitcnt lgkmcnt(0)
	s_barrier
	v_readfirstlane_b32 s93, v1
	s_and_saveexec_b64 s[72:73], s[4:5]
; %bb.155:                              ;   in Loop: Header=BB40_7 Depth=1
	v_mov_b32_e32 v12, v13
	ds_write_b64 v29, v[12:13]
; %bb.156:                              ;   in Loop: Header=BB40_7 Depth=1
	s_or_b64 exec, exec, s[72:73]
	s_lshl_b64 s[72:73], 2, s17
	v_and_b32_e32 v1, s67, v19
	v_and_b32_e32 v3, s66, v18
	v_or_b32_e32 v19, s73, v1
	v_or_b32_e32 v18, s72, v3
	v_or_b32_e32 v21, s7, v21
	v_or_b32_e32 v20, s6, v20
	s_mov_b64 s[72:73], -1
	s_mov_b64 s[74:75], 0
	s_cmp_gt_i32 s93, 0
	s_mov_b64 s[80:81], 0
	s_mov_b64 s[82:83], -1
	s_waitcnt lgkmcnt(0)
	s_barrier
                                        ; implicit-def: $vgpr5_vgpr6
	s_cbranch_scc1 .LBB40_168
; %bb.157:                              ;   in Loop: Header=BB40_7 Depth=1
	s_mov_b64 s[82:83], 0
                                        ; implicit-def: $vgpr5_vgpr6
	s_mov_b64 s[84:85], exec
	v_readlane_b32 s86, v47, 14
	v_readlane_b32 s87, v47, 15
	s_and_b64 s[86:87], s[84:85], s[86:87]
	s_mov_b64 exec, s[86:87]
	s_cbranch_execz .LBB40_167
; %bb.158:                              ;   in Loop: Header=BB40_7 Depth=1
	v_mov_b32_e32 v7, v11
	v_mov_b32_e32 v10, v0
                                        ; implicit-def: $sgpr86_sgpr87
	s_branch .LBB40_162
.LBB40_159:                             ;   in Loop: Header=BB40_162 Depth=2
	s_or_b64 exec, exec, s[88:89]
	s_waitcnt lgkmcnt(0)
	s_barrier
	ds_read_b128 v[3:6], v13 offset:3072
	s_waitcnt lgkmcnt(0)
	s_barrier
	v_cmp_neq_f64_e32 vcc, 0, v[3:4]
	s_cbranch_vccnz .LBB40_165
; %bb.160:                              ;   in Loop: Header=BB40_162 Depth=2
	v_add_u32_e32 v10, s34, v10
	v_cmp_le_i32_e32 vcc, s47, v10
	v_add_u32_e32 v7, s36, v7
	s_mov_b64 s[88:89], 0
	s_orn2_b64 s[90:91], vcc, exec
.LBB40_161:                             ;   in Loop: Header=BB40_162 Depth=2
	s_and_b64 s[90:91], exec, s[90:91]
	s_or_b64 s[80:81], s[90:91], s[80:81]
	s_andn2_b64 s[86:87], s[86:87], exec
	s_and_b64 s[88:89], s[88:89], exec
	s_or_b64 s[86:87], s[86:87], s[88:89]
	s_andn2_b64 exec, exec, s[80:81]
	s_cbranch_execz .LBB40_166
.LBB40_162:                             ;   Parent Loop BB40_7 Depth=1
                                        ; =>  This Inner Loop Header: Depth=2
	v_cmp_gt_i32_e32 vcc, s28, v10
	s_and_saveexec_b64 s[88:89], vcc
	s_cbranch_execz .LBB40_159
; %bb.163:                              ;   in Loop: Header=BB40_162 Depth=2
	v_ashrrev_i32_e32 v8, 31, v7
	v_lshlrev_b64 v[3:4], 3, v[7:8]
	v_mov_b32_e32 v1, s35
	v_add_co_u32_e32 v3, vcc, s30, v3
	v_addc_co_u32_e32 v4, vcc, v1, v4, vcc
	global_load_dwordx2 v[3:4], v[3:4], off
	s_waitcnt vmcnt(0)
	v_cmp_o_f64_e32 vcc, v[3:4], v[3:4]
	v_ashrrev_i32_e32 v1, 31, v4
	v_or_b32_e32 v5, 0x80000000, v1
	v_xor_b32_e32 v5, v5, v4
	v_xor_b32_e32 v1, v1, v3
	v_cndmask_b32_e32 v5, -1, v5, vcc
	v_cndmask_b32_e32 v1, -1, v1, vcc
	v_and_b32_e32 v6, v5, v21
	v_and_b32_e32 v5, v1, v20
	v_cmp_eq_u64_e32 vcc, v[5:6], v[18:19]
	s_and_b64 exec, exec, vcc
	s_cbranch_execz .LBB40_159
; %bb.164:                              ;   in Loop: Header=BB40_162 Depth=2
	v_mov_b32_e32 v1, v13
	ds_write_b128 v13, v[1:4] offset:3072
	s_branch .LBB40_159
.LBB40_165:                             ;   in Loop: Header=BB40_162 Depth=2
	s_mov_b64 s[90:91], -1
                                        ; implicit-def: $vgpr10
                                        ; implicit-def: $vgpr7
	s_mov_b64 s[88:89], -1
	s_branch .LBB40_161
.LBB40_166:                             ;   in Loop: Header=BB40_7 Depth=1
	s_or_b64 exec, exec, s[80:81]
	s_and_b64 s[80:81], s[86:87], exec
.LBB40_167:                             ;   in Loop: Header=BB40_7 Depth=1
	s_or_b64 exec, exec, s[84:85]
.LBB40_168:                             ;   in Loop: Header=BB40_7 Depth=1
	s_and_b64 vcc, exec, s[82:83]
	s_cbranch_vccz .LBB40_180
; %bb.169:                              ;   in Loop: Header=BB40_7 Depth=1
	v_readlane_b32 s33, v47, 16
	s_add_i32 s33, s93, s33
	s_abs_i32 s73, s33
	s_mul_hi_u32 s74, s73, s46
	s_mul_i32 s74, s74, s34
	s_sub_i32 s73, s73, s74
	s_ashr_i32 s72, s33, 31
	s_sub_i32 s74, s73, s34
	s_cmp_ge_u32 s73, s34
	s_cselect_b32 s73, s74, s73
	s_sub_i32 s74, s73, s34
	s_cmp_ge_u32 s73, s34
	s_cselect_b32 s73, s74, s73
	s_xor_b32 s73, s73, s72
	s_sub_i32 s72, s72, s73
	s_add_i32 s33, s33, s72
	v_cmp_gt_i32_e32 vcc, s33, v0
                                        ; implicit-def: $vgpr5_vgpr6
	s_and_saveexec_b64 s[72:73], vcc
	s_cbranch_execz .LBB40_179
; %bb.170:                              ;   in Loop: Header=BB40_7 Depth=1
	s_mov_b64 s[74:75], 0
	v_mov_b32_e32 v7, v28
	v_mov_b32_e32 v8, v0
                                        ; implicit-def: $sgpr82_sgpr83
	s_branch .LBB40_174
.LBB40_171:                             ;   in Loop: Header=BB40_174 Depth=2
	s_or_b64 exec, exec, s[84:85]
	s_waitcnt lgkmcnt(0)
	s_barrier
	ds_read_b128 v[3:6], v13 offset:3072
	s_waitcnt lgkmcnt(0)
	s_barrier
	v_cmp_eq_f64_e32 vcc, 0, v[3:4]
	s_cbranch_vccz .LBB40_177
; %bb.172:                              ;   in Loop: Header=BB40_174 Depth=2
	v_add_u32_e32 v8, s34, v8
	v_cmp_le_i32_e32 vcc, s33, v8
	v_add_u32_e32 v7, s16, v7
	s_mov_b64 s[84:85], 0
	s_orn2_b64 s[86:87], vcc, exec
.LBB40_173:                             ;   in Loop: Header=BB40_174 Depth=2
	s_and_b64 s[86:87], exec, s[86:87]
	s_or_b64 s[74:75], s[86:87], s[74:75]
	s_andn2_b64 s[82:83], s[82:83], exec
	s_and_b64 s[84:85], s[84:85], exec
	s_or_b64 s[82:83], s[82:83], s[84:85]
	s_andn2_b64 exec, exec, s[74:75]
	s_cbranch_execz .LBB40_178
.LBB40_174:                             ;   Parent Loop BB40_7 Depth=1
                                        ; =>  This Inner Loop Header: Depth=2
	v_cmp_gt_i32_e32 vcc, s93, v8
	s_and_saveexec_b64 s[84:85], vcc
	s_cbranch_execz .LBB40_171
; %bb.175:                              ;   in Loop: Header=BB40_174 Depth=2
	ds_read_b64 v[3:4], v7
	s_waitcnt lgkmcnt(0)
	v_cmp_o_f64_e32 vcc, v[3:4], v[3:4]
	v_ashrrev_i32_e32 v1, 31, v4
	v_or_b32_e32 v5, 0x80000000, v1
	v_xor_b32_e32 v5, v5, v4
	v_xor_b32_e32 v1, v1, v3
	v_cndmask_b32_e32 v5, -1, v5, vcc
	v_cndmask_b32_e32 v1, -1, v1, vcc
	v_and_b32_e32 v6, v5, v21
	v_and_b32_e32 v5, v1, v20
	v_cmp_eq_u64_e32 vcc, v[5:6], v[18:19]
	s_and_b64 exec, exec, vcc
	s_cbranch_execz .LBB40_171
; %bb.176:                              ;   in Loop: Header=BB40_174 Depth=2
	v_mov_b32_e32 v1, v13
	ds_write_b128 v13, v[1:4] offset:3072
	s_branch .LBB40_171
.LBB40_177:                             ;   in Loop: Header=BB40_174 Depth=2
	s_mov_b64 s[86:87], -1
                                        ; implicit-def: $vgpr8
                                        ; implicit-def: $vgpr7
	s_mov_b64 s[84:85], -1
	s_branch .LBB40_173
.LBB40_178:                             ;   in Loop: Header=BB40_7 Depth=1
	s_or_b64 exec, exec, s[74:75]
	s_andn2_b64 s[74:75], s[80:81], exec
	s_and_b64 s[80:81], s[82:83], exec
	s_or_b64 s[80:81], s[74:75], s[80:81]
.LBB40_179:                             ;   in Loop: Header=BB40_7 Depth=1
	s_or_b64 exec, exec, s[72:73]
	s_mov_b64 s[72:73], 0
	s_mov_b64 s[74:75], -1
.LBB40_180:                             ;   in Loop: Header=BB40_7 Depth=1
	s_orn2_b64 s[80:81], s[80:81], exec
	v_readlane_b32 s90, v47, 16
.LBB40_181:                             ;   in Loop: Header=BB40_7 Depth=1
	s_or_b64 exec, exec, s[76:77]
	s_mov_b64 s[82:83], 0
	s_and_saveexec_b64 s[76:77], s[80:81]
	s_cbranch_execz .LBB40_233
; %bb.182:                              ;   in Loop: Header=BB40_7 Depth=1
	s_xor_b64 s[80:81], s[78:79], -1
	s_mov_b64 s[84:85], 0
	v_mov_b32_e32 v10, 1
	v_mov_b32_e32 v9, 1
	s_and_saveexec_b64 s[78:79], s[80:81]
	s_cbranch_execz .LBB40_191
; %bb.183:                              ;   in Loop: Header=BB40_7 Depth=1
	v_cmp_ge_i32_e32 vcc, s92, v22
	s_and_saveexec_b64 s[80:81], vcc
	s_xor_b64 s[80:81], exec, s[80:81]
	s_cbranch_execz .LBB40_188
; %bb.184:                              ;   in Loop: Header=BB40_7 Depth=1
	s_lshl_b64 s[82:83], 2, s17
	v_and_b32_e32 v1, s67, v19
	v_or_b32_e32 v19, s83, v1
	ds_read_b32 v1, v13 offset:4096
	v_and_b32_e32 v3, s66, v18
	v_or_b32_e32 v18, s82, v3
	v_or_b32_e32 v21, s7, v21
	;; [unrolled: 1-line block ×3, first 2 shown]
	s_waitcnt lgkmcnt(0)
	v_cmp_ne_u32_e32 vcc, 0, v1
	s_cbranch_vccnz .LBB40_188
; %bb.185:                              ;   in Loop: Header=BB40_7 Depth=1
	s_and_saveexec_b64 s[66:67], s[0:1]
; %bb.186:                              ;   in Loop: Header=BB40_7 Depth=1
	v_mov_b32_e32 v1, s92
	ds_write_b32 v13, v1 offset:4100
; %bb.187:                              ;   in Loop: Header=BB40_7 Depth=1
	s_or_b64 exec, exec, s[66:67]
	s_waitcnt lgkmcnt(0)
	s_barrier
.LBB40_188:                             ;   in Loop: Header=BB40_7 Depth=1
	s_or_saveexec_b64 s[66:67], s[80:81]
	s_mov_b64 s[80:81], 0
	v_mov_b32_e32 v9, 8
	s_xor_b64 exec, exec, s[66:67]
; %bb.189:                              ;   in Loop: Header=BB40_7 Depth=1
	s_mov_b64 s[80:81], exec
	v_subrev_u32_e32 v22, s92, v22
	v_mov_b32_e32 v9, 0
; %bb.190:                              ;   in Loop: Header=BB40_7 Depth=1
	s_or_b64 exec, exec, s[66:67]
	s_and_b64 s[84:85], s[80:81], exec
	v_mov_b32_e32 v10, v22
.LBB40_191:                             ;   in Loop: Header=BB40_7 Depth=1
	s_or_b64 exec, exec, s[78:79]
	s_mov_b64 s[80:81], -1
                                        ; implicit-def: $sgpr82_sgpr83
                                        ; implicit-def: $sgpr78_sgpr79
	s_and_saveexec_b64 s[66:67], s[84:85]
	s_cbranch_execz .LBB40_232
; %bb.192:                              ;   in Loop: Header=BB40_7 Depth=1
	s_cmp_eq_u32 s29, 1
	s_cselect_b64 s[78:79], -1, 0
	v_cmp_eq_u32_e32 vcc, 1, v10
	s_and_b64 s[80:81], s[78:79], vcc
	s_mov_b64 s[86:87], -1
                                        ; implicit-def: $sgpr82_sgpr83
                                        ; implicit-def: $sgpr78_sgpr79
	s_and_saveexec_b64 s[84:85], s[80:81]
	s_cbranch_execz .LBB40_220
; %bb.193:                              ;   in Loop: Header=BB40_7 Depth=1
	ds_read_b32 v1, v13 offset:4096
	s_waitcnt lgkmcnt(0)
	s_barrier
	v_readfirstlane_b32 s33, v1
	s_and_saveexec_b64 s[78:79], s[4:5]
; %bb.194:                              ;   in Loop: Header=BB40_7 Depth=1
	v_mov_b32_e32 v12, v13
	ds_write_b64 v29, v[12:13]
; %bb.195:                              ;   in Loop: Header=BB40_7 Depth=1
	s_or_b64 exec, exec, s[78:79]
	v_or_b32_e32 v19, s7, v19
	v_or_b32_e32 v18, s6, v18
	;; [unrolled: 1-line block ×4, first 2 shown]
	s_mov_b64 s[78:79], -1
	s_mov_b64 s[82:83], 0
	s_cmp_gt_i32 s33, 0
	s_mov_b64 s[86:87], 0
	s_mov_b64 s[88:89], -1
	s_waitcnt lgkmcnt(0)
	s_barrier
                                        ; implicit-def: $vgpr5_vgpr6
	s_cbranch_scc1 .LBB40_207
; %bb.196:                              ;   in Loop: Header=BB40_7 Depth=1
	s_mov_b64 s[88:89], 0
                                        ; implicit-def: $vgpr5_vgpr6
	s_mov_b64 s[90:91], exec
	v_readlane_b32 s92, v47, 14
	v_readlane_b32 s93, v47, 15
	s_and_b64 s[92:93], s[90:91], s[92:93]
	s_mov_b64 exec, s[92:93]
	s_cbranch_execz .LBB40_206
; %bb.197:                              ;   in Loop: Header=BB40_7 Depth=1
	v_writelane_b32 v47, s94, 17
	v_mov_b32_e32 v7, v11
	v_mov_b32_e32 v12, v0
	v_writelane_b32 v47, s95, 18
                                        ; implicit-def: $sgpr92_sgpr93
	s_branch .LBB40_201
.LBB40_198:                             ;   in Loop: Header=BB40_201 Depth=2
	s_or_b64 exec, exec, s[94:95]
	s_waitcnt lgkmcnt(0)
	s_barrier
	ds_read_b128 v[3:6], v13 offset:3072
	s_waitcnt lgkmcnt(0)
	s_barrier
	v_cmp_neq_f64_e32 vcc, 0, v[3:4]
	s_cbranch_vccnz .LBB40_204
; %bb.199:                              ;   in Loop: Header=BB40_201 Depth=2
	v_add_u32_e32 v12, s34, v12
	v_cmp_le_i32_e32 vcc, s47, v12
	v_add_u32_e32 v7, s36, v7
	s_mov_b64 s[94:95], 0
	s_orn2_b64 vcc, vcc, exec
.LBB40_200:                             ;   in Loop: Header=BB40_201 Depth=2
	s_and_b64 vcc, exec, vcc
	s_or_b64 s[86:87], vcc, s[86:87]
	s_andn2_b64 s[92:93], s[92:93], exec
	s_and_b64 s[94:95], s[94:95], exec
	s_or_b64 s[92:93], s[92:93], s[94:95]
	s_andn2_b64 exec, exec, s[86:87]
	s_cbranch_execz .LBB40_205
.LBB40_201:                             ;   Parent Loop BB40_7 Depth=1
                                        ; =>  This Inner Loop Header: Depth=2
	v_cmp_gt_i32_e32 vcc, s28, v12
	s_and_saveexec_b64 s[94:95], vcc
	s_cbranch_execz .LBB40_198
; %bb.202:                              ;   in Loop: Header=BB40_201 Depth=2
	v_ashrrev_i32_e32 v8, 31, v7
	v_lshlrev_b64 v[3:4], 3, v[7:8]
	v_mov_b32_e32 v1, s35
	v_add_co_u32_e32 v3, vcc, s30, v3
	v_addc_co_u32_e32 v4, vcc, v1, v4, vcc
	global_load_dwordx2 v[3:4], v[3:4], off
	s_waitcnt vmcnt(0)
	v_cmp_o_f64_e32 vcc, v[3:4], v[3:4]
	v_ashrrev_i32_e32 v1, 31, v4
	v_or_b32_e32 v5, 0x80000000, v1
	v_xor_b32_e32 v5, v5, v4
	v_xor_b32_e32 v1, v1, v3
	v_cndmask_b32_e32 v5, -1, v5, vcc
	v_cndmask_b32_e32 v1, -1, v1, vcc
	v_and_b32_e32 v6, v5, v21
	v_and_b32_e32 v5, v1, v20
	v_cmp_eq_u64_e32 vcc, v[5:6], v[18:19]
	s_and_b64 exec, exec, vcc
	s_cbranch_execz .LBB40_198
; %bb.203:                              ;   in Loop: Header=BB40_201 Depth=2
	v_mov_b32_e32 v1, v13
	ds_write_b128 v13, v[1:4] offset:3072
	s_branch .LBB40_198
.LBB40_204:                             ;   in Loop: Header=BB40_201 Depth=2
	s_mov_b64 vcc, -1
                                        ; implicit-def: $vgpr12
                                        ; implicit-def: $vgpr7
	s_mov_b64 s[94:95], -1
	s_branch .LBB40_200
.LBB40_205:                             ;   in Loop: Header=BB40_7 Depth=1
	s_or_b64 exec, exec, s[86:87]
	v_readlane_b32 s94, v47, 17
	s_and_b64 s[86:87], s[92:93], exec
	v_readlane_b32 s95, v47, 18
.LBB40_206:                             ;   in Loop: Header=BB40_7 Depth=1
	s_or_b64 exec, exec, s[90:91]
	v_readlane_b32 s90, v47, 16
.LBB40_207:                             ;   in Loop: Header=BB40_7 Depth=1
	s_and_b64 vcc, exec, s[88:89]
	s_cbranch_vccz .LBB40_219
; %bb.208:                              ;   in Loop: Header=BB40_7 Depth=1
	v_writelane_b32 v47, s94, 17
	v_writelane_b32 v47, s95, 18
	s_add_i32 s94, s33, s90
	s_abs_i32 s79, s94
	s_mul_hi_u32 s82, s79, s46
	s_mul_i32 s82, s82, s34
	s_sub_i32 s79, s79, s82
	s_ashr_i32 s78, s94, 31
	s_sub_i32 s82, s79, s34
	s_cmp_ge_u32 s79, s34
	s_cselect_b32 s79, s82, s79
	s_sub_i32 s82, s79, s34
	s_cmp_ge_u32 s79, s34
	s_cselect_b32 s79, s82, s79
	s_xor_b32 s79, s79, s78
	s_sub_i32 s78, s78, s79
	s_add_i32 s94, s94, s78
	v_cmp_gt_i32_e32 vcc, s94, v0
                                        ; implicit-def: $vgpr5_vgpr6
	s_and_saveexec_b64 s[78:79], vcc
	s_cbranch_execz .LBB40_218
; %bb.209:                              ;   in Loop: Header=BB40_7 Depth=1
	s_mov_b64 s[82:83], 0
	v_mov_b32_e32 v7, v28
	v_mov_b32_e32 v8, v0
                                        ; implicit-def: $sgpr88_sgpr89
	s_branch .LBB40_213
.LBB40_210:                             ;   in Loop: Header=BB40_213 Depth=2
	s_or_b64 exec, exec, s[90:91]
	s_waitcnt lgkmcnt(0)
	s_barrier
	ds_read_b128 v[3:6], v13 offset:3072
	s_waitcnt lgkmcnt(0)
	s_barrier
	v_cmp_eq_f64_e32 vcc, 0, v[3:4]
	s_cbranch_vccz .LBB40_216
; %bb.211:                              ;   in Loop: Header=BB40_213 Depth=2
	v_add_u32_e32 v8, s34, v8
	v_cmp_le_i32_e32 vcc, s94, v8
	v_add_u32_e32 v7, s16, v7
	s_mov_b64 s[90:91], 0
	s_orn2_b64 s[92:93], vcc, exec
.LBB40_212:                             ;   in Loop: Header=BB40_213 Depth=2
	s_and_b64 s[92:93], exec, s[92:93]
	s_or_b64 s[82:83], s[92:93], s[82:83]
	s_andn2_b64 s[88:89], s[88:89], exec
	s_and_b64 s[90:91], s[90:91], exec
	s_or_b64 s[88:89], s[88:89], s[90:91]
	s_andn2_b64 exec, exec, s[82:83]
	s_cbranch_execz .LBB40_217
.LBB40_213:                             ;   Parent Loop BB40_7 Depth=1
                                        ; =>  This Inner Loop Header: Depth=2
	v_cmp_gt_i32_e32 vcc, s33, v8
	s_and_saveexec_b64 s[90:91], vcc
	s_cbranch_execz .LBB40_210
; %bb.214:                              ;   in Loop: Header=BB40_213 Depth=2
	ds_read_b64 v[3:4], v7
	s_waitcnt lgkmcnt(0)
	v_cmp_o_f64_e32 vcc, v[3:4], v[3:4]
	v_ashrrev_i32_e32 v1, 31, v4
	v_or_b32_e32 v5, 0x80000000, v1
	v_xor_b32_e32 v5, v5, v4
	v_xor_b32_e32 v1, v1, v3
	v_cndmask_b32_e32 v5, -1, v5, vcc
	v_cndmask_b32_e32 v1, -1, v1, vcc
	v_and_b32_e32 v6, v5, v21
	v_and_b32_e32 v5, v1, v20
	v_cmp_eq_u64_e32 vcc, v[5:6], v[18:19]
	s_and_b64 exec, exec, vcc
	s_cbranch_execz .LBB40_210
; %bb.215:                              ;   in Loop: Header=BB40_213 Depth=2
	v_mov_b32_e32 v1, v13
	ds_write_b128 v13, v[1:4] offset:3072
	s_branch .LBB40_210
.LBB40_216:                             ;   in Loop: Header=BB40_213 Depth=2
	s_mov_b64 s[92:93], -1
                                        ; implicit-def: $vgpr8
                                        ; implicit-def: $vgpr7
	s_mov_b64 s[90:91], -1
	s_branch .LBB40_212
.LBB40_217:                             ;   in Loop: Header=BB40_7 Depth=1
	s_or_b64 exec, exec, s[82:83]
	s_andn2_b64 s[82:83], s[86:87], exec
	s_and_b64 s[86:87], s[88:89], exec
	s_or_b64 s[86:87], s[82:83], s[86:87]
	v_readlane_b32 s90, v47, 16
.LBB40_218:                             ;   in Loop: Header=BB40_7 Depth=1
	s_or_b64 exec, exec, s[78:79]
	v_readlane_b32 s94, v47, 17
	s_mov_b64 s[78:79], 0
	s_mov_b64 s[82:83], -1
	v_readlane_b32 s95, v47, 18
.LBB40_219:                             ;   in Loop: Header=BB40_7 Depth=1
	s_orn2_b64 s[86:87], s[86:87], exec
.LBB40_220:                             ;   in Loop: Header=BB40_7 Depth=1
	s_or_b64 exec, exec, s[84:85]
	s_mov_b64 s[88:89], 0
	s_and_saveexec_b64 s[84:85], s[86:87]
	s_cbranch_execz .LBB40_231
; %bb.221:                              ;   in Loop: Header=BB40_7 Depth=1
	s_xor_b64 s[86:87], s[80:81], -1
	v_mov_b32_e32 v9, 1
	v_mov_b32_e32 v1, 1
	s_and_saveexec_b64 s[80:81], s[86:87]
	s_cbranch_execz .LBB40_230
; %bb.222:                              ;   in Loop: Header=BB40_7 Depth=1
	v_cmp_ge_i32_e32 vcc, s29, v10
	s_and_saveexec_b64 s[86:87], vcc
	s_xor_b64 s[86:87], exec, s[86:87]
	s_cbranch_execz .LBB40_227
; %bb.223:                              ;   in Loop: Header=BB40_7 Depth=1
	ds_read_b32 v1, v13 offset:4096
	v_or_b32_e32 v19, s7, v19
	v_or_b32_e32 v18, s6, v18
	;; [unrolled: 1-line block ×4, first 2 shown]
	s_waitcnt lgkmcnt(0)
	v_cmp_ne_u32_e32 vcc, 0, v1
	s_cbranch_vccnz .LBB40_227
; %bb.224:                              ;   in Loop: Header=BB40_7 Depth=1
	s_and_saveexec_b64 s[6:7], s[0:1]
; %bb.225:                              ;   in Loop: Header=BB40_7 Depth=1
	v_mov_b32_e32 v1, s29
	ds_write_b32 v13, v1 offset:4100
; %bb.226:                              ;   in Loop: Header=BB40_7 Depth=1
	s_or_b64 exec, exec, s[6:7]
	s_waitcnt lgkmcnt(0)
	s_barrier
.LBB40_227:                             ;   in Loop: Header=BB40_7 Depth=1
	s_andn2_saveexec_b64 s[6:7], s[86:87]
; %bb.228:                              ;   in Loop: Header=BB40_7 Depth=1
	v_subrev_u32_e32 v10, s29, v10
; %bb.229:                              ;   in Loop: Header=BB40_7 Depth=1
	s_or_b64 exec, exec, s[6:7]
	v_mov_b32_e32 v9, 8
	v_mov_b32_e32 v1, v10
.LBB40_230:                             ;   in Loop: Header=BB40_7 Depth=1
	s_or_b64 exec, exec, s[80:81]
	s_mov_b64 s[88:89], exec
	v_mov_b32_e32 v10, v1
.LBB40_231:                             ;   in Loop: Header=BB40_7 Depth=1
	s_or_b64 exec, exec, s[84:85]
	s_orn2_b64 s[80:81], s[88:89], exec
.LBB40_232:                             ;   in Loop: Header=BB40_7 Depth=1
	s_or_b64 exec, exec, s[66:67]
	s_andn2_b64 s[6:7], s[74:75], exec
	s_and_b64 s[66:67], s[82:83], exec
	s_or_b64 s[74:75], s[6:7], s[66:67]
	s_andn2_b64 s[6:7], s[72:73], exec
	s_and_b64 s[66:67], s[78:79], exec
	s_or_b64 s[72:73], s[6:7], s[66:67]
	s_and_b64 s[82:83], s[80:81], exec
	v_mov_b32_e32 v22, v10
.LBB40_233:                             ;   in Loop: Header=BB40_7 Depth=1
	s_or_b64 exec, exec, s[76:77]
	s_orn2_b64 s[76:77], s[82:83], exec
.LBB40_234:                             ;   in Loop: Header=BB40_7 Depth=1
	s_or_b64 exec, exec, s[70:71]
	s_andn2_b64 s[6:7], s[64:65], exec
	s_and_b64 s[64:65], s[74:75], exec
	s_or_b64 s[64:65], s[6:7], s[64:65]
	s_andn2_b64 s[6:7], s[26:27], exec
	s_and_b64 s[26:27], s[72:73], exec
	s_or_b64 s[26:27], s[6:7], s[26:27]
	s_and_b64 s[74:75], s[76:77], exec
	v_mov_b32_e32 v10, v22
.LBB40_235:                             ;   in Loop: Header=BB40_7 Depth=1
	s_or_b64 exec, exec, s[68:69]
	s_orn2_b64 s[68:69], s[74:75], exec
.LBB40_236:                             ;   in Loop: Header=BB40_7 Depth=1
	s_or_b64 exec, exec, s[22:23]
	s_mov_b64 s[22:23], 0
                                        ; implicit-def: $sgpr33
                                        ; implicit-def: $sgpr70
	s_and_saveexec_b64 s[6:7], s[68:69]
	s_xor_b64 s[6:7], exec, s[6:7]
	s_cbranch_execz .LBB40_5
; %bb.237:                              ;   in Loop: Header=BB40_7 Depth=1
	v_and_b32_e32 v1, 7, v9
	v_cmp_eq_u32_e32 vcc, 0, v1
	s_mov_b64 s[20:21], -1
	s_mov_b64 s[22:23], -1
                                        ; implicit-def: $sgpr33
                                        ; implicit-def: $sgpr70
	s_and_saveexec_b64 s[66:67], vcc
	s_cbranch_execz .LBB40_4
; %bb.238:                              ;   in Loop: Header=BB40_7 Depth=1
	s_xor_b32 s70, s44, 1
	s_add_i32 s33, s17, -2
	s_cmp_eq_u32 s17, 0
	s_cselect_b64 s[20:21], -1, 0
	s_xor_b64 s[22:23], exec, -1
	s_orn2_b64 s[20:21], s[20:21], exec
	s_branch .LBB40_4
.LBB40_239:
	s_or_b64 exec, exec, s[50:51]
	s_xor_b64 s[6:7], s[56:57], -1
	s_xor_b64 s[4:5], s[52:53], -1
	;; [unrolled: 1-line block ×3, first 2 shown]
	s_mov_b64 s[2:3], 0
	s_and_saveexec_b64 s[10:11], s[4:5]
	s_xor_b64 s[4:5], exec, s[10:11]
	s_cbranch_execnz .LBB40_244
; %bb.240:
	s_andn2_saveexec_b64 s[0:1], s[4:5]
	s_cbranch_execnz .LBB40_264
.LBB40_241:
	s_or_b64 exec, exec, s[0:1]
	s_and_saveexec_b64 s[0:1], s[2:3]
.LBB40_242:
	; divergent unreachable
.LBB40_243:
	s_endpgm
.LBB40_244:
	s_and_saveexec_b64 s[2:3], s[6:7]
	s_xor_b64 s[6:7], exec, s[2:3]
	s_cbranch_execz .LBB40_262
; %bb.245:
	s_and_saveexec_b64 s[2:3], s[8:9]
	s_xor_b64 s[2:3], exec, s[2:3]
; %bb.246:
	v_lshrrev_b32_e32 v1, 31, v19
	v_add_co_u32_e32 v1, vcc, -1, v1
	v_addc_co_u32_e64 v2, s[8:9], 0, -1, vcc
	v_or_b32_e32 v2, 0x80000000, v2
	v_xor_b32_e32 v6, v2, v19
	v_xor_b32_e32 v5, v1, v18
; %bb.247:
	s_or_b64 exec, exec, s[2:3]
	s_and_saveexec_b64 s[2:3], s[0:1]
	v_readlane_b32 s22, v47, 4
; %bb.248:
	v_mov_b32_e32 v1, 0
	v_mov_b32_e32 v2, s28
	ds_write_b32 v1, v2 offset:4108
; %bb.249:
	s_or_b64 exec, exec, s[2:3]
	v_mov_b32_e32 v1, 0
	s_waitcnt lgkmcnt(0)
	s_barrier
	ds_read_b32 v1, v1 offset:4108
	s_waitcnt lgkmcnt(0)
	v_min_i32_e32 v1, s28, v1
	v_cmp_lt_i32_e32 vcc, v0, v1
	s_and_saveexec_b64 s[8:9], vcc
	s_cbranch_execz .LBB40_259
; %bb.250:
	v_cmp_u_f64_e32 vcc, v[5:6], v[5:6]
	s_mov_b64 s[10:11], 0
	v_mov_b32_e32 v3, s35
                                        ; implicit-def: $sgpr12_sgpr13
                                        ; implicit-def: $sgpr18_sgpr19
                                        ; implicit-def: $sgpr16_sgpr17
	s_xor_b64 s[14:15], vcc, -1
	s_branch .LBB40_252
.LBB40_251:                             ;   in Loop: Header=BB40_252 Depth=1
	s_or_b64 exec, exec, s[2:3]
	s_and_b64 s[2:3], exec, s[18:19]
	s_or_b64 s[10:11], s[2:3], s[10:11]
	s_andn2_b64 s[2:3], s[12:13], exec
	s_and_b64 s[12:13], s[16:17], exec
	s_or_b64 s[12:13], s[2:3], s[12:13]
	s_andn2_b64 exec, exec, s[10:11]
	s_cbranch_execz .LBB40_254
.LBB40_252:                             ; =>This Inner Loop Header: Depth=1
	v_ashrrev_i32_e32 v12, 31, v11
	v_lshlrev_b64 v[7:8], 3, v[11:12]
	v_mov_b32_e32 v2, v0
	v_add_co_u32_e32 v7, vcc, s30, v7
	v_addc_co_u32_e32 v8, vcc, v3, v8, vcc
	global_load_dwordx2 v[7:8], v[7:8], off
	s_or_b64 s[16:17], s[16:17], exec
	s_or_b64 s[18:19], s[18:19], exec
                                        ; implicit-def: $vgpr0
	s_waitcnt vmcnt(0)
	v_cmp_o_f64_e32 vcc, v[7:8], v[7:8]
	v_cmp_neq_f64_e64 s[2:3], v[7:8], v[5:6]
	s_or_b64 s[20:21], vcc, s[14:15]
	s_and_b64 s[20:21], s[2:3], s[20:21]
	s_and_saveexec_b64 s[2:3], s[20:21]
	s_cbranch_execz .LBB40_251
; %bb.253:                              ;   in Loop: Header=BB40_252 Depth=1
	v_add_u32_e32 v0, s34, v2
	v_cmp_ge_i32_e32 vcc, v0, v1
	s_andn2_b64 s[18:19], s[18:19], exec
	s_and_b64 s[20:21], vcc, exec
	v_add_u32_e32 v11, s36, v11
	s_andn2_b64 s[16:17], s[16:17], exec
	s_or_b64 s[18:19], s[18:19], s[20:21]
	s_branch .LBB40_251
.LBB40_254:
	s_or_b64 exec, exec, s[10:11]
	s_and_saveexec_b64 s[2:3], s[12:13]
	s_xor_b64 s[2:3], exec, s[2:3]
	s_cbranch_execz .LBB40_259
; %bb.255:
	s_mov_b64 s[2:3], exec
	s_brev_b32 s10, -2
.LBB40_256:                             ; =>This Inner Loop Header: Depth=1
	s_ff1_i32_b64 s11, s[2:3]
	v_readlane_b32 s14, v2, s11
	s_lshl_b64 s[12:13], 1, s11
	s_min_i32 s10, s10, s14
	s_andn2_b64 s[2:3], s[2:3], s[12:13]
	s_cmp_lg_u64 s[2:3], 0
	s_cbranch_scc1 .LBB40_256
; %bb.257:
	v_mbcnt_lo_u32_b32 v0, exec_lo, 0
	v_mbcnt_hi_u32_b32 v0, exec_hi, v0
	v_cmp_eq_u32_e32 vcc, 0, v0
	s_and_saveexec_b64 s[2:3], vcc
	s_xor_b64 s[2:3], exec, s[2:3]
; %bb.258:
	v_mov_b32_e32 v0, 0
	v_mov_b32_e32 v1, s10
	ds_min_i32 v0, v1 offset:4108
.LBB40_259:
	s_or_b64 exec, exec, s[8:9]
	s_waitcnt lgkmcnt(0)
	s_barrier
	s_and_saveexec_b64 s[2:3], s[0:1]
	s_cbranch_execz .LBB40_261
; %bb.260:
	v_readlane_b32 s0, v47, 3
	s_mul_i32 s0, s0, s22
	v_readlane_b32 s1, v47, 2
	s_mul_i32 s8, s1, s22
	s_ashr_i32 s1, s0, 31
	v_mov_b32_e32 v2, 0
	s_lshl_b64 s[0:1], s[0:1], 3
	v_readlane_b32 s10, v47, 0
	ds_read_b32 v0, v2 offset:4108
	v_readlane_b32 s11, v47, 1
	s_add_u32 s0, s10, s0
	s_addc_u32 s1, s11, s1
	s_ashr_i32 s9, s8, 31
	s_lshl_b64 s[8:9], s[8:9], 3
	s_add_u32 s8, s94, s8
	s_addc_u32 s9, s95, s9
	s_waitcnt lgkmcnt(0)
	v_ashrrev_i32_e32 v1, 31, v0
	global_store_dwordx2 v2, v[0:1], s[8:9]
	global_store_dwordx2 v2, v[5:6], s[0:1]
.LBB40_261:
	s_or_b64 exec, exec, s[2:3]
.LBB40_262:
	s_or_saveexec_b64 s[0:1], s[6:7]
	s_mov_b64 s[2:3], 0
	s_xor_b64 exec, exec, s[0:1]
	s_cbranch_execnz .LBB40_265
.LBB40_263:
	s_or_b64 exec, exec, s[0:1]
	s_and_b64 s[2:3], s[2:3], exec
	s_andn2_saveexec_b64 s[0:1], s[4:5]
	s_cbranch_execz .LBB40_241
.LBB40_264:
	s_or_b64 s[2:3], s[2:3], exec
	s_trap 2
	s_or_b64 exec, exec, s[0:1]
	s_and_saveexec_b64 s[0:1], s[2:3]
	s_cbranch_execnz .LBB40_242
	s_branch .LBB40_243
.LBB40_265:
	s_mov_b64 s[2:3], exec
	s_trap 2
	s_branch .LBB40_263
	.section	.rodata,"a",@progbits
	.p2align	6, 0x0
	.amdhsa_kernel _ZN2at6native12_GLOBAL__N_114gatherKthValueIdiLi1EEEvNS_4cuda6detail10TensorInfoIKT_T0_EES8_S8_S8_S8_NS5_IS6_S8_EENS5_IlS8_EE
		.amdhsa_group_segment_fixed_size 4112
		.amdhsa_private_segment_fixed_size 0
		.amdhsa_kernarg_size 920
		.amdhsa_user_sgpr_count 6
		.amdhsa_user_sgpr_private_segment_buffer 1
		.amdhsa_user_sgpr_dispatch_ptr 0
		.amdhsa_user_sgpr_queue_ptr 0
		.amdhsa_user_sgpr_kernarg_segment_ptr 1
		.amdhsa_user_sgpr_dispatch_id 0
		.amdhsa_user_sgpr_flat_scratch_init 0
		.amdhsa_user_sgpr_private_segment_size 0
		.amdhsa_uses_dynamic_stack 0
		.amdhsa_system_sgpr_private_segment_wavefront_offset 0
		.amdhsa_system_sgpr_workgroup_id_x 1
		.amdhsa_system_sgpr_workgroup_id_y 1
		.amdhsa_system_sgpr_workgroup_id_z 1
		.amdhsa_system_sgpr_workgroup_info 0
		.amdhsa_system_vgpr_workitem_id 0
		.amdhsa_next_free_vgpr 48
		.amdhsa_next_free_sgpr 96
		.amdhsa_reserve_vcc 1
		.amdhsa_reserve_flat_scratch 0
		.amdhsa_float_round_mode_32 0
		.amdhsa_float_round_mode_16_64 0
		.amdhsa_float_denorm_mode_32 3
		.amdhsa_float_denorm_mode_16_64 3
		.amdhsa_dx10_clamp 1
		.amdhsa_ieee_mode 1
		.amdhsa_fp16_overflow 0
		.amdhsa_exception_fp_ieee_invalid_op 0
		.amdhsa_exception_fp_denorm_src 0
		.amdhsa_exception_fp_ieee_div_zero 0
		.amdhsa_exception_fp_ieee_overflow 0
		.amdhsa_exception_fp_ieee_underflow 0
		.amdhsa_exception_fp_ieee_inexact 0
		.amdhsa_exception_int_div_zero 0
	.end_amdhsa_kernel
	.section	.text._ZN2at6native12_GLOBAL__N_114gatherKthValueIdiLi1EEEvNS_4cuda6detail10TensorInfoIKT_T0_EES8_S8_S8_S8_NS5_IS6_S8_EENS5_IlS8_EE,"axG",@progbits,_ZN2at6native12_GLOBAL__N_114gatherKthValueIdiLi1EEEvNS_4cuda6detail10TensorInfoIKT_T0_EES8_S8_S8_S8_NS5_IS6_S8_EENS5_IlS8_EE,comdat
.Lfunc_end40:
	.size	_ZN2at6native12_GLOBAL__N_114gatherKthValueIdiLi1EEEvNS_4cuda6detail10TensorInfoIKT_T0_EES8_S8_S8_S8_NS5_IS6_S8_EENS5_IlS8_EE, .Lfunc_end40-_ZN2at6native12_GLOBAL__N_114gatherKthValueIdiLi1EEEvNS_4cuda6detail10TensorInfoIKT_T0_EES8_S8_S8_S8_NS5_IS6_S8_EENS5_IlS8_EE
                                        ; -- End function
	.set _ZN2at6native12_GLOBAL__N_114gatherKthValueIdiLi1EEEvNS_4cuda6detail10TensorInfoIKT_T0_EES8_S8_S8_S8_NS5_IS6_S8_EENS5_IlS8_EE.num_vgpr, 48
	.set _ZN2at6native12_GLOBAL__N_114gatherKthValueIdiLi1EEEvNS_4cuda6detail10TensorInfoIKT_T0_EES8_S8_S8_S8_NS5_IS6_S8_EENS5_IlS8_EE.num_agpr, 0
	.set _ZN2at6native12_GLOBAL__N_114gatherKthValueIdiLi1EEEvNS_4cuda6detail10TensorInfoIKT_T0_EES8_S8_S8_S8_NS5_IS6_S8_EENS5_IlS8_EE.numbered_sgpr, 96
	.set _ZN2at6native12_GLOBAL__N_114gatherKthValueIdiLi1EEEvNS_4cuda6detail10TensorInfoIKT_T0_EES8_S8_S8_S8_NS5_IS6_S8_EENS5_IlS8_EE.num_named_barrier, 0
	.set _ZN2at6native12_GLOBAL__N_114gatherKthValueIdiLi1EEEvNS_4cuda6detail10TensorInfoIKT_T0_EES8_S8_S8_S8_NS5_IS6_S8_EENS5_IlS8_EE.private_seg_size, 0
	.set _ZN2at6native12_GLOBAL__N_114gatherKthValueIdiLi1EEEvNS_4cuda6detail10TensorInfoIKT_T0_EES8_S8_S8_S8_NS5_IS6_S8_EENS5_IlS8_EE.uses_vcc, 1
	.set _ZN2at6native12_GLOBAL__N_114gatherKthValueIdiLi1EEEvNS_4cuda6detail10TensorInfoIKT_T0_EES8_S8_S8_S8_NS5_IS6_S8_EENS5_IlS8_EE.uses_flat_scratch, 0
	.set _ZN2at6native12_GLOBAL__N_114gatherKthValueIdiLi1EEEvNS_4cuda6detail10TensorInfoIKT_T0_EES8_S8_S8_S8_NS5_IS6_S8_EENS5_IlS8_EE.has_dyn_sized_stack, 0
	.set _ZN2at6native12_GLOBAL__N_114gatherKthValueIdiLi1EEEvNS_4cuda6detail10TensorInfoIKT_T0_EES8_S8_S8_S8_NS5_IS6_S8_EENS5_IlS8_EE.has_recursion, 0
	.set _ZN2at6native12_GLOBAL__N_114gatherKthValueIdiLi1EEEvNS_4cuda6detail10TensorInfoIKT_T0_EES8_S8_S8_S8_NS5_IS6_S8_EENS5_IlS8_EE.has_indirect_call, 0
	.section	.AMDGPU.csdata,"",@progbits
; Kernel info:
; codeLenInByte = 9484
; TotalNumSgprs: 100
; NumVgprs: 48
; ScratchSize: 0
; MemoryBound: 0
; FloatMode: 240
; IeeeMode: 1
; LDSByteSize: 4112 bytes/workgroup (compile time only)
; SGPRBlocks: 12
; VGPRBlocks: 11
; NumSGPRsForWavesPerEU: 100
; NumVGPRsForWavesPerEU: 48
; Occupancy: 5
; WaveLimiterHint : 1
; COMPUTE_PGM_RSRC2:SCRATCH_EN: 0
; COMPUTE_PGM_RSRC2:USER_SGPR: 6
; COMPUTE_PGM_RSRC2:TRAP_HANDLER: 0
; COMPUTE_PGM_RSRC2:TGID_X_EN: 1
; COMPUTE_PGM_RSRC2:TGID_Y_EN: 1
; COMPUTE_PGM_RSRC2:TGID_Z_EN: 1
; COMPUTE_PGM_RSRC2:TIDIG_COMP_CNT: 0
	.section	.text._ZN2at6native12_GLOBAL__N_114gatherKthValueIdiLi2EEEvNS_4cuda6detail10TensorInfoIKT_T0_EES8_S8_S8_S8_NS5_IS6_S8_EENS5_IlS8_EE,"axG",@progbits,_ZN2at6native12_GLOBAL__N_114gatherKthValueIdiLi2EEEvNS_4cuda6detail10TensorInfoIKT_T0_EES8_S8_S8_S8_NS5_IS6_S8_EENS5_IlS8_EE,comdat
	.globl	_ZN2at6native12_GLOBAL__N_114gatherKthValueIdiLi2EEEvNS_4cuda6detail10TensorInfoIKT_T0_EES8_S8_S8_S8_NS5_IS6_S8_EENS5_IlS8_EE ; -- Begin function _ZN2at6native12_GLOBAL__N_114gatherKthValueIdiLi2EEEvNS_4cuda6detail10TensorInfoIKT_T0_EES8_S8_S8_S8_NS5_IS6_S8_EENS5_IlS8_EE
	.p2align	8
	.type	_ZN2at6native12_GLOBAL__N_114gatherKthValueIdiLi2EEEvNS_4cuda6detail10TensorInfoIKT_T0_EES8_S8_S8_S8_NS5_IS6_S8_EENS5_IlS8_EE,@function
_ZN2at6native12_GLOBAL__N_114gatherKthValueIdiLi2EEEvNS_4cuda6detail10TensorInfoIKT_T0_EES8_S8_S8_S8_NS5_IS6_S8_EENS5_IlS8_EE: ; @_ZN2at6native12_GLOBAL__N_114gatherKthValueIdiLi2EEEvNS_4cuda6detail10TensorInfoIKT_T0_EES8_S8_S8_S8_NS5_IS6_S8_EENS5_IlS8_EE
; %bb.0:
	s_load_dwordx2 s[12:13], s[4:5], 0x298
	s_load_dwordx4 s[28:31], s[4:5], 0xd8
	s_add_u32 s10, s4, 0x298
	s_addc_u32 s11, s5, 0
	s_waitcnt lgkmcnt(0)
	s_mul_i32 s0, s13, s8
	s_add_i32 s0, s0, s7
	s_mul_i32 s0, s0, s12
	s_add_i32 s18, s0, s6
	s_cmp_ge_i32 s18, s30
	s_cbranch_scc1 .LBB41_243
; %bb.1:
	s_load_dword s7, s[4:5], 0xc
	s_load_dwordx2 s[0:1], s[4:5], 0xe8
                                        ; implicit-def: $vgpr47 : SGPR spill to VGPR lane
                                        ; kill: killed $sgpr4 killed $sgpr5
	s_abs_i32 s21, s18
	s_ashr_i32 s20, s18, 31
	s_mov_b32 s33, 0
	s_waitcnt lgkmcnt(0)
	s_abs_i32 s13, s7
	v_writelane_b32 v47, s0, 0
	v_writelane_b32 v47, s1, 1
	s_load_dwordx2 s[8:9], s[4:5], 0x6c
	s_load_dwordx2 s[2:3], s[4:5], 0x0
	;; [unrolled: 1-line block ×3, first 2 shown]
	v_cvt_f32_u32_e32 v1, s13
	s_ashr_i32 s14, s7, 31
	s_load_dword s22, s[4:5], 0xf4
	s_waitcnt lgkmcnt(0)
	v_writelane_b32 v47, s0, 2
	v_writelane_b32 v47, s1, 3
	s_load_dword s19, s[4:5], 0x1cc
	s_load_dwordx2 s[0:1], s[4:5], 0x1c0
	v_rcp_iflag_f32_e32 v1, v1
	s_waitcnt lgkmcnt(0)
	v_writelane_b32 v47, s0, 4
	v_writelane_b32 v47, s1, 5
	s_load_dwordx2 s[0:1], s[4:5], 0x154
	v_mul_f32_e32 v1, 0x4f7ffffe, v1
	s_abs_i32 s5, s22
	v_cvt_u32_f32_e32 v1, v1
	v_cvt_f32_u32_e32 v2, s5
	s_waitcnt lgkmcnt(0)
	v_writelane_b32 v47, s0, 6
	v_writelane_b32 v47, s1, 7
	v_readfirstlane_b32 s1, v1
	v_rcp_iflag_f32_e32 v1, v2
	s_abs_i32 s4, s19
	v_cvt_f32_u32_e32 v2, s4
	s_sub_i32 s0, 0, s13
	v_mul_f32_e32 v1, 0x4f7ffffe, v1
	v_cvt_u32_f32_e32 v1, v1
	v_rcp_iflag_f32_e32 v2, v2
	s_mul_i32 s0, s0, s1
	s_mul_hi_u32 s0, s1, s0
	s_add_i32 s1, s1, s0
	s_mul_hi_u32 s15, s21, s1
	s_sub_i32 s0, 0, s5
	v_readfirstlane_b32 s1, v1
	v_mul_f32_e32 v1, 0x4f7ffffe, v2
	s_mul_i32 s0, s0, s1
	v_cvt_u32_f32_e32 v1, v1
	s_mul_hi_u32 s0, s1, s0
	s_add_i32 s1, s1, s0
	v_writelane_b32 v47, s5, 8
	s_mul_hi_u32 s0, s21, s1
	v_writelane_b32 v47, s0, 9
	s_sub_i32 s0, 0, s4
	v_readfirstlane_b32 s1, v1
	s_mul_i32 s0, s0, s1
	s_mul_hi_u32 s0, s1, s0
	s_add_i32 s1, s1, s0
	v_writelane_b32 v47, s4, 10
	s_mul_hi_u32 s0, s21, s1
	v_writelane_b32 v47, s0, 11
	v_cmp_eq_u32_e64 s[0:1], 0, v0
	s_and_saveexec_b64 s[4:5], s[0:1]
; %bb.2:
	v_mov_b32_e32 v1, 0
	v_mov_b32_e32 v2, s28
	;; [unrolled: 1-line block ×3, first 2 shown]
	ds_write_b96 v1, v[1:3] offset:4096
; %bb.3:
	s_or_b64 exec, exec, s[4:5]
	v_writelane_b32 v47, s22, 12
	s_ashr_i32 s4, s22, 31
	v_writelane_b32 v47, s4, 13
	s_mul_i32 s5, s15, s13
	v_writelane_b32 v47, s19, 14
	s_ashr_i32 s4, s19, 31
	s_sub_i32 s5, s21, s5
	v_writelane_b32 v47, s4, 15
	s_xor_b32 s4, s20, s14
	s_add_i32 s14, s15, 1
	s_sub_i32 s16, s5, s13
	s_cmp_ge_u32 s5, s13
	s_cselect_b32 s14, s14, s15
	s_cselect_b32 s5, s16, s5
	s_add_i32 s15, s14, 1
	s_cmp_ge_u32 s5, s13
	s_cselect_b32 s5, s15, s14
	s_xor_b32 s5, s5, s4
	s_sub_i32 s4, s5, s4
	s_mul_i32 s5, s4, s7
	s_sub_i32 s5, s18, s5
	s_mul_i32 s5, s5, s9
	s_mul_i32 s4, s4, s8
	v_mul_lo_u32 v11, s31, v0
	s_add_i32 s4, s4, s5
	s_waitcnt lgkmcnt(0)
	s_barrier
	s_load_dword s7, s[10:11], 0xc
	s_ashr_i32 s5, s4, 31
	v_mov_b32_e32 v13, 0
	s_lshl_b64 s[4:5], s[4:5], 3
	v_mbcnt_lo_u32_b32 v1, -1, 0
	v_mov_b32_e32 v12, v13
	s_add_u32 s30, s2, s4
	v_mbcnt_hi_u32_b32 v27, -1, v1
	v_lshlrev_b64 v[1:2], 3, v[11:12]
	s_addc_u32 s41, s3, s5
	v_cmp_gt_u32_e32 vcc, 64, v0
	v_cmp_gt_i32_e64 s[4:5], 4, v27
	s_and_b64 s[42:43], vcc, s[4:5]
	v_mov_b32_e32 v3, s41
	v_add_co_u32_e32 v14, vcc, s30, v1
	s_waitcnt lgkmcnt(0)
	s_and_b32 s40, s7, 0xffff
	v_addc_co_u32_e32 v15, vcc, v3, v2, vcc
	v_lshlrev_b64 v[2:3], v27, -1
	s_add_i32 s8, s40, -1
	v_writelane_b32 v47, s20, 16
	s_lshl_b32 s39, s40, 2
	s_bfe_u32 s7, s7, 0xa0006
	s_add_i32 s51, s8, s28
	v_not_b32_e32 v32, v2
	v_lshrrev_b32_e32 v2, 2, v0
	v_writelane_b32 v47, s21, 17
	s_cmpk_gt_i32 s28, 0x180
	v_and_b32_e32 v2, 0xf0, v2
	v_writelane_b32 v47, s18, 18
	s_cselect_b64 s[44:45], -1, 0
	s_cmp_gt_u32 s40, 63
	v_or_b32_e32 v33, 0xc00, v2
	v_cvt_f32_u32_e32 v2, s39
	v_writelane_b32 v47, s8, 19
	v_cmp_gt_i32_e64 s[8:9], s28, v0
	s_cselect_b64 s[46:47], -1, 0
	s_cmp_lt_u32 s6, s12
	v_writelane_b32 v47, s8, 20
	s_cselect_b32 s6, 12, 18
	v_writelane_b32 v47, s9, 21
	s_add_u32 s8, s10, s6
	s_addc_u32 s9, s11, 0
	v_rcp_iflag_f32_e32 v2, v2
	v_writelane_b32 v47, s8, 22
	s_add_i32 s6, s7, -1
	v_writelane_b32 v47, s9, 23
	s_bfe_u32 s8, s40, 0x30006
	s_and_b32 s6, s6, 0xffff
	s_cmp_gt_u32 s6, 6
	s_cselect_b64 s[10:11], -1, 0
	v_mul_f32_e32 v2, 0x4f7ffffe, v2
	v_writelane_b32 v47, s10, 24
	s_and_b32 s9, s7, 0x3f8
	v_cvt_u32_f32_e32 v2, v2
	v_writelane_b32 v47, s11, 25
	s_cmp_lg_u32 s8, 0
	v_writelane_b32 v47, s8, 26
	s_cselect_b64 s[6:7], -1, 0
	v_writelane_b32 v47, s6, 27
	v_writelane_b32 v47, s7, 28
	s_sub_i32 s6, 0, s39
	v_readfirstlane_b32 s7, v2
	s_mul_i32 s6, s6, s7
	s_mul_hi_u32 s6, s7, s6
	s_add_i32 s48, s7, s6
	s_mul_hi_u32 s6, s28, s48
	s_mul_i32 s6, s6, s39
	s_sub_i32 s6, s28, s6
	s_sub_i32 s7, s6, s39
	s_cmp_ge_u32 s6, s39
	s_cselect_b32 s6, s7, s6
	s_sub_i32 s7, s6, s39
	s_cmp_ge_u32 s6, s39
	s_cselect_b32 s6, s7, s6
	s_sub_i32 s49, s28, s6
	v_add_u32_e32 v34, s49, v0
	v_cvt_f32_u32_e32 v4, s40
	v_mul_lo_u32 v2, v34, s31
	v_not_b32_e32 v31, v3
	s_sub_i32 s16, 0, s40
	v_rcp_iflag_f32_e32 v4, v4
	v_ashrrev_i32_e32 v3, 31, v2
	v_lshlrev_b64 v[2:3], 3, v[2:3]
	s_abs_i32 s8, s51
	v_add_co_u32_e32 v16, vcc, s30, v2
	v_mul_f32_e32 v2, 0x4f7ffffe, v4
	v_cvt_u32_f32_e32 v2, v2
	s_ashr_i32 s7, s51, 31
	v_lshlrev_b32_e32 v26, 2, v0
	v_mov_b32_e32 v5, s41
	v_readfirstlane_b32 s17, v2
	s_mul_i32 s16, s16, s17
	s_mul_hi_u32 s16, s17, s16
	s_add_i32 s50, s17, s16
	s_mul_hi_u32 s16, s8, s50
	s_mul_i32 s16, s16, s40
	s_sub_i32 s8, s8, s16
	s_sub_i32 s16, s8, s40
	s_cmp_ge_u32 s8, s40
	s_cselect_b32 s8, s16, s8
	s_sub_i32 s16, s8, s40
	v_mul_lo_u32 v2, s31, v26
	s_cmp_ge_u32 s8, s40
	s_cselect_b32 s8, s16, s8
	s_xor_b32 s8, s8, s7
	s_sub_i32 s7, s7, s8
	v_add_u32_e32 v35, s31, v2
	v_or_b32_e32 v2, 2, v26
	s_add_i32 s51, s51, s7
	v_mul_lo_u32 v36, s31, v2
	v_or_b32_e32 v2, 3, v26
	s_add_i32 s7, s40, s28
	v_mul_lo_u32 v37, s31, v2
	v_add_u32_e32 v2, s7, v0
	v_subrev_u32_e32 v2, s6, v2
	v_mul_lo_u32 v39, s31, v2
	v_cmp_gt_i32_e64 s[16:17], s51, v0
	v_lshlrev_b32_e32 v28, 3, v0
	v_lshlrev_b32_e32 v1, 2, v27
	v_addc_co_u32_e32 v17, vcc, v5, v3, vcc
	v_writelane_b32 v47, s16, 29
	s_mul_i32 s38, s31, s40
	v_mov_b32_e32 v18, 0
	v_mov_b32_e32 v20, 0
	;; [unrolled: 1-line block ×3, first 2 shown]
	v_cmp_eq_u32_e64 s[2:3], 0, v27
	v_cmp_gt_u32_e64 s[4:5], 2, v0
	v_add_u32_e32 v29, 0xc00, v28
	v_cmp_gt_u32_e64 s[24:25], s28, v0
	v_and_b32_e32 v30, 0x100, v1
	v_cmp_gt_i32_e64 s[10:11], s49, v26
	v_cmp_gt_u32_e64 s[12:13], s28, v34
	v_cmp_gt_i32_e64 s[14:15], s28, v34
	v_writelane_b32 v47, s17, 30
	s_lshl_b32 s52, s38, 2
	v_lshlrev_b32_e32 v38, 2, v11
	v_lshlrev_b32_e32 v40, 5, v0
	s_lshl_b32 s53, s40, 5
	s_lshl_b32 s16, s40, 3
	v_or_b32_e32 v41, 0xc00, v1
	s_mov_b32 s17, 62
	s_mov_b64 s[54:55], 0
	v_mov_b32_e32 v42, s29
	v_mov_b32_e32 v19, 0
	;; [unrolled: 1-line block ×5, first 2 shown]
                                        ; implicit-def: $sgpr56_sgpr57
                                        ; implicit-def: $sgpr60_sgpr61
                                        ; implicit-def: $sgpr58_sgpr59
                                        ; implicit-def: $sgpr64_sgpr65
                                        ; implicit-def: $sgpr66_sgpr67
                                        ; implicit-def: $sgpr62_sgpr63
	s_branch .LBB41_7
.LBB41_4:                               ;   in Loop: Header=BB41_7 Depth=1
	s_or_b64 exec, exec, s[34:35]
	s_and_b64 s[22:23], s[22:23], exec
	s_andn2_b64 s[68:69], s[68:69], exec
	s_andn2_b64 s[26:27], s[26:27], exec
	s_orn2_b64 s[20:21], s[20:21], exec
.LBB41_5:                               ;   in Loop: Header=BB41_7 Depth=1
	s_or_b64 exec, exec, s[6:7]
	s_andn2_b64 s[6:7], s[62:63], exec
	s_and_b64 s[22:23], s[22:23], exec
	s_or_b64 s[62:63], s[6:7], s[22:23]
	s_andn2_b64 s[6:7], s[66:67], exec
	s_and_b64 s[22:23], s[68:69], exec
	s_or_b64 s[66:67], s[6:7], s[22:23]
	;; [unrolled: 3-line block ×3, first 2 shown]
	s_orn2_b64 s[20:21], s[20:21], exec
.LBB41_6:                               ;   in Loop: Header=BB41_7 Depth=1
	s_or_b64 exec, exec, s[18:19]
	s_and_b64 s[6:7], exec, s[20:21]
	s_or_b64 s[54:55], s[6:7], s[54:55]
	s_andn2_b64 s[6:7], s[58:59], exec
	s_and_b64 s[18:19], s[62:63], exec
	s_or_b64 s[58:59], s[6:7], s[18:19]
	s_andn2_b64 s[6:7], s[60:61], exec
	s_and_b64 s[18:19], s[66:67], exec
	;; [unrolled: 3-line block ×3, first 2 shown]
	s_or_b64 s[56:57], s[6:7], s[18:19]
	s_mov_b32 s33, s36
	s_mov_b32 s17, s8
	v_mov_b32_e32 v42, v10
	s_andn2_b64 exec, exec, s[54:55]
	s_cbranch_execz .LBB41_239
.LBB41_7:                               ; =>This Loop Header: Depth=1
                                        ;     Child Loop BB41_13 Depth 2
                                        ;     Child Loop BB41_28 Depth 2
	;; [unrolled: 1-line block ×16, first 2 shown]
	ds_read_b64 v[3:4], v13 offset:4096
	s_waitcnt lgkmcnt(0)
	v_readfirstlane_b32 s29, v3
	s_cmp_gt_i32 s29, 0
	s_cbranch_scc1 .LBB41_35
; %bb.8:                                ;   in Loop: Header=BB41_7 Depth=1
	s_and_b64 vcc, exec, s[44:45]
	s_cbranch_vccz .LBB41_21
; %bb.9:                                ;   in Loop: Header=BB41_7 Depth=1
	s_movk_i32 s6, 0x181
	v_cmp_gt_i32_e32 vcc, s6, v4
	s_mov_b64 s[18:19], 0
	s_mov_b64 s[6:7], 0
	s_cbranch_vccz .LBB41_22
; %bb.10:                               ;   in Loop: Header=BB41_7 Depth=1
	s_and_saveexec_b64 s[20:21], s[24:25]
	s_cbranch_execz .LBB41_67
; %bb.11:                               ;   in Loop: Header=BB41_7 Depth=1
	v_readlane_b32 s6, v47, 22
	v_readlane_b32 s7, v47, 23
	s_nop 4
	global_load_ushort v1, v13, s[6:7]
	global_load_dwordx2 v[3:4], v[14:15], off
	s_mov_b64 s[22:23], 0
	v_mov_b32_e32 v10, v0
	s_waitcnt vmcnt(1)
	v_add_u32_e32 v7, v0, v1
	v_mul_lo_u32 v12, s31, v7
	v_mul_lo_u32 v9, s31, v1
	s_branch .LBB41_13
.LBB41_12:                              ;   in Loop: Header=BB41_13 Depth=2
	s_or_b64 exec, exec, s[6:7]
	v_cmp_le_i32_e32 vcc, s28, v10
	v_mov_b32_e32 v3, v7
	v_add_u32_e32 v12, v12, v9
	s_or_b64 s[22:23], vcc, s[22:23]
	v_mov_b32_e32 v4, v8
	s_andn2_b64 exec, exec, s[22:23]
	s_cbranch_execz .LBB41_67
.LBB41_13:                              ;   Parent Loop BB41_7 Depth=1
                                        ; =>  This Inner Loop Header: Depth=2
	v_add_u32_e32 v10, v10, v1
	v_mov_b32_e32 v7, 0
	v_mov_b32_e32 v8, 0
	v_cmp_gt_u32_e32 vcc, s28, v10
	s_and_saveexec_b64 s[6:7], vcc
	s_cbranch_execz .LBB41_15
; %bb.14:                               ;   in Loop: Header=BB41_13 Depth=2
	v_lshlrev_b64 v[7:8], 3, v[12:13]
	s_waitcnt lgkmcnt(0)
	v_mov_b32_e32 v22, s41
	v_add_co_u32_e32 v7, vcc, s30, v7
	v_addc_co_u32_e32 v8, vcc, v22, v8, vcc
	global_load_dwordx2 v[7:8], v[7:8], off
.LBB41_15:                              ;   in Loop: Header=BB41_13 Depth=2
	s_or_b64 exec, exec, s[6:7]
	s_waitcnt vmcnt(0)
	v_cmp_o_f64_e32 vcc, v[3:4], v[3:4]
	s_waitcnt lgkmcnt(0)
	v_ashrrev_i32_e32 v22, 31, v4
	v_or_b32_e32 v23, 0x80000000, v22
	v_xor_b32_e32 v23, v23, v4
	v_xor_b32_e32 v22, v22, v3
	v_cndmask_b32_e32 v23, -1, v23, vcc
	v_cndmask_b32_e32 v22, -1, v22, vcc
	v_and_b32_e32 v23, v23, v21
	v_and_b32_e32 v22, v22, v20
	v_cmp_eq_u64_e32 vcc, v[22:23], v[18:19]
	v_mov_b32_e32 v22, 0
	s_cmp_lg_u64 vcc, 0
	s_cselect_b64 s[6:7], -1, 0
	s_and_b64 s[6:7], s[2:3], s[6:7]
	s_and_saveexec_b64 s[26:27], s[6:7]
	s_cbranch_execz .LBB41_19
; %bb.16:                               ;   in Loop: Header=BB41_13 Depth=2
	s_mov_b64 s[36:37], exec
	v_mbcnt_lo_u32_b32 v22, s36, 0
	v_mbcnt_hi_u32_b32 v22, s37, v22
	s_bcnt1_i32_b64 s8, vcc
	v_cmp_eq_u32_e64 s[6:7], 0, v22
                                        ; implicit-def: $vgpr23
	s_and_saveexec_b64 s[34:35], s[6:7]
; %bb.17:                               ;   in Loop: Header=BB41_13 Depth=2
	s_bcnt1_i32_b64 s6, s[36:37]
	s_mul_i32 s6, s8, s6
	v_mov_b32_e32 v23, s6
	ds_add_rtn_u32 v23, v13, v23 offset:4104
; %bb.18:                               ;   in Loop: Header=BB41_13 Depth=2
	s_or_b64 exec, exec, s[34:35]
	s_waitcnt lgkmcnt(0)
	v_readfirstlane_b32 s6, v23
	v_mov_b32_e32 v23, s6
	v_mad_u32_u24 v22, s8, v22, v23
.LBB41_19:                              ;   in Loop: Header=BB41_13 Depth=2
	s_or_b64 exec, exec, s[26:27]
	ds_bpermute_b32 v22, v30, v22
	s_and_saveexec_b64 s[6:7], vcc
	s_cbranch_execz .LBB41_12
; %bb.20:                               ;   in Loop: Header=BB41_13 Depth=2
	v_and_b32_e32 v24, vcc_lo, v32
	v_and_b32_e32 v23, vcc_hi, v31
	v_bcnt_u32_b32 v24, v24, 0
	v_bcnt_u32_b32 v23, v23, v24
	v_lshlrev_b32_e32 v23, 3, v23
	s_waitcnt lgkmcnt(0)
	v_lshl_add_u32 v22, v22, 3, v23
	ds_write_b64 v22, v[3:4]
	s_branch .LBB41_12
.LBB41_21:                              ;   in Loop: Header=BB41_7 Depth=1
	s_mov_b64 s[18:19], -1
	s_mov_b64 s[6:7], 0
.LBB41_22:                              ;   in Loop: Header=BB41_7 Depth=1
	s_and_b64 vcc, exec, s[18:19]
	s_cbranch_vccz .LBB41_33
.LBB41_23:                              ;   in Loop: Header=BB41_7 Depth=1
	v_mov_b32_e32 v3, 0
	v_mov_b32_e32 v4, 0
	s_and_saveexec_b64 s[6:7], s[24:25]
	s_cbranch_execz .LBB41_25
; %bb.24:                               ;   in Loop: Header=BB41_7 Depth=1
	global_load_dwordx2 v[3:4], v[14:15], off
.LBB41_25:                              ;   in Loop: Header=BB41_7 Depth=1
	s_or_b64 exec, exec, s[6:7]
	s_mov_b64 s[6:7], exec
	v_readlane_b32 s18, v47, 20
	v_readlane_b32 s19, v47, 21
	s_and_b64 s[18:19], s[6:7], s[18:19]
	s_mov_b64 exec, s[18:19]
	s_cbranch_execz .LBB41_30
; %bb.26:                               ;   in Loop: Header=BB41_7 Depth=1
	v_readlane_b32 s18, v47, 22
	v_readlane_b32 s19, v47, 23
	v_mov_b32_e32 v22, v28
	v_mov_b32_e32 v23, v0
	s_nop 2
	global_load_ushort v1, v13, s[18:19]
	s_mov_b64 s[18:19], 0
	s_waitcnt vmcnt(0)
	v_add_u32_e32 v7, v0, v1
	v_mul_lo_u32 v12, s31, v7
	v_mul_lo_u32 v10, s31, v1
	v_lshlrev_b32_e32 v9, 3, v1
	s_branch .LBB41_28
.LBB41_27:                              ;   in Loop: Header=BB41_28 Depth=2
	s_or_b64 exec, exec, s[20:21]
	ds_write_b64 v22, v[3:4]
	v_cmp_le_i32_e32 vcc, s28, v23
	s_waitcnt vmcnt(0)
	v_mov_b32_e32 v3, v7
	v_add_u32_e32 v22, v22, v9
	v_add_u32_e32 v12, v12, v10
	s_or_b64 s[18:19], vcc, s[18:19]
	v_mov_b32_e32 v4, v8
	s_andn2_b64 exec, exec, s[18:19]
	s_cbranch_execz .LBB41_30
.LBB41_28:                              ;   Parent Loop BB41_7 Depth=1
                                        ; =>  This Inner Loop Header: Depth=2
	v_add_u32_e32 v23, v23, v1
	v_mov_b32_e32 v7, 0
	v_mov_b32_e32 v8, 0
	v_cmp_gt_u32_e32 vcc, s28, v23
	s_and_saveexec_b64 s[20:21], vcc
	s_cbranch_execz .LBB41_27
; %bb.29:                               ;   in Loop: Header=BB41_28 Depth=2
	v_lshlrev_b64 v[7:8], 3, v[12:13]
	v_mov_b32_e32 v24, s41
	v_add_co_u32_e32 v7, vcc, s30, v7
	v_addc_co_u32_e32 v8, vcc, v24, v8, vcc
	global_load_dwordx2 v[7:8], v[7:8], off
	s_branch .LBB41_27
.LBB41_30:                              ;   in Loop: Header=BB41_7 Depth=1
	s_or_b64 exec, exec, s[6:7]
	s_waitcnt vmcnt(0) lgkmcnt(0)
	s_barrier
	s_and_saveexec_b64 s[6:7], s[0:1]
; %bb.31:                               ;   in Loop: Header=BB41_7 Depth=1
	v_mov_b32_e32 v1, s28
	ds_write_b32 v13, v1 offset:4096
; %bb.32:                               ;   in Loop: Header=BB41_7 Depth=1
	s_or_b64 exec, exec, s[6:7]
	s_mov_b64 s[6:7], -1
	s_waitcnt lgkmcnt(0)
	s_barrier
.LBB41_33:                              ;   in Loop: Header=BB41_7 Depth=1
	s_and_b64 vcc, exec, s[6:7]
	s_cbranch_vccz .LBB41_35
; %bb.34:                               ;   in Loop: Header=BB41_7 Depth=1
	ds_read_b32 v1, v13 offset:4096
	s_waitcnt lgkmcnt(0)
	v_readfirstlane_b32 s29, v1
.LBB41_35:                              ;   in Loop: Header=BB41_7 Depth=1
	s_cmp_lt_i32 s29, 1
	s_mov_b64 s[6:7], -1
                                        ; implicit-def: $vgpr7
	s_cbranch_scc1 .LBB41_45
; %bb.36:                               ;   in Loop: Header=BB41_7 Depth=1
	s_and_b64 vcc, exec, s[6:7]
	s_cbranch_vccnz .LBB41_58
.LBB41_37:                              ;   in Loop: Header=BB41_7 Depth=1
	s_lshl_b32 s8, s33, 6
	s_and_saveexec_b64 s[6:7], s[2:3]
.LBB41_38:                              ;   in Loop: Header=BB41_7 Depth=1
	v_lshl_add_u32 v1, s8, 2, v33
	ds_write_b128 v1, v[7:10]
.LBB41_39:                              ;   in Loop: Header=BB41_7 Depth=1
	s_or_b64 exec, exec, s[6:7]
	s_waitcnt vmcnt(0) lgkmcnt(0)
	s_barrier
	s_and_saveexec_b64 s[6:7], s[42:43]
	s_cbranch_execz .LBB41_75
; %bb.40:                               ;   in Loop: Header=BB41_7 Depth=1
	s_andn2_b64 vcc, exec, s[46:47]
	v_mov_b32_e32 v1, 0
	s_cbranch_vccnz .LBB41_74
; %bb.41:                               ;   in Loop: Header=BB41_7 Depth=1
	v_readlane_b32 s18, v47, 24
	v_readlane_b32 s19, v47, 25
	s_andn2_b64 vcc, exec, s[18:19]
	s_cbranch_vccnz .LBB41_70
; %bb.42:                               ;   in Loop: Header=BB41_7 Depth=1
	v_lshl_add_u32 v3, s33, 8, v41
	s_mov_b32 s18, 0
	v_mov_b32_e32 v1, 0
.LBB41_43:                              ;   Parent Loop BB41_7 Depth=1
                                        ; =>  This Inner Loop Header: Depth=2
	ds_read2_b32 v[7:8], v3 offset1:4
	ds_read2_b32 v[9:10], v3 offset0:8 offset1:12
	ds_read2_b32 v[22:23], v3 offset0:16 offset1:20
	;; [unrolled: 1-line block ×3, first 2 shown]
	s_add_i32 s18, s18, 8
	s_waitcnt lgkmcnt(3)
	v_add3_u32 v1, v7, v1, v8
	s_waitcnt lgkmcnt(2)
	v_add3_u32 v1, v9, v1, v10
	;; [unrolled: 2-line block ×3, first 2 shown]
	v_add_u32_e32 v3, 0x80, v3
	s_cmp_eq_u32 s9, s18
	s_waitcnt lgkmcnt(0)
	v_add3_u32 v1, v24, v1, v25
	s_cbranch_scc0 .LBB41_43
; %bb.44:                               ;   in Loop: Header=BB41_7 Depth=1
	s_mov_b32 s18, s9
	s_branch .LBB41_71
.LBB41_45:                              ;   in Loop: Header=BB41_7 Depth=1
	v_mov_b32_e32 v7, 0
	v_mov_b32_e32 v8, 0
	v_mov_b32_e32 v9, 0
	v_mov_b32_e32 v10, 0
	s_and_saveexec_b64 s[26:27], s[10:11]
	s_cbranch_execz .LBB41_49
; %bb.46:                               ;   in Loop: Header=BB41_7 Depth=1
	s_mov_b32 s34, 0
	s_mov_b64 s[68:69], 0
	s_mov_b32 s35, 0
	s_mov_b32 s36, 0
	;; [unrolled: 1-line block ×4, first 2 shown]
	v_mov_b32_e32 v1, v26
.LBB41_47:                              ;   Parent Loop BB41_7 Depth=1
                                        ; =>  This Inner Loop Header: Depth=2
	v_add_u32_e32 v3, s34, v38
	v_ashrrev_i32_e32 v4, 31, v3
	v_lshlrev_b64 v[3:4], 3, v[3:4]
	v_mov_b32_e32 v12, s41
	v_add_co_u32_e32 v3, vcc, s30, v3
	v_addc_co_u32_e32 v4, vcc, v12, v4, vcc
	global_load_dwordx2 v[3:4], v[3:4], off
	v_add_u32_e32 v7, s34, v35
	v_ashrrev_i32_e32 v8, 31, v7
	v_lshlrev_b64 v[7:8], 3, v[7:8]
	v_add_u32_e32 v9, s34, v36
	v_add_co_u32_e32 v7, vcc, s30, v7
	v_addc_co_u32_e32 v8, vcc, v12, v8, vcc
	global_load_dwordx2 v[7:8], v[7:8], off
	v_ashrrev_i32_e32 v10, 31, v9
	v_lshlrev_b64 v[9:10], 3, v[9:10]
	v_add_u32_e32 v22, s34, v37
	v_add_co_u32_e32 v9, vcc, s30, v9
	v_addc_co_u32_e32 v10, vcc, v12, v10, vcc
	global_load_dwordx2 v[9:10], v[9:10], off
	;; [unrolled: 6-line block ×3, first 2 shown]
	s_add_i32 s34, s34, s52
	s_waitcnt vmcnt(3)
	v_cmp_o_f64_e32 vcc, v[3:4], v[3:4]
	v_ashrrev_i32_e32 v12, 31, v4
	v_or_b32_e32 v24, 0x80000000, v12
	v_xor_b32_e32 v4, v24, v4
	v_xor_b32_e32 v3, v12, v3
	v_cndmask_b32_e32 v4, -1, v4, vcc
	v_cndmask_b32_e32 v3, -1, v3, vcc
	s_waitcnt vmcnt(2)
	v_cmp_o_f64_e32 vcc, v[7:8], v[7:8]
	v_ashrrev_i32_e32 v12, 31, v8
	v_or_b32_e32 v24, 0x80000000, v12
	v_xor_b32_e32 v8, v24, v8
	v_xor_b32_e32 v7, v12, v7
	v_cndmask_b32_e32 v25, -1, v8, vcc
	v_cndmask_b32_e32 v24, -1, v7, vcc
	;; [unrolled: 8-line block ×3, first 2 shown]
	s_waitcnt vmcnt(0)
	v_cmp_o_f64_e32 vcc, v[22:23], v[22:23]
	v_ashrrev_i32_e32 v7, 31, v23
	v_or_b32_e32 v8, 0x80000000, v7
	v_xor_b32_e32 v8, v8, v23
	v_xor_b32_e32 v7, v7, v22
	v_and_b32_e32 v23, v4, v21
	v_and_b32_e32 v22, v3, v20
	v_lshrrev_b64 v[3:4], s17, v[3:4]
	v_cndmask_b32_e32 v8, -1, v8, vcc
	v_and_b32_e32 v12, 3, v3
	v_lshrrev_b64 v[3:4], s17, v[24:25]
	v_cndmask_b32_e32 v7, -1, v7, vcc
	v_cmp_eq_u64_e32 vcc, v[22:23], v[18:19]
	v_and_b32_e32 v23, v25, v21
	v_and_b32_e32 v22, v24, v20
	v_cmp_eq_u64_e64 s[6:7], 0, v[12:13]
	v_cmp_eq_u64_e64 s[18:19], v[22:23], v[18:19]
	v_and_b32_e32 v23, v10, v21
	v_and_b32_e32 v22, v9, v20
	;; [unrolled: 1-line block ×3, first 2 shown]
	v_mov_b32_e32 v4, v13
	v_lshrrev_b64 v[9:10], s17, v[9:10]
	s_and_b64 s[72:73], vcc, s[6:7]
	v_cmp_eq_u64_e64 s[6:7], 0, v[3:4]
	v_cmp_eq_u64_e64 s[20:21], v[22:23], v[18:19]
	v_and_b32_e32 v23, v8, v21
	v_and_b32_e32 v22, v7, v20
	;; [unrolled: 1-line block ×3, first 2 shown]
	v_mov_b32_e32 v10, v13
	v_lshrrev_b64 v[7:8], s17, v[7:8]
	s_and_b64 s[74:75], s[18:19], s[6:7]
	v_cmp_eq_u64_e64 s[6:7], 0, v[9:10]
	v_and_b32_e32 v7, 3, v7
	v_mov_b32_e32 v8, v13
	v_cmp_eq_u64_e64 s[22:23], v[22:23], v[18:19]
	s_and_b64 s[76:77], s[20:21], s[6:7]
	v_cmp_eq_u64_e64 s[6:7], 0, v[7:8]
	v_cndmask_b32_e64 v22, 0, 1, s[72:73]
	s_and_b64 s[78:79], s[22:23], s[6:7]
	v_cmp_ne_u32_e64 s[6:7], 0, v22
	v_cndmask_b32_e64 v22, 0, 1, s[74:75]
	s_bcnt1_i32_b64 s8, s[6:7]
	v_cmp_ne_u32_e64 s[6:7], 0, v22
	v_cndmask_b32_e64 v22, 0, 1, s[76:77]
	s_bcnt1_i32_b64 s71, s[6:7]
	;; [unrolled: 3-line block ×3, first 2 shown]
	v_cmp_ne_u32_e64 s[6:7], 0, v22
	s_bcnt1_i32_b64 s6, s[6:7]
	s_add_i32 s7, s70, s8
	s_add_i32 s7, s7, s71
	;; [unrolled: 1-line block ×4, first 2 shown]
	v_cmp_eq_u64_e64 s[6:7], 1, v[12:13]
	s_and_b64 s[72:73], vcc, s[6:7]
	v_cmp_eq_u64_e64 s[6:7], 1, v[3:4]
	v_cndmask_b32_e64 v22, 0, 1, s[72:73]
	s_and_b64 s[74:75], s[18:19], s[6:7]
	v_cmp_eq_u64_e64 s[6:7], 1, v[9:10]
	s_and_b64 s[76:77], s[20:21], s[6:7]
	v_cmp_eq_u64_e64 s[6:7], 1, v[7:8]
	s_and_b64 s[78:79], s[22:23], s[6:7]
	v_cmp_ne_u32_e64 s[6:7], 0, v22
	v_cndmask_b32_e64 v22, 0, 1, s[74:75]
	s_bcnt1_i32_b64 s8, s[6:7]
	v_cmp_ne_u32_e64 s[6:7], 0, v22
	v_cndmask_b32_e64 v22, 0, 1, s[76:77]
	s_bcnt1_i32_b64 s71, s[6:7]
	;; [unrolled: 3-line block ×3, first 2 shown]
	v_cmp_ne_u32_e64 s[6:7], 0, v22
	s_bcnt1_i32_b64 s6, s[6:7]
	s_add_i32 s7, s37, s8
	s_add_i32 s7, s7, s71
	;; [unrolled: 1-line block ×4, first 2 shown]
	v_cmp_eq_u64_e64 s[6:7], 2, v[12:13]
	s_and_b64 s[72:73], vcc, s[6:7]
	v_cmp_eq_u64_e64 s[6:7], 2, v[3:4]
	v_cndmask_b32_e64 v22, 0, 1, s[72:73]
	s_and_b64 s[74:75], s[18:19], s[6:7]
	v_cmp_eq_u64_e64 s[6:7], 2, v[9:10]
	s_and_b64 s[76:77], s[20:21], s[6:7]
	v_cmp_eq_u64_e64 s[6:7], 2, v[7:8]
	s_and_b64 s[78:79], s[22:23], s[6:7]
	v_cmp_ne_u32_e64 s[6:7], 0, v22
	v_cndmask_b32_e64 v22, 0, 1, s[74:75]
	s_bcnt1_i32_b64 s8, s[6:7]
	v_cmp_ne_u32_e64 s[6:7], 0, v22
	v_cndmask_b32_e64 v22, 0, 1, s[76:77]
	s_bcnt1_i32_b64 s71, s[6:7]
	;; [unrolled: 3-line block ×3, first 2 shown]
	v_cmp_ne_u32_e64 s[6:7], 0, v22
	s_bcnt1_i32_b64 s6, s[6:7]
	s_add_i32 s7, s36, s8
	s_add_i32 s7, s7, s71
	;; [unrolled: 1-line block ×4, first 2 shown]
	v_cmp_eq_u64_e64 s[6:7], 3, v[12:13]
	s_and_b64 s[6:7], vcc, s[6:7]
	v_cmp_eq_u64_e32 vcc, 3, v[3:4]
	v_cndmask_b32_e64 v3, 0, 1, s[6:7]
	s_and_b64 s[18:19], s[18:19], vcc
	v_cmp_eq_u64_e32 vcc, 3, v[9:10]
	v_mov_b32_e32 v9, s36
	s_and_b64 s[20:21], s[20:21], vcc
	v_cmp_eq_u64_e32 vcc, 3, v[7:8]
	v_mov_b32_e32 v7, s70
	s_and_b64 s[22:23], s[22:23], vcc
	v_cmp_ne_u32_e32 vcc, 0, v3
	v_cndmask_b32_e64 v3, 0, 1, s[18:19]
	s_bcnt1_i32_b64 s6, vcc
	v_cmp_ne_u32_e32 vcc, 0, v3
	v_cndmask_b32_e64 v3, 0, 1, s[20:21]
	s_bcnt1_i32_b64 s7, vcc
	v_cmp_ne_u32_e32 vcc, 0, v3
	v_cndmask_b32_e64 v3, 0, 1, s[22:23]
	s_add_i32 s6, s35, s6
	s_bcnt1_i32_b64 s8, vcc
	v_cmp_ne_u32_e32 vcc, 0, v3
	s_add_i32 s6, s6, s7
	s_bcnt1_i32_b64 s18, vcc
	s_add_i32 s6, s6, s8
	s_add_i32 s35, s6, s18
	v_cmp_le_i32_e32 vcc, s49, v1
	s_or_b64 s[68:69], vcc, s[68:69]
	v_mov_b32_e32 v8, s37
	v_mov_b32_e32 v10, s35
	s_andn2_b64 exec, exec, s[68:69]
	s_cbranch_execnz .LBB41_47
; %bb.48:                               ;   in Loop: Header=BB41_7 Depth=1
	s_or_b64 exec, exec, s[68:69]
.LBB41_49:                              ;   in Loop: Header=BB41_7 Depth=1
	s_or_b64 exec, exec, s[26:27]
	v_mov_b32_e32 v22, 0
	v_mov_b32_e32 v23, 0
	s_and_saveexec_b64 s[6:7], s[12:13]
	s_cbranch_execz .LBB41_51
; %bb.50:                               ;   in Loop: Header=BB41_7 Depth=1
	global_load_dwordx2 v[22:23], v[16:17], off
.LBB41_51:                              ;   in Loop: Header=BB41_7 Depth=1
	s_or_b64 exec, exec, s[6:7]
	s_and_saveexec_b64 s[20:21], s[14:15]
	s_cbranch_execz .LBB41_57
; %bb.52:                               ;   in Loop: Header=BB41_7 Depth=1
	s_mov_b64 s[22:23], 0
	v_mov_b32_e32 v3, v39
	v_mov_b32_e32 v1, v34
	s_branch .LBB41_54
.LBB41_53:                              ;   in Loop: Header=BB41_54 Depth=2
	s_or_b64 exec, exec, s[6:7]
	s_waitcnt vmcnt(0)
	v_cmp_o_f64_e32 vcc, v[22:23], v[22:23]
	v_ashrrev_i32_e32 v4, 31, v23
	v_or_b32_e32 v12, 0x80000000, v4
	v_xor_b32_e32 v12, v12, v23
	v_xor_b32_e32 v4, v4, v22
	v_add_u32_e32 v3, s38, v3
	v_cndmask_b32_e32 v23, -1, v12, vcc
	v_cndmask_b32_e32 v22, -1, v4, vcc
	v_and_b32_e32 v44, v23, v21
	v_and_b32_e32 v43, v22, v20
	v_lshrrev_b64 v[22:23], s17, v[22:23]
	v_cmp_eq_u64_e32 vcc, v[43:44], v[18:19]
	v_and_b32_e32 v12, 3, v22
	v_cmp_eq_u64_e64 s[6:7], 0, v[12:13]
	v_cmp_eq_u64_e64 s[18:19], 1, v[12:13]
	s_and_b64 s[6:7], vcc, s[6:7]
	v_cndmask_b32_e64 v4, 0, 1, s[6:7]
	v_cmp_ne_u32_e64 s[6:7], 0, v4
	s_bcnt1_i32_b64 s6, s[6:7]
	v_add_u32_e32 v7, s6, v7
	s_and_b64 s[6:7], vcc, s[18:19]
	v_cndmask_b32_e64 v4, 0, 1, s[6:7]
	v_cmp_ne_u32_e64 s[6:7], 0, v4
	s_bcnt1_i32_b64 s8, s[6:7]
	v_cmp_eq_u64_e64 s[6:7], 2, v[12:13]
	v_add_u32_e32 v8, s8, v8
	s_and_b64 s[6:7], vcc, s[6:7]
	v_cndmask_b32_e64 v4, 0, 1, s[6:7]
	v_cmp_ne_u32_e64 s[6:7], 0, v4
	s_bcnt1_i32_b64 s8, s[6:7]
	v_cmp_eq_u64_e64 s[6:7], 3, v[12:13]
	v_mov_b32_e32 v22, v24
	s_and_b64 s[6:7], vcc, s[6:7]
	v_cndmask_b32_e64 v4, 0, 1, s[6:7]
	v_cmp_ne_u32_e32 vcc, 0, v4
	s_bcnt1_i32_b64 s6, vcc
	v_cmp_le_i32_e32 vcc, s28, v1
	v_add_u32_e32 v9, s8, v9
	v_add_u32_e32 v10, s6, v10
	s_or_b64 s[22:23], vcc, s[22:23]
	v_mov_b32_e32 v23, v25
	s_andn2_b64 exec, exec, s[22:23]
	s_cbranch_execz .LBB41_56
.LBB41_54:                              ;   Parent Loop BB41_7 Depth=1
                                        ; =>  This Inner Loop Header: Depth=2
	v_add_u32_e32 v1, s40, v1
	v_mov_b32_e32 v24, 0
	v_mov_b32_e32 v25, 0
	v_cmp_gt_u32_e32 vcc, s28, v1
	s_and_saveexec_b64 s[6:7], vcc
	s_cbranch_execz .LBB41_53
; %bb.55:                               ;   in Loop: Header=BB41_54 Depth=2
	v_ashrrev_i32_e32 v4, 31, v3
	v_lshlrev_b64 v[24:25], 3, v[3:4]
	v_mov_b32_e32 v4, s41
	v_add_co_u32_e32 v24, vcc, s30, v24
	v_addc_co_u32_e32 v25, vcc, v4, v25, vcc
	global_load_dwordx2 v[24:25], v[24:25], off
	s_branch .LBB41_53
.LBB41_56:                              ;   in Loop: Header=BB41_7 Depth=1
	s_or_b64 exec, exec, s[22:23]
.LBB41_57:                              ;   in Loop: Header=BB41_7 Depth=1
	s_or_b64 exec, exec, s[20:21]
	s_branch .LBB41_37
.LBB41_58:                              ;   in Loop: Header=BB41_7 Depth=1
	s_mul_hi_u32 s6, s29, s48
	s_mul_i32 s6, s6, s39
	s_sub_i32 s6, s29, s6
	s_sub_i32 s7, s6, s39
	s_cmp_ge_u32 s6, s39
	s_cselect_b32 s6, s7, s6
	s_sub_i32 s7, s6, s39
	s_cmp_ge_u32 s6, s39
	s_cselect_b32 s6, s7, s6
	s_sub_i32 s34, s29, s6
	v_cmp_gt_u32_e32 vcc, s34, v26
	v_mov_b32_e32 v7, 0
	v_mov_b32_e32 v8, 0
	v_mov_b32_e32 v9, 0
	v_mov_b32_e32 v10, 0
	s_and_saveexec_b64 s[26:27], vcc
	s_cbranch_execz .LBB41_62
; %bb.59:                               ;   in Loop: Header=BB41_7 Depth=1
	s_mov_b32 s35, 0
	s_mov_b64 s[68:69], 0
	v_mov_b32_e32 v1, v40
	s_mov_b32 s36, 0
	s_mov_b32 s37, 0
	;; [unrolled: 1-line block ×3, first 2 shown]
	s_waitcnt vmcnt(0)
	v_mov_b32_e32 v22, v26
.LBB41_60:                              ;   Parent Loop BB41_7 Depth=1
                                        ; =>  This Inner Loop Header: Depth=2
	ds_read_b128 v[7:10], v1
	ds_read_b128 v[43:46], v1 offset:16
	v_add_u32_e32 v22, s39, v22
	v_add_u32_e32 v1, s53, v1
	s_waitcnt lgkmcnt(1)
	v_cmp_o_f64_e32 vcc, v[7:8], v[7:8]
	v_ashrrev_i32_e32 v3, 31, v8
	v_or_b32_e32 v4, 0x80000000, v3
	v_xor_b32_e32 v4, v4, v8
	v_xor_b32_e32 v3, v3, v7
	v_ashrrev_i32_e32 v7, 31, v10
	v_or_b32_e32 v8, 0x80000000, v7
	v_xor_b32_e32 v8, v8, v10
	v_cndmask_b32_e32 v4, -1, v4, vcc
	v_cndmask_b32_e32 v3, -1, v3, vcc
	v_cmp_o_f64_e32 vcc, v[9:10], v[9:10]
	v_xor_b32_e32 v7, v7, v9
	v_cndmask_b32_e32 v24, -1, v8, vcc
	v_cndmask_b32_e32 v23, -1, v7, vcc
	s_waitcnt lgkmcnt(0)
	v_cmp_o_f64_e32 vcc, v[43:44], v[43:44]
	v_ashrrev_i32_e32 v7, 31, v44
	v_or_b32_e32 v8, 0x80000000, v7
	v_xor_b32_e32 v8, v8, v44
	v_xor_b32_e32 v7, v7, v43
	v_and_b32_e32 v44, v4, v21
	v_and_b32_e32 v43, v3, v20
	v_lshrrev_b64 v[3:4], s17, v[3:4]
	v_cndmask_b32_e32 v10, -1, v8, vcc
	v_cndmask_b32_e32 v9, -1, v7, vcc
	v_cmp_o_f64_e32 vcc, v[45:46], v[45:46]
	v_ashrrev_i32_e32 v7, 31, v46
	v_or_b32_e32 v8, 0x80000000, v7
	v_xor_b32_e32 v8, v8, v46
	v_xor_b32_e32 v7, v7, v45
	v_and_b32_e32 v12, 3, v3
	v_lshrrev_b64 v[3:4], s17, v[23:24]
	v_cmp_eq_u64_e64 s[6:7], 0, v[12:13]
	v_cndmask_b32_e32 v8, -1, v8, vcc
	v_cndmask_b32_e32 v7, -1, v7, vcc
	v_cmp_eq_u64_e32 vcc, v[43:44], v[18:19]
	v_and_b32_e32 v44, v24, v21
	v_and_b32_e32 v43, v23, v20
	v_cmp_eq_u64_e64 s[18:19], v[43:44], v[18:19]
	v_and_b32_e32 v44, v10, v21
	v_and_b32_e32 v43, v9, v20
	;; [unrolled: 1-line block ×3, first 2 shown]
	v_mov_b32_e32 v4, v13
	v_lshrrev_b64 v[9:10], s17, v[9:10]
	s_and_b64 s[72:73], vcc, s[6:7]
	v_cmp_eq_u64_e64 s[6:7], 0, v[3:4]
	v_cmp_eq_u64_e64 s[20:21], v[43:44], v[18:19]
	v_and_b32_e32 v44, v8, v21
	v_and_b32_e32 v43, v7, v20
	;; [unrolled: 1-line block ×3, first 2 shown]
	v_mov_b32_e32 v10, v13
	v_lshrrev_b64 v[7:8], s17, v[7:8]
	s_and_b64 s[74:75], s[18:19], s[6:7]
	v_cmp_eq_u64_e64 s[6:7], 0, v[9:10]
	v_and_b32_e32 v7, 3, v7
	v_mov_b32_e32 v8, v13
	v_cmp_eq_u64_e64 s[22:23], v[43:44], v[18:19]
	s_and_b64 s[76:77], s[20:21], s[6:7]
	v_cmp_eq_u64_e64 s[6:7], 0, v[7:8]
	v_cndmask_b32_e64 v23, 0, 1, s[72:73]
	s_and_b64 s[78:79], s[22:23], s[6:7]
	v_cmp_ne_u32_e64 s[6:7], 0, v23
	v_cndmask_b32_e64 v23, 0, 1, s[74:75]
	s_bcnt1_i32_b64 s8, s[6:7]
	v_cmp_ne_u32_e64 s[6:7], 0, v23
	v_cndmask_b32_e64 v23, 0, 1, s[76:77]
	s_bcnt1_i32_b64 s71, s[6:7]
	;; [unrolled: 3-line block ×3, first 2 shown]
	v_cmp_ne_u32_e64 s[6:7], 0, v23
	s_bcnt1_i32_b64 s6, s[6:7]
	s_add_i32 s7, s70, s8
	s_add_i32 s7, s7, s71
	;; [unrolled: 1-line block ×4, first 2 shown]
	v_cmp_eq_u64_e64 s[6:7], 1, v[12:13]
	s_and_b64 s[72:73], vcc, s[6:7]
	v_cmp_eq_u64_e64 s[6:7], 1, v[3:4]
	v_cndmask_b32_e64 v23, 0, 1, s[72:73]
	s_and_b64 s[74:75], s[18:19], s[6:7]
	v_cmp_eq_u64_e64 s[6:7], 1, v[9:10]
	s_and_b64 s[76:77], s[20:21], s[6:7]
	v_cmp_eq_u64_e64 s[6:7], 1, v[7:8]
	s_and_b64 s[78:79], s[22:23], s[6:7]
	v_cmp_ne_u32_e64 s[6:7], 0, v23
	v_cndmask_b32_e64 v23, 0, 1, s[74:75]
	s_bcnt1_i32_b64 s8, s[6:7]
	v_cmp_ne_u32_e64 s[6:7], 0, v23
	v_cndmask_b32_e64 v23, 0, 1, s[76:77]
	s_bcnt1_i32_b64 s71, s[6:7]
	;; [unrolled: 3-line block ×3, first 2 shown]
	v_cmp_ne_u32_e64 s[6:7], 0, v23
	s_bcnt1_i32_b64 s6, s[6:7]
	s_add_i32 s7, s37, s8
	s_add_i32 s7, s7, s71
	;; [unrolled: 1-line block ×4, first 2 shown]
	v_cmp_eq_u64_e64 s[6:7], 2, v[12:13]
	s_and_b64 s[72:73], vcc, s[6:7]
	v_cmp_eq_u64_e64 s[6:7], 2, v[3:4]
	v_cndmask_b32_e64 v23, 0, 1, s[72:73]
	s_and_b64 s[74:75], s[18:19], s[6:7]
	v_cmp_eq_u64_e64 s[6:7], 2, v[9:10]
	s_and_b64 s[76:77], s[20:21], s[6:7]
	v_cmp_eq_u64_e64 s[6:7], 2, v[7:8]
	s_and_b64 s[78:79], s[22:23], s[6:7]
	v_cmp_ne_u32_e64 s[6:7], 0, v23
	v_cndmask_b32_e64 v23, 0, 1, s[74:75]
	s_bcnt1_i32_b64 s8, s[6:7]
	v_cmp_ne_u32_e64 s[6:7], 0, v23
	v_cndmask_b32_e64 v23, 0, 1, s[76:77]
	s_bcnt1_i32_b64 s71, s[6:7]
	;; [unrolled: 3-line block ×3, first 2 shown]
	v_cmp_ne_u32_e64 s[6:7], 0, v23
	s_bcnt1_i32_b64 s6, s[6:7]
	s_add_i32 s7, s36, s8
	s_add_i32 s7, s7, s71
	;; [unrolled: 1-line block ×4, first 2 shown]
	v_cmp_eq_u64_e64 s[6:7], 3, v[12:13]
	s_and_b64 s[6:7], vcc, s[6:7]
	v_cmp_eq_u64_e32 vcc, 3, v[3:4]
	v_cndmask_b32_e64 v3, 0, 1, s[6:7]
	s_and_b64 s[18:19], s[18:19], vcc
	v_cmp_eq_u64_e32 vcc, 3, v[9:10]
	v_mov_b32_e32 v9, s36
	s_and_b64 s[20:21], s[20:21], vcc
	v_cmp_eq_u64_e32 vcc, 3, v[7:8]
	v_mov_b32_e32 v7, s70
	s_and_b64 s[22:23], s[22:23], vcc
	v_cmp_ne_u32_e32 vcc, 0, v3
	v_cndmask_b32_e64 v3, 0, 1, s[18:19]
	s_bcnt1_i32_b64 s6, vcc
	v_cmp_ne_u32_e32 vcc, 0, v3
	v_cndmask_b32_e64 v3, 0, 1, s[20:21]
	s_bcnt1_i32_b64 s7, vcc
	v_cmp_ne_u32_e32 vcc, 0, v3
	v_cndmask_b32_e64 v3, 0, 1, s[22:23]
	s_add_i32 s6, s35, s6
	s_bcnt1_i32_b64 s8, vcc
	v_cmp_ne_u32_e32 vcc, 0, v3
	s_add_i32 s6, s6, s7
	s_bcnt1_i32_b64 s18, vcc
	s_add_i32 s6, s6, s8
	s_add_i32 s35, s6, s18
	v_cmp_le_i32_e32 vcc, s34, v22
	s_or_b64 s[68:69], vcc, s[68:69]
	v_mov_b32_e32 v8, s37
	v_mov_b32_e32 v10, s35
	s_andn2_b64 exec, exec, s[68:69]
	s_cbranch_execnz .LBB41_60
; %bb.61:                               ;   in Loop: Header=BB41_7 Depth=1
	s_or_b64 exec, exec, s[68:69]
.LBB41_62:                              ;   in Loop: Header=BB41_7 Depth=1
	s_or_b64 exec, exec, s[26:27]
	v_add_u32_e32 v1, s34, v0
	v_cmp_gt_i32_e32 vcc, s29, v1
	s_and_saveexec_b64 s[68:69], vcc
	s_cbranch_execz .LBB41_66
; %bb.63:                               ;   in Loop: Header=BB41_7 Depth=1
	v_lshlrev_b32_e32 v3, 3, v1
	s_mov_b64 s[34:35], 0
.LBB41_64:                              ;   Parent Loop BB41_7 Depth=1
                                        ; =>  This Inner Loop Header: Depth=2
	s_waitcnt vmcnt(0)
	ds_read_b64 v[22:23], v3
	v_add_u32_e32 v1, s40, v1
	v_cmp_le_i32_e32 vcc, s29, v1
	v_add_u32_e32 v3, s16, v3
	s_waitcnt lgkmcnt(0)
	v_cmp_o_f64_e64 s[6:7], v[22:23], v[22:23]
	v_ashrrev_i32_e32 v4, 31, v23
	v_or_b32_e32 v12, 0x80000000, v4
	v_xor_b32_e32 v4, v4, v22
	v_xor_b32_e32 v12, v12, v23
	v_cndmask_b32_e64 v23, -1, v12, s[6:7]
	v_cndmask_b32_e64 v22, -1, v4, s[6:7]
	v_and_b32_e32 v25, v23, v21
	v_and_b32_e32 v24, v22, v20
	v_lshrrev_b64 v[22:23], s17, v[22:23]
	v_cmp_eq_u64_e64 s[6:7], v[24:25], v[18:19]
	v_and_b32_e32 v12, 3, v22
	v_cmp_eq_u64_e64 s[18:19], 0, v[12:13]
	v_cmp_eq_u64_e64 s[20:21], 1, v[12:13]
	;; [unrolled: 1-line block ×4, first 2 shown]
	s_and_b64 s[18:19], s[6:7], s[18:19]
	v_cndmask_b32_e64 v4, 0, 1, s[18:19]
	s_and_b64 s[18:19], s[6:7], s[20:21]
	v_cndmask_b32_e64 v12, 0, 1, s[18:19]
	s_and_b64 s[18:19], s[6:7], s[22:23]
	s_and_b64 s[6:7], s[6:7], s[26:27]
	v_cndmask_b32_e64 v22, 0, 1, s[18:19]
	v_cndmask_b32_e64 v23, 0, 1, s[6:7]
	v_cmp_ne_u32_e64 s[6:7], 0, v4
	v_cmp_ne_u32_e64 s[18:19], 0, v12
	;; [unrolled: 1-line block ×4, first 2 shown]
	s_bcnt1_i32_b64 s6, s[6:7]
	s_bcnt1_i32_b64 s7, s[18:19]
	s_bcnt1_i32_b64 s8, s[20:21]
	s_bcnt1_i32_b64 s18, s[22:23]
	v_add_u32_e32 v7, s6, v7
	v_add_u32_e32 v8, s7, v8
	v_add_u32_e32 v9, s8, v9
	s_or_b64 s[34:35], vcc, s[34:35]
	v_add_u32_e32 v10, s18, v10
	s_andn2_b64 exec, exec, s[34:35]
	s_cbranch_execnz .LBB41_64
; %bb.65:                               ;   in Loop: Header=BB41_7 Depth=1
	s_or_b64 exec, exec, s[34:35]
.LBB41_66:                              ;   in Loop: Header=BB41_7 Depth=1
	s_or_b64 exec, exec, s[68:69]
	s_lshl_b32 s8, s33, 6
	s_and_saveexec_b64 s[6:7], s[2:3]
	s_cbranch_execnz .LBB41_38
	s_branch .LBB41_39
.LBB41_67:                              ;   in Loop: Header=BB41_7 Depth=1
	s_or_b64 exec, exec, s[20:21]
	s_waitcnt lgkmcnt(0)
	s_barrier
	s_and_saveexec_b64 s[6:7], s[0:1]
	s_cbranch_execz .LBB41_69
; %bb.68:                               ;   in Loop: Header=BB41_7 Depth=1
	ds_read_b32 v1, v13 offset:4104
	s_waitcnt lgkmcnt(0)
	ds_write_b32 v13, v1 offset:4096
.LBB41_69:                              ;   in Loop: Header=BB41_7 Depth=1
	s_or_b64 exec, exec, s[6:7]
	s_waitcnt lgkmcnt(0)
	s_barrier
	s_mov_b64 s[6:7], -1
	s_and_b64 vcc, exec, s[18:19]
	s_cbranch_vccnz .LBB41_23
	s_branch .LBB41_33
.LBB41_70:                              ;   in Loop: Header=BB41_7 Depth=1
	v_mov_b32_e32 v1, 0
	s_mov_b32 s18, 0
.LBB41_71:                              ;   in Loop: Header=BB41_7 Depth=1
	v_readlane_b32 s20, v47, 27
	v_readlane_b32 s21, v47, 28
	s_andn2_b64 vcc, exec, s[20:21]
	s_cbranch_vccnz .LBB41_74
; %bb.72:                               ;   in Loop: Header=BB41_7 Depth=1
	s_lshl_b32 s19, s33, 8
	s_lshl_b32 s18, s18, 4
	s_add_i32 s19, s19, s18
	v_add_u32_e32 v3, s19, v41
	v_readlane_b32 s18, v47, 26
.LBB41_73:                              ;   Parent Loop BB41_7 Depth=1
                                        ; =>  This Inner Loop Header: Depth=2
	ds_read_b32 v4, v3
	s_add_i32 s18, s18, -1
	v_add_u32_e32 v3, 16, v3
	s_cmp_lg_u32 s18, 0
	s_waitcnt lgkmcnt(0)
	v_add_u32_e32 v1, v4, v1
	s_cbranch_scc1 .LBB41_73
.LBB41_74:                              ;   in Loop: Header=BB41_7 Depth=1
	v_add_lshl_u32 v3, s8, v27, 2
	ds_write_b32 v3, v1 offset:3072
.LBB41_75:                              ;   in Loop: Header=BB41_7 Depth=1
	s_or_b64 exec, exec, s[6:7]
	s_lshl_b32 s6, s8, 2
	v_mov_b32_e32 v1, s6
	s_waitcnt lgkmcnt(0)
	s_barrier
	ds_read_b128 v[7:10], v1 offset:3072
	s_lshl_b64 s[6:7], 3, s17
	s_not_b64 s[70:71], s[6:7]
	v_cmp_eq_u32_e32 vcc, 1, v42
	s_mov_b64 s[20:21], -1
	s_waitcnt lgkmcnt(0)
	v_readfirstlane_b32 s80, v7
	s_cmp_eq_u32 s80, 1
	s_cselect_b64 s[18:19], -1, 0
	v_readfirstlane_b32 s84, v8
	v_readfirstlane_b32 s92, v9
	;; [unrolled: 1-line block ×3, first 2 shown]
	s_and_b64 s[22:23], s[18:19], vcc
	s_mov_b64 s[34:35], -1
                                        ; implicit-def: $sgpr68_sgpr69
                                        ; implicit-def: $sgpr26_sgpr27
	s_and_saveexec_b64 s[18:19], s[22:23]
	s_cbranch_execz .LBB41_103
; %bb.76:                               ;   in Loop: Header=BB41_7 Depth=1
	ds_read_b32 v1, v13 offset:4096
	s_waitcnt lgkmcnt(0)
	s_barrier
	v_readfirstlane_b32 s8, v1
	s_and_saveexec_b64 s[26:27], s[4:5]
; %bb.77:                               ;   in Loop: Header=BB41_7 Depth=1
	v_mov_b32_e32 v12, v13
	ds_write_b64 v29, v[12:13]
; %bb.78:                               ;   in Loop: Header=BB41_7 Depth=1
	s_or_b64 exec, exec, s[26:27]
	v_and_b32_e32 v19, s71, v19
	v_and_b32_e32 v18, s70, v18
	v_or_b32_e32 v21, s7, v21
	v_or_b32_e32 v20, s6, v20
	s_mov_b64 s[26:27], -1
	s_mov_b64 s[68:69], 0
	s_cmp_lt_i32 s8, 1
	s_mov_b64 s[72:73], 0
	s_mov_b64 s[74:75], -1
	s_waitcnt lgkmcnt(0)
	s_barrier
                                        ; implicit-def: $vgpr5_vgpr6
	s_cbranch_scc0 .LBB41_90
; %bb.79:                               ;   in Loop: Header=BB41_7 Depth=1
	s_mov_b64 s[74:75], 0
                                        ; implicit-def: $vgpr5_vgpr6
	s_mov_b64 s[76:77], exec
	v_readlane_b32 s34, v47, 29
	v_readlane_b32 s35, v47, 30
	s_and_b64 s[34:35], s[76:77], s[34:35]
	s_mov_b64 exec, s[34:35]
	s_cbranch_execz .LBB41_89
; %bb.80:                               ;   in Loop: Header=BB41_7 Depth=1
	v_mov_b32_e32 v7, v11
	v_mov_b32_e32 v9, v0
                                        ; implicit-def: $sgpr34_sgpr35
	s_branch .LBB41_84
.LBB41_81:                              ;   in Loop: Header=BB41_84 Depth=2
	s_or_b64 exec, exec, s[36:37]
	s_waitcnt lgkmcnt(0)
	s_barrier
	ds_read_b128 v[3:6], v13 offset:3072
	s_waitcnt lgkmcnt(0)
	s_barrier
	v_cmp_neq_f64_e32 vcc, 0, v[3:4]
	s_cbranch_vccnz .LBB41_87
; %bb.82:                               ;   in Loop: Header=BB41_84 Depth=2
	v_add_u32_e32 v9, s40, v9
	v_cmp_le_i32_e32 vcc, s51, v9
	v_add_u32_e32 v7, s38, v7
	s_mov_b64 s[36:37], 0
	s_orn2_b64 s[78:79], vcc, exec
.LBB41_83:                              ;   in Loop: Header=BB41_84 Depth=2
	s_and_b64 s[78:79], exec, s[78:79]
	s_or_b64 s[72:73], s[78:79], s[72:73]
	s_andn2_b64 s[34:35], s[34:35], exec
	s_and_b64 s[36:37], s[36:37], exec
	s_or_b64 s[34:35], s[34:35], s[36:37]
	s_andn2_b64 exec, exec, s[72:73]
	s_cbranch_execz .LBB41_88
.LBB41_84:                              ;   Parent Loop BB41_7 Depth=1
                                        ; =>  This Inner Loop Header: Depth=2
	v_cmp_gt_i32_e32 vcc, s28, v9
	s_and_saveexec_b64 s[36:37], vcc
	s_cbranch_execz .LBB41_81
; %bb.85:                               ;   in Loop: Header=BB41_84 Depth=2
	v_ashrrev_i32_e32 v8, 31, v7
	v_lshlrev_b64 v[3:4], 3, v[7:8]
	v_mov_b32_e32 v1, s41
	v_add_co_u32_e32 v3, vcc, s30, v3
	v_addc_co_u32_e32 v4, vcc, v1, v4, vcc
	global_load_dwordx2 v[3:4], v[3:4], off
	s_waitcnt vmcnt(0)
	v_cmp_o_f64_e32 vcc, v[3:4], v[3:4]
	v_ashrrev_i32_e32 v1, 31, v4
	v_or_b32_e32 v5, 0x80000000, v1
	v_xor_b32_e32 v5, v5, v4
	v_xor_b32_e32 v1, v1, v3
	v_cndmask_b32_e32 v5, -1, v5, vcc
	v_cndmask_b32_e32 v1, -1, v1, vcc
	v_and_b32_e32 v6, v5, v21
	v_and_b32_e32 v5, v1, v20
	v_cmp_eq_u64_e32 vcc, v[5:6], v[18:19]
	s_and_b64 exec, exec, vcc
	s_cbranch_execz .LBB41_81
; %bb.86:                               ;   in Loop: Header=BB41_84 Depth=2
	v_mov_b32_e32 v1, v13
	ds_write_b128 v13, v[1:4] offset:3072
	s_branch .LBB41_81
.LBB41_87:                              ;   in Loop: Header=BB41_84 Depth=2
	s_mov_b64 s[78:79], -1
                                        ; implicit-def: $vgpr9
                                        ; implicit-def: $vgpr7
	s_mov_b64 s[36:37], -1
	s_branch .LBB41_83
.LBB41_88:                              ;   in Loop: Header=BB41_7 Depth=1
	s_or_b64 exec, exec, s[72:73]
	s_and_b64 s[72:73], s[34:35], exec
.LBB41_89:                              ;   in Loop: Header=BB41_7 Depth=1
	s_or_b64 exec, exec, s[76:77]
.LBB41_90:                              ;   in Loop: Header=BB41_7 Depth=1
	s_and_b64 vcc, exec, s[74:75]
	s_cbranch_vccz .LBB41_102
; %bb.91:                               ;   in Loop: Header=BB41_7 Depth=1
	v_readlane_b32 s26, v47, 19
	s_add_i32 s76, s8, s26
	s_abs_i32 s27, s76
	s_mul_hi_u32 s34, s27, s50
	s_mul_i32 s34, s34, s40
	s_sub_i32 s27, s27, s34
	s_ashr_i32 s26, s76, 31
	s_sub_i32 s34, s27, s40
	s_cmp_ge_u32 s27, s40
	s_cselect_b32 s27, s34, s27
	s_sub_i32 s34, s27, s40
	s_cmp_ge_u32 s27, s40
	s_cselect_b32 s27, s34, s27
	s_xor_b32 s27, s27, s26
	s_sub_i32 s26, s26, s27
	s_add_i32 s76, s76, s26
	v_cmp_gt_i32_e32 vcc, s76, v0
                                        ; implicit-def: $vgpr5_vgpr6
	s_and_saveexec_b64 s[26:27], vcc
	s_cbranch_execz .LBB41_101
; %bb.92:                               ;   in Loop: Header=BB41_7 Depth=1
	s_mov_b64 s[68:69], 0
	v_mov_b32_e32 v7, v28
	v_mov_b32_e32 v8, v0
                                        ; implicit-def: $sgpr34_sgpr35
	s_branch .LBB41_96
.LBB41_93:                              ;   in Loop: Header=BB41_96 Depth=2
	s_or_b64 exec, exec, s[36:37]
	s_waitcnt lgkmcnt(0)
	s_barrier
	ds_read_b128 v[3:6], v13 offset:3072
	s_waitcnt lgkmcnt(0)
	s_barrier
	v_cmp_neq_f64_e32 vcc, 0, v[3:4]
	s_cbranch_vccnz .LBB41_99
; %bb.94:                               ;   in Loop: Header=BB41_96 Depth=2
	v_add_u32_e32 v8, s40, v8
	v_cmp_le_i32_e32 vcc, s76, v8
	v_add_u32_e32 v7, s16, v7
	s_mov_b64 s[36:37], 0
	s_orn2_b64 s[74:75], vcc, exec
.LBB41_95:                              ;   in Loop: Header=BB41_96 Depth=2
	s_and_b64 s[74:75], exec, s[74:75]
	s_or_b64 s[68:69], s[74:75], s[68:69]
	s_andn2_b64 s[34:35], s[34:35], exec
	s_and_b64 s[36:37], s[36:37], exec
	s_or_b64 s[34:35], s[34:35], s[36:37]
	s_andn2_b64 exec, exec, s[68:69]
	s_cbranch_execz .LBB41_100
.LBB41_96:                              ;   Parent Loop BB41_7 Depth=1
                                        ; =>  This Inner Loop Header: Depth=2
	v_cmp_gt_i32_e32 vcc, s8, v8
	s_and_saveexec_b64 s[36:37], vcc
	s_cbranch_execz .LBB41_93
; %bb.97:                               ;   in Loop: Header=BB41_96 Depth=2
	ds_read_b64 v[3:4], v7
	s_waitcnt lgkmcnt(0)
	v_cmp_o_f64_e32 vcc, v[3:4], v[3:4]
	v_ashrrev_i32_e32 v1, 31, v4
	v_or_b32_e32 v5, 0x80000000, v1
	v_xor_b32_e32 v5, v5, v4
	v_xor_b32_e32 v1, v1, v3
	v_cndmask_b32_e32 v5, -1, v5, vcc
	v_cndmask_b32_e32 v1, -1, v1, vcc
	v_and_b32_e32 v6, v5, v21
	v_and_b32_e32 v5, v1, v20
	v_cmp_eq_u64_e32 vcc, v[5:6], v[18:19]
	s_and_b64 exec, exec, vcc
	s_cbranch_execz .LBB41_93
; %bb.98:                               ;   in Loop: Header=BB41_96 Depth=2
	v_mov_b32_e32 v1, v13
	ds_write_b128 v13, v[1:4] offset:3072
	s_branch .LBB41_93
.LBB41_99:                              ;   in Loop: Header=BB41_96 Depth=2
	s_mov_b64 s[74:75], -1
                                        ; implicit-def: $vgpr8
                                        ; implicit-def: $vgpr7
	s_mov_b64 s[36:37], -1
	s_branch .LBB41_95
.LBB41_100:                             ;   in Loop: Header=BB41_7 Depth=1
	s_or_b64 exec, exec, s[68:69]
	s_andn2_b64 s[36:37], s[72:73], exec
	s_and_b64 s[34:35], s[34:35], exec
	s_or_b64 s[72:73], s[36:37], s[34:35]
.LBB41_101:                             ;   in Loop: Header=BB41_7 Depth=1
	s_or_b64 exec, exec, s[26:27]
	s_mov_b64 s[26:27], 0
	s_mov_b64 s[68:69], -1
.LBB41_102:                             ;   in Loop: Header=BB41_7 Depth=1
	s_orn2_b64 s[34:35], s[72:73], exec
.LBB41_103:                             ;   in Loop: Header=BB41_7 Depth=1
	s_or_b64 exec, exec, s[18:19]
	s_andn2_b64 s[18:19], s[66:67], exec
	s_and_b64 s[66:67], s[68:69], exec
	s_or_b64 s[66:67], s[18:19], s[66:67]
	s_andn2_b64 s[18:19], s[64:65], exec
	s_and_b64 s[26:27], s[26:27], exec
	v_readfirstlane_b32 s8, v0
	v_readfirstlane_b32 s36, v0
	s_andn2_b64 s[62:63], s[62:63], exec
	s_or_b64 s[64:65], s[18:19], s[26:27]
                                        ; implicit-def: $vgpr10
	s_and_saveexec_b64 s[18:19], s[34:35]
	s_cbranch_execz .LBB41_6
; %bb.104:                              ;   in Loop: Header=BB41_7 Depth=1
	s_xor_b64 s[26:27], s[22:23], -1
	s_mov_b64 s[22:23], 0
	v_mov_b32_e32 v10, 1
	v_mov_b32_e32 v9, 1
	s_and_saveexec_b64 s[20:21], s[26:27]
	s_cbranch_execz .LBB41_113
; %bb.105:                              ;   in Loop: Header=BB41_7 Depth=1
	v_cmp_ge_i32_e32 vcc, s80, v42
	s_and_saveexec_b64 s[22:23], vcc
	s_xor_b64 s[22:23], exec, s[22:23]
	s_cbranch_execz .LBB41_110
; %bb.106:                              ;   in Loop: Header=BB41_7 Depth=1
	ds_read_b32 v1, v13 offset:4096
	v_and_b32_e32 v19, s71, v19
	v_and_b32_e32 v18, s70, v18
	v_or_b32_e32 v21, s7, v21
	v_or_b32_e32 v20, s6, v20
	s_waitcnt lgkmcnt(0)
	v_cmp_ne_u32_e32 vcc, 0, v1
	s_cbranch_vccnz .LBB41_110
; %bb.107:                              ;   in Loop: Header=BB41_7 Depth=1
	s_and_saveexec_b64 s[26:27], s[0:1]
; %bb.108:                              ;   in Loop: Header=BB41_7 Depth=1
	v_mov_b32_e32 v1, s80
	ds_write_b32 v13, v1 offset:4100
; %bb.109:                              ;   in Loop: Header=BB41_7 Depth=1
	s_or_b64 exec, exec, s[26:27]
	s_waitcnt lgkmcnt(0)
	s_barrier
.LBB41_110:                             ;   in Loop: Header=BB41_7 Depth=1
	s_or_saveexec_b64 s[22:23], s[22:23]
	s_mov_b64 s[26:27], 0
	v_mov_b32_e32 v9, 8
	s_xor_b64 exec, exec, s[22:23]
; %bb.111:                              ;   in Loop: Header=BB41_7 Depth=1
	s_mov_b64 s[26:27], exec
	v_subrev_u32_e32 v42, s80, v42
	v_mov_b32_e32 v9, 0
; %bb.112:                              ;   in Loop: Header=BB41_7 Depth=1
	s_or_b64 exec, exec, s[22:23]
	s_and_b64 s[22:23], s[26:27], exec
	v_mov_b32_e32 v10, v42
.LBB41_113:                             ;   in Loop: Header=BB41_7 Depth=1
	s_or_b64 exec, exec, s[20:21]
	s_mov_b64 s[20:21], -1
	s_mov_b64 s[34:35], -1
                                        ; implicit-def: $sgpr26_sgpr27
                                        ; implicit-def: $sgpr68_sgpr69
	s_and_saveexec_b64 s[36:37], s[22:23]
	s_xor_b64 s[22:23], exec, s[36:37]
	s_cbranch_execz .LBB41_236
; %bb.114:                              ;   in Loop: Header=BB41_7 Depth=1
	s_cmp_eq_u32 s84, 1
	s_cselect_b64 s[26:27], -1, 0
	v_cmp_eq_u32_e32 vcc, 1, v10
	s_and_b64 s[74:75], s[26:27], vcc
                                        ; implicit-def: $sgpr68_sgpr69
                                        ; implicit-def: $sgpr26_sgpr27
	s_and_saveexec_b64 s[72:73], s[74:75]
	s_cbranch_execz .LBB41_142
; %bb.115:                              ;   in Loop: Header=BB41_7 Depth=1
	ds_read_b32 v1, v13 offset:4096
	s_waitcnt lgkmcnt(0)
	s_barrier
	v_readfirstlane_b32 s85, v1
	s_and_saveexec_b64 s[26:27], s[4:5]
; %bb.116:                              ;   in Loop: Header=BB41_7 Depth=1
	v_mov_b32_e32 v12, v13
	ds_write_b64 v29, v[12:13]
; %bb.117:                              ;   in Loop: Header=BB41_7 Depth=1
	s_or_b64 exec, exec, s[26:27]
	s_lshl_b64 s[26:27], 1, s17
	v_and_b32_e32 v1, s71, v19
	v_and_b32_e32 v3, s70, v18
	v_or_b32_e32 v19, s27, v1
	v_or_b32_e32 v18, s26, v3
	;; [unrolled: 1-line block ×4, first 2 shown]
	s_mov_b64 s[26:27], -1
	s_mov_b64 s[68:69], 0
	s_cmp_gt_i32 s85, 0
	s_mov_b64 s[76:77], 0
	s_mov_b64 s[78:79], -1
	s_waitcnt lgkmcnt(0)
	s_barrier
                                        ; implicit-def: $vgpr5_vgpr6
	s_cbranch_scc1 .LBB41_129
; %bb.118:                              ;   in Loop: Header=BB41_7 Depth=1
	s_mov_b64 s[78:79], 0
                                        ; implicit-def: $vgpr5_vgpr6
	s_mov_b64 s[80:81], exec
	v_readlane_b32 s34, v47, 29
	v_readlane_b32 s35, v47, 30
	s_and_b64 s[34:35], s[80:81], s[34:35]
	s_mov_b64 exec, s[34:35]
	s_cbranch_execz .LBB41_128
; %bb.119:                              ;   in Loop: Header=BB41_7 Depth=1
	v_mov_b32_e32 v7, v11
	v_mov_b32_e32 v12, v0
                                        ; implicit-def: $sgpr82_sgpr83
	s_branch .LBB41_123
.LBB41_120:                             ;   in Loop: Header=BB41_123 Depth=2
	s_or_b64 exec, exec, s[34:35]
	s_waitcnt lgkmcnt(0)
	s_barrier
	ds_read_b128 v[3:6], v13 offset:3072
	s_waitcnt lgkmcnt(0)
	s_barrier
	v_cmp_neq_f64_e32 vcc, 0, v[3:4]
	s_cbranch_vccnz .LBB41_126
; %bb.121:                              ;   in Loop: Header=BB41_123 Depth=2
	v_add_u32_e32 v12, s40, v12
	v_cmp_le_i32_e32 vcc, s51, v12
	v_add_u32_e32 v7, s38, v7
	s_mov_b64 s[34:35], 0
	s_orn2_b64 s[36:37], vcc, exec
.LBB41_122:                             ;   in Loop: Header=BB41_123 Depth=2
	s_and_b64 s[36:37], exec, s[36:37]
	s_or_b64 s[76:77], s[36:37], s[76:77]
	s_andn2_b64 s[36:37], s[82:83], exec
	s_and_b64 s[34:35], s[34:35], exec
	s_or_b64 s[82:83], s[36:37], s[34:35]
	s_andn2_b64 exec, exec, s[76:77]
	s_cbranch_execz .LBB41_127
.LBB41_123:                             ;   Parent Loop BB41_7 Depth=1
                                        ; =>  This Inner Loop Header: Depth=2
	v_cmp_gt_i32_e32 vcc, s28, v12
	s_and_saveexec_b64 s[34:35], vcc
	s_cbranch_execz .LBB41_120
; %bb.124:                              ;   in Loop: Header=BB41_123 Depth=2
	v_ashrrev_i32_e32 v8, 31, v7
	v_lshlrev_b64 v[3:4], 3, v[7:8]
	v_mov_b32_e32 v1, s41
	v_add_co_u32_e32 v3, vcc, s30, v3
	v_addc_co_u32_e32 v4, vcc, v1, v4, vcc
	global_load_dwordx2 v[3:4], v[3:4], off
	s_waitcnt vmcnt(0)
	v_cmp_o_f64_e32 vcc, v[3:4], v[3:4]
	v_ashrrev_i32_e32 v1, 31, v4
	v_or_b32_e32 v5, 0x80000000, v1
	v_xor_b32_e32 v5, v5, v4
	v_xor_b32_e32 v1, v1, v3
	v_cndmask_b32_e32 v5, -1, v5, vcc
	v_cndmask_b32_e32 v1, -1, v1, vcc
	v_and_b32_e32 v6, v5, v21
	v_and_b32_e32 v5, v1, v20
	v_cmp_eq_u64_e32 vcc, v[5:6], v[18:19]
	s_and_b64 exec, exec, vcc
	s_cbranch_execz .LBB41_120
; %bb.125:                              ;   in Loop: Header=BB41_123 Depth=2
	v_mov_b32_e32 v1, v13
	ds_write_b128 v13, v[1:4] offset:3072
	s_branch .LBB41_120
.LBB41_126:                             ;   in Loop: Header=BB41_123 Depth=2
	s_mov_b64 s[36:37], -1
                                        ; implicit-def: $vgpr12
                                        ; implicit-def: $vgpr7
	s_mov_b64 s[34:35], -1
	s_branch .LBB41_122
.LBB41_127:                             ;   in Loop: Header=BB41_7 Depth=1
	s_or_b64 exec, exec, s[76:77]
	s_and_b64 s[76:77], s[82:83], exec
.LBB41_128:                             ;   in Loop: Header=BB41_7 Depth=1
	s_or_b64 exec, exec, s[80:81]
.LBB41_129:                             ;   in Loop: Header=BB41_7 Depth=1
	s_and_b64 vcc, exec, s[78:79]
	s_cbranch_vccz .LBB41_141
; %bb.130:                              ;   in Loop: Header=BB41_7 Depth=1
	v_readlane_b32 s8, v47, 19
	s_add_i32 s8, s85, s8
	s_abs_i32 s27, s8
	s_mul_hi_u32 s34, s27, s50
	s_mul_i32 s34, s34, s40
	s_sub_i32 s27, s27, s34
	s_ashr_i32 s26, s8, 31
	s_sub_i32 s34, s27, s40
	s_cmp_ge_u32 s27, s40
	s_cselect_b32 s27, s34, s27
	s_sub_i32 s34, s27, s40
	s_cmp_ge_u32 s27, s40
	s_cselect_b32 s27, s34, s27
	s_xor_b32 s27, s27, s26
	s_sub_i32 s26, s26, s27
	s_add_i32 s8, s8, s26
	v_cmp_gt_i32_e32 vcc, s8, v0
                                        ; implicit-def: $vgpr5_vgpr6
	s_and_saveexec_b64 s[26:27], vcc
	s_cbranch_execz .LBB41_140
; %bb.131:                              ;   in Loop: Header=BB41_7 Depth=1
	s_mov_b64 s[34:35], 0
	v_mov_b32_e32 v7, v28
	v_mov_b32_e32 v8, v0
                                        ; implicit-def: $sgpr68_sgpr69
	s_branch .LBB41_135
.LBB41_132:                             ;   in Loop: Header=BB41_135 Depth=2
	s_or_b64 exec, exec, s[36:37]
	s_waitcnt lgkmcnt(0)
	s_barrier
	ds_read_b128 v[3:6], v13 offset:3072
	s_waitcnt lgkmcnt(0)
	s_barrier
	v_cmp_eq_f64_e32 vcc, 0, v[3:4]
	s_cbranch_vccz .LBB41_138
; %bb.133:                              ;   in Loop: Header=BB41_135 Depth=2
	v_add_u32_e32 v8, s40, v8
	v_cmp_le_i32_e32 vcc, s8, v8
	v_add_u32_e32 v7, s16, v7
	s_mov_b64 s[36:37], 0
	s_orn2_b64 s[78:79], vcc, exec
.LBB41_134:                             ;   in Loop: Header=BB41_135 Depth=2
	s_and_b64 s[78:79], exec, s[78:79]
	s_or_b64 s[34:35], s[78:79], s[34:35]
	s_andn2_b64 s[68:69], s[68:69], exec
	s_and_b64 s[36:37], s[36:37], exec
	s_or_b64 s[68:69], s[68:69], s[36:37]
	s_andn2_b64 exec, exec, s[34:35]
	s_cbranch_execz .LBB41_139
.LBB41_135:                             ;   Parent Loop BB41_7 Depth=1
                                        ; =>  This Inner Loop Header: Depth=2
	v_cmp_gt_i32_e32 vcc, s85, v8
	s_and_saveexec_b64 s[36:37], vcc
	s_cbranch_execz .LBB41_132
; %bb.136:                              ;   in Loop: Header=BB41_135 Depth=2
	ds_read_b64 v[3:4], v7
	s_waitcnt lgkmcnt(0)
	v_cmp_o_f64_e32 vcc, v[3:4], v[3:4]
	v_ashrrev_i32_e32 v1, 31, v4
	v_or_b32_e32 v5, 0x80000000, v1
	v_xor_b32_e32 v5, v5, v4
	v_xor_b32_e32 v1, v1, v3
	v_cndmask_b32_e32 v5, -1, v5, vcc
	v_cndmask_b32_e32 v1, -1, v1, vcc
	v_and_b32_e32 v6, v5, v21
	v_and_b32_e32 v5, v1, v20
	v_cmp_eq_u64_e32 vcc, v[5:6], v[18:19]
	s_and_b64 exec, exec, vcc
	s_cbranch_execz .LBB41_132
; %bb.137:                              ;   in Loop: Header=BB41_135 Depth=2
	v_mov_b32_e32 v1, v13
	ds_write_b128 v13, v[1:4] offset:3072
	s_branch .LBB41_132
.LBB41_138:                             ;   in Loop: Header=BB41_135 Depth=2
	s_mov_b64 s[78:79], -1
                                        ; implicit-def: $vgpr8
                                        ; implicit-def: $vgpr7
	s_mov_b64 s[36:37], -1
	s_branch .LBB41_134
.LBB41_139:                             ;   in Loop: Header=BB41_7 Depth=1
	s_or_b64 exec, exec, s[34:35]
	s_andn2_b64 s[34:35], s[76:77], exec
	s_and_b64 s[36:37], s[68:69], exec
	s_or_b64 s[76:77], s[34:35], s[36:37]
.LBB41_140:                             ;   in Loop: Header=BB41_7 Depth=1
	s_or_b64 exec, exec, s[26:27]
	s_mov_b64 s[26:27], 0
	s_mov_b64 s[68:69], -1
.LBB41_141:                             ;   in Loop: Header=BB41_7 Depth=1
	s_orn2_b64 s[34:35], s[76:77], exec
.LBB41_142:                             ;   in Loop: Header=BB41_7 Depth=1
	s_or_b64 exec, exec, s[72:73]
	s_mov_b64 s[36:37], 0
	s_and_saveexec_b64 s[72:73], s[34:35]
	s_cbranch_execz .LBB41_235
; %bb.143:                              ;   in Loop: Header=BB41_7 Depth=1
	s_xor_b64 s[34:35], s[74:75], -1
	v_mov_b32_e32 v22, 1
	v_mov_b32_e32 v9, 1
	s_and_saveexec_b64 s[74:75], s[34:35]
	s_cbranch_execz .LBB41_152
; %bb.144:                              ;   in Loop: Header=BB41_7 Depth=1
	v_cmp_ge_i32_e32 vcc, s84, v10
	s_and_saveexec_b64 s[34:35], vcc
	s_xor_b64 s[34:35], exec, s[34:35]
	s_cbranch_execz .LBB41_149
; %bb.145:                              ;   in Loop: Header=BB41_7 Depth=1
	s_lshl_b64 s[36:37], 1, s17
	v_and_b32_e32 v1, s71, v19
	v_or_b32_e32 v19, s37, v1
	ds_read_b32 v1, v13 offset:4096
	v_and_b32_e32 v3, s70, v18
	v_or_b32_e32 v18, s36, v3
	v_or_b32_e32 v21, s7, v21
	;; [unrolled: 1-line block ×3, first 2 shown]
	s_waitcnt lgkmcnt(0)
	v_cmp_ne_u32_e32 vcc, 0, v1
	s_cbranch_vccnz .LBB41_149
; %bb.146:                              ;   in Loop: Header=BB41_7 Depth=1
	s_and_saveexec_b64 s[36:37], s[0:1]
; %bb.147:                              ;   in Loop: Header=BB41_7 Depth=1
	v_mov_b32_e32 v1, s84
	ds_write_b32 v13, v1 offset:4100
; %bb.148:                              ;   in Loop: Header=BB41_7 Depth=1
	s_or_b64 exec, exec, s[36:37]
	s_waitcnt lgkmcnt(0)
	s_barrier
.LBB41_149:                             ;   in Loop: Header=BB41_7 Depth=1
	s_or_saveexec_b64 s[34:35], s[34:35]
	s_mov_b64 s[36:37], 0
	v_mov_b32_e32 v9, 8
	s_xor_b64 exec, exec, s[34:35]
; %bb.150:                              ;   in Loop: Header=BB41_7 Depth=1
	v_subrev_u32_e32 v10, s84, v10
	v_mov_b32_e32 v9, 0
	s_mov_b64 s[36:37], exec
; %bb.151:                              ;   in Loop: Header=BB41_7 Depth=1
	s_or_b64 exec, exec, s[34:35]
	s_and_b64 s[36:37], s[36:37], exec
	v_mov_b32_e32 v22, v10
.LBB41_152:                             ;   in Loop: Header=BB41_7 Depth=1
	s_or_b64 exec, exec, s[74:75]
	s_mov_b64 s[34:35], -1
                                        ; implicit-def: $sgpr76_sgpr77
                                        ; implicit-def: $sgpr78_sgpr79
	s_and_saveexec_b64 s[74:75], s[36:37]
	s_cbranch_execz .LBB41_234
; %bb.153:                              ;   in Loop: Header=BB41_7 Depth=1
	s_cmp_eq_u32 s92, 1
	s_cselect_b64 s[34:35], -1, 0
	v_cmp_eq_u32_e32 vcc, 1, v22
	s_and_b64 s[82:83], s[34:35], vcc
	s_mov_b64 s[34:35], -1
                                        ; implicit-def: $sgpr78_sgpr79
                                        ; implicit-def: $sgpr76_sgpr77
	s_and_saveexec_b64 s[80:81], s[82:83]
	s_cbranch_execz .LBB41_181
; %bb.154:                              ;   in Loop: Header=BB41_7 Depth=1
	ds_read_b32 v1, v13 offset:4096
	s_waitcnt lgkmcnt(0)
	s_barrier
	v_readfirstlane_b32 s93, v1
	s_and_saveexec_b64 s[34:35], s[4:5]
; %bb.155:                              ;   in Loop: Header=BB41_7 Depth=1
	v_mov_b32_e32 v12, v13
	ds_write_b64 v29, v[12:13]
; %bb.156:                              ;   in Loop: Header=BB41_7 Depth=1
	s_or_b64 exec, exec, s[34:35]
	s_lshl_b64 s[34:35], 2, s17
	v_and_b32_e32 v1, s71, v19
	v_and_b32_e32 v3, s70, v18
	v_or_b32_e32 v19, s35, v1
	v_or_b32_e32 v18, s34, v3
	;; [unrolled: 1-line block ×4, first 2 shown]
	s_mov_b64 s[76:77], -1
	s_mov_b64 s[78:79], 0
	s_cmp_gt_i32 s93, 0
	s_mov_b64 s[84:85], 0
	s_mov_b64 s[86:87], -1
	s_waitcnt lgkmcnt(0)
	s_barrier
                                        ; implicit-def: $vgpr5_vgpr6
	s_cbranch_scc1 .LBB41_168
; %bb.157:                              ;   in Loop: Header=BB41_7 Depth=1
	s_mov_b64 s[86:87], 0
                                        ; implicit-def: $vgpr5_vgpr6
	s_mov_b64 s[88:89], exec
	v_readlane_b32 s34, v47, 29
	v_readlane_b32 s35, v47, 30
	s_and_b64 s[34:35], s[88:89], s[34:35]
	s_mov_b64 exec, s[34:35]
	s_cbranch_execz .LBB41_167
; %bb.158:                              ;   in Loop: Header=BB41_7 Depth=1
	v_mov_b32_e32 v7, v11
	v_mov_b32_e32 v10, v0
                                        ; implicit-def: $sgpr90_sgpr91
	s_branch .LBB41_162
.LBB41_159:                             ;   in Loop: Header=BB41_162 Depth=2
	s_or_b64 exec, exec, s[34:35]
	s_waitcnt lgkmcnt(0)
	s_barrier
	ds_read_b128 v[3:6], v13 offset:3072
	s_waitcnt lgkmcnt(0)
	s_barrier
	v_cmp_neq_f64_e32 vcc, 0, v[3:4]
	s_cbranch_vccnz .LBB41_165
; %bb.160:                              ;   in Loop: Header=BB41_162 Depth=2
	v_add_u32_e32 v10, s40, v10
	v_cmp_le_i32_e32 vcc, s51, v10
	v_add_u32_e32 v7, s38, v7
	s_mov_b64 s[34:35], 0
	s_orn2_b64 s[36:37], vcc, exec
.LBB41_161:                             ;   in Loop: Header=BB41_162 Depth=2
	s_and_b64 s[36:37], exec, s[36:37]
	s_or_b64 s[84:85], s[36:37], s[84:85]
	s_andn2_b64 s[36:37], s[90:91], exec
	s_and_b64 s[34:35], s[34:35], exec
	s_or_b64 s[90:91], s[36:37], s[34:35]
	s_andn2_b64 exec, exec, s[84:85]
	s_cbranch_execz .LBB41_166
.LBB41_162:                             ;   Parent Loop BB41_7 Depth=1
                                        ; =>  This Inner Loop Header: Depth=2
	v_cmp_gt_i32_e32 vcc, s28, v10
	s_and_saveexec_b64 s[34:35], vcc
	s_cbranch_execz .LBB41_159
; %bb.163:                              ;   in Loop: Header=BB41_162 Depth=2
	v_ashrrev_i32_e32 v8, 31, v7
	v_lshlrev_b64 v[3:4], 3, v[7:8]
	v_mov_b32_e32 v1, s41
	v_add_co_u32_e32 v3, vcc, s30, v3
	v_addc_co_u32_e32 v4, vcc, v1, v4, vcc
	global_load_dwordx2 v[3:4], v[3:4], off
	s_waitcnt vmcnt(0)
	v_cmp_o_f64_e32 vcc, v[3:4], v[3:4]
	v_ashrrev_i32_e32 v1, 31, v4
	v_or_b32_e32 v5, 0x80000000, v1
	v_xor_b32_e32 v5, v5, v4
	v_xor_b32_e32 v1, v1, v3
	v_cndmask_b32_e32 v5, -1, v5, vcc
	v_cndmask_b32_e32 v1, -1, v1, vcc
	v_and_b32_e32 v6, v5, v21
	v_and_b32_e32 v5, v1, v20
	v_cmp_eq_u64_e32 vcc, v[5:6], v[18:19]
	s_and_b64 exec, exec, vcc
	s_cbranch_execz .LBB41_159
; %bb.164:                              ;   in Loop: Header=BB41_162 Depth=2
	v_mov_b32_e32 v1, v13
	ds_write_b128 v13, v[1:4] offset:3072
	s_branch .LBB41_159
.LBB41_165:                             ;   in Loop: Header=BB41_162 Depth=2
	s_mov_b64 s[36:37], -1
                                        ; implicit-def: $vgpr10
                                        ; implicit-def: $vgpr7
	s_mov_b64 s[34:35], -1
	s_branch .LBB41_161
.LBB41_166:                             ;   in Loop: Header=BB41_7 Depth=1
	s_or_b64 exec, exec, s[84:85]
	s_and_b64 s[84:85], s[90:91], exec
.LBB41_167:                             ;   in Loop: Header=BB41_7 Depth=1
	s_or_b64 exec, exec, s[88:89]
.LBB41_168:                             ;   in Loop: Header=BB41_7 Depth=1
	s_and_b64 vcc, exec, s[86:87]
	s_cbranch_vccz .LBB41_180
; %bb.169:                              ;   in Loop: Header=BB41_7 Depth=1
	v_readlane_b32 s8, v47, 19
	s_add_i32 s8, s93, s8
	s_abs_i32 s35, s8
	s_mul_hi_u32 s36, s35, s50
	s_mul_i32 s36, s36, s40
	s_sub_i32 s35, s35, s36
	s_ashr_i32 s34, s8, 31
	s_sub_i32 s36, s35, s40
	s_cmp_ge_u32 s35, s40
	s_cselect_b32 s35, s36, s35
	s_sub_i32 s36, s35, s40
	s_cmp_ge_u32 s35, s40
	s_cselect_b32 s35, s36, s35
	s_xor_b32 s35, s35, s34
	s_sub_i32 s34, s34, s35
	s_add_i32 s8, s8, s34
	v_cmp_gt_i32_e32 vcc, s8, v0
                                        ; implicit-def: $vgpr5_vgpr6
	s_and_saveexec_b64 s[76:77], vcc
	s_cbranch_execz .LBB41_179
; %bb.170:                              ;   in Loop: Header=BB41_7 Depth=1
	s_mov_b64 s[34:35], 0
	v_mov_b32_e32 v7, v28
	v_mov_b32_e32 v8, v0
                                        ; implicit-def: $sgpr78_sgpr79
	s_branch .LBB41_174
.LBB41_171:                             ;   in Loop: Header=BB41_174 Depth=2
	s_or_b64 exec, exec, s[36:37]
	s_waitcnt lgkmcnt(0)
	s_barrier
	ds_read_b128 v[3:6], v13 offset:3072
	s_waitcnt lgkmcnt(0)
	s_barrier
	v_cmp_eq_f64_e32 vcc, 0, v[3:4]
	s_cbranch_vccz .LBB41_177
; %bb.172:                              ;   in Loop: Header=BB41_174 Depth=2
	v_add_u32_e32 v8, s40, v8
	v_cmp_le_i32_e32 vcc, s8, v8
	v_add_u32_e32 v7, s16, v7
	s_mov_b64 s[36:37], 0
	s_orn2_b64 s[86:87], vcc, exec
.LBB41_173:                             ;   in Loop: Header=BB41_174 Depth=2
	s_and_b64 s[86:87], exec, s[86:87]
	s_or_b64 s[34:35], s[86:87], s[34:35]
	s_andn2_b64 s[78:79], s[78:79], exec
	s_and_b64 s[36:37], s[36:37], exec
	s_or_b64 s[78:79], s[78:79], s[36:37]
	s_andn2_b64 exec, exec, s[34:35]
	s_cbranch_execz .LBB41_178
.LBB41_174:                             ;   Parent Loop BB41_7 Depth=1
                                        ; =>  This Inner Loop Header: Depth=2
	v_cmp_gt_i32_e32 vcc, s93, v8
	s_and_saveexec_b64 s[36:37], vcc
	s_cbranch_execz .LBB41_171
; %bb.175:                              ;   in Loop: Header=BB41_174 Depth=2
	ds_read_b64 v[3:4], v7
	s_waitcnt lgkmcnt(0)
	v_cmp_o_f64_e32 vcc, v[3:4], v[3:4]
	v_ashrrev_i32_e32 v1, 31, v4
	v_or_b32_e32 v5, 0x80000000, v1
	v_xor_b32_e32 v5, v5, v4
	v_xor_b32_e32 v1, v1, v3
	v_cndmask_b32_e32 v5, -1, v5, vcc
	v_cndmask_b32_e32 v1, -1, v1, vcc
	v_and_b32_e32 v6, v5, v21
	v_and_b32_e32 v5, v1, v20
	v_cmp_eq_u64_e32 vcc, v[5:6], v[18:19]
	s_and_b64 exec, exec, vcc
	s_cbranch_execz .LBB41_171
; %bb.176:                              ;   in Loop: Header=BB41_174 Depth=2
	v_mov_b32_e32 v1, v13
	ds_write_b128 v13, v[1:4] offset:3072
	s_branch .LBB41_171
.LBB41_177:                             ;   in Loop: Header=BB41_174 Depth=2
	s_mov_b64 s[86:87], -1
                                        ; implicit-def: $vgpr8
                                        ; implicit-def: $vgpr7
	s_mov_b64 s[36:37], -1
	s_branch .LBB41_173
.LBB41_178:                             ;   in Loop: Header=BB41_7 Depth=1
	s_or_b64 exec, exec, s[34:35]
	s_andn2_b64 s[34:35], s[84:85], exec
	s_and_b64 s[36:37], s[78:79], exec
	s_or_b64 s[84:85], s[34:35], s[36:37]
.LBB41_179:                             ;   in Loop: Header=BB41_7 Depth=1
	s_or_b64 exec, exec, s[76:77]
	s_mov_b64 s[76:77], 0
	s_mov_b64 s[78:79], -1
.LBB41_180:                             ;   in Loop: Header=BB41_7 Depth=1
	s_orn2_b64 s[34:35], s[84:85], exec
.LBB41_181:                             ;   in Loop: Header=BB41_7 Depth=1
	s_or_b64 exec, exec, s[80:81]
	s_mov_b64 s[36:37], 0
	s_and_saveexec_b64 s[80:81], s[34:35]
	s_cbranch_execz .LBB41_233
; %bb.182:                              ;   in Loop: Header=BB41_7 Depth=1
	s_xor_b64 s[34:35], s[82:83], -1
	v_mov_b32_e32 v10, 1
	v_mov_b32_e32 v9, 1
	s_and_saveexec_b64 s[82:83], s[34:35]
	s_cbranch_execz .LBB41_191
; %bb.183:                              ;   in Loop: Header=BB41_7 Depth=1
	v_cmp_ge_i32_e32 vcc, s92, v22
	s_and_saveexec_b64 s[34:35], vcc
	s_xor_b64 s[34:35], exec, s[34:35]
	s_cbranch_execz .LBB41_188
; %bb.184:                              ;   in Loop: Header=BB41_7 Depth=1
	s_lshl_b64 s[36:37], 2, s17
	v_and_b32_e32 v1, s71, v19
	v_or_b32_e32 v19, s37, v1
	ds_read_b32 v1, v13 offset:4096
	v_and_b32_e32 v3, s70, v18
	v_or_b32_e32 v18, s36, v3
	v_or_b32_e32 v21, s7, v21
	;; [unrolled: 1-line block ×3, first 2 shown]
	s_waitcnt lgkmcnt(0)
	v_cmp_ne_u32_e32 vcc, 0, v1
	s_cbranch_vccnz .LBB41_188
; %bb.185:                              ;   in Loop: Header=BB41_7 Depth=1
	s_and_saveexec_b64 s[36:37], s[0:1]
; %bb.186:                              ;   in Loop: Header=BB41_7 Depth=1
	v_mov_b32_e32 v1, s92
	ds_write_b32 v13, v1 offset:4100
; %bb.187:                              ;   in Loop: Header=BB41_7 Depth=1
	s_or_b64 exec, exec, s[36:37]
	s_waitcnt lgkmcnt(0)
	s_barrier
.LBB41_188:                             ;   in Loop: Header=BB41_7 Depth=1
	s_or_saveexec_b64 s[34:35], s[34:35]
	s_mov_b64 s[36:37], 0
	v_mov_b32_e32 v9, 8
	s_xor_b64 exec, exec, s[34:35]
; %bb.189:                              ;   in Loop: Header=BB41_7 Depth=1
	v_subrev_u32_e32 v22, s92, v22
	v_mov_b32_e32 v9, 0
	s_mov_b64 s[36:37], exec
; %bb.190:                              ;   in Loop: Header=BB41_7 Depth=1
	s_or_b64 exec, exec, s[34:35]
	s_and_b64 s[36:37], s[36:37], exec
	v_mov_b32_e32 v10, v22
.LBB41_191:                             ;   in Loop: Header=BB41_7 Depth=1
	s_or_b64 exec, exec, s[82:83]
	s_mov_b64 s[34:35], -1
                                        ; implicit-def: $sgpr86_sgpr87
                                        ; implicit-def: $sgpr82_sgpr83
	s_and_saveexec_b64 s[70:71], s[36:37]
	s_cbranch_execz .LBB41_232
; %bb.192:                              ;   in Loop: Header=BB41_7 Depth=1
	s_cmp_eq_u32 s29, 1
	s_cselect_b64 s[34:35], -1, 0
	v_cmp_eq_u32_e32 vcc, 1, v10
	s_and_b64 s[84:85], s[34:35], vcc
	s_mov_b64 s[34:35], -1
                                        ; implicit-def: $sgpr86_sgpr87
                                        ; implicit-def: $sgpr82_sgpr83
	s_and_saveexec_b64 s[88:89], s[84:85]
	s_cbranch_execz .LBB41_220
; %bb.193:                              ;   in Loop: Header=BB41_7 Depth=1
	ds_read_b32 v1, v13 offset:4096
	s_waitcnt lgkmcnt(0)
	s_barrier
	v_readfirstlane_b32 s8, v1
	s_and_saveexec_b64 s[34:35], s[4:5]
; %bb.194:                              ;   in Loop: Header=BB41_7 Depth=1
	v_mov_b32_e32 v12, v13
	ds_write_b64 v29, v[12:13]
; %bb.195:                              ;   in Loop: Header=BB41_7 Depth=1
	s_or_b64 exec, exec, s[34:35]
	v_or_b32_e32 v19, s7, v19
	v_or_b32_e32 v18, s6, v18
	;; [unrolled: 1-line block ×4, first 2 shown]
	s_mov_b64 s[82:83], -1
	s_mov_b64 s[86:87], 0
	s_cmp_gt_i32 s8, 0
	s_mov_b64 s[90:91], 0
	s_mov_b64 s[92:93], -1
	s_waitcnt lgkmcnt(0)
	s_barrier
                                        ; implicit-def: $vgpr5_vgpr6
	s_cbranch_scc1 .LBB41_207
; %bb.196:                              ;   in Loop: Header=BB41_7 Depth=1
	s_mov_b64 s[92:93], 0
                                        ; implicit-def: $vgpr5_vgpr6
	s_mov_b64 s[94:95], exec
	v_readlane_b32 s34, v47, 29
	v_readlane_b32 s35, v47, 30
	s_and_b64 s[34:35], s[94:95], s[34:35]
	s_mov_b64 exec, s[34:35]
	s_cbranch_execz .LBB41_206
; %bb.197:                              ;   in Loop: Header=BB41_7 Depth=1
	v_mov_b32_e32 v7, v11
	v_mov_b32_e32 v12, v0
                                        ; implicit-def: $sgpr34_sgpr35
	s_branch .LBB41_201
.LBB41_198:                             ;   in Loop: Header=BB41_201 Depth=2
	s_or_b64 exec, exec, s[36:37]
	s_waitcnt lgkmcnt(0)
	s_barrier
	ds_read_b128 v[3:6], v13 offset:3072
	s_waitcnt lgkmcnt(0)
	s_barrier
	v_cmp_neq_f64_e32 vcc, 0, v[3:4]
	s_cbranch_vccnz .LBB41_204
; %bb.199:                              ;   in Loop: Header=BB41_201 Depth=2
	v_add_u32_e32 v12, s40, v12
	v_cmp_le_i32_e32 vcc, s51, v12
	v_add_u32_e32 v7, s38, v7
	s_mov_b64 s[36:37], 0
	s_orn2_b64 vcc, vcc, exec
.LBB41_200:                             ;   in Loop: Header=BB41_201 Depth=2
	s_and_b64 vcc, exec, vcc
	s_or_b64 s[90:91], vcc, s[90:91]
	s_andn2_b64 s[34:35], s[34:35], exec
	s_and_b64 s[36:37], s[36:37], exec
	s_or_b64 s[34:35], s[34:35], s[36:37]
	s_andn2_b64 exec, exec, s[90:91]
	s_cbranch_execz .LBB41_205
.LBB41_201:                             ;   Parent Loop BB41_7 Depth=1
                                        ; =>  This Inner Loop Header: Depth=2
	v_cmp_gt_i32_e32 vcc, s28, v12
	s_and_saveexec_b64 s[36:37], vcc
	s_cbranch_execz .LBB41_198
; %bb.202:                              ;   in Loop: Header=BB41_201 Depth=2
	v_ashrrev_i32_e32 v8, 31, v7
	v_lshlrev_b64 v[3:4], 3, v[7:8]
	v_mov_b32_e32 v1, s41
	v_add_co_u32_e32 v3, vcc, s30, v3
	v_addc_co_u32_e32 v4, vcc, v1, v4, vcc
	global_load_dwordx2 v[3:4], v[3:4], off
	s_waitcnt vmcnt(0)
	v_cmp_o_f64_e32 vcc, v[3:4], v[3:4]
	v_ashrrev_i32_e32 v1, 31, v4
	v_or_b32_e32 v5, 0x80000000, v1
	v_xor_b32_e32 v5, v5, v4
	v_xor_b32_e32 v1, v1, v3
	v_cndmask_b32_e32 v5, -1, v5, vcc
	v_cndmask_b32_e32 v1, -1, v1, vcc
	v_and_b32_e32 v6, v5, v21
	v_and_b32_e32 v5, v1, v20
	v_cmp_eq_u64_e32 vcc, v[5:6], v[18:19]
	s_and_b64 exec, exec, vcc
	s_cbranch_execz .LBB41_198
; %bb.203:                              ;   in Loop: Header=BB41_201 Depth=2
	v_mov_b32_e32 v1, v13
	ds_write_b128 v13, v[1:4] offset:3072
	s_branch .LBB41_198
.LBB41_204:                             ;   in Loop: Header=BB41_201 Depth=2
	s_mov_b64 vcc, -1
                                        ; implicit-def: $vgpr12
                                        ; implicit-def: $vgpr7
	s_mov_b64 s[36:37], -1
	s_branch .LBB41_200
.LBB41_205:                             ;   in Loop: Header=BB41_7 Depth=1
	s_or_b64 exec, exec, s[90:91]
	s_and_b64 s[90:91], s[34:35], exec
.LBB41_206:                             ;   in Loop: Header=BB41_7 Depth=1
	s_or_b64 exec, exec, s[94:95]
.LBB41_207:                             ;   in Loop: Header=BB41_7 Depth=1
	s_and_b64 vcc, exec, s[92:93]
	s_cbranch_vccz .LBB41_219
; %bb.208:                              ;   in Loop: Header=BB41_7 Depth=1
	v_readlane_b32 s34, v47, 19
	s_add_i32 s94, s8, s34
	s_abs_i32 s35, s94
	s_mul_hi_u32 s36, s35, s50
	s_mul_i32 s36, s36, s40
	s_sub_i32 s35, s35, s36
	s_ashr_i32 s34, s94, 31
	s_sub_i32 s36, s35, s40
	s_cmp_ge_u32 s35, s40
	s_cselect_b32 s35, s36, s35
	s_sub_i32 s36, s35, s40
	s_cmp_ge_u32 s35, s40
	s_cselect_b32 s35, s36, s35
	s_xor_b32 s35, s35, s34
	s_sub_i32 s34, s34, s35
	s_add_i32 s94, s94, s34
	v_cmp_gt_i32_e32 vcc, s94, v0
                                        ; implicit-def: $vgpr5_vgpr6
	s_and_saveexec_b64 s[82:83], vcc
	s_cbranch_execz .LBB41_218
; %bb.209:                              ;   in Loop: Header=BB41_7 Depth=1
	s_mov_b64 s[34:35], 0
	v_mov_b32_e32 v7, v28
	v_mov_b32_e32 v8, v0
                                        ; implicit-def: $sgpr86_sgpr87
	s_branch .LBB41_213
.LBB41_210:                             ;   in Loop: Header=BB41_213 Depth=2
	s_or_b64 exec, exec, s[36:37]
	s_waitcnt lgkmcnt(0)
	s_barrier
	ds_read_b128 v[3:6], v13 offset:3072
	s_waitcnt lgkmcnt(0)
	s_barrier
	v_cmp_eq_f64_e32 vcc, 0, v[3:4]
	s_cbranch_vccz .LBB41_216
; %bb.211:                              ;   in Loop: Header=BB41_213 Depth=2
	v_add_u32_e32 v8, s40, v8
	v_cmp_le_i32_e32 vcc, s94, v8
	v_add_u32_e32 v7, s16, v7
	s_mov_b64 s[36:37], 0
	s_orn2_b64 s[92:93], vcc, exec
.LBB41_212:                             ;   in Loop: Header=BB41_213 Depth=2
	s_and_b64 s[92:93], exec, s[92:93]
	s_or_b64 s[34:35], s[92:93], s[34:35]
	s_andn2_b64 s[86:87], s[86:87], exec
	s_and_b64 s[36:37], s[36:37], exec
	s_or_b64 s[86:87], s[86:87], s[36:37]
	s_andn2_b64 exec, exec, s[34:35]
	s_cbranch_execz .LBB41_217
.LBB41_213:                             ;   Parent Loop BB41_7 Depth=1
                                        ; =>  This Inner Loop Header: Depth=2
	v_cmp_gt_i32_e32 vcc, s8, v8
	s_and_saveexec_b64 s[36:37], vcc
	s_cbranch_execz .LBB41_210
; %bb.214:                              ;   in Loop: Header=BB41_213 Depth=2
	ds_read_b64 v[3:4], v7
	s_waitcnt lgkmcnt(0)
	v_cmp_o_f64_e32 vcc, v[3:4], v[3:4]
	v_ashrrev_i32_e32 v1, 31, v4
	v_or_b32_e32 v5, 0x80000000, v1
	v_xor_b32_e32 v5, v5, v4
	v_xor_b32_e32 v1, v1, v3
	v_cndmask_b32_e32 v5, -1, v5, vcc
	v_cndmask_b32_e32 v1, -1, v1, vcc
	v_and_b32_e32 v6, v5, v21
	v_and_b32_e32 v5, v1, v20
	v_cmp_eq_u64_e32 vcc, v[5:6], v[18:19]
	s_and_b64 exec, exec, vcc
	s_cbranch_execz .LBB41_210
; %bb.215:                              ;   in Loop: Header=BB41_213 Depth=2
	v_mov_b32_e32 v1, v13
	ds_write_b128 v13, v[1:4] offset:3072
	s_branch .LBB41_210
.LBB41_216:                             ;   in Loop: Header=BB41_213 Depth=2
	s_mov_b64 s[92:93], -1
                                        ; implicit-def: $vgpr8
                                        ; implicit-def: $vgpr7
	s_mov_b64 s[36:37], -1
	s_branch .LBB41_212
.LBB41_217:                             ;   in Loop: Header=BB41_7 Depth=1
	s_or_b64 exec, exec, s[34:35]
	s_andn2_b64 s[34:35], s[90:91], exec
	s_and_b64 s[36:37], s[86:87], exec
	s_or_b64 s[90:91], s[34:35], s[36:37]
.LBB41_218:                             ;   in Loop: Header=BB41_7 Depth=1
	s_or_b64 exec, exec, s[82:83]
	s_mov_b64 s[82:83], 0
	s_mov_b64 s[86:87], -1
.LBB41_219:                             ;   in Loop: Header=BB41_7 Depth=1
	s_orn2_b64 s[34:35], s[90:91], exec
.LBB41_220:                             ;   in Loop: Header=BB41_7 Depth=1
	s_or_b64 exec, exec, s[88:89]
	s_mov_b64 s[36:37], 0
	s_and_saveexec_b64 s[88:89], s[34:35]
	s_cbranch_execz .LBB41_231
; %bb.221:                              ;   in Loop: Header=BB41_7 Depth=1
	s_xor_b64 s[34:35], s[84:85], -1
	v_mov_b32_e32 v9, 1
	v_mov_b32_e32 v1, 1
	s_and_saveexec_b64 s[84:85], s[34:35]
	s_cbranch_execz .LBB41_230
; %bb.222:                              ;   in Loop: Header=BB41_7 Depth=1
	v_cmp_ge_i32_e32 vcc, s29, v10
	s_and_saveexec_b64 s[34:35], vcc
	s_xor_b64 s[34:35], exec, s[34:35]
	s_cbranch_execz .LBB41_227
; %bb.223:                              ;   in Loop: Header=BB41_7 Depth=1
	ds_read_b32 v1, v13 offset:4096
	v_or_b32_e32 v19, s7, v19
	v_or_b32_e32 v18, s6, v18
	;; [unrolled: 1-line block ×4, first 2 shown]
	s_waitcnt lgkmcnt(0)
	v_cmp_ne_u32_e32 vcc, 0, v1
	s_cbranch_vccnz .LBB41_227
; %bb.224:                              ;   in Loop: Header=BB41_7 Depth=1
	s_and_saveexec_b64 s[6:7], s[0:1]
; %bb.225:                              ;   in Loop: Header=BB41_7 Depth=1
	v_mov_b32_e32 v1, s29
	ds_write_b32 v13, v1 offset:4100
; %bb.226:                              ;   in Loop: Header=BB41_7 Depth=1
	s_or_b64 exec, exec, s[6:7]
	s_waitcnt lgkmcnt(0)
	s_barrier
.LBB41_227:                             ;   in Loop: Header=BB41_7 Depth=1
	s_andn2_saveexec_b64 s[6:7], s[34:35]
; %bb.228:                              ;   in Loop: Header=BB41_7 Depth=1
	v_subrev_u32_e32 v10, s29, v10
; %bb.229:                              ;   in Loop: Header=BB41_7 Depth=1
	s_or_b64 exec, exec, s[6:7]
	v_mov_b32_e32 v9, 8
	v_mov_b32_e32 v1, v10
.LBB41_230:                             ;   in Loop: Header=BB41_7 Depth=1
	s_or_b64 exec, exec, s[84:85]
	s_mov_b64 s[36:37], exec
	v_mov_b32_e32 v10, v1
.LBB41_231:                             ;   in Loop: Header=BB41_7 Depth=1
	s_or_b64 exec, exec, s[88:89]
	s_orn2_b64 s[34:35], s[36:37], exec
.LBB41_232:                             ;   in Loop: Header=BB41_7 Depth=1
	s_or_b64 exec, exec, s[70:71]
	s_andn2_b64 s[6:7], s[78:79], exec
	s_and_b64 s[36:37], s[86:87], exec
	s_or_b64 s[78:79], s[6:7], s[36:37]
	s_andn2_b64 s[6:7], s[76:77], exec
	s_and_b64 s[36:37], s[82:83], exec
	s_or_b64 s[76:77], s[6:7], s[36:37]
	s_and_b64 s[36:37], s[34:35], exec
	v_mov_b32_e32 v22, v10
.LBB41_233:                             ;   in Loop: Header=BB41_7 Depth=1
	s_or_b64 exec, exec, s[80:81]
	s_orn2_b64 s[34:35], s[36:37], exec
.LBB41_234:                             ;   in Loop: Header=BB41_7 Depth=1
	s_or_b64 exec, exec, s[74:75]
	s_andn2_b64 s[6:7], s[68:69], exec
	s_and_b64 s[36:37], s[78:79], exec
	s_or_b64 s[68:69], s[6:7], s[36:37]
	s_andn2_b64 s[6:7], s[26:27], exec
	s_and_b64 s[26:27], s[76:77], exec
	s_or_b64 s[26:27], s[6:7], s[26:27]
	s_and_b64 s[36:37], s[34:35], exec
	v_mov_b32_e32 v10, v22
.LBB41_235:                             ;   in Loop: Header=BB41_7 Depth=1
	s_or_b64 exec, exec, s[72:73]
	s_orn2_b64 s[34:35], s[36:37], exec
.LBB41_236:                             ;   in Loop: Header=BB41_7 Depth=1
	s_or_b64 exec, exec, s[22:23]
	s_mov_b64 s[22:23], 0
                                        ; implicit-def: $sgpr8
                                        ; implicit-def: $sgpr36
	s_and_saveexec_b64 s[6:7], s[34:35]
	s_xor_b64 s[6:7], exec, s[6:7]
	s_cbranch_execz .LBB41_5
; %bb.237:                              ;   in Loop: Header=BB41_7 Depth=1
	v_and_b32_e32 v1, 7, v9
	v_cmp_eq_u32_e32 vcc, 0, v1
	s_mov_b64 s[20:21], -1
	s_mov_b64 s[22:23], -1
                                        ; implicit-def: $sgpr8
                                        ; implicit-def: $sgpr36
	s_and_saveexec_b64 s[34:35], vcc
	s_cbranch_execz .LBB41_4
; %bb.238:                              ;   in Loop: Header=BB41_7 Depth=1
	s_xor_b32 s36, s33, 1
	s_add_i32 s8, s17, -2
	s_cmp_eq_u32 s17, 0
	s_cselect_b64 s[20:21], -1, 0
	s_xor_b64 s[22:23], exec, -1
	s_orn2_b64 s[20:21], s[20:21], exec
	s_branch .LBB41_4
.LBB41_239:
	s_or_b64 exec, exec, s[54:55]
	s_xor_b64 s[6:7], s[60:61], -1
	s_xor_b64 s[4:5], s[56:57], -1
	;; [unrolled: 1-line block ×3, first 2 shown]
	s_mov_b64 s[2:3], 0
	s_and_saveexec_b64 s[10:11], s[4:5]
	s_xor_b64 s[4:5], exec, s[10:11]
	s_cbranch_execnz .LBB41_244
; %bb.240:
	s_andn2_saveexec_b64 s[0:1], s[4:5]
	s_cbranch_execnz .LBB41_264
.LBB41_241:
	s_or_b64 exec, exec, s[0:1]
	s_and_saveexec_b64 s[0:1], s[2:3]
.LBB41_242:
	; divergent unreachable
.LBB41_243:
	s_endpgm
.LBB41_244:
	s_and_saveexec_b64 s[2:3], s[6:7]
	s_xor_b64 s[6:7], exec, s[2:3]
	s_cbranch_execz .LBB41_262
; %bb.245:
	s_and_saveexec_b64 s[2:3], s[8:9]
	s_xor_b64 s[2:3], exec, s[2:3]
; %bb.246:
	v_lshrrev_b32_e32 v1, 31, v19
	v_add_co_u32_e32 v1, vcc, -1, v1
	v_addc_co_u32_e64 v2, s[8:9], 0, -1, vcc
	v_or_b32_e32 v2, 0x80000000, v2
	v_xor_b32_e32 v6, v2, v19
	v_xor_b32_e32 v5, v1, v18
; %bb.247:
	s_or_b64 exec, exec, s[2:3]
	s_and_saveexec_b64 s[2:3], s[0:1]
	v_readlane_b32 s22, v47, 18
	v_readlane_b32 s23, v47, 14
	;; [unrolled: 1-line block ×3, first 2 shown]
; %bb.248:
	v_mov_b32_e32 v1, 0
	v_mov_b32_e32 v2, s28
	ds_write_b32 v1, v2 offset:4108
; %bb.249:
	s_or_b64 exec, exec, s[2:3]
	v_mov_b32_e32 v1, 0
	s_waitcnt lgkmcnt(0)
	s_barrier
	ds_read_b32 v1, v1 offset:4108
	s_waitcnt lgkmcnt(0)
	v_min_i32_e32 v1, s28, v1
	v_cmp_lt_i32_e32 vcc, v0, v1
	s_and_saveexec_b64 s[8:9], vcc
	s_cbranch_execz .LBB41_259
; %bb.250:
	v_cmp_u_f64_e32 vcc, v[5:6], v[5:6]
	s_mov_b64 s[10:11], 0
	v_mov_b32_e32 v3, s41
                                        ; implicit-def: $sgpr12_sgpr13
                                        ; implicit-def: $sgpr18_sgpr19
                                        ; implicit-def: $sgpr16_sgpr17
	s_xor_b64 s[14:15], vcc, -1
	s_branch .LBB41_252
.LBB41_251:                             ;   in Loop: Header=BB41_252 Depth=1
	s_or_b64 exec, exec, s[2:3]
	s_and_b64 s[2:3], exec, s[18:19]
	s_or_b64 s[10:11], s[2:3], s[10:11]
	s_andn2_b64 s[2:3], s[12:13], exec
	s_and_b64 s[12:13], s[16:17], exec
	s_or_b64 s[12:13], s[2:3], s[12:13]
	s_andn2_b64 exec, exec, s[10:11]
	s_cbranch_execz .LBB41_254
.LBB41_252:                             ; =>This Inner Loop Header: Depth=1
	v_ashrrev_i32_e32 v12, 31, v11
	v_lshlrev_b64 v[7:8], 3, v[11:12]
	v_mov_b32_e32 v2, v0
	v_add_co_u32_e32 v7, vcc, s30, v7
	v_addc_co_u32_e32 v8, vcc, v3, v8, vcc
	global_load_dwordx2 v[7:8], v[7:8], off
	s_or_b64 s[16:17], s[16:17], exec
	s_or_b64 s[18:19], s[18:19], exec
                                        ; implicit-def: $vgpr0
	s_waitcnt vmcnt(0)
	v_cmp_o_f64_e32 vcc, v[7:8], v[7:8]
	v_cmp_neq_f64_e64 s[2:3], v[7:8], v[5:6]
	s_or_b64 s[20:21], vcc, s[14:15]
	s_and_b64 s[20:21], s[2:3], s[20:21]
	s_and_saveexec_b64 s[2:3], s[20:21]
	s_cbranch_execz .LBB41_251
; %bb.253:                              ;   in Loop: Header=BB41_252 Depth=1
	v_add_u32_e32 v0, s40, v2
	v_cmp_ge_i32_e32 vcc, v0, v1
	s_andn2_b64 s[18:19], s[18:19], exec
	s_and_b64 s[20:21], vcc, exec
	v_add_u32_e32 v11, s38, v11
	s_andn2_b64 s[16:17], s[16:17], exec
	s_or_b64 s[18:19], s[18:19], s[20:21]
	s_branch .LBB41_251
.LBB41_254:
	s_or_b64 exec, exec, s[10:11]
	s_and_saveexec_b64 s[2:3], s[12:13]
	s_xor_b64 s[2:3], exec, s[2:3]
	s_cbranch_execz .LBB41_259
; %bb.255:
	s_mov_b64 s[2:3], exec
	s_brev_b32 s10, -2
.LBB41_256:                             ; =>This Inner Loop Header: Depth=1
	s_ff1_i32_b64 s11, s[2:3]
	v_readlane_b32 s14, v2, s11
	s_lshl_b64 s[12:13], 1, s11
	s_min_i32 s10, s10, s14
	s_andn2_b64 s[2:3], s[2:3], s[12:13]
	s_cmp_lg_u64 s[2:3], 0
	s_cbranch_scc1 .LBB41_256
; %bb.257:
	v_mbcnt_lo_u32_b32 v0, exec_lo, 0
	v_mbcnt_hi_u32_b32 v0, exec_hi, v0
	v_cmp_eq_u32_e32 vcc, 0, v0
	s_and_saveexec_b64 s[2:3], vcc
	s_xor_b64 s[2:3], exec, s[2:3]
; %bb.258:
	v_mov_b32_e32 v0, 0
	v_mov_b32_e32 v1, s10
	ds_min_i32 v0, v1 offset:4108
.LBB41_259:
	s_or_b64 exec, exec, s[8:9]
	s_waitcnt lgkmcnt(0)
	s_barrier
	s_and_saveexec_b64 s[2:3], s[0:1]
	s_cbranch_execz .LBB41_261
; %bb.260:
	v_readlane_b32 s11, v47, 8
	v_readlane_b32 s12, v47, 9
	s_mul_i32 s1, s12, s11
	v_readlane_b32 s10, v47, 17
	v_readlane_b32 s0, v47, 13
	s_sub_i32 s1, s10, s1
	s_xor_b32 s0, s24, s0
	s_add_i32 s8, s12, 1
	s_sub_i32 s9, s1, s11
	s_cmp_ge_u32 s1, s11
	s_cselect_b32 s8, s8, s12
	s_cselect_b32 s1, s9, s1
	s_add_i32 s9, s8, 1
	s_cmp_ge_u32 s1, s11
	s_cselect_b32 s1, s9, s8
	s_xor_b32 s1, s1, s0
	s_sub_i32 s0, s1, s0
	v_readlane_b32 s1, v47, 12
	s_mul_i32 s1, s0, s1
	v_readlane_b32 s8, v47, 6
	s_sub_i32 s1, s22, s1
	v_readlane_b32 s9, v47, 7
	v_readlane_b32 s11, v47, 10
	;; [unrolled: 1-line block ×3, first 2 shown]
	s_mul_i32 s1, s1, s9
	s_mul_i32 s0, s0, s8
	;; [unrolled: 1-line block ×3, first 2 shown]
	s_add_i32 s0, s0, s1
	v_readlane_b32 s1, v47, 15
	s_sub_i32 s8, s10, s8
	s_xor_b32 s1, s24, s1
	s_add_i32 s9, s12, 1
	s_sub_i32 s10, s8, s11
	s_cmp_ge_u32 s8, s11
	s_cselect_b32 s9, s9, s12
	s_cselect_b32 s8, s10, s8
	s_add_i32 s10, s9, 1
	s_cmp_ge_u32 s8, s11
	s_cselect_b32 s8, s10, s9
	s_xor_b32 s8, s8, s1
	s_sub_i32 s1, s8, s1
	s_mul_i32 s8, s1, s23
	v_readlane_b32 s10, v47, 2
	s_sub_i32 s8, s22, s8
	v_readlane_b32 s11, v47, 3
	s_mul_i32 s8, s8, s11
	s_mul_i32 s1, s1, s10
	s_add_i32 s8, s1, s8
	s_ashr_i32 s1, s0, 31
	v_mov_b32_e32 v2, 0
	s_lshl_b64 s[0:1], s[0:1], 3
	v_readlane_b32 s10, v47, 0
	ds_read_b32 v0, v2 offset:4108
	v_readlane_b32 s11, v47, 1
	s_add_u32 s0, s10, s0
	s_addc_u32 s1, s11, s1
	s_ashr_i32 s9, s8, 31
	s_lshl_b64 s[8:9], s[8:9], 3
	v_readlane_b32 s10, v47, 4
	v_readlane_b32 s11, v47, 5
	s_add_u32 s8, s10, s8
	s_addc_u32 s9, s11, s9
	s_waitcnt lgkmcnt(0)
	v_ashrrev_i32_e32 v1, 31, v0
	global_store_dwordx2 v2, v[0:1], s[8:9]
	global_store_dwordx2 v2, v[5:6], s[0:1]
.LBB41_261:
	s_or_b64 exec, exec, s[2:3]
.LBB41_262:
	s_or_saveexec_b64 s[0:1], s[6:7]
	s_mov_b64 s[2:3], 0
	s_xor_b64 exec, exec, s[0:1]
	s_cbranch_execnz .LBB41_265
.LBB41_263:
	s_or_b64 exec, exec, s[0:1]
	s_and_b64 s[2:3], s[2:3], exec
	s_andn2_saveexec_b64 s[0:1], s[4:5]
	s_cbranch_execz .LBB41_241
.LBB41_264:
	s_or_b64 s[2:3], s[2:3], exec
	s_trap 2
	s_or_b64 exec, exec, s[0:1]
	s_and_saveexec_b64 s[0:1], s[2:3]
	s_cbranch_execnz .LBB41_242
	s_branch .LBB41_243
.LBB41_265:
	s_mov_b64 s[2:3], exec
	s_trap 2
	s_branch .LBB41_263
	.section	.rodata,"a",@progbits
	.p2align	6, 0x0
	.amdhsa_kernel _ZN2at6native12_GLOBAL__N_114gatherKthValueIdiLi2EEEvNS_4cuda6detail10TensorInfoIKT_T0_EES8_S8_S8_S8_NS5_IS6_S8_EENS5_IlS8_EE
		.amdhsa_group_segment_fixed_size 4112
		.amdhsa_private_segment_fixed_size 0
		.amdhsa_kernarg_size 920
		.amdhsa_user_sgpr_count 6
		.amdhsa_user_sgpr_private_segment_buffer 1
		.amdhsa_user_sgpr_dispatch_ptr 0
		.amdhsa_user_sgpr_queue_ptr 0
		.amdhsa_user_sgpr_kernarg_segment_ptr 1
		.amdhsa_user_sgpr_dispatch_id 0
		.amdhsa_user_sgpr_flat_scratch_init 0
		.amdhsa_user_sgpr_private_segment_size 0
		.amdhsa_uses_dynamic_stack 0
		.amdhsa_system_sgpr_private_segment_wavefront_offset 0
		.amdhsa_system_sgpr_workgroup_id_x 1
		.amdhsa_system_sgpr_workgroup_id_y 1
		.amdhsa_system_sgpr_workgroup_id_z 1
		.amdhsa_system_sgpr_workgroup_info 0
		.amdhsa_system_vgpr_workitem_id 0
		.amdhsa_next_free_vgpr 48
		.amdhsa_next_free_sgpr 96
		.amdhsa_reserve_vcc 1
		.amdhsa_reserve_flat_scratch 0
		.amdhsa_float_round_mode_32 0
		.amdhsa_float_round_mode_16_64 0
		.amdhsa_float_denorm_mode_32 3
		.amdhsa_float_denorm_mode_16_64 3
		.amdhsa_dx10_clamp 1
		.amdhsa_ieee_mode 1
		.amdhsa_fp16_overflow 0
		.amdhsa_exception_fp_ieee_invalid_op 0
		.amdhsa_exception_fp_denorm_src 0
		.amdhsa_exception_fp_ieee_div_zero 0
		.amdhsa_exception_fp_ieee_overflow 0
		.amdhsa_exception_fp_ieee_underflow 0
		.amdhsa_exception_fp_ieee_inexact 0
		.amdhsa_exception_int_div_zero 0
	.end_amdhsa_kernel
	.section	.text._ZN2at6native12_GLOBAL__N_114gatherKthValueIdiLi2EEEvNS_4cuda6detail10TensorInfoIKT_T0_EES8_S8_S8_S8_NS5_IS6_S8_EENS5_IlS8_EE,"axG",@progbits,_ZN2at6native12_GLOBAL__N_114gatherKthValueIdiLi2EEEvNS_4cuda6detail10TensorInfoIKT_T0_EES8_S8_S8_S8_NS5_IS6_S8_EENS5_IlS8_EE,comdat
.Lfunc_end41:
	.size	_ZN2at6native12_GLOBAL__N_114gatherKthValueIdiLi2EEEvNS_4cuda6detail10TensorInfoIKT_T0_EES8_S8_S8_S8_NS5_IS6_S8_EENS5_IlS8_EE, .Lfunc_end41-_ZN2at6native12_GLOBAL__N_114gatherKthValueIdiLi2EEEvNS_4cuda6detail10TensorInfoIKT_T0_EES8_S8_S8_S8_NS5_IS6_S8_EENS5_IlS8_EE
                                        ; -- End function
	.set _ZN2at6native12_GLOBAL__N_114gatherKthValueIdiLi2EEEvNS_4cuda6detail10TensorInfoIKT_T0_EES8_S8_S8_S8_NS5_IS6_S8_EENS5_IlS8_EE.num_vgpr, 48
	.set _ZN2at6native12_GLOBAL__N_114gatherKthValueIdiLi2EEEvNS_4cuda6detail10TensorInfoIKT_T0_EES8_S8_S8_S8_NS5_IS6_S8_EENS5_IlS8_EE.num_agpr, 0
	.set _ZN2at6native12_GLOBAL__N_114gatherKthValueIdiLi2EEEvNS_4cuda6detail10TensorInfoIKT_T0_EES8_S8_S8_S8_NS5_IS6_S8_EENS5_IlS8_EE.numbered_sgpr, 96
	.set _ZN2at6native12_GLOBAL__N_114gatherKthValueIdiLi2EEEvNS_4cuda6detail10TensorInfoIKT_T0_EES8_S8_S8_S8_NS5_IS6_S8_EENS5_IlS8_EE.num_named_barrier, 0
	.set _ZN2at6native12_GLOBAL__N_114gatherKthValueIdiLi2EEEvNS_4cuda6detail10TensorInfoIKT_T0_EES8_S8_S8_S8_NS5_IS6_S8_EENS5_IlS8_EE.private_seg_size, 0
	.set _ZN2at6native12_GLOBAL__N_114gatherKthValueIdiLi2EEEvNS_4cuda6detail10TensorInfoIKT_T0_EES8_S8_S8_S8_NS5_IS6_S8_EENS5_IlS8_EE.uses_vcc, 1
	.set _ZN2at6native12_GLOBAL__N_114gatherKthValueIdiLi2EEEvNS_4cuda6detail10TensorInfoIKT_T0_EES8_S8_S8_S8_NS5_IS6_S8_EENS5_IlS8_EE.uses_flat_scratch, 0
	.set _ZN2at6native12_GLOBAL__N_114gatherKthValueIdiLi2EEEvNS_4cuda6detail10TensorInfoIKT_T0_EES8_S8_S8_S8_NS5_IS6_S8_EENS5_IlS8_EE.has_dyn_sized_stack, 0
	.set _ZN2at6native12_GLOBAL__N_114gatherKthValueIdiLi2EEEvNS_4cuda6detail10TensorInfoIKT_T0_EES8_S8_S8_S8_NS5_IS6_S8_EENS5_IlS8_EE.has_recursion, 0
	.set _ZN2at6native12_GLOBAL__N_114gatherKthValueIdiLi2EEEvNS_4cuda6detail10TensorInfoIKT_T0_EES8_S8_S8_S8_NS5_IS6_S8_EENS5_IlS8_EE.has_indirect_call, 0
	.section	.AMDGPU.csdata,"",@progbits
; Kernel info:
; codeLenInByte = 10036
; TotalNumSgprs: 100
; NumVgprs: 48
; ScratchSize: 0
; MemoryBound: 0
; FloatMode: 240
; IeeeMode: 1
; LDSByteSize: 4112 bytes/workgroup (compile time only)
; SGPRBlocks: 12
; VGPRBlocks: 11
; NumSGPRsForWavesPerEU: 100
; NumVGPRsForWavesPerEU: 48
; Occupancy: 5
; WaveLimiterHint : 1
; COMPUTE_PGM_RSRC2:SCRATCH_EN: 0
; COMPUTE_PGM_RSRC2:USER_SGPR: 6
; COMPUTE_PGM_RSRC2:TRAP_HANDLER: 0
; COMPUTE_PGM_RSRC2:TGID_X_EN: 1
; COMPUTE_PGM_RSRC2:TGID_Y_EN: 1
; COMPUTE_PGM_RSRC2:TGID_Z_EN: 1
; COMPUTE_PGM_RSRC2:TIDIG_COMP_CNT: 0
	.section	.text._ZN2at6native12_GLOBAL__N_114gatherKthValueIdiLi3EEEvNS_4cuda6detail10TensorInfoIKT_T0_EES8_S8_S8_S8_NS5_IS6_S8_EENS5_IlS8_EE,"axG",@progbits,_ZN2at6native12_GLOBAL__N_114gatherKthValueIdiLi3EEEvNS_4cuda6detail10TensorInfoIKT_T0_EES8_S8_S8_S8_NS5_IS6_S8_EENS5_IlS8_EE,comdat
	.globl	_ZN2at6native12_GLOBAL__N_114gatherKthValueIdiLi3EEEvNS_4cuda6detail10TensorInfoIKT_T0_EES8_S8_S8_S8_NS5_IS6_S8_EENS5_IlS8_EE ; -- Begin function _ZN2at6native12_GLOBAL__N_114gatherKthValueIdiLi3EEEvNS_4cuda6detail10TensorInfoIKT_T0_EES8_S8_S8_S8_NS5_IS6_S8_EENS5_IlS8_EE
	.p2align	8
	.type	_ZN2at6native12_GLOBAL__N_114gatherKthValueIdiLi3EEEvNS_4cuda6detail10TensorInfoIKT_T0_EES8_S8_S8_S8_NS5_IS6_S8_EENS5_IlS8_EE,@function
_ZN2at6native12_GLOBAL__N_114gatherKthValueIdiLi3EEEvNS_4cuda6detail10TensorInfoIKT_T0_EES8_S8_S8_S8_NS5_IS6_S8_EENS5_IlS8_EE: ; @_ZN2at6native12_GLOBAL__N_114gatherKthValueIdiLi3EEEvNS_4cuda6detail10TensorInfoIKT_T0_EES8_S8_S8_S8_NS5_IS6_S8_EENS5_IlS8_EE
; %bb.0:
	s_load_dwordx2 s[14:15], s[4:5], 0x298
	s_load_dwordx4 s[40:43], s[4:5], 0xd8
	s_add_u32 s12, s4, 0x298
	s_addc_u32 s13, s5, 0
	s_waitcnt lgkmcnt(0)
	s_mul_i32 s0, s15, s8
	s_add_i32 s0, s0, s7
	s_mul_i32 s0, s0, s14
	s_add_i32 s24, s0, s6
	s_cmp_ge_i32 s24, s42
	s_cbranch_scc1 .LBB42_243
; %bb.1:
	s_load_dwordx2 s[2:3], s[4:5], 0xc
	s_load_dwordx2 s[26:27], s[4:5], 0xf4
	s_ashr_i32 s1, s24, 31
	s_abs_i32 s8, s24
	s_load_dwordx4 s[28:31], s[4:5], 0x154
	s_waitcnt lgkmcnt(0)
	s_abs_i32 s0, s3
	v_cvt_f32_u32_e32 v1, s0
	s_ashr_i32 s7, s3, 31
	s_xor_b32 s9, s1, s7
	s_sub_i32 s7, 0, s0
	v_rcp_iflag_f32_e32 v1, v1
                                        ; implicit-def: $vgpr47 : SGPR spill to VGPR lane
                                        ; kill: killed $sgpr4 killed $sgpr5
	s_mov_b32 s54, 0
	v_writelane_b32 v47, s28, 0
	v_writelane_b32 v47, s29, 1
	v_mul_f32_e32 v1, 0x4f7ffffe, v1
	v_cvt_u32_f32_e32 v1, v1
	v_writelane_b32 v47, s30, 2
	v_writelane_b32 v47, s31, 3
	v_readfirstlane_b32 s10, v1
	s_mul_i32 s7, s7, s10
	s_mul_hi_u32 s7, s10, s7
	s_add_i32 s10, s10, s7
	s_mul_hi_u32 s7, s8, s10
	s_mul_i32 s10, s7, s0
	s_sub_i32 s10, s8, s10
	s_add_i32 s11, s7, 1
	s_sub_i32 s15, s10, s0
	s_cmp_ge_u32 s10, s0
	s_cselect_b32 s7, s11, s7
	s_cselect_b32 s10, s15, s10
	s_add_i32 s11, s7, 1
	s_cmp_ge_u32 s10, s0
	s_cselect_b32 s0, s11, s7
	s_abs_i32 s7, s2
	v_cvt_f32_u32_e32 v1, s7
	s_abs_i32 s11, s27
	v_cvt_f32_u32_e32 v2, s11
	s_xor_b32 s0, s0, s9
	v_rcp_iflag_f32_e32 v1, v1
	s_sub_i32 s16, 0, s7
	v_rcp_iflag_f32_e32 v2, v2
	s_sub_i32 s18, s0, s9
	v_mul_f32_e32 v1, 0x4f7ffffe, v1
	v_cvt_u32_f32_e32 v1, v1
	v_mul_f32_e32 v2, 0x4f7ffffe, v2
	v_cvt_u32_f32_e32 v2, v2
	s_ashr_i32 s10, s27, 31
	v_readfirstlane_b32 s0, v1
	s_mul_i32 s16, s16, s0
	s_mul_hi_u32 s9, s0, s16
	s_add_i32 s0, s0, s9
	s_sub_i32 s9, 0, s11
	v_readfirstlane_b32 s16, v2
	s_mul_i32 s9, s9, s16
	s_mul_hi_u32 s9, s16, s9
	s_add_i32 s16, s16, s9
	s_mul_hi_u32 s9, s8, s16
	s_mul_i32 s16, s9, s11
	s_sub_i32 s16, s8, s16
	s_ashr_i32 s15, s2, 31
	s_xor_b32 s10, s1, s10
	s_ashr_i32 s19, s18, 31
	s_abs_i32 s20, s18
	s_add_i32 s17, s9, 1
	s_sub_i32 s21, s16, s11
	s_cmp_ge_u32 s16, s11
	s_cselect_b32 s9, s17, s9
	s_cselect_b32 s16, s21, s16
	s_add_i32 s17, s9, 1
	s_cmp_ge_u32 s16, s11
	s_cselect_b32 s9, s17, s9
	s_load_dwordx2 s[16:17], s[4:5], 0x0
	s_load_dwordx4 s[28:31], s[4:5], 0x22c
	s_abs_i32 s11, s26
	v_cvt_f32_u32_e32 v1, s11
	s_xor_b32 s9, s9, s10
	s_sub_i32 s25, s9, s10
	s_waitcnt lgkmcnt(0)
	v_writelane_b32 v47, s28, 4
	v_writelane_b32 v47, s29, 5
	;; [unrolled: 1-line block ×4, first 2 shown]
	v_rcp_iflag_f32_e32 v1, v1
	s_load_dwordx2 s[28:29], s[4:5], 0x1cc
	s_load_dwordx2 s[22:23], s[4:5], 0x1c0
	s_sub_i32 s10, 0, s11
	v_mul_f32_e32 v1, 0x4f7ffffe, v1
	s_waitcnt lgkmcnt(0)
	s_abs_i32 s9, s29
	v_cvt_u32_f32_e32 v1, v1
	v_cvt_f32_u32_e32 v2, s9
	v_writelane_b32 v47, s22, 8
	v_writelane_b32 v47, s23, 9
	;; [unrolled: 1-line block ×3, first 2 shown]
	v_readfirstlane_b32 s11, v1
	v_rcp_iflag_f32_e32 v1, v2
	s_mul_i32 s10, s10, s11
	s_mul_hi_u32 s10, s11, s10
	s_add_i32 s21, s11, s10
	v_mul_f32_e32 v1, 0x4f7ffffe, v1
	v_cvt_u32_f32_e32 v1, v1
	s_ashr_i32 s10, s29, 31
	s_xor_b32 s1, s1, s10
	s_sub_i32 s10, 0, s9
	v_readfirstlane_b32 s11, v1
	s_mul_i32 s10, s10, s11
	s_mul_hi_u32 s10, s11, s10
	s_add_i32 s11, s11, s10
	s_mul_hi_u32 s10, s8, s11
	s_mul_i32 s11, s10, s9
	s_sub_i32 s8, s8, s11
	s_abs_i32 s23, s25
	s_add_i32 s11, s10, 1
	s_sub_i32 s22, s8, s9
	s_cmp_ge_u32 s8, s9
	s_cselect_b32 s10, s11, s10
	s_cselect_b32 s8, s22, s8
	s_add_i32 s11, s10, 1
	s_cmp_ge_u32 s8, s9
	s_cselect_b32 s22, s11, s10
	s_abs_i32 s30, s28
	v_cvt_f32_u32_e32 v1, s30
	s_load_dwordx2 s[8:9], s[4:5], 0xe8
	v_rcp_iflag_f32_e32 v1, v1
	s_waitcnt lgkmcnt(0)
	v_writelane_b32 v47, s8, 11
	v_writelane_b32 v47, s9, 12
	v_mul_f32_e32 v1, 0x4f7ffffe, v1
	v_cvt_u32_f32_e32 v1, v1
	s_load_dwordx4 s[8:11], s[4:5], 0x6c
	s_waitcnt lgkmcnt(0)
	s_mul_hi_u32 s11, s20, s0
	v_writelane_b32 v47, s23, 13
	s_mul_hi_u32 s0, s23, s21
	v_writelane_b32 v47, s0, 14
	s_xor_b32 s0, s22, s1
	s_sub_i32 s21, s0, s1
	s_sub_i32 s0, 0, s30
	v_readfirstlane_b32 s1, v1
	s_mul_i32 s0, s0, s1
	s_mul_hi_u32 s0, s1, s0
	s_abs_i32 s4, s21
	v_writelane_b32 v47, s30, 15
	s_add_i32 s1, s1, s0
	v_writelane_b32 v47, s4, 16
	s_mul_hi_u32 s0, s4, s1
	v_writelane_b32 v47, s0, 17
	v_cmp_eq_u32_e64 s[0:1], 0, v0
	s_and_saveexec_b64 s[4:5], s[0:1]
; %bb.2:
	v_mov_b32_e32 v1, 0
	v_mov_b32_e32 v2, s40
	;; [unrolled: 1-line block ×3, first 2 shown]
	ds_write_b96 v1, v[1:3] offset:4096
; %bb.3:
	s_or_b64 exec, exec, s[4:5]
	v_writelane_b32 v47, s25, 18
	s_ashr_i32 s4, s25, 31
	v_writelane_b32 v47, s4, 19
	v_writelane_b32 v47, s26, 20
	;; [unrolled: 1-line block ×3, first 2 shown]
	s_ashr_i32 s4, s26, 31
	v_writelane_b32 v47, s4, 22
	v_writelane_b32 v47, s21, 23
	s_ashr_i32 s4, s21, 31
	v_writelane_b32 v47, s4, 24
	v_writelane_b32 v47, s28, 25
	s_mul_i32 s3, s18, s3
	s_mul_i32 s5, s11, s7
	v_writelane_b32 v47, s29, 26
	s_ashr_i32 s4, s28, 31
	s_sub_i32 s3, s24, s3
	s_sub_i32 s5, s20, s5
	v_writelane_b32 v47, s4, 27
	s_mul_i32 s3, s3, s10
	s_xor_b32 s4, s19, s15
	s_add_i32 s10, s11, 1
	s_sub_i32 s15, s5, s7
	s_cmp_ge_u32 s5, s7
	s_cselect_b32 s10, s10, s11
	s_cselect_b32 s5, s15, s5
	s_add_i32 s11, s10, 1
	s_cmp_ge_u32 s5, s7
	s_cselect_b32 s5, s11, s10
	s_xor_b32 s5, s5, s4
	s_sub_i32 s4, s5, s4
	s_mul_i32 s2, s4, s2
	s_sub_i32 s2, s18, s2
	s_mul_i32 s2, s2, s9
	s_add_i32 s2, s2, s3
	s_mul_i32 s4, s4, s8
	s_add_i32 s2, s2, s4
	s_waitcnt lgkmcnt(0)
	s_barrier
	s_load_dword s4, s[12:13], 0xc
	v_mul_lo_u32 v11, s43, v0
	s_ashr_i32 s3, s2, 31
	v_mov_b32_e32 v13, 0
	s_lshl_b64 s[2:3], s[2:3], 3
	v_mbcnt_lo_u32_b32 v1, -1, 0
	v_mov_b32_e32 v12, v13
	s_add_u32 s42, s16, s2
	v_mbcnt_hi_u32_b32 v27, -1, v1
	v_lshlrev_b64 v[1:2], 3, v[11:12]
	s_addc_u32 s27, s17, s3
	s_waitcnt lgkmcnt(0)
	s_and_b32 s26, s4, 0xffff
	s_bfe_u32 s7, s4, 0xa0006
	v_cmp_gt_u32_e32 vcc, 64, v0
	v_cmp_gt_i32_e64 s[4:5], 4, v27
	s_and_b64 s[48:49], vcc, s[4:5]
	v_mov_b32_e32 v3, s27
	v_add_co_u32_e32 v14, vcc, s42, v1
	v_addc_co_u32_e32 v15, vcc, v3, v2, vcc
	v_lshlrev_b64 v[2:3], v27, -1
	s_add_i32 s8, s26, -1
	s_lshl_b32 s45, s26, 2
	s_add_i32 s57, s8, s40
	v_not_b32_e32 v32, v2
	v_lshrrev_b32_e32 v2, 2, v0
	s_cmpk_gt_i32 s40, 0x180
	v_and_b32_e32 v2, 0xf0, v2
	v_writelane_b32 v47, s24, 28
	s_cselect_b64 s[50:51], -1, 0
	s_cmp_gt_u32 s26, 63
	v_or_b32_e32 v33, 0xc00, v2
	v_cvt_f32_u32_e32 v2, s45
	v_writelane_b32 v47, s8, 29
	v_cmp_gt_i32_e64 s[8:9], s40, v0
	s_cselect_b64 s[52:53], -1, 0
	s_cmp_lt_u32 s6, s14
	v_writelane_b32 v47, s8, 30
	s_cselect_b32 s6, 12, 18
	v_writelane_b32 v47, s9, 31
	s_add_u32 s8, s12, s6
	s_addc_u32 s9, s13, 0
	v_rcp_iflag_f32_e32 v2, v2
	v_writelane_b32 v47, s8, 32
	s_add_i32 s6, s7, -1
	v_writelane_b32 v47, s9, 33
	s_bfe_u32 s8, s26, 0x30006
	s_and_b32 s6, s6, 0xffff
	s_cmp_gt_u32 s6, 6
	s_cselect_b64 s[10:11], -1, 0
	v_mul_f32_e32 v2, 0x4f7ffffe, v2
	v_writelane_b32 v47, s10, 34
	s_and_b32 s55, s7, 0x3f8
	v_cvt_u32_f32_e32 v2, v2
	v_writelane_b32 v47, s11, 35
	s_cmp_lg_u32 s8, 0
	v_writelane_b32 v47, s8, 36
	s_cselect_b64 s[6:7], -1, 0
	v_writelane_b32 v47, s6, 37
	v_writelane_b32 v47, s7, 38
	s_sub_i32 s6, 0, s45
	v_readfirstlane_b32 s7, v2
	s_mul_i32 s6, s6, s7
	s_mul_hi_u32 s6, s7, s6
	s_add_i32 s8, s7, s6
	s_mul_hi_u32 s6, s40, s8
	s_mul_i32 s6, s6, s45
	s_sub_i32 s6, s40, s6
	s_sub_i32 s7, s6, s45
	s_cmp_ge_u32 s6, s45
	s_cselect_b32 s6, s7, s6
	s_sub_i32 s7, s6, s45
	s_cmp_ge_u32 s6, s45
	s_cselect_b32 s6, s7, s6
	s_sub_i32 s9, s40, s6
	v_add_u32_e32 v34, s9, v0
	v_cvt_f32_u32_e32 v4, s26
	v_mul_lo_u32 v2, v34, s43
	v_not_b32_e32 v31, v3
	s_sub_i32 s17, 0, s26
	v_rcp_iflag_f32_e32 v4, v4
	v_ashrrev_i32_e32 v3, 31, v2
	v_lshlrev_b64 v[2:3], 3, v[2:3]
	s_abs_i32 s16, s57
	v_add_co_u32_e32 v16, vcc, s42, v2
	v_mul_f32_e32 v2, 0x4f7ffffe, v4
	v_cvt_u32_f32_e32 v2, v2
	s_ashr_i32 s7, s57, 31
	v_lshlrev_b32_e32 v26, 2, v0
	v_mov_b32_e32 v5, s27
	v_readfirstlane_b32 s18, v2
	s_mul_i32 s17, s17, s18
	s_mul_hi_u32 s17, s18, s17
	s_add_i32 s56, s18, s17
	s_mul_hi_u32 s17, s16, s56
	s_mul_i32 s17, s17, s26
	s_sub_i32 s16, s16, s17
	s_sub_i32 s17, s16, s26
	s_cmp_ge_u32 s16, s26
	s_cselect_b32 s16, s17, s16
	s_sub_i32 s17, s16, s26
	v_mul_lo_u32 v2, s43, v26
	s_cmp_ge_u32 s16, s26
	s_cselect_b32 s16, s17, s16
	s_xor_b32 s16, s16, s7
	s_sub_i32 s7, s7, s16
	v_add_u32_e32 v35, s43, v2
	v_or_b32_e32 v2, 2, v26
	s_add_i32 s57, s57, s7
	v_mul_lo_u32 v36, s43, v2
	v_or_b32_e32 v2, 3, v26
	s_add_i32 s7, s26, s40
	v_mul_lo_u32 v37, s43, v2
	v_add_u32_e32 v2, s7, v0
	v_subrev_u32_e32 v2, s6, v2
	v_mul_lo_u32 v39, s43, v2
	v_cmp_gt_i32_e64 s[16:17], s57, v0
	v_lshlrev_b32_e32 v28, 3, v0
	v_lshlrev_b32_e32 v1, 2, v27
	v_addc_co_u32_e32 v17, vcc, v5, v3, vcc
	v_writelane_b32 v47, s16, 39
	s_mul_i32 s44, s43, s26
	v_mov_b32_e32 v18, 0
	v_mov_b32_e32 v20, 0
	;; [unrolled: 1-line block ×3, first 2 shown]
	v_cmp_eq_u32_e64 s[2:3], 0, v27
	v_cmp_gt_u32_e64 s[4:5], 2, v0
	v_add_u32_e32 v29, 0xc00, v28
	v_cmp_gt_u32_e64 s[24:25], s40, v0
	v_and_b32_e32 v30, 0x100, v1
	v_cmp_gt_i32_e64 s[10:11], s9, v26
	v_cmp_gt_u32_e64 s[12:13], s40, v34
	v_cmp_gt_i32_e64 s[14:15], s40, v34
	v_writelane_b32 v47, s17, 40
	s_lshl_b32 s58, s44, 2
	v_lshlrev_b32_e32 v38, 2, v11
	v_lshlrev_b32_e32 v40, 5, v0
	s_lshl_b32 s59, s26, 5
	s_lshl_b32 s16, s26, 3
	v_or_b32_e32 v41, 0xc00, v1
	s_mov_b32 s17, 62
	s_mov_b64 s[60:61], 0
	v_mov_b32_e32 v42, s41
	v_mov_b32_e32 v19, 0
	;; [unrolled: 1-line block ×5, first 2 shown]
                                        ; implicit-def: $sgpr62_sgpr63
                                        ; implicit-def: $sgpr66_sgpr67
                                        ; implicit-def: $sgpr64_sgpr65
                                        ; implicit-def: $sgpr70_sgpr71
                                        ; implicit-def: $sgpr72_sgpr73
                                        ; implicit-def: $sgpr68_sgpr69
	s_branch .LBB42_7
.LBB42_4:                               ;   in Loop: Header=BB42_7 Depth=1
	s_or_b64 exec, exec, s[28:29]
	s_and_b64 s[22:23], s[22:23], exec
	s_andn2_b64 s[76:77], s[76:77], exec
	s_andn2_b64 s[74:75], s[74:75], exec
	s_orn2_b64 s[20:21], s[20:21], exec
.LBB42_5:                               ;   in Loop: Header=BB42_7 Depth=1
	s_or_b64 exec, exec, s[6:7]
	s_andn2_b64 s[6:7], s[68:69], exec
	s_and_b64 s[22:23], s[22:23], exec
	s_or_b64 s[68:69], s[6:7], s[22:23]
	s_andn2_b64 s[6:7], s[72:73], exec
	s_and_b64 s[22:23], s[76:77], exec
	s_or_b64 s[72:73], s[6:7], s[22:23]
	;; [unrolled: 3-line block ×3, first 2 shown]
	s_orn2_b64 s[20:21], s[20:21], exec
.LBB42_6:                               ;   in Loop: Header=BB42_7 Depth=1
	s_or_b64 exec, exec, s[18:19]
	s_and_b64 s[6:7], exec, s[20:21]
	s_or_b64 s[60:61], s[6:7], s[60:61]
	s_andn2_b64 s[6:7], s[64:65], exec
	s_and_b64 s[18:19], s[68:69], exec
	s_or_b64 s[64:65], s[6:7], s[18:19]
	s_andn2_b64 s[6:7], s[66:67], exec
	s_and_b64 s[18:19], s[72:73], exec
	;; [unrolled: 3-line block ×3, first 2 shown]
	s_or_b64 s[62:63], s[6:7], s[18:19]
	s_mov_b32 s54, s31
	s_mov_b32 s17, s30
	v_mov_b32_e32 v42, v10
	s_andn2_b64 exec, exec, s[60:61]
	s_cbranch_execz .LBB42_239
.LBB42_7:                               ; =>This Loop Header: Depth=1
                                        ;     Child Loop BB42_13 Depth 2
                                        ;     Child Loop BB42_28 Depth 2
	;; [unrolled: 1-line block ×16, first 2 shown]
	ds_read_b64 v[3:4], v13 offset:4096
	s_waitcnt lgkmcnt(0)
	v_readfirstlane_b32 s36, v3
	s_cmp_gt_i32 s36, 0
	s_cbranch_scc1 .LBB42_35
; %bb.8:                                ;   in Loop: Header=BB42_7 Depth=1
	s_and_b64 vcc, exec, s[50:51]
	s_cbranch_vccz .LBB42_21
; %bb.9:                                ;   in Loop: Header=BB42_7 Depth=1
	s_movk_i32 s6, 0x181
	v_cmp_gt_i32_e32 vcc, s6, v4
	s_mov_b64 s[18:19], 0
	s_mov_b64 s[6:7], 0
	s_cbranch_vccz .LBB42_22
; %bb.10:                               ;   in Loop: Header=BB42_7 Depth=1
	s_and_saveexec_b64 s[20:21], s[24:25]
	s_cbranch_execz .LBB42_67
; %bb.11:                               ;   in Loop: Header=BB42_7 Depth=1
	v_readlane_b32 s6, v47, 32
	v_readlane_b32 s7, v47, 33
	s_nop 4
	global_load_ushort v1, v13, s[6:7]
	global_load_dwordx2 v[3:4], v[14:15], off
	s_mov_b64 s[22:23], 0
	v_mov_b32_e32 v10, v0
	s_waitcnt vmcnt(1)
	v_add_u32_e32 v7, v0, v1
	v_mul_lo_u32 v12, s43, v7
	v_mul_lo_u32 v9, s43, v1
	s_branch .LBB42_13
.LBB42_12:                              ;   in Loop: Header=BB42_13 Depth=2
	s_or_b64 exec, exec, s[6:7]
	v_cmp_le_i32_e32 vcc, s40, v10
	v_mov_b32_e32 v3, v7
	v_add_u32_e32 v12, v12, v9
	s_or_b64 s[22:23], vcc, s[22:23]
	v_mov_b32_e32 v4, v8
	s_andn2_b64 exec, exec, s[22:23]
	s_cbranch_execz .LBB42_67
.LBB42_13:                              ;   Parent Loop BB42_7 Depth=1
                                        ; =>  This Inner Loop Header: Depth=2
	v_add_u32_e32 v10, v10, v1
	v_mov_b32_e32 v7, 0
	v_mov_b32_e32 v8, 0
	v_cmp_gt_u32_e32 vcc, s40, v10
	s_and_saveexec_b64 s[6:7], vcc
	s_cbranch_execz .LBB42_15
; %bb.14:                               ;   in Loop: Header=BB42_13 Depth=2
	v_lshlrev_b64 v[7:8], 3, v[12:13]
	s_waitcnt lgkmcnt(0)
	v_mov_b32_e32 v22, s27
	v_add_co_u32_e32 v7, vcc, s42, v7
	v_addc_co_u32_e32 v8, vcc, v22, v8, vcc
	global_load_dwordx2 v[7:8], v[7:8], off
.LBB42_15:                              ;   in Loop: Header=BB42_13 Depth=2
	s_or_b64 exec, exec, s[6:7]
	s_waitcnt vmcnt(0)
	v_cmp_o_f64_e32 vcc, v[3:4], v[3:4]
	s_waitcnt lgkmcnt(0)
	v_ashrrev_i32_e32 v22, 31, v4
	v_or_b32_e32 v23, 0x80000000, v22
	v_xor_b32_e32 v23, v23, v4
	v_xor_b32_e32 v22, v22, v3
	v_cndmask_b32_e32 v23, -1, v23, vcc
	v_cndmask_b32_e32 v22, -1, v22, vcc
	v_and_b32_e32 v23, v23, v21
	v_and_b32_e32 v22, v22, v20
	v_cmp_eq_u64_e32 vcc, v[22:23], v[18:19]
	v_mov_b32_e32 v22, 0
	s_cmp_lg_u64 vcc, 0
	s_cselect_b64 s[6:7], -1, 0
	s_and_b64 s[6:7], s[2:3], s[6:7]
	s_and_saveexec_b64 s[28:29], s[6:7]
	s_cbranch_execz .LBB42_19
; %bb.16:                               ;   in Loop: Header=BB42_13 Depth=2
	s_mov_b64 s[34:35], exec
	v_mbcnt_lo_u32_b32 v22, s34, 0
	v_mbcnt_hi_u32_b32 v22, s35, v22
	s_bcnt1_i32_b64 s33, vcc
	v_cmp_eq_u32_e64 s[6:7], 0, v22
                                        ; implicit-def: $vgpr23
	s_and_saveexec_b64 s[30:31], s[6:7]
; %bb.17:                               ;   in Loop: Header=BB42_13 Depth=2
	s_bcnt1_i32_b64 s6, s[34:35]
	s_mul_i32 s6, s33, s6
	v_mov_b32_e32 v23, s6
	ds_add_rtn_u32 v23, v13, v23 offset:4104
; %bb.18:                               ;   in Loop: Header=BB42_13 Depth=2
	s_or_b64 exec, exec, s[30:31]
	s_waitcnt lgkmcnt(0)
	v_readfirstlane_b32 s6, v23
	v_mov_b32_e32 v23, s6
	v_mad_u32_u24 v22, s33, v22, v23
.LBB42_19:                              ;   in Loop: Header=BB42_13 Depth=2
	s_or_b64 exec, exec, s[28:29]
	ds_bpermute_b32 v22, v30, v22
	s_and_saveexec_b64 s[6:7], vcc
	s_cbranch_execz .LBB42_12
; %bb.20:                               ;   in Loop: Header=BB42_13 Depth=2
	v_and_b32_e32 v24, vcc_lo, v32
	v_and_b32_e32 v23, vcc_hi, v31
	v_bcnt_u32_b32 v24, v24, 0
	v_bcnt_u32_b32 v23, v23, v24
	v_lshlrev_b32_e32 v23, 3, v23
	s_waitcnt lgkmcnt(0)
	v_lshl_add_u32 v22, v22, 3, v23
	ds_write_b64 v22, v[3:4]
	s_branch .LBB42_12
.LBB42_21:                              ;   in Loop: Header=BB42_7 Depth=1
	s_mov_b64 s[18:19], -1
	s_mov_b64 s[6:7], 0
.LBB42_22:                              ;   in Loop: Header=BB42_7 Depth=1
	s_and_b64 vcc, exec, s[18:19]
	s_cbranch_vccz .LBB42_33
.LBB42_23:                              ;   in Loop: Header=BB42_7 Depth=1
	v_mov_b32_e32 v3, 0
	v_mov_b32_e32 v4, 0
	s_and_saveexec_b64 s[6:7], s[24:25]
	s_cbranch_execz .LBB42_25
; %bb.24:                               ;   in Loop: Header=BB42_7 Depth=1
	global_load_dwordx2 v[3:4], v[14:15], off
.LBB42_25:                              ;   in Loop: Header=BB42_7 Depth=1
	s_or_b64 exec, exec, s[6:7]
	s_mov_b64 s[6:7], exec
	v_readlane_b32 s18, v47, 30
	v_readlane_b32 s19, v47, 31
	s_and_b64 s[18:19], s[6:7], s[18:19]
	s_mov_b64 exec, s[18:19]
	s_cbranch_execz .LBB42_30
; %bb.26:                               ;   in Loop: Header=BB42_7 Depth=1
	v_readlane_b32 s18, v47, 32
	v_readlane_b32 s19, v47, 33
	v_mov_b32_e32 v22, v28
	v_mov_b32_e32 v23, v0
	s_nop 2
	global_load_ushort v1, v13, s[18:19]
	s_mov_b64 s[18:19], 0
	s_waitcnt vmcnt(0)
	v_add_u32_e32 v7, v0, v1
	v_mul_lo_u32 v12, s43, v7
	v_mul_lo_u32 v10, s43, v1
	v_lshlrev_b32_e32 v9, 3, v1
	s_branch .LBB42_28
.LBB42_27:                              ;   in Loop: Header=BB42_28 Depth=2
	s_or_b64 exec, exec, s[20:21]
	ds_write_b64 v22, v[3:4]
	v_cmp_le_i32_e32 vcc, s40, v23
	s_waitcnt vmcnt(0)
	v_mov_b32_e32 v3, v7
	v_add_u32_e32 v22, v22, v9
	v_add_u32_e32 v12, v12, v10
	s_or_b64 s[18:19], vcc, s[18:19]
	v_mov_b32_e32 v4, v8
	s_andn2_b64 exec, exec, s[18:19]
	s_cbranch_execz .LBB42_30
.LBB42_28:                              ;   Parent Loop BB42_7 Depth=1
                                        ; =>  This Inner Loop Header: Depth=2
	v_add_u32_e32 v23, v23, v1
	v_mov_b32_e32 v7, 0
	v_mov_b32_e32 v8, 0
	v_cmp_gt_u32_e32 vcc, s40, v23
	s_and_saveexec_b64 s[20:21], vcc
	s_cbranch_execz .LBB42_27
; %bb.29:                               ;   in Loop: Header=BB42_28 Depth=2
	v_lshlrev_b64 v[7:8], 3, v[12:13]
	v_mov_b32_e32 v24, s27
	v_add_co_u32_e32 v7, vcc, s42, v7
	v_addc_co_u32_e32 v8, vcc, v24, v8, vcc
	global_load_dwordx2 v[7:8], v[7:8], off
	s_branch .LBB42_27
.LBB42_30:                              ;   in Loop: Header=BB42_7 Depth=1
	s_or_b64 exec, exec, s[6:7]
	s_waitcnt vmcnt(0) lgkmcnt(0)
	s_barrier
	s_and_saveexec_b64 s[6:7], s[0:1]
; %bb.31:                               ;   in Loop: Header=BB42_7 Depth=1
	v_mov_b32_e32 v1, s40
	ds_write_b32 v13, v1 offset:4096
; %bb.32:                               ;   in Loop: Header=BB42_7 Depth=1
	s_or_b64 exec, exec, s[6:7]
	s_mov_b64 s[6:7], -1
	s_waitcnt lgkmcnt(0)
	s_barrier
.LBB42_33:                              ;   in Loop: Header=BB42_7 Depth=1
	s_and_b64 vcc, exec, s[6:7]
	s_cbranch_vccz .LBB42_35
; %bb.34:                               ;   in Loop: Header=BB42_7 Depth=1
	ds_read_b32 v1, v13 offset:4096
	s_waitcnt lgkmcnt(0)
	v_readfirstlane_b32 s36, v1
.LBB42_35:                              ;   in Loop: Header=BB42_7 Depth=1
	s_cmp_lt_i32 s36, 1
	s_mov_b64 s[6:7], -1
                                        ; implicit-def: $vgpr7
	s_cbranch_scc1 .LBB42_45
; %bb.36:                               ;   in Loop: Header=BB42_7 Depth=1
	s_and_b64 vcc, exec, s[6:7]
	s_cbranch_vccnz .LBB42_58
.LBB42_37:                              ;   in Loop: Header=BB42_7 Depth=1
	s_lshl_b32 s18, s54, 6
	s_and_saveexec_b64 s[6:7], s[2:3]
.LBB42_38:                              ;   in Loop: Header=BB42_7 Depth=1
	v_lshl_add_u32 v1, s18, 2, v33
	ds_write_b128 v1, v[7:10]
.LBB42_39:                              ;   in Loop: Header=BB42_7 Depth=1
	s_or_b64 exec, exec, s[6:7]
	s_waitcnt vmcnt(0) lgkmcnt(0)
	s_barrier
	s_and_saveexec_b64 s[6:7], s[48:49]
	s_cbranch_execz .LBB42_75
; %bb.40:                               ;   in Loop: Header=BB42_7 Depth=1
	s_andn2_b64 vcc, exec, s[52:53]
	v_mov_b32_e32 v1, 0
	s_cbranch_vccnz .LBB42_74
; %bb.41:                               ;   in Loop: Header=BB42_7 Depth=1
	v_readlane_b32 s20, v47, 34
	v_readlane_b32 s21, v47, 35
	s_andn2_b64 vcc, exec, s[20:21]
	s_cbranch_vccnz .LBB42_70
; %bb.42:                               ;   in Loop: Header=BB42_7 Depth=1
	v_lshl_add_u32 v3, s54, 8, v41
	s_mov_b32 s19, 0
	v_mov_b32_e32 v1, 0
.LBB42_43:                              ;   Parent Loop BB42_7 Depth=1
                                        ; =>  This Inner Loop Header: Depth=2
	ds_read2_b32 v[7:8], v3 offset1:4
	ds_read2_b32 v[9:10], v3 offset0:8 offset1:12
	ds_read2_b32 v[22:23], v3 offset0:16 offset1:20
	;; [unrolled: 1-line block ×3, first 2 shown]
	s_add_i32 s19, s19, 8
	s_waitcnt lgkmcnt(3)
	v_add3_u32 v1, v7, v1, v8
	s_waitcnt lgkmcnt(2)
	v_add3_u32 v1, v9, v1, v10
	;; [unrolled: 2-line block ×3, first 2 shown]
	v_add_u32_e32 v3, 0x80, v3
	s_cmp_eq_u32 s55, s19
	s_waitcnt lgkmcnt(0)
	v_add3_u32 v1, v24, v1, v25
	s_cbranch_scc0 .LBB42_43
; %bb.44:                               ;   in Loop: Header=BB42_7 Depth=1
	s_mov_b32 s19, s55
	s_branch .LBB42_71
.LBB42_45:                              ;   in Loop: Header=BB42_7 Depth=1
	v_mov_b32_e32 v7, 0
	v_mov_b32_e32 v8, 0
	;; [unrolled: 1-line block ×4, first 2 shown]
	s_and_saveexec_b64 s[74:75], s[10:11]
	s_cbranch_execz .LBB42_49
; %bb.46:                               ;   in Loop: Header=BB42_7 Depth=1
	s_mov_b32 s28, 0
	s_mov_b64 s[76:77], 0
	s_mov_b32 s29, 0
	s_mov_b32 s30, 0
	;; [unrolled: 1-line block ×4, first 2 shown]
	v_mov_b32_e32 v1, v26
.LBB42_47:                              ;   Parent Loop BB42_7 Depth=1
                                        ; =>  This Inner Loop Header: Depth=2
	v_add_u32_e32 v3, s28, v38
	v_ashrrev_i32_e32 v4, 31, v3
	v_lshlrev_b64 v[3:4], 3, v[3:4]
	v_mov_b32_e32 v12, s27
	v_add_co_u32_e32 v3, vcc, s42, v3
	v_addc_co_u32_e32 v4, vcc, v12, v4, vcc
	global_load_dwordx2 v[3:4], v[3:4], off
	v_add_u32_e32 v7, s28, v35
	v_ashrrev_i32_e32 v8, 31, v7
	v_lshlrev_b64 v[7:8], 3, v[7:8]
	v_add_u32_e32 v9, s28, v36
	v_add_co_u32_e32 v7, vcc, s42, v7
	v_addc_co_u32_e32 v8, vcc, v12, v8, vcc
	global_load_dwordx2 v[7:8], v[7:8], off
	v_ashrrev_i32_e32 v10, 31, v9
	v_lshlrev_b64 v[9:10], 3, v[9:10]
	v_add_u32_e32 v22, s28, v37
	v_add_co_u32_e32 v9, vcc, s42, v9
	v_addc_co_u32_e32 v10, vcc, v12, v10, vcc
	global_load_dwordx2 v[9:10], v[9:10], off
	;; [unrolled: 6-line block ×3, first 2 shown]
	s_add_i32 s28, s28, s58
	s_waitcnt vmcnt(3)
	v_cmp_o_f64_e32 vcc, v[3:4], v[3:4]
	v_ashrrev_i32_e32 v12, 31, v4
	v_or_b32_e32 v24, 0x80000000, v12
	v_xor_b32_e32 v4, v24, v4
	v_xor_b32_e32 v3, v12, v3
	v_cndmask_b32_e32 v4, -1, v4, vcc
	v_cndmask_b32_e32 v3, -1, v3, vcc
	s_waitcnt vmcnt(2)
	v_cmp_o_f64_e32 vcc, v[7:8], v[7:8]
	v_ashrrev_i32_e32 v12, 31, v8
	v_or_b32_e32 v24, 0x80000000, v12
	v_xor_b32_e32 v8, v24, v8
	v_xor_b32_e32 v7, v12, v7
	v_cndmask_b32_e32 v25, -1, v8, vcc
	v_cndmask_b32_e32 v24, -1, v7, vcc
	;; [unrolled: 8-line block ×3, first 2 shown]
	s_waitcnt vmcnt(0)
	v_cmp_o_f64_e32 vcc, v[22:23], v[22:23]
	v_ashrrev_i32_e32 v7, 31, v23
	v_or_b32_e32 v8, 0x80000000, v7
	v_xor_b32_e32 v8, v8, v23
	v_xor_b32_e32 v7, v7, v22
	v_and_b32_e32 v23, v4, v21
	v_and_b32_e32 v22, v3, v20
	v_lshrrev_b64 v[3:4], s17, v[3:4]
	v_cndmask_b32_e32 v8, -1, v8, vcc
	v_and_b32_e32 v12, 3, v3
	v_lshrrev_b64 v[3:4], s17, v[24:25]
	v_cndmask_b32_e32 v7, -1, v7, vcc
	v_cmp_eq_u64_e32 vcc, v[22:23], v[18:19]
	v_and_b32_e32 v23, v25, v21
	v_and_b32_e32 v22, v24, v20
	v_cmp_eq_u64_e64 s[6:7], 0, v[12:13]
	v_cmp_eq_u64_e64 s[18:19], v[22:23], v[18:19]
	v_and_b32_e32 v23, v10, v21
	v_and_b32_e32 v22, v9, v20
	;; [unrolled: 1-line block ×3, first 2 shown]
	v_mov_b32_e32 v4, v13
	v_lshrrev_b64 v[9:10], s17, v[9:10]
	s_and_b64 s[38:39], vcc, s[6:7]
	v_cmp_eq_u64_e64 s[6:7], 0, v[3:4]
	v_cmp_eq_u64_e64 s[20:21], v[22:23], v[18:19]
	v_and_b32_e32 v23, v8, v21
	v_and_b32_e32 v22, v7, v20
	v_and_b32_e32 v9, 3, v9
	v_mov_b32_e32 v10, v13
	v_lshrrev_b64 v[7:8], s17, v[7:8]
	s_and_b64 s[46:47], s[18:19], s[6:7]
	v_cmp_eq_u64_e64 s[6:7], 0, v[9:10]
	v_and_b32_e32 v7, 3, v7
	v_mov_b32_e32 v8, v13
	v_cmp_eq_u64_e64 s[22:23], v[22:23], v[18:19]
	s_and_b64 s[78:79], s[20:21], s[6:7]
	v_cmp_eq_u64_e64 s[6:7], 0, v[7:8]
	v_cndmask_b32_e64 v22, 0, 1, s[38:39]
	s_and_b64 s[80:81], s[22:23], s[6:7]
	v_cmp_ne_u32_e64 s[6:7], 0, v22
	v_cndmask_b32_e64 v22, 0, 1, s[46:47]
	s_bcnt1_i32_b64 s33, s[6:7]
	v_cmp_ne_u32_e64 s[6:7], 0, v22
	v_cndmask_b32_e64 v22, 0, 1, s[78:79]
	s_bcnt1_i32_b64 s35, s[6:7]
	;; [unrolled: 3-line block ×3, first 2 shown]
	v_cmp_ne_u32_e64 s[6:7], 0, v22
	s_bcnt1_i32_b64 s6, s[6:7]
	s_add_i32 s7, s34, s33
	s_add_i32 s7, s7, s35
	;; [unrolled: 1-line block ×4, first 2 shown]
	v_cmp_eq_u64_e64 s[6:7], 1, v[12:13]
	s_and_b64 s[38:39], vcc, s[6:7]
	v_cmp_eq_u64_e64 s[6:7], 1, v[3:4]
	v_cndmask_b32_e64 v22, 0, 1, s[38:39]
	s_and_b64 s[46:47], s[18:19], s[6:7]
	v_cmp_eq_u64_e64 s[6:7], 1, v[9:10]
	s_and_b64 s[78:79], s[20:21], s[6:7]
	v_cmp_eq_u64_e64 s[6:7], 1, v[7:8]
	s_and_b64 s[80:81], s[22:23], s[6:7]
	v_cmp_ne_u32_e64 s[6:7], 0, v22
	v_cndmask_b32_e64 v22, 0, 1, s[46:47]
	s_bcnt1_i32_b64 s33, s[6:7]
	v_cmp_ne_u32_e64 s[6:7], 0, v22
	v_cndmask_b32_e64 v22, 0, 1, s[78:79]
	s_bcnt1_i32_b64 s35, s[6:7]
	;; [unrolled: 3-line block ×3, first 2 shown]
	v_cmp_ne_u32_e64 s[6:7], 0, v22
	s_bcnt1_i32_b64 s6, s[6:7]
	s_add_i32 s7, s31, s33
	s_add_i32 s7, s7, s35
	;; [unrolled: 1-line block ×4, first 2 shown]
	v_cmp_eq_u64_e64 s[6:7], 2, v[12:13]
	s_and_b64 s[38:39], vcc, s[6:7]
	v_cmp_eq_u64_e64 s[6:7], 2, v[3:4]
	v_cndmask_b32_e64 v22, 0, 1, s[38:39]
	s_and_b64 s[46:47], s[18:19], s[6:7]
	v_cmp_eq_u64_e64 s[6:7], 2, v[9:10]
	s_and_b64 s[78:79], s[20:21], s[6:7]
	v_cmp_eq_u64_e64 s[6:7], 2, v[7:8]
	s_and_b64 s[80:81], s[22:23], s[6:7]
	v_cmp_ne_u32_e64 s[6:7], 0, v22
	v_cndmask_b32_e64 v22, 0, 1, s[46:47]
	s_bcnt1_i32_b64 s33, s[6:7]
	v_cmp_ne_u32_e64 s[6:7], 0, v22
	v_cndmask_b32_e64 v22, 0, 1, s[78:79]
	s_bcnt1_i32_b64 s35, s[6:7]
	;; [unrolled: 3-line block ×3, first 2 shown]
	v_cmp_ne_u32_e64 s[6:7], 0, v22
	s_bcnt1_i32_b64 s6, s[6:7]
	s_add_i32 s7, s30, s33
	s_add_i32 s7, s7, s35
	;; [unrolled: 1-line block ×4, first 2 shown]
	v_cmp_eq_u64_e64 s[6:7], 3, v[12:13]
	s_and_b64 s[6:7], vcc, s[6:7]
	v_cmp_eq_u64_e32 vcc, 3, v[3:4]
	v_cndmask_b32_e64 v3, 0, 1, s[6:7]
	s_and_b64 s[18:19], s[18:19], vcc
	v_cmp_eq_u64_e32 vcc, 3, v[9:10]
	v_mov_b32_e32 v9, s30
	s_and_b64 s[20:21], s[20:21], vcc
	v_cmp_eq_u64_e32 vcc, 3, v[7:8]
	v_mov_b32_e32 v7, s34
	s_and_b64 s[22:23], s[22:23], vcc
	v_cmp_ne_u32_e32 vcc, 0, v3
	v_cndmask_b32_e64 v3, 0, 1, s[18:19]
	s_bcnt1_i32_b64 s6, vcc
	v_cmp_ne_u32_e32 vcc, 0, v3
	v_cndmask_b32_e64 v3, 0, 1, s[20:21]
	s_bcnt1_i32_b64 s7, vcc
	v_cmp_ne_u32_e32 vcc, 0, v3
	v_cndmask_b32_e64 v3, 0, 1, s[22:23]
	s_add_i32 s6, s29, s6
	s_bcnt1_i32_b64 s18, vcc
	v_cmp_ne_u32_e32 vcc, 0, v3
	s_add_i32 s6, s6, s7
	s_bcnt1_i32_b64 s19, vcc
	s_add_i32 s6, s6, s18
	s_add_i32 s29, s6, s19
	v_cmp_le_i32_e32 vcc, s9, v1
	s_or_b64 s[76:77], vcc, s[76:77]
	v_mov_b32_e32 v8, s31
	v_mov_b32_e32 v10, s29
	s_andn2_b64 exec, exec, s[76:77]
	s_cbranch_execnz .LBB42_47
; %bb.48:                               ;   in Loop: Header=BB42_7 Depth=1
	s_or_b64 exec, exec, s[76:77]
.LBB42_49:                              ;   in Loop: Header=BB42_7 Depth=1
	s_or_b64 exec, exec, s[74:75]
	v_mov_b32_e32 v24, 0
	v_mov_b32_e32 v25, 0
	s_and_saveexec_b64 s[6:7], s[12:13]
	s_cbranch_execz .LBB42_51
; %bb.50:                               ;   in Loop: Header=BB42_7 Depth=1
	global_load_dwordx2 v[24:25], v[16:17], off
.LBB42_51:                              ;   in Loop: Header=BB42_7 Depth=1
	s_or_b64 exec, exec, s[6:7]
	s_and_saveexec_b64 s[18:19], s[14:15]
	s_cbranch_execz .LBB42_57
; %bb.52:                               ;   in Loop: Header=BB42_7 Depth=1
	s_mov_b64 s[20:21], 0
	v_mov_b32_e32 v3, v39
	v_mov_b32_e32 v1, v34
	s_branch .LBB42_54
.LBB42_53:                              ;   in Loop: Header=BB42_54 Depth=2
	s_or_b64 exec, exec, s[6:7]
	s_waitcnt vmcnt(0)
	v_cmp_o_f64_e32 vcc, v[24:25], v[24:25]
	v_ashrrev_i32_e32 v4, 31, v25
	v_or_b32_e32 v12, 0x80000000, v4
	v_xor_b32_e32 v12, v12, v25
	v_xor_b32_e32 v4, v4, v24
	v_add_u32_e32 v3, s44, v3
	v_cndmask_b32_e32 v25, -1, v12, vcc
	v_cndmask_b32_e32 v24, -1, v4, vcc
	v_and_b32_e32 v44, v25, v21
	v_and_b32_e32 v43, v24, v20
	v_lshrrev_b64 v[24:25], s17, v[24:25]
	v_cmp_eq_u64_e32 vcc, v[43:44], v[18:19]
	v_and_b32_e32 v12, 3, v24
	v_cmp_eq_u64_e64 s[6:7], 0, v[12:13]
	v_mov_b32_e32 v25, v23
	s_and_b64 s[6:7], vcc, s[6:7]
	v_cndmask_b32_e64 v4, 0, 1, s[6:7]
	v_cmp_ne_u32_e64 s[6:7], 0, v4
	s_bcnt1_i32_b64 s6, s[6:7]
	v_add_u32_e32 v7, s6, v7
	v_cmp_eq_u64_e64 s[6:7], 1, v[12:13]
	v_mov_b32_e32 v24, v22
	s_and_b64 s[6:7], vcc, s[6:7]
	v_cndmask_b32_e64 v4, 0, 1, s[6:7]
	v_cmp_ne_u32_e64 s[6:7], 0, v4
	s_bcnt1_i32_b64 s6, s[6:7]
	v_add_u32_e32 v8, s6, v8
	v_cmp_eq_u64_e64 s[6:7], 2, v[12:13]
	s_and_b64 s[6:7], vcc, s[6:7]
	v_cndmask_b32_e64 v4, 0, 1, s[6:7]
	v_cmp_ne_u32_e64 s[6:7], 0, v4
	s_bcnt1_i32_b64 s6, s[6:7]
	v_add_u32_e32 v9, s6, v9
	v_cmp_eq_u64_e64 s[6:7], 3, v[12:13]
	s_and_b64 s[6:7], vcc, s[6:7]
	v_cndmask_b32_e64 v4, 0, 1, s[6:7]
	v_cmp_ne_u32_e32 vcc, 0, v4
	s_bcnt1_i32_b64 s6, vcc
	v_cmp_le_i32_e32 vcc, s40, v1
	v_add_u32_e32 v10, s6, v10
	s_or_b64 s[20:21], vcc, s[20:21]
	s_andn2_b64 exec, exec, s[20:21]
	s_cbranch_execz .LBB42_56
.LBB42_54:                              ;   Parent Loop BB42_7 Depth=1
                                        ; =>  This Inner Loop Header: Depth=2
	v_add_u32_e32 v1, s26, v1
	v_mov_b32_e32 v22, 0
	v_mov_b32_e32 v23, 0
	v_cmp_gt_u32_e32 vcc, s40, v1
	s_and_saveexec_b64 s[6:7], vcc
	s_cbranch_execz .LBB42_53
; %bb.55:                               ;   in Loop: Header=BB42_54 Depth=2
	v_ashrrev_i32_e32 v4, 31, v3
	v_lshlrev_b64 v[22:23], 3, v[3:4]
	v_mov_b32_e32 v4, s27
	v_add_co_u32_e32 v22, vcc, s42, v22
	v_addc_co_u32_e32 v23, vcc, v4, v23, vcc
	global_load_dwordx2 v[22:23], v[22:23], off
	s_branch .LBB42_53
.LBB42_56:                              ;   in Loop: Header=BB42_7 Depth=1
	s_or_b64 exec, exec, s[20:21]
.LBB42_57:                              ;   in Loop: Header=BB42_7 Depth=1
	s_or_b64 exec, exec, s[18:19]
	s_branch .LBB42_37
.LBB42_58:                              ;   in Loop: Header=BB42_7 Depth=1
	s_mul_hi_u32 s6, s36, s8
	s_mul_i32 s6, s6, s45
	s_sub_i32 s6, s36, s6
	s_sub_i32 s7, s6, s45
	s_cmp_ge_u32 s6, s45
	s_cselect_b32 s6, s7, s6
	s_sub_i32 s7, s6, s45
	s_cmp_ge_u32 s6, s45
	s_cselect_b32 s6, s7, s6
	s_sub_i32 s28, s36, s6
	v_cmp_gt_u32_e32 vcc, s28, v26
	v_mov_b32_e32 v7, 0
	v_mov_b32_e32 v8, 0
	;; [unrolled: 1-line block ×4, first 2 shown]
	s_and_saveexec_b64 s[74:75], vcc
	s_cbranch_execz .LBB42_62
; %bb.59:                               ;   in Loop: Header=BB42_7 Depth=1
	s_mov_b32 s29, 0
	s_mov_b64 s[76:77], 0
	v_mov_b32_e32 v1, v40
	s_mov_b32 s30, 0
	s_mov_b32 s31, 0
	;; [unrolled: 1-line block ×3, first 2 shown]
	v_mov_b32_e32 v22, v26
.LBB42_60:                              ;   Parent Loop BB42_7 Depth=1
                                        ; =>  This Inner Loop Header: Depth=2
	ds_read_b128 v[7:10], v1
	ds_read_b128 v[43:46], v1 offset:16
	v_add_u32_e32 v22, s45, v22
	v_add_u32_e32 v1, s59, v1
	s_waitcnt lgkmcnt(1)
	v_cmp_o_f64_e32 vcc, v[7:8], v[7:8]
	v_ashrrev_i32_e32 v3, 31, v8
	v_or_b32_e32 v4, 0x80000000, v3
	v_xor_b32_e32 v4, v4, v8
	v_xor_b32_e32 v3, v3, v7
	v_ashrrev_i32_e32 v7, 31, v10
	v_or_b32_e32 v8, 0x80000000, v7
	v_xor_b32_e32 v8, v8, v10
	v_cndmask_b32_e32 v4, -1, v4, vcc
	v_cndmask_b32_e32 v3, -1, v3, vcc
	v_cmp_o_f64_e32 vcc, v[9:10], v[9:10]
	v_xor_b32_e32 v7, v7, v9
	s_waitcnt vmcnt(0)
	v_cndmask_b32_e32 v24, -1, v8, vcc
	v_cndmask_b32_e32 v23, -1, v7, vcc
	s_waitcnt lgkmcnt(0)
	v_cmp_o_f64_e32 vcc, v[43:44], v[43:44]
	v_ashrrev_i32_e32 v7, 31, v44
	v_or_b32_e32 v8, 0x80000000, v7
	v_xor_b32_e32 v8, v8, v44
	v_xor_b32_e32 v7, v7, v43
	v_and_b32_e32 v44, v4, v21
	v_and_b32_e32 v43, v3, v20
	v_lshrrev_b64 v[3:4], s17, v[3:4]
	v_cndmask_b32_e32 v10, -1, v8, vcc
	v_cndmask_b32_e32 v9, -1, v7, vcc
	v_cmp_o_f64_e32 vcc, v[45:46], v[45:46]
	v_ashrrev_i32_e32 v7, 31, v46
	v_or_b32_e32 v8, 0x80000000, v7
	v_xor_b32_e32 v8, v8, v46
	v_xor_b32_e32 v7, v7, v45
	v_and_b32_e32 v12, 3, v3
	v_lshrrev_b64 v[3:4], s17, v[23:24]
	v_cmp_eq_u64_e64 s[6:7], 0, v[12:13]
	v_cndmask_b32_e32 v8, -1, v8, vcc
	v_cndmask_b32_e32 v7, -1, v7, vcc
	v_cmp_eq_u64_e32 vcc, v[43:44], v[18:19]
	v_and_b32_e32 v44, v24, v21
	v_and_b32_e32 v43, v23, v20
	v_cmp_eq_u64_e64 s[18:19], v[43:44], v[18:19]
	v_and_b32_e32 v44, v10, v21
	v_and_b32_e32 v43, v9, v20
	v_and_b32_e32 v3, 3, v3
	v_mov_b32_e32 v4, v13
	v_lshrrev_b64 v[9:10], s17, v[9:10]
	s_and_b64 s[38:39], vcc, s[6:7]
	v_cmp_eq_u64_e64 s[6:7], 0, v[3:4]
	v_cmp_eq_u64_e64 s[20:21], v[43:44], v[18:19]
	v_and_b32_e32 v44, v8, v21
	v_and_b32_e32 v43, v7, v20
	;; [unrolled: 1-line block ×3, first 2 shown]
	v_mov_b32_e32 v10, v13
	v_lshrrev_b64 v[7:8], s17, v[7:8]
	s_and_b64 s[46:47], s[18:19], s[6:7]
	v_cmp_eq_u64_e64 s[6:7], 0, v[9:10]
	v_and_b32_e32 v7, 3, v7
	v_mov_b32_e32 v8, v13
	v_cmp_eq_u64_e64 s[22:23], v[43:44], v[18:19]
	s_and_b64 s[78:79], s[20:21], s[6:7]
	v_cmp_eq_u64_e64 s[6:7], 0, v[7:8]
	v_cndmask_b32_e64 v23, 0, 1, s[38:39]
	s_and_b64 s[80:81], s[22:23], s[6:7]
	v_cmp_ne_u32_e64 s[6:7], 0, v23
	v_cndmask_b32_e64 v23, 0, 1, s[46:47]
	s_bcnt1_i32_b64 s33, s[6:7]
	v_cmp_ne_u32_e64 s[6:7], 0, v23
	v_cndmask_b32_e64 v23, 0, 1, s[78:79]
	s_bcnt1_i32_b64 s35, s[6:7]
	;; [unrolled: 3-line block ×3, first 2 shown]
	v_cmp_ne_u32_e64 s[6:7], 0, v23
	s_bcnt1_i32_b64 s6, s[6:7]
	s_add_i32 s7, s34, s33
	s_add_i32 s7, s7, s35
	;; [unrolled: 1-line block ×4, first 2 shown]
	v_cmp_eq_u64_e64 s[6:7], 1, v[12:13]
	s_and_b64 s[38:39], vcc, s[6:7]
	v_cmp_eq_u64_e64 s[6:7], 1, v[3:4]
	v_cndmask_b32_e64 v23, 0, 1, s[38:39]
	s_and_b64 s[46:47], s[18:19], s[6:7]
	v_cmp_eq_u64_e64 s[6:7], 1, v[9:10]
	s_and_b64 s[78:79], s[20:21], s[6:7]
	v_cmp_eq_u64_e64 s[6:7], 1, v[7:8]
	s_and_b64 s[80:81], s[22:23], s[6:7]
	v_cmp_ne_u32_e64 s[6:7], 0, v23
	v_cndmask_b32_e64 v23, 0, 1, s[46:47]
	s_bcnt1_i32_b64 s33, s[6:7]
	v_cmp_ne_u32_e64 s[6:7], 0, v23
	v_cndmask_b32_e64 v23, 0, 1, s[78:79]
	s_bcnt1_i32_b64 s35, s[6:7]
	;; [unrolled: 3-line block ×3, first 2 shown]
	v_cmp_ne_u32_e64 s[6:7], 0, v23
	s_bcnt1_i32_b64 s6, s[6:7]
	s_add_i32 s7, s31, s33
	s_add_i32 s7, s7, s35
	;; [unrolled: 1-line block ×4, first 2 shown]
	v_cmp_eq_u64_e64 s[6:7], 2, v[12:13]
	s_and_b64 s[38:39], vcc, s[6:7]
	v_cmp_eq_u64_e64 s[6:7], 2, v[3:4]
	v_cndmask_b32_e64 v23, 0, 1, s[38:39]
	s_and_b64 s[46:47], s[18:19], s[6:7]
	v_cmp_eq_u64_e64 s[6:7], 2, v[9:10]
	s_and_b64 s[78:79], s[20:21], s[6:7]
	v_cmp_eq_u64_e64 s[6:7], 2, v[7:8]
	s_and_b64 s[80:81], s[22:23], s[6:7]
	v_cmp_ne_u32_e64 s[6:7], 0, v23
	v_cndmask_b32_e64 v23, 0, 1, s[46:47]
	s_bcnt1_i32_b64 s33, s[6:7]
	v_cmp_ne_u32_e64 s[6:7], 0, v23
	v_cndmask_b32_e64 v23, 0, 1, s[78:79]
	s_bcnt1_i32_b64 s35, s[6:7]
	;; [unrolled: 3-line block ×3, first 2 shown]
	v_cmp_ne_u32_e64 s[6:7], 0, v23
	s_bcnt1_i32_b64 s6, s[6:7]
	s_add_i32 s7, s30, s33
	s_add_i32 s7, s7, s35
	;; [unrolled: 1-line block ×4, first 2 shown]
	v_cmp_eq_u64_e64 s[6:7], 3, v[12:13]
	s_and_b64 s[6:7], vcc, s[6:7]
	v_cmp_eq_u64_e32 vcc, 3, v[3:4]
	v_cndmask_b32_e64 v3, 0, 1, s[6:7]
	s_and_b64 s[18:19], s[18:19], vcc
	v_cmp_eq_u64_e32 vcc, 3, v[9:10]
	v_mov_b32_e32 v9, s30
	s_and_b64 s[20:21], s[20:21], vcc
	v_cmp_eq_u64_e32 vcc, 3, v[7:8]
	v_mov_b32_e32 v7, s34
	s_and_b64 s[22:23], s[22:23], vcc
	v_cmp_ne_u32_e32 vcc, 0, v3
	v_cndmask_b32_e64 v3, 0, 1, s[18:19]
	s_bcnt1_i32_b64 s6, vcc
	v_cmp_ne_u32_e32 vcc, 0, v3
	v_cndmask_b32_e64 v3, 0, 1, s[20:21]
	s_bcnt1_i32_b64 s7, vcc
	v_cmp_ne_u32_e32 vcc, 0, v3
	v_cndmask_b32_e64 v3, 0, 1, s[22:23]
	s_add_i32 s6, s29, s6
	s_bcnt1_i32_b64 s18, vcc
	v_cmp_ne_u32_e32 vcc, 0, v3
	s_add_i32 s6, s6, s7
	s_bcnt1_i32_b64 s19, vcc
	s_add_i32 s6, s6, s18
	s_add_i32 s29, s6, s19
	v_cmp_le_i32_e32 vcc, s28, v22
	s_or_b64 s[76:77], vcc, s[76:77]
	v_mov_b32_e32 v8, s31
	v_mov_b32_e32 v10, s29
	s_andn2_b64 exec, exec, s[76:77]
	s_cbranch_execnz .LBB42_60
; %bb.61:                               ;   in Loop: Header=BB42_7 Depth=1
	s_or_b64 exec, exec, s[76:77]
.LBB42_62:                              ;   in Loop: Header=BB42_7 Depth=1
	s_or_b64 exec, exec, s[74:75]
	v_add_u32_e32 v1, s28, v0
	v_cmp_gt_i32_e32 vcc, s36, v1
	s_and_saveexec_b64 s[18:19], vcc
	s_cbranch_execz .LBB42_66
; %bb.63:                               ;   in Loop: Header=BB42_7 Depth=1
	v_lshlrev_b32_e32 v3, 3, v1
	s_mov_b64 s[20:21], 0
.LBB42_64:                              ;   Parent Loop BB42_7 Depth=1
                                        ; =>  This Inner Loop Header: Depth=2
	ds_read_b64 v[22:23], v3
	v_add_u32_e32 v1, s26, v1
	v_add_u32_e32 v3, s16, v3
	s_waitcnt lgkmcnt(0)
	v_cmp_o_f64_e32 vcc, v[22:23], v[22:23]
	v_ashrrev_i32_e32 v4, 31, v23
	v_or_b32_e32 v12, 0x80000000, v4
	v_xor_b32_e32 v12, v12, v23
	v_xor_b32_e32 v4, v4, v22
	v_cndmask_b32_e32 v23, -1, v12, vcc
	v_cndmask_b32_e32 v22, -1, v4, vcc
	s_waitcnt vmcnt(0)
	v_and_b32_e32 v25, v23, v21
	v_and_b32_e32 v24, v22, v20
	v_lshrrev_b64 v[22:23], s17, v[22:23]
	v_cmp_eq_u64_e32 vcc, v[24:25], v[18:19]
	v_and_b32_e32 v12, 3, v22
	v_cmp_eq_u64_e64 s[6:7], 0, v[12:13]
	s_and_b64 s[6:7], vcc, s[6:7]
	v_cndmask_b32_e64 v4, 0, 1, s[6:7]
	v_cmp_ne_u32_e64 s[6:7], 0, v4
	s_bcnt1_i32_b64 s6, s[6:7]
	v_add_u32_e32 v7, s6, v7
	v_cmp_eq_u64_e64 s[6:7], 1, v[12:13]
	s_and_b64 s[6:7], vcc, s[6:7]
	v_cndmask_b32_e64 v4, 0, 1, s[6:7]
	v_cmp_ne_u32_e64 s[6:7], 0, v4
	s_bcnt1_i32_b64 s6, s[6:7]
	v_add_u32_e32 v8, s6, v8
	;; [unrolled: 6-line block ×3, first 2 shown]
	v_cmp_eq_u64_e64 s[6:7], 3, v[12:13]
	s_and_b64 s[6:7], vcc, s[6:7]
	v_cndmask_b32_e64 v4, 0, 1, s[6:7]
	v_cmp_ne_u32_e32 vcc, 0, v4
	s_bcnt1_i32_b64 s6, vcc
	v_cmp_le_i32_e32 vcc, s36, v1
	v_add_u32_e32 v10, s6, v10
	s_or_b64 s[20:21], vcc, s[20:21]
	s_andn2_b64 exec, exec, s[20:21]
	s_cbranch_execnz .LBB42_64
; %bb.65:                               ;   in Loop: Header=BB42_7 Depth=1
	s_or_b64 exec, exec, s[20:21]
.LBB42_66:                              ;   in Loop: Header=BB42_7 Depth=1
	s_or_b64 exec, exec, s[18:19]
	s_lshl_b32 s18, s54, 6
	s_and_saveexec_b64 s[6:7], s[2:3]
	s_cbranch_execnz .LBB42_38
	s_branch .LBB42_39
.LBB42_67:                              ;   in Loop: Header=BB42_7 Depth=1
	s_or_b64 exec, exec, s[20:21]
	s_waitcnt lgkmcnt(0)
	s_barrier
	s_and_saveexec_b64 s[6:7], s[0:1]
	s_cbranch_execz .LBB42_69
; %bb.68:                               ;   in Loop: Header=BB42_7 Depth=1
	ds_read_b32 v1, v13 offset:4104
	s_waitcnt lgkmcnt(0)
	ds_write_b32 v13, v1 offset:4096
.LBB42_69:                              ;   in Loop: Header=BB42_7 Depth=1
	s_or_b64 exec, exec, s[6:7]
	s_waitcnt lgkmcnt(0)
	s_barrier
	s_mov_b64 s[6:7], -1
	s_and_b64 vcc, exec, s[18:19]
	s_cbranch_vccnz .LBB42_23
	s_branch .LBB42_33
.LBB42_70:                              ;   in Loop: Header=BB42_7 Depth=1
	v_mov_b32_e32 v1, 0
	s_mov_b32 s19, 0
.LBB42_71:                              ;   in Loop: Header=BB42_7 Depth=1
	v_readlane_b32 s20, v47, 37
	v_readlane_b32 s21, v47, 38
	s_andn2_b64 vcc, exec, s[20:21]
	s_cbranch_vccnz .LBB42_74
; %bb.72:                               ;   in Loop: Header=BB42_7 Depth=1
	s_lshl_b32 s20, s54, 8
	s_lshl_b32 s19, s19, 4
	s_add_i32 s20, s20, s19
	v_add_u32_e32 v3, s20, v41
	v_readlane_b32 s19, v47, 36
.LBB42_73:                              ;   Parent Loop BB42_7 Depth=1
                                        ; =>  This Inner Loop Header: Depth=2
	ds_read_b32 v4, v3
	s_add_i32 s19, s19, -1
	v_add_u32_e32 v3, 16, v3
	s_cmp_lg_u32 s19, 0
	s_waitcnt lgkmcnt(0)
	v_add_u32_e32 v1, v4, v1
	s_cbranch_scc1 .LBB42_73
.LBB42_74:                              ;   in Loop: Header=BB42_7 Depth=1
	v_add_lshl_u32 v3, s18, v27, 2
	ds_write_b32 v3, v1 offset:3072
.LBB42_75:                              ;   in Loop: Header=BB42_7 Depth=1
	s_or_b64 exec, exec, s[6:7]
	s_lshl_b32 s6, s18, 2
	v_mov_b32_e32 v1, s6
	s_waitcnt lgkmcnt(0)
	s_barrier
	ds_read_b128 v[7:10], v1 offset:3072
	s_lshl_b64 s[6:7], 3, s17
	s_not_b64 s[78:79], s[6:7]
	v_cmp_eq_u32_e32 vcc, 1, v42
	s_mov_b64 s[20:21], -1
	s_waitcnt lgkmcnt(0)
	v_readfirstlane_b32 s80, v7
	s_cmp_eq_u32 s80, 1
	s_cselect_b64 s[18:19], -1, 0
	v_readfirstlane_b32 s84, v8
	v_readfirstlane_b32 s92, v9
	;; [unrolled: 1-line block ×3, first 2 shown]
	s_and_b64 s[22:23], s[18:19], vcc
	s_mov_b64 s[28:29], -1
                                        ; implicit-def: $sgpr74_sgpr75
                                        ; implicit-def: $sgpr34_sgpr35
	s_and_saveexec_b64 s[18:19], s[22:23]
	s_cbranch_execz .LBB42_103
; %bb.76:                               ;   in Loop: Header=BB42_7 Depth=1
	ds_read_b32 v1, v13 offset:4096
	s_waitcnt lgkmcnt(0)
	s_barrier
	v_readfirstlane_b32 s33, v1
	s_and_saveexec_b64 s[28:29], s[4:5]
; %bb.77:                               ;   in Loop: Header=BB42_7 Depth=1
	v_mov_b32_e32 v12, v13
	ds_write_b64 v29, v[12:13]
; %bb.78:                               ;   in Loop: Header=BB42_7 Depth=1
	s_or_b64 exec, exec, s[28:29]
	v_and_b32_e32 v19, s79, v19
	v_and_b32_e32 v18, s78, v18
	v_or_b32_e32 v21, s7, v21
	v_or_b32_e32 v20, s6, v20
	s_mov_b64 s[34:35], -1
	s_mov_b64 s[74:75], 0
	s_cmp_lt_i32 s33, 1
	s_mov_b64 s[46:47], 0
	s_mov_b64 s[76:77], -1
	s_waitcnt lgkmcnt(0)
	s_barrier
                                        ; implicit-def: $vgpr5_vgpr6
	s_cbranch_scc0 .LBB42_90
; %bb.79:                               ;   in Loop: Header=BB42_7 Depth=1
	s_mov_b64 s[76:77], 0
                                        ; implicit-def: $vgpr5_vgpr6
	s_mov_b64 s[28:29], exec
	v_readlane_b32 s30, v47, 39
	v_readlane_b32 s31, v47, 40
	s_and_b64 s[30:31], s[28:29], s[30:31]
	s_mov_b64 exec, s[30:31]
	s_cbranch_execz .LBB42_89
; %bb.80:                               ;   in Loop: Header=BB42_7 Depth=1
	s_mov_b64 s[30:31], 0
	v_mov_b32_e32 v7, v11
	v_mov_b32_e32 v9, v0
                                        ; implicit-def: $sgpr36_sgpr37
	s_branch .LBB42_84
.LBB42_81:                              ;   in Loop: Header=BB42_84 Depth=2
	s_or_b64 exec, exec, s[38:39]
	s_waitcnt lgkmcnt(0)
	s_barrier
	ds_read_b128 v[3:6], v13 offset:3072
	s_waitcnt lgkmcnt(0)
	s_barrier
	v_cmp_neq_f64_e32 vcc, 0, v[3:4]
	s_cbranch_vccnz .LBB42_87
; %bb.82:                               ;   in Loop: Header=BB42_84 Depth=2
	v_add_u32_e32 v9, s26, v9
	v_cmp_le_i32_e32 vcc, s57, v9
	v_add_u32_e32 v7, s44, v7
	s_mov_b64 s[38:39], 0
	s_orn2_b64 s[46:47], vcc, exec
.LBB42_83:                              ;   in Loop: Header=BB42_84 Depth=2
	s_and_b64 s[46:47], exec, s[46:47]
	s_or_b64 s[30:31], s[46:47], s[30:31]
	s_andn2_b64 s[36:37], s[36:37], exec
	s_and_b64 s[38:39], s[38:39], exec
	s_or_b64 s[36:37], s[36:37], s[38:39]
	s_andn2_b64 exec, exec, s[30:31]
	s_cbranch_execz .LBB42_88
.LBB42_84:                              ;   Parent Loop BB42_7 Depth=1
                                        ; =>  This Inner Loop Header: Depth=2
	v_cmp_gt_i32_e32 vcc, s40, v9
	s_and_saveexec_b64 s[38:39], vcc
	s_cbranch_execz .LBB42_81
; %bb.85:                               ;   in Loop: Header=BB42_84 Depth=2
	v_ashrrev_i32_e32 v8, 31, v7
	v_lshlrev_b64 v[3:4], 3, v[7:8]
	v_mov_b32_e32 v1, s27
	v_add_co_u32_e32 v3, vcc, s42, v3
	v_addc_co_u32_e32 v4, vcc, v1, v4, vcc
	global_load_dwordx2 v[3:4], v[3:4], off
	s_waitcnt vmcnt(0)
	v_cmp_o_f64_e32 vcc, v[3:4], v[3:4]
	v_ashrrev_i32_e32 v1, 31, v4
	v_or_b32_e32 v5, 0x80000000, v1
	v_xor_b32_e32 v5, v5, v4
	v_xor_b32_e32 v1, v1, v3
	v_cndmask_b32_e32 v5, -1, v5, vcc
	v_cndmask_b32_e32 v1, -1, v1, vcc
	v_and_b32_e32 v6, v5, v21
	v_and_b32_e32 v5, v1, v20
	v_cmp_eq_u64_e32 vcc, v[5:6], v[18:19]
	s_and_b64 exec, exec, vcc
	s_cbranch_execz .LBB42_81
; %bb.86:                               ;   in Loop: Header=BB42_84 Depth=2
	v_mov_b32_e32 v1, v13
	ds_write_b128 v13, v[1:4] offset:3072
	s_branch .LBB42_81
.LBB42_87:                              ;   in Loop: Header=BB42_84 Depth=2
	s_mov_b64 s[46:47], -1
                                        ; implicit-def: $vgpr9
                                        ; implicit-def: $vgpr7
	s_mov_b64 s[38:39], -1
	s_branch .LBB42_83
.LBB42_88:                              ;   in Loop: Header=BB42_7 Depth=1
	s_or_b64 exec, exec, s[30:31]
	s_and_b64 s[46:47], s[36:37], exec
.LBB42_89:                              ;   in Loop: Header=BB42_7 Depth=1
	s_or_b64 exec, exec, s[28:29]
.LBB42_90:                              ;   in Loop: Header=BB42_7 Depth=1
	s_and_b64 vcc, exec, s[76:77]
	s_cbranch_vccz .LBB42_102
; %bb.91:                               ;   in Loop: Header=BB42_7 Depth=1
	v_readlane_b32 s28, v47, 29
	s_add_i32 s74, s33, s28
	s_abs_i32 s29, s74
	s_mul_hi_u32 s30, s29, s56
	s_mul_i32 s30, s30, s26
	s_sub_i32 s29, s29, s30
	s_ashr_i32 s28, s74, 31
	s_sub_i32 s30, s29, s26
	s_cmp_ge_u32 s29, s26
	s_cselect_b32 s29, s30, s29
	s_sub_i32 s30, s29, s26
	s_cmp_ge_u32 s29, s26
	s_cselect_b32 s29, s30, s29
	s_xor_b32 s29, s29, s28
	s_sub_i32 s28, s28, s29
	s_add_i32 s74, s74, s28
	v_cmp_gt_i32_e32 vcc, s74, v0
                                        ; implicit-def: $vgpr5_vgpr6
	s_and_saveexec_b64 s[28:29], vcc
	s_cbranch_execz .LBB42_101
; %bb.92:                               ;   in Loop: Header=BB42_7 Depth=1
	s_mov_b64 s[34:35], 0
	v_mov_b32_e32 v7, v28
	v_mov_b32_e32 v8, v0
                                        ; implicit-def: $sgpr30_sgpr31
	s_branch .LBB42_96
.LBB42_93:                              ;   in Loop: Header=BB42_96 Depth=2
	s_or_b64 exec, exec, s[36:37]
	s_waitcnt lgkmcnt(0)
	s_barrier
	ds_read_b128 v[3:6], v13 offset:3072
	s_waitcnt lgkmcnt(0)
	s_barrier
	v_cmp_neq_f64_e32 vcc, 0, v[3:4]
	s_cbranch_vccnz .LBB42_99
; %bb.94:                               ;   in Loop: Header=BB42_96 Depth=2
	v_add_u32_e32 v8, s26, v8
	v_cmp_le_i32_e32 vcc, s74, v8
	v_add_u32_e32 v7, s16, v7
	s_mov_b64 s[36:37], 0
	s_orn2_b64 s[38:39], vcc, exec
.LBB42_95:                              ;   in Loop: Header=BB42_96 Depth=2
	s_and_b64 s[38:39], exec, s[38:39]
	s_or_b64 s[34:35], s[38:39], s[34:35]
	s_andn2_b64 s[30:31], s[30:31], exec
	s_and_b64 s[36:37], s[36:37], exec
	s_or_b64 s[30:31], s[30:31], s[36:37]
	s_andn2_b64 exec, exec, s[34:35]
	s_cbranch_execz .LBB42_100
.LBB42_96:                              ;   Parent Loop BB42_7 Depth=1
                                        ; =>  This Inner Loop Header: Depth=2
	v_cmp_gt_i32_e32 vcc, s33, v8
	s_and_saveexec_b64 s[36:37], vcc
	s_cbranch_execz .LBB42_93
; %bb.97:                               ;   in Loop: Header=BB42_96 Depth=2
	ds_read_b64 v[3:4], v7
	s_waitcnt lgkmcnt(0)
	v_cmp_o_f64_e32 vcc, v[3:4], v[3:4]
	v_ashrrev_i32_e32 v1, 31, v4
	v_or_b32_e32 v5, 0x80000000, v1
	v_xor_b32_e32 v5, v5, v4
	v_xor_b32_e32 v1, v1, v3
	v_cndmask_b32_e32 v5, -1, v5, vcc
	v_cndmask_b32_e32 v1, -1, v1, vcc
	v_and_b32_e32 v6, v5, v21
	v_and_b32_e32 v5, v1, v20
	v_cmp_eq_u64_e32 vcc, v[5:6], v[18:19]
	s_and_b64 exec, exec, vcc
	s_cbranch_execz .LBB42_93
; %bb.98:                               ;   in Loop: Header=BB42_96 Depth=2
	v_mov_b32_e32 v1, v13
	ds_write_b128 v13, v[1:4] offset:3072
	s_branch .LBB42_93
.LBB42_99:                              ;   in Loop: Header=BB42_96 Depth=2
	s_mov_b64 s[38:39], -1
                                        ; implicit-def: $vgpr8
                                        ; implicit-def: $vgpr7
	s_mov_b64 s[36:37], -1
	s_branch .LBB42_95
.LBB42_100:                             ;   in Loop: Header=BB42_7 Depth=1
	s_or_b64 exec, exec, s[34:35]
	s_andn2_b64 s[34:35], s[46:47], exec
	s_and_b64 s[30:31], s[30:31], exec
	s_or_b64 s[46:47], s[34:35], s[30:31]
.LBB42_101:                             ;   in Loop: Header=BB42_7 Depth=1
	s_or_b64 exec, exec, s[28:29]
	s_mov_b64 s[34:35], 0
	s_mov_b64 s[74:75], -1
.LBB42_102:                             ;   in Loop: Header=BB42_7 Depth=1
	s_orn2_b64 s[28:29], s[46:47], exec
.LBB42_103:                             ;   in Loop: Header=BB42_7 Depth=1
	s_or_b64 exec, exec, s[18:19]
	s_andn2_b64 s[18:19], s[72:73], exec
	s_and_b64 s[36:37], s[74:75], exec
	s_or_b64 s[72:73], s[18:19], s[36:37]
	s_andn2_b64 s[18:19], s[70:71], exec
	s_and_b64 s[34:35], s[34:35], exec
	v_readfirstlane_b32 s30, v0
	v_readfirstlane_b32 s31, v0
	s_andn2_b64 s[68:69], s[68:69], exec
	s_or_b64 s[70:71], s[18:19], s[34:35]
                                        ; implicit-def: $vgpr10
	s_and_saveexec_b64 s[18:19], s[28:29]
	s_cbranch_execz .LBB42_6
; %bb.104:                              ;   in Loop: Header=BB42_7 Depth=1
	s_xor_b64 s[28:29], s[22:23], -1
	s_mov_b64 s[22:23], 0
	v_mov_b32_e32 v10, 1
	v_mov_b32_e32 v9, 1
	s_and_saveexec_b64 s[20:21], s[28:29]
	s_cbranch_execz .LBB42_113
; %bb.105:                              ;   in Loop: Header=BB42_7 Depth=1
	v_cmp_ge_i32_e32 vcc, s80, v42
	s_and_saveexec_b64 s[22:23], vcc
	s_xor_b64 s[22:23], exec, s[22:23]
	s_cbranch_execz .LBB42_110
; %bb.106:                              ;   in Loop: Header=BB42_7 Depth=1
	ds_read_b32 v1, v13 offset:4096
	v_and_b32_e32 v19, s79, v19
	v_and_b32_e32 v18, s78, v18
	v_or_b32_e32 v21, s7, v21
	v_or_b32_e32 v20, s6, v20
	s_waitcnt lgkmcnt(0)
	v_cmp_ne_u32_e32 vcc, 0, v1
	s_cbranch_vccnz .LBB42_110
; %bb.107:                              ;   in Loop: Header=BB42_7 Depth=1
	s_and_saveexec_b64 s[28:29], s[0:1]
; %bb.108:                              ;   in Loop: Header=BB42_7 Depth=1
	v_mov_b32_e32 v1, s80
	ds_write_b32 v13, v1 offset:4100
; %bb.109:                              ;   in Loop: Header=BB42_7 Depth=1
	s_or_b64 exec, exec, s[28:29]
	s_waitcnt lgkmcnt(0)
	s_barrier
.LBB42_110:                             ;   in Loop: Header=BB42_7 Depth=1
	s_or_saveexec_b64 s[22:23], s[22:23]
	s_mov_b64 s[28:29], 0
	v_mov_b32_e32 v9, 8
	s_xor_b64 exec, exec, s[22:23]
; %bb.111:                              ;   in Loop: Header=BB42_7 Depth=1
	v_subrev_u32_e32 v42, s80, v42
	v_mov_b32_e32 v9, 0
	s_mov_b64 s[28:29], exec
; %bb.112:                              ;   in Loop: Header=BB42_7 Depth=1
	s_or_b64 exec, exec, s[22:23]
	s_and_b64 s[22:23], s[28:29], exec
	v_mov_b32_e32 v10, v42
.LBB42_113:                             ;   in Loop: Header=BB42_7 Depth=1
	s_or_b64 exec, exec, s[20:21]
	s_mov_b64 s[20:21], -1
	s_mov_b64 s[28:29], -1
                                        ; implicit-def: $sgpr74_sgpr75
                                        ; implicit-def: $sgpr76_sgpr77
	s_and_saveexec_b64 s[30:31], s[22:23]
	s_xor_b64 s[22:23], exec, s[30:31]
	s_cbranch_execz .LBB42_236
; %bb.114:                              ;   in Loop: Header=BB42_7 Depth=1
	s_cmp_eq_u32 s84, 1
	s_cselect_b64 s[28:29], -1, 0
	v_cmp_eq_u32_e32 vcc, 1, v10
	s_and_b64 s[82:83], s[28:29], vcc
	s_mov_b64 s[28:29], -1
                                        ; implicit-def: $sgpr76_sgpr77
                                        ; implicit-def: $sgpr74_sgpr75
	s_and_saveexec_b64 s[80:81], s[82:83]
	s_cbranch_execz .LBB42_142
; %bb.115:                              ;   in Loop: Header=BB42_7 Depth=1
	ds_read_b32 v1, v13 offset:4096
	s_waitcnt lgkmcnt(0)
	s_barrier
	v_readfirstlane_b32 s85, v1
	s_and_saveexec_b64 s[28:29], s[4:5]
; %bb.116:                              ;   in Loop: Header=BB42_7 Depth=1
	v_mov_b32_e32 v12, v13
	ds_write_b64 v29, v[12:13]
; %bb.117:                              ;   in Loop: Header=BB42_7 Depth=1
	s_or_b64 exec, exec, s[28:29]
	s_lshl_b64 s[28:29], 1, s17
	v_and_b32_e32 v1, s79, v19
	v_and_b32_e32 v3, s78, v18
	v_or_b32_e32 v19, s29, v1
	v_or_b32_e32 v18, s28, v3
	;; [unrolled: 1-line block ×4, first 2 shown]
	s_mov_b64 s[74:75], -1
	s_mov_b64 s[76:77], 0
	s_cmp_gt_i32 s85, 0
	s_mov_b64 s[34:35], 0
	s_mov_b64 s[46:47], -1
	s_waitcnt lgkmcnt(0)
	s_barrier
                                        ; implicit-def: $vgpr5_vgpr6
	s_cbranch_scc1 .LBB42_129
; %bb.118:                              ;   in Loop: Header=BB42_7 Depth=1
	s_mov_b64 s[46:47], 0
                                        ; implicit-def: $vgpr5_vgpr6
	s_mov_b64 s[28:29], exec
	v_readlane_b32 s30, v47, 39
	v_readlane_b32 s31, v47, 40
	s_and_b64 s[30:31], s[28:29], s[30:31]
	s_mov_b64 exec, s[30:31]
	s_cbranch_execz .LBB42_128
; %bb.119:                              ;   in Loop: Header=BB42_7 Depth=1
	s_mov_b64 s[30:31], 0
	v_mov_b32_e32 v7, v11
	v_mov_b32_e32 v12, v0
                                        ; implicit-def: $sgpr34_sgpr35
	s_branch .LBB42_123
.LBB42_120:                             ;   in Loop: Header=BB42_123 Depth=2
	s_or_b64 exec, exec, s[36:37]
	s_waitcnt lgkmcnt(0)
	s_barrier
	ds_read_b128 v[3:6], v13 offset:3072
	s_waitcnt lgkmcnt(0)
	s_barrier
	v_cmp_neq_f64_e32 vcc, 0, v[3:4]
	s_cbranch_vccnz .LBB42_126
; %bb.121:                              ;   in Loop: Header=BB42_123 Depth=2
	v_add_u32_e32 v12, s26, v12
	v_cmp_le_i32_e32 vcc, s57, v12
	v_add_u32_e32 v7, s44, v7
	s_mov_b64 s[36:37], 0
	s_orn2_b64 s[38:39], vcc, exec
.LBB42_122:                             ;   in Loop: Header=BB42_123 Depth=2
	s_and_b64 s[38:39], exec, s[38:39]
	s_or_b64 s[30:31], s[38:39], s[30:31]
	s_andn2_b64 s[34:35], s[34:35], exec
	s_and_b64 s[36:37], s[36:37], exec
	s_or_b64 s[34:35], s[34:35], s[36:37]
	s_andn2_b64 exec, exec, s[30:31]
	s_cbranch_execz .LBB42_127
.LBB42_123:                             ;   Parent Loop BB42_7 Depth=1
                                        ; =>  This Inner Loop Header: Depth=2
	v_cmp_gt_i32_e32 vcc, s40, v12
	s_and_saveexec_b64 s[36:37], vcc
	s_cbranch_execz .LBB42_120
; %bb.124:                              ;   in Loop: Header=BB42_123 Depth=2
	v_ashrrev_i32_e32 v8, 31, v7
	v_lshlrev_b64 v[3:4], 3, v[7:8]
	v_mov_b32_e32 v1, s27
	v_add_co_u32_e32 v3, vcc, s42, v3
	v_addc_co_u32_e32 v4, vcc, v1, v4, vcc
	global_load_dwordx2 v[3:4], v[3:4], off
	s_waitcnt vmcnt(0)
	v_cmp_o_f64_e32 vcc, v[3:4], v[3:4]
	v_ashrrev_i32_e32 v1, 31, v4
	v_or_b32_e32 v5, 0x80000000, v1
	v_xor_b32_e32 v5, v5, v4
	v_xor_b32_e32 v1, v1, v3
	v_cndmask_b32_e32 v5, -1, v5, vcc
	v_cndmask_b32_e32 v1, -1, v1, vcc
	v_and_b32_e32 v6, v5, v21
	v_and_b32_e32 v5, v1, v20
	v_cmp_eq_u64_e32 vcc, v[5:6], v[18:19]
	s_and_b64 exec, exec, vcc
	s_cbranch_execz .LBB42_120
; %bb.125:                              ;   in Loop: Header=BB42_123 Depth=2
	v_mov_b32_e32 v1, v13
	ds_write_b128 v13, v[1:4] offset:3072
	s_branch .LBB42_120
.LBB42_126:                             ;   in Loop: Header=BB42_123 Depth=2
	s_mov_b64 s[38:39], -1
                                        ; implicit-def: $vgpr12
                                        ; implicit-def: $vgpr7
	s_mov_b64 s[36:37], -1
	s_branch .LBB42_122
.LBB42_127:                             ;   in Loop: Header=BB42_7 Depth=1
	s_or_b64 exec, exec, s[30:31]
	s_and_b64 s[34:35], s[34:35], exec
.LBB42_128:                             ;   in Loop: Header=BB42_7 Depth=1
	s_or_b64 exec, exec, s[28:29]
.LBB42_129:                             ;   in Loop: Header=BB42_7 Depth=1
	s_and_b64 vcc, exec, s[46:47]
	s_cbranch_vccz .LBB42_141
; %bb.130:                              ;   in Loop: Header=BB42_7 Depth=1
	v_readlane_b32 s28, v47, 29
	s_add_i32 s33, s85, s28
	s_abs_i32 s29, s33
	s_mul_hi_u32 s30, s29, s56
	s_mul_i32 s30, s30, s26
	s_sub_i32 s29, s29, s30
	s_ashr_i32 s28, s33, 31
	s_sub_i32 s30, s29, s26
	s_cmp_ge_u32 s29, s26
	s_cselect_b32 s29, s30, s29
	s_sub_i32 s30, s29, s26
	s_cmp_ge_u32 s29, s26
	s_cselect_b32 s29, s30, s29
	s_xor_b32 s29, s29, s28
	s_sub_i32 s28, s28, s29
	s_add_i32 s33, s33, s28
	v_cmp_gt_i32_e32 vcc, s33, v0
                                        ; implicit-def: $vgpr5_vgpr6
	s_and_saveexec_b64 s[28:29], vcc
	s_cbranch_execz .LBB42_140
; %bb.131:                              ;   in Loop: Header=BB42_7 Depth=1
	s_mov_b64 s[30:31], 0
	v_mov_b32_e32 v7, v28
	v_mov_b32_e32 v8, v0
                                        ; implicit-def: $sgpr36_sgpr37
	s_branch .LBB42_135
.LBB42_132:                             ;   in Loop: Header=BB42_135 Depth=2
	s_or_b64 exec, exec, s[38:39]
	s_waitcnt lgkmcnt(0)
	s_barrier
	ds_read_b128 v[3:6], v13 offset:3072
	s_waitcnt lgkmcnt(0)
	s_barrier
	v_cmp_eq_f64_e32 vcc, 0, v[3:4]
	s_cbranch_vccz .LBB42_138
; %bb.133:                              ;   in Loop: Header=BB42_135 Depth=2
	v_add_u32_e32 v8, s26, v8
	v_cmp_le_i32_e32 vcc, s33, v8
	v_add_u32_e32 v7, s16, v7
	s_mov_b64 s[38:39], 0
	s_orn2_b64 s[46:47], vcc, exec
.LBB42_134:                             ;   in Loop: Header=BB42_135 Depth=2
	s_and_b64 s[46:47], exec, s[46:47]
	s_or_b64 s[30:31], s[46:47], s[30:31]
	s_andn2_b64 s[36:37], s[36:37], exec
	s_and_b64 s[38:39], s[38:39], exec
	s_or_b64 s[36:37], s[36:37], s[38:39]
	s_andn2_b64 exec, exec, s[30:31]
	s_cbranch_execz .LBB42_139
.LBB42_135:                             ;   Parent Loop BB42_7 Depth=1
                                        ; =>  This Inner Loop Header: Depth=2
	v_cmp_gt_i32_e32 vcc, s85, v8
	s_and_saveexec_b64 s[38:39], vcc
	s_cbranch_execz .LBB42_132
; %bb.136:                              ;   in Loop: Header=BB42_135 Depth=2
	ds_read_b64 v[3:4], v7
	s_waitcnt lgkmcnt(0)
	v_cmp_o_f64_e32 vcc, v[3:4], v[3:4]
	v_ashrrev_i32_e32 v1, 31, v4
	v_or_b32_e32 v5, 0x80000000, v1
	v_xor_b32_e32 v5, v5, v4
	v_xor_b32_e32 v1, v1, v3
	v_cndmask_b32_e32 v5, -1, v5, vcc
	v_cndmask_b32_e32 v1, -1, v1, vcc
	v_and_b32_e32 v6, v5, v21
	v_and_b32_e32 v5, v1, v20
	v_cmp_eq_u64_e32 vcc, v[5:6], v[18:19]
	s_and_b64 exec, exec, vcc
	s_cbranch_execz .LBB42_132
; %bb.137:                              ;   in Loop: Header=BB42_135 Depth=2
	v_mov_b32_e32 v1, v13
	ds_write_b128 v13, v[1:4] offset:3072
	s_branch .LBB42_132
.LBB42_138:                             ;   in Loop: Header=BB42_135 Depth=2
	s_mov_b64 s[46:47], -1
                                        ; implicit-def: $vgpr8
                                        ; implicit-def: $vgpr7
	s_mov_b64 s[38:39], -1
	s_branch .LBB42_134
.LBB42_139:                             ;   in Loop: Header=BB42_7 Depth=1
	s_or_b64 exec, exec, s[30:31]
	s_andn2_b64 s[30:31], s[34:35], exec
	s_and_b64 s[34:35], s[36:37], exec
	s_or_b64 s[34:35], s[30:31], s[34:35]
.LBB42_140:                             ;   in Loop: Header=BB42_7 Depth=1
	s_or_b64 exec, exec, s[28:29]
	s_mov_b64 s[74:75], 0
	s_mov_b64 s[76:77], -1
.LBB42_141:                             ;   in Loop: Header=BB42_7 Depth=1
	s_orn2_b64 s[28:29], s[34:35], exec
.LBB42_142:                             ;   in Loop: Header=BB42_7 Depth=1
	s_or_b64 exec, exec, s[80:81]
	s_mov_b64 s[30:31], 0
	s_and_saveexec_b64 s[80:81], s[28:29]
	s_cbranch_execz .LBB42_235
; %bb.143:                              ;   in Loop: Header=BB42_7 Depth=1
	s_xor_b64 s[28:29], s[82:83], -1
	v_mov_b32_e32 v22, 1
	v_mov_b32_e32 v9, 1
	s_and_saveexec_b64 s[34:35], s[28:29]
	s_cbranch_execz .LBB42_152
; %bb.144:                              ;   in Loop: Header=BB42_7 Depth=1
	v_cmp_ge_i32_e32 vcc, s84, v10
	s_and_saveexec_b64 s[28:29], vcc
	s_xor_b64 s[28:29], exec, s[28:29]
	s_cbranch_execz .LBB42_149
; %bb.145:                              ;   in Loop: Header=BB42_7 Depth=1
	s_lshl_b64 s[30:31], 1, s17
	v_and_b32_e32 v1, s79, v19
	v_or_b32_e32 v19, s31, v1
	ds_read_b32 v1, v13 offset:4096
	v_and_b32_e32 v3, s78, v18
	v_or_b32_e32 v18, s30, v3
	v_or_b32_e32 v21, s7, v21
	;; [unrolled: 1-line block ×3, first 2 shown]
	s_waitcnt lgkmcnt(0)
	v_cmp_ne_u32_e32 vcc, 0, v1
	s_cbranch_vccnz .LBB42_149
; %bb.146:                              ;   in Loop: Header=BB42_7 Depth=1
	s_and_saveexec_b64 s[30:31], s[0:1]
; %bb.147:                              ;   in Loop: Header=BB42_7 Depth=1
	v_mov_b32_e32 v1, s84
	ds_write_b32 v13, v1 offset:4100
; %bb.148:                              ;   in Loop: Header=BB42_7 Depth=1
	s_or_b64 exec, exec, s[30:31]
	s_waitcnt lgkmcnt(0)
	s_barrier
.LBB42_149:                             ;   in Loop: Header=BB42_7 Depth=1
	s_or_saveexec_b64 s[28:29], s[28:29]
	s_mov_b64 s[30:31], 0
	v_mov_b32_e32 v9, 8
	s_xor_b64 exec, exec, s[28:29]
; %bb.150:                              ;   in Loop: Header=BB42_7 Depth=1
	v_subrev_u32_e32 v10, s84, v10
	v_mov_b32_e32 v9, 0
	s_mov_b64 s[30:31], exec
; %bb.151:                              ;   in Loop: Header=BB42_7 Depth=1
	s_or_b64 exec, exec, s[28:29]
	s_and_b64 s[30:31], s[30:31], exec
	v_mov_b32_e32 v22, v10
.LBB42_152:                             ;   in Loop: Header=BB42_7 Depth=1
	s_or_b64 exec, exec, s[34:35]
	s_mov_b64 s[28:29], -1
                                        ; implicit-def: $sgpr84_sgpr85
                                        ; implicit-def: $sgpr86_sgpr87
	s_and_saveexec_b64 s[82:83], s[30:31]
	s_cbranch_execz .LBB42_234
; %bb.153:                              ;   in Loop: Header=BB42_7 Depth=1
	s_cmp_eq_u32 s92, 1
	s_cselect_b64 s[28:29], -1, 0
	v_cmp_eq_u32_e32 vcc, 1, v22
	s_and_b64 s[90:91], s[28:29], vcc
	s_mov_b64 s[28:29], -1
                                        ; implicit-def: $sgpr86_sgpr87
                                        ; implicit-def: $sgpr84_sgpr85
	s_and_saveexec_b64 s[88:89], s[90:91]
	s_cbranch_execz .LBB42_181
; %bb.154:                              ;   in Loop: Header=BB42_7 Depth=1
	ds_read_b32 v1, v13 offset:4096
	s_waitcnt lgkmcnt(0)
	s_barrier
	v_readfirstlane_b32 s93, v1
	s_and_saveexec_b64 s[28:29], s[4:5]
; %bb.155:                              ;   in Loop: Header=BB42_7 Depth=1
	v_mov_b32_e32 v12, v13
	ds_write_b64 v29, v[12:13]
; %bb.156:                              ;   in Loop: Header=BB42_7 Depth=1
	s_or_b64 exec, exec, s[28:29]
	s_lshl_b64 s[28:29], 2, s17
	v_and_b32_e32 v1, s79, v19
	v_and_b32_e32 v3, s78, v18
	v_or_b32_e32 v19, s29, v1
	v_or_b32_e32 v18, s28, v3
	;; [unrolled: 1-line block ×4, first 2 shown]
	s_mov_b64 s[84:85], -1
	s_mov_b64 s[86:87], 0
	s_cmp_gt_i32 s93, 0
	s_mov_b64 s[34:35], 0
	s_mov_b64 s[46:47], -1
	s_waitcnt lgkmcnt(0)
	s_barrier
                                        ; implicit-def: $vgpr5_vgpr6
	s_cbranch_scc1 .LBB42_168
; %bb.157:                              ;   in Loop: Header=BB42_7 Depth=1
	s_mov_b64 s[46:47], 0
                                        ; implicit-def: $vgpr5_vgpr6
	s_mov_b64 s[28:29], exec
	v_readlane_b32 s30, v47, 39
	v_readlane_b32 s31, v47, 40
	s_and_b64 s[30:31], s[28:29], s[30:31]
	s_mov_b64 exec, s[30:31]
	s_cbranch_execz .LBB42_167
; %bb.158:                              ;   in Loop: Header=BB42_7 Depth=1
	s_mov_b64 s[30:31], 0
	v_mov_b32_e32 v7, v11
	v_mov_b32_e32 v10, v0
                                        ; implicit-def: $sgpr34_sgpr35
	s_branch .LBB42_162
.LBB42_159:                             ;   in Loop: Header=BB42_162 Depth=2
	s_or_b64 exec, exec, s[36:37]
	s_waitcnt lgkmcnt(0)
	s_barrier
	ds_read_b128 v[3:6], v13 offset:3072
	s_waitcnt lgkmcnt(0)
	s_barrier
	v_cmp_neq_f64_e32 vcc, 0, v[3:4]
	s_cbranch_vccnz .LBB42_165
; %bb.160:                              ;   in Loop: Header=BB42_162 Depth=2
	v_add_u32_e32 v10, s26, v10
	v_cmp_le_i32_e32 vcc, s57, v10
	v_add_u32_e32 v7, s44, v7
	s_mov_b64 s[36:37], 0
	s_orn2_b64 s[38:39], vcc, exec
.LBB42_161:                             ;   in Loop: Header=BB42_162 Depth=2
	s_and_b64 s[38:39], exec, s[38:39]
	s_or_b64 s[30:31], s[38:39], s[30:31]
	s_andn2_b64 s[34:35], s[34:35], exec
	s_and_b64 s[36:37], s[36:37], exec
	s_or_b64 s[34:35], s[34:35], s[36:37]
	s_andn2_b64 exec, exec, s[30:31]
	s_cbranch_execz .LBB42_166
.LBB42_162:                             ;   Parent Loop BB42_7 Depth=1
                                        ; =>  This Inner Loop Header: Depth=2
	v_cmp_gt_i32_e32 vcc, s40, v10
	s_and_saveexec_b64 s[36:37], vcc
	s_cbranch_execz .LBB42_159
; %bb.163:                              ;   in Loop: Header=BB42_162 Depth=2
	v_ashrrev_i32_e32 v8, 31, v7
	v_lshlrev_b64 v[3:4], 3, v[7:8]
	v_mov_b32_e32 v1, s27
	v_add_co_u32_e32 v3, vcc, s42, v3
	v_addc_co_u32_e32 v4, vcc, v1, v4, vcc
	global_load_dwordx2 v[3:4], v[3:4], off
	s_waitcnt vmcnt(0)
	v_cmp_o_f64_e32 vcc, v[3:4], v[3:4]
	v_ashrrev_i32_e32 v1, 31, v4
	v_or_b32_e32 v5, 0x80000000, v1
	v_xor_b32_e32 v5, v5, v4
	v_xor_b32_e32 v1, v1, v3
	v_cndmask_b32_e32 v5, -1, v5, vcc
	v_cndmask_b32_e32 v1, -1, v1, vcc
	v_and_b32_e32 v6, v5, v21
	v_and_b32_e32 v5, v1, v20
	v_cmp_eq_u64_e32 vcc, v[5:6], v[18:19]
	s_and_b64 exec, exec, vcc
	s_cbranch_execz .LBB42_159
; %bb.164:                              ;   in Loop: Header=BB42_162 Depth=2
	v_mov_b32_e32 v1, v13
	ds_write_b128 v13, v[1:4] offset:3072
	s_branch .LBB42_159
.LBB42_165:                             ;   in Loop: Header=BB42_162 Depth=2
	s_mov_b64 s[38:39], -1
                                        ; implicit-def: $vgpr10
                                        ; implicit-def: $vgpr7
	s_mov_b64 s[36:37], -1
	s_branch .LBB42_161
.LBB42_166:                             ;   in Loop: Header=BB42_7 Depth=1
	s_or_b64 exec, exec, s[30:31]
	s_and_b64 s[34:35], s[34:35], exec
.LBB42_167:                             ;   in Loop: Header=BB42_7 Depth=1
	s_or_b64 exec, exec, s[28:29]
.LBB42_168:                             ;   in Loop: Header=BB42_7 Depth=1
	s_and_b64 vcc, exec, s[46:47]
	s_cbranch_vccz .LBB42_180
; %bb.169:                              ;   in Loop: Header=BB42_7 Depth=1
	v_readlane_b32 s28, v47, 29
	s_add_i32 s33, s93, s28
	s_abs_i32 s29, s33
	s_mul_hi_u32 s30, s29, s56
	s_mul_i32 s30, s30, s26
	s_sub_i32 s29, s29, s30
	s_ashr_i32 s28, s33, 31
	s_sub_i32 s30, s29, s26
	s_cmp_ge_u32 s29, s26
	s_cselect_b32 s29, s30, s29
	s_sub_i32 s30, s29, s26
	s_cmp_ge_u32 s29, s26
	s_cselect_b32 s29, s30, s29
	s_xor_b32 s29, s29, s28
	s_sub_i32 s28, s28, s29
	s_add_i32 s33, s33, s28
	v_cmp_gt_i32_e32 vcc, s33, v0
                                        ; implicit-def: $vgpr5_vgpr6
	s_and_saveexec_b64 s[28:29], vcc
	s_cbranch_execz .LBB42_179
; %bb.170:                              ;   in Loop: Header=BB42_7 Depth=1
	s_mov_b64 s[30:31], 0
	v_mov_b32_e32 v7, v28
	v_mov_b32_e32 v8, v0
                                        ; implicit-def: $sgpr36_sgpr37
	s_branch .LBB42_174
.LBB42_171:                             ;   in Loop: Header=BB42_174 Depth=2
	s_or_b64 exec, exec, s[38:39]
	s_waitcnt lgkmcnt(0)
	s_barrier
	ds_read_b128 v[3:6], v13 offset:3072
	s_waitcnt lgkmcnt(0)
	s_barrier
	v_cmp_eq_f64_e32 vcc, 0, v[3:4]
	s_cbranch_vccz .LBB42_177
; %bb.172:                              ;   in Loop: Header=BB42_174 Depth=2
	v_add_u32_e32 v8, s26, v8
	v_cmp_le_i32_e32 vcc, s33, v8
	v_add_u32_e32 v7, s16, v7
	s_mov_b64 s[38:39], 0
	s_orn2_b64 s[46:47], vcc, exec
.LBB42_173:                             ;   in Loop: Header=BB42_174 Depth=2
	s_and_b64 s[46:47], exec, s[46:47]
	s_or_b64 s[30:31], s[46:47], s[30:31]
	s_andn2_b64 s[36:37], s[36:37], exec
	s_and_b64 s[38:39], s[38:39], exec
	s_or_b64 s[36:37], s[36:37], s[38:39]
	s_andn2_b64 exec, exec, s[30:31]
	s_cbranch_execz .LBB42_178
.LBB42_174:                             ;   Parent Loop BB42_7 Depth=1
                                        ; =>  This Inner Loop Header: Depth=2
	v_cmp_gt_i32_e32 vcc, s93, v8
	s_and_saveexec_b64 s[38:39], vcc
	s_cbranch_execz .LBB42_171
; %bb.175:                              ;   in Loop: Header=BB42_174 Depth=2
	ds_read_b64 v[3:4], v7
	s_waitcnt lgkmcnt(0)
	v_cmp_o_f64_e32 vcc, v[3:4], v[3:4]
	v_ashrrev_i32_e32 v1, 31, v4
	v_or_b32_e32 v5, 0x80000000, v1
	v_xor_b32_e32 v5, v5, v4
	v_xor_b32_e32 v1, v1, v3
	v_cndmask_b32_e32 v5, -1, v5, vcc
	v_cndmask_b32_e32 v1, -1, v1, vcc
	v_and_b32_e32 v6, v5, v21
	v_and_b32_e32 v5, v1, v20
	v_cmp_eq_u64_e32 vcc, v[5:6], v[18:19]
	s_and_b64 exec, exec, vcc
	s_cbranch_execz .LBB42_171
; %bb.176:                              ;   in Loop: Header=BB42_174 Depth=2
	v_mov_b32_e32 v1, v13
	ds_write_b128 v13, v[1:4] offset:3072
	s_branch .LBB42_171
.LBB42_177:                             ;   in Loop: Header=BB42_174 Depth=2
	s_mov_b64 s[46:47], -1
                                        ; implicit-def: $vgpr8
                                        ; implicit-def: $vgpr7
	s_mov_b64 s[38:39], -1
	s_branch .LBB42_173
.LBB42_178:                             ;   in Loop: Header=BB42_7 Depth=1
	s_or_b64 exec, exec, s[30:31]
	s_andn2_b64 s[30:31], s[34:35], exec
	s_and_b64 s[34:35], s[36:37], exec
	s_or_b64 s[34:35], s[30:31], s[34:35]
.LBB42_179:                             ;   in Loop: Header=BB42_7 Depth=1
	s_or_b64 exec, exec, s[28:29]
	s_mov_b64 s[84:85], 0
	s_mov_b64 s[86:87], -1
.LBB42_180:                             ;   in Loop: Header=BB42_7 Depth=1
	s_orn2_b64 s[28:29], s[34:35], exec
.LBB42_181:                             ;   in Loop: Header=BB42_7 Depth=1
	s_or_b64 exec, exec, s[88:89]
	s_mov_b64 s[30:31], 0
	s_and_saveexec_b64 s[88:89], s[28:29]
	s_cbranch_execz .LBB42_233
; %bb.182:                              ;   in Loop: Header=BB42_7 Depth=1
	s_xor_b64 s[28:29], s[90:91], -1
	v_mov_b32_e32 v10, 1
	v_mov_b32_e32 v9, 1
	s_and_saveexec_b64 s[34:35], s[28:29]
	s_cbranch_execz .LBB42_191
; %bb.183:                              ;   in Loop: Header=BB42_7 Depth=1
	v_cmp_ge_i32_e32 vcc, s92, v22
	s_and_saveexec_b64 s[28:29], vcc
	s_xor_b64 s[28:29], exec, s[28:29]
	s_cbranch_execz .LBB42_188
; %bb.184:                              ;   in Loop: Header=BB42_7 Depth=1
	s_lshl_b64 s[30:31], 2, s17
	v_and_b32_e32 v1, s79, v19
	v_or_b32_e32 v19, s31, v1
	ds_read_b32 v1, v13 offset:4096
	v_and_b32_e32 v3, s78, v18
	v_or_b32_e32 v18, s30, v3
	v_or_b32_e32 v21, s7, v21
	;; [unrolled: 1-line block ×3, first 2 shown]
	s_waitcnt lgkmcnt(0)
	v_cmp_ne_u32_e32 vcc, 0, v1
	s_cbranch_vccnz .LBB42_188
; %bb.185:                              ;   in Loop: Header=BB42_7 Depth=1
	s_and_saveexec_b64 s[30:31], s[0:1]
; %bb.186:                              ;   in Loop: Header=BB42_7 Depth=1
	v_mov_b32_e32 v1, s92
	ds_write_b32 v13, v1 offset:4100
; %bb.187:                              ;   in Loop: Header=BB42_7 Depth=1
	s_or_b64 exec, exec, s[30:31]
	s_waitcnt lgkmcnt(0)
	s_barrier
.LBB42_188:                             ;   in Loop: Header=BB42_7 Depth=1
	s_or_saveexec_b64 s[28:29], s[28:29]
	s_mov_b64 s[30:31], 0
	v_mov_b32_e32 v9, 8
	s_xor_b64 exec, exec, s[28:29]
; %bb.189:                              ;   in Loop: Header=BB42_7 Depth=1
	v_subrev_u32_e32 v22, s92, v22
	v_mov_b32_e32 v9, 0
	s_mov_b64 s[30:31], exec
; %bb.190:                              ;   in Loop: Header=BB42_7 Depth=1
	s_or_b64 exec, exec, s[28:29]
	s_and_b64 s[30:31], s[30:31], exec
	v_mov_b32_e32 v10, v22
.LBB42_191:                             ;   in Loop: Header=BB42_7 Depth=1
	s_or_b64 exec, exec, s[34:35]
	s_mov_b64 s[28:29], -1
                                        ; implicit-def: $sgpr94_sgpr95
                                        ; implicit-def: $sgpr90_sgpr91
	s_and_saveexec_b64 s[78:79], s[30:31]
	s_cbranch_execz .LBB42_232
; %bb.192:                              ;   in Loop: Header=BB42_7 Depth=1
	s_cmp_eq_u32 s41, 1
	s_cselect_b64 s[28:29], -1, 0
	v_cmp_eq_u32_e32 vcc, 1, v10
	s_and_b64 s[92:93], s[28:29], vcc
	s_mov_b64 s[30:31], -1
                                        ; implicit-def: $sgpr94_sgpr95
                                        ; implicit-def: $sgpr90_sgpr91
	s_and_saveexec_b64 s[34:35], s[92:93]
	s_cbranch_execz .LBB42_220
; %bb.193:                              ;   in Loop: Header=BB42_7 Depth=1
	ds_read_b32 v1, v13 offset:4096
	s_waitcnt lgkmcnt(0)
	s_barrier
	v_readfirstlane_b32 s33, v1
	s_and_saveexec_b64 s[28:29], s[4:5]
; %bb.194:                              ;   in Loop: Header=BB42_7 Depth=1
	v_mov_b32_e32 v12, v13
	ds_write_b64 v29, v[12:13]
; %bb.195:                              ;   in Loop: Header=BB42_7 Depth=1
	s_or_b64 exec, exec, s[28:29]
	v_or_b32_e32 v19, s7, v19
	v_or_b32_e32 v18, s6, v18
	;; [unrolled: 1-line block ×4, first 2 shown]
	s_mov_b64 s[90:91], -1
	s_mov_b64 s[94:95], 0
	s_cmp_gt_i32 s33, 0
	s_mov_b64 s[46:47], 0
	s_mov_b64 s[28:29], -1
	s_waitcnt lgkmcnt(0)
	s_barrier
                                        ; implicit-def: $vgpr5_vgpr6
	s_cbranch_scc1 .LBB42_207
; %bb.196:                              ;   in Loop: Header=BB42_7 Depth=1
	s_mov_b64 s[28:29], 0
                                        ; implicit-def: $vgpr5_vgpr6
	s_mov_b64 s[30:31], exec
	v_readlane_b32 s36, v47, 39
	v_readlane_b32 s37, v47, 40
	s_and_b64 s[36:37], s[30:31], s[36:37]
	s_mov_b64 exec, s[36:37]
	s_cbranch_execz .LBB42_206
; %bb.197:                              ;   in Loop: Header=BB42_7 Depth=1
	v_mov_b32_e32 v7, v11
	v_mov_b32_e32 v12, v0
                                        ; implicit-def: $sgpr36_sgpr37
	s_branch .LBB42_201
.LBB42_198:                             ;   in Loop: Header=BB42_201 Depth=2
	s_or_b64 exec, exec, s[38:39]
	s_waitcnt lgkmcnt(0)
	s_barrier
	ds_read_b128 v[3:6], v13 offset:3072
	s_waitcnt lgkmcnt(0)
	s_barrier
	v_cmp_neq_f64_e32 vcc, 0, v[3:4]
	s_cbranch_vccnz .LBB42_204
; %bb.199:                              ;   in Loop: Header=BB42_201 Depth=2
	v_add_u32_e32 v12, s26, v12
	v_cmp_le_i32_e32 vcc, s57, v12
	v_add_u32_e32 v7, s44, v7
	s_mov_b64 s[38:39], 0
	s_orn2_b64 vcc, vcc, exec
.LBB42_200:                             ;   in Loop: Header=BB42_201 Depth=2
	s_and_b64 vcc, exec, vcc
	s_or_b64 s[46:47], vcc, s[46:47]
	s_andn2_b64 s[36:37], s[36:37], exec
	s_and_b64 s[38:39], s[38:39], exec
	s_or_b64 s[36:37], s[36:37], s[38:39]
	s_andn2_b64 exec, exec, s[46:47]
	s_cbranch_execz .LBB42_205
.LBB42_201:                             ;   Parent Loop BB42_7 Depth=1
                                        ; =>  This Inner Loop Header: Depth=2
	v_cmp_gt_i32_e32 vcc, s40, v12
	s_and_saveexec_b64 s[38:39], vcc
	s_cbranch_execz .LBB42_198
; %bb.202:                              ;   in Loop: Header=BB42_201 Depth=2
	v_ashrrev_i32_e32 v8, 31, v7
	v_lshlrev_b64 v[3:4], 3, v[7:8]
	v_mov_b32_e32 v1, s27
	v_add_co_u32_e32 v3, vcc, s42, v3
	v_addc_co_u32_e32 v4, vcc, v1, v4, vcc
	global_load_dwordx2 v[3:4], v[3:4], off
	s_waitcnt vmcnt(0)
	v_cmp_o_f64_e32 vcc, v[3:4], v[3:4]
	v_ashrrev_i32_e32 v1, 31, v4
	v_or_b32_e32 v5, 0x80000000, v1
	v_xor_b32_e32 v5, v5, v4
	v_xor_b32_e32 v1, v1, v3
	v_cndmask_b32_e32 v5, -1, v5, vcc
	v_cndmask_b32_e32 v1, -1, v1, vcc
	v_and_b32_e32 v6, v5, v21
	v_and_b32_e32 v5, v1, v20
	v_cmp_eq_u64_e32 vcc, v[5:6], v[18:19]
	s_and_b64 exec, exec, vcc
	s_cbranch_execz .LBB42_198
; %bb.203:                              ;   in Loop: Header=BB42_201 Depth=2
	v_mov_b32_e32 v1, v13
	ds_write_b128 v13, v[1:4] offset:3072
	s_branch .LBB42_198
.LBB42_204:                             ;   in Loop: Header=BB42_201 Depth=2
	s_mov_b64 vcc, -1
                                        ; implicit-def: $vgpr12
                                        ; implicit-def: $vgpr7
	s_mov_b64 s[38:39], -1
	s_branch .LBB42_200
.LBB42_205:                             ;   in Loop: Header=BB42_7 Depth=1
	s_or_b64 exec, exec, s[46:47]
	s_and_b64 s[46:47], s[36:37], exec
.LBB42_206:                             ;   in Loop: Header=BB42_7 Depth=1
	s_or_b64 exec, exec, s[30:31]
.LBB42_207:                             ;   in Loop: Header=BB42_7 Depth=1
	s_and_b64 vcc, exec, s[28:29]
	s_cbranch_vccz .LBB42_219
; %bb.208:                              ;   in Loop: Header=BB42_7 Depth=1
	v_readlane_b32 s28, v47, 29
	s_add_i32 s94, s33, s28
	s_abs_i32 s29, s94
	s_mul_hi_u32 s30, s29, s56
	s_mul_i32 s30, s30, s26
	s_sub_i32 s29, s29, s30
	s_ashr_i32 s28, s94, 31
	s_sub_i32 s30, s29, s26
	s_cmp_ge_u32 s29, s26
	s_cselect_b32 s29, s30, s29
	s_sub_i32 s30, s29, s26
	s_cmp_ge_u32 s29, s26
	s_cselect_b32 s29, s30, s29
	s_xor_b32 s29, s29, s28
	s_sub_i32 s28, s28, s29
	s_add_i32 s94, s94, s28
	v_cmp_gt_i32_e32 vcc, s94, v0
                                        ; implicit-def: $vgpr5_vgpr6
	s_and_saveexec_b64 s[28:29], vcc
	s_cbranch_execz .LBB42_218
; %bb.209:                              ;   in Loop: Header=BB42_7 Depth=1
	s_mov_b64 s[30:31], 0
	v_mov_b32_e32 v7, v28
	v_mov_b32_e32 v8, v0
                                        ; implicit-def: $sgpr36_sgpr37
	s_branch .LBB42_213
.LBB42_210:                             ;   in Loop: Header=BB42_213 Depth=2
	s_or_b64 exec, exec, s[38:39]
	s_waitcnt lgkmcnt(0)
	s_barrier
	ds_read_b128 v[3:6], v13 offset:3072
	s_waitcnt lgkmcnt(0)
	s_barrier
	v_cmp_eq_f64_e32 vcc, 0, v[3:4]
	s_cbranch_vccz .LBB42_216
; %bb.211:                              ;   in Loop: Header=BB42_213 Depth=2
	v_add_u32_e32 v8, s26, v8
	v_cmp_le_i32_e32 vcc, s94, v8
	v_add_u32_e32 v7, s16, v7
	s_mov_b64 s[38:39], 0
	s_orn2_b64 s[90:91], vcc, exec
.LBB42_212:                             ;   in Loop: Header=BB42_213 Depth=2
	s_and_b64 s[90:91], exec, s[90:91]
	s_or_b64 s[30:31], s[90:91], s[30:31]
	s_andn2_b64 s[36:37], s[36:37], exec
	s_and_b64 s[38:39], s[38:39], exec
	s_or_b64 s[36:37], s[36:37], s[38:39]
	s_andn2_b64 exec, exec, s[30:31]
	s_cbranch_execz .LBB42_217
.LBB42_213:                             ;   Parent Loop BB42_7 Depth=1
                                        ; =>  This Inner Loop Header: Depth=2
	v_cmp_gt_i32_e32 vcc, s33, v8
	s_and_saveexec_b64 s[38:39], vcc
	s_cbranch_execz .LBB42_210
; %bb.214:                              ;   in Loop: Header=BB42_213 Depth=2
	ds_read_b64 v[3:4], v7
	s_waitcnt lgkmcnt(0)
	v_cmp_o_f64_e32 vcc, v[3:4], v[3:4]
	v_ashrrev_i32_e32 v1, 31, v4
	v_or_b32_e32 v5, 0x80000000, v1
	v_xor_b32_e32 v5, v5, v4
	v_xor_b32_e32 v1, v1, v3
	v_cndmask_b32_e32 v5, -1, v5, vcc
	v_cndmask_b32_e32 v1, -1, v1, vcc
	v_and_b32_e32 v6, v5, v21
	v_and_b32_e32 v5, v1, v20
	v_cmp_eq_u64_e32 vcc, v[5:6], v[18:19]
	s_and_b64 exec, exec, vcc
	s_cbranch_execz .LBB42_210
; %bb.215:                              ;   in Loop: Header=BB42_213 Depth=2
	v_mov_b32_e32 v1, v13
	ds_write_b128 v13, v[1:4] offset:3072
	s_branch .LBB42_210
.LBB42_216:                             ;   in Loop: Header=BB42_213 Depth=2
	s_mov_b64 s[90:91], -1
                                        ; implicit-def: $vgpr8
                                        ; implicit-def: $vgpr7
	s_mov_b64 s[38:39], -1
	s_branch .LBB42_212
.LBB42_217:                             ;   in Loop: Header=BB42_7 Depth=1
	s_or_b64 exec, exec, s[30:31]
	s_andn2_b64 s[30:31], s[46:47], exec
	s_and_b64 s[36:37], s[36:37], exec
	s_or_b64 s[46:47], s[30:31], s[36:37]
.LBB42_218:                             ;   in Loop: Header=BB42_7 Depth=1
	s_or_b64 exec, exec, s[28:29]
	s_mov_b64 s[90:91], 0
	s_mov_b64 s[94:95], -1
.LBB42_219:                             ;   in Loop: Header=BB42_7 Depth=1
	s_orn2_b64 s[30:31], s[46:47], exec
.LBB42_220:                             ;   in Loop: Header=BB42_7 Depth=1
	s_or_b64 exec, exec, s[34:35]
	s_mov_b64 s[34:35], 0
	s_and_saveexec_b64 s[28:29], s[30:31]
	s_cbranch_execz .LBB42_231
; %bb.221:                              ;   in Loop: Header=BB42_7 Depth=1
	s_xor_b64 s[34:35], s[92:93], -1
	v_mov_b32_e32 v9, 1
	v_mov_b32_e32 v1, 1
	s_and_saveexec_b64 s[30:31], s[34:35]
	s_cbranch_execz .LBB42_230
; %bb.222:                              ;   in Loop: Header=BB42_7 Depth=1
	v_cmp_ge_i32_e32 vcc, s41, v10
	s_and_saveexec_b64 s[34:35], vcc
	s_xor_b64 s[34:35], exec, s[34:35]
	s_cbranch_execz .LBB42_227
; %bb.223:                              ;   in Loop: Header=BB42_7 Depth=1
	ds_read_b32 v1, v13 offset:4096
	v_or_b32_e32 v19, s7, v19
	v_or_b32_e32 v18, s6, v18
	;; [unrolled: 1-line block ×4, first 2 shown]
	s_waitcnt lgkmcnt(0)
	v_cmp_ne_u32_e32 vcc, 0, v1
	s_cbranch_vccnz .LBB42_227
; %bb.224:                              ;   in Loop: Header=BB42_7 Depth=1
	s_and_saveexec_b64 s[6:7], s[0:1]
; %bb.225:                              ;   in Loop: Header=BB42_7 Depth=1
	v_mov_b32_e32 v1, s41
	ds_write_b32 v13, v1 offset:4100
; %bb.226:                              ;   in Loop: Header=BB42_7 Depth=1
	s_or_b64 exec, exec, s[6:7]
	s_waitcnt lgkmcnt(0)
	s_barrier
.LBB42_227:                             ;   in Loop: Header=BB42_7 Depth=1
	s_andn2_saveexec_b64 s[6:7], s[34:35]
; %bb.228:                              ;   in Loop: Header=BB42_7 Depth=1
	v_subrev_u32_e32 v10, s41, v10
; %bb.229:                              ;   in Loop: Header=BB42_7 Depth=1
	s_or_b64 exec, exec, s[6:7]
	v_mov_b32_e32 v9, 8
	v_mov_b32_e32 v1, v10
.LBB42_230:                             ;   in Loop: Header=BB42_7 Depth=1
	s_or_b64 exec, exec, s[30:31]
	s_mov_b64 s[34:35], exec
	v_mov_b32_e32 v10, v1
.LBB42_231:                             ;   in Loop: Header=BB42_7 Depth=1
	s_or_b64 exec, exec, s[28:29]
	s_orn2_b64 s[28:29], s[34:35], exec
.LBB42_232:                             ;   in Loop: Header=BB42_7 Depth=1
	s_or_b64 exec, exec, s[78:79]
	s_andn2_b64 s[6:7], s[86:87], exec
	s_and_b64 s[30:31], s[94:95], exec
	s_or_b64 s[86:87], s[6:7], s[30:31]
	s_andn2_b64 s[6:7], s[84:85], exec
	s_and_b64 s[30:31], s[90:91], exec
	s_or_b64 s[84:85], s[6:7], s[30:31]
	s_and_b64 s[30:31], s[28:29], exec
	v_mov_b32_e32 v22, v10
.LBB42_233:                             ;   in Loop: Header=BB42_7 Depth=1
	s_or_b64 exec, exec, s[88:89]
	s_orn2_b64 s[28:29], s[30:31], exec
.LBB42_234:                             ;   in Loop: Header=BB42_7 Depth=1
	s_or_b64 exec, exec, s[82:83]
	s_andn2_b64 s[6:7], s[76:77], exec
	s_and_b64 s[30:31], s[86:87], exec
	s_or_b64 s[76:77], s[6:7], s[30:31]
	s_andn2_b64 s[6:7], s[74:75], exec
	s_and_b64 s[30:31], s[84:85], exec
	s_or_b64 s[74:75], s[6:7], s[30:31]
	s_and_b64 s[30:31], s[28:29], exec
	v_mov_b32_e32 v10, v22
.LBB42_235:                             ;   in Loop: Header=BB42_7 Depth=1
	s_or_b64 exec, exec, s[80:81]
	s_orn2_b64 s[28:29], s[30:31], exec
.LBB42_236:                             ;   in Loop: Header=BB42_7 Depth=1
	s_or_b64 exec, exec, s[22:23]
	s_mov_b64 s[22:23], 0
                                        ; implicit-def: $sgpr30
                                        ; implicit-def: $sgpr31
	s_and_saveexec_b64 s[6:7], s[28:29]
	s_xor_b64 s[6:7], exec, s[6:7]
	s_cbranch_execz .LBB42_5
; %bb.237:                              ;   in Loop: Header=BB42_7 Depth=1
	v_and_b32_e32 v1, 7, v9
	v_cmp_eq_u32_e32 vcc, 0, v1
	s_mov_b64 s[20:21], -1
	s_mov_b64 s[22:23], -1
                                        ; implicit-def: $sgpr30
                                        ; implicit-def: $sgpr31
	s_and_saveexec_b64 s[28:29], vcc
	s_cbranch_execz .LBB42_4
; %bb.238:                              ;   in Loop: Header=BB42_7 Depth=1
	s_xor_b32 s31, s54, 1
	s_add_i32 s30, s17, -2
	s_cmp_eq_u32 s17, 0
	s_cselect_b64 s[20:21], -1, 0
	s_xor_b64 s[22:23], exec, -1
	s_orn2_b64 s[20:21], s[20:21], exec
	s_branch .LBB42_4
.LBB42_239:
	s_or_b64 exec, exec, s[60:61]
	s_xor_b64 s[6:7], s[66:67], -1
	s_xor_b64 s[4:5], s[62:63], -1
	;; [unrolled: 1-line block ×3, first 2 shown]
	s_mov_b64 s[2:3], 0
	s_and_saveexec_b64 s[10:11], s[4:5]
	s_xor_b64 s[4:5], exec, s[10:11]
	s_cbranch_execnz .LBB42_244
; %bb.240:
	s_andn2_saveexec_b64 s[0:1], s[4:5]
	s_cbranch_execnz .LBB42_264
.LBB42_241:
	s_or_b64 exec, exec, s[0:1]
	s_and_saveexec_b64 s[0:1], s[2:3]
.LBB42_242:
	; divergent unreachable
.LBB42_243:
	s_endpgm
.LBB42_244:
	s_and_saveexec_b64 s[2:3], s[6:7]
	s_xor_b64 s[6:7], exec, s[2:3]
	s_cbranch_execz .LBB42_262
; %bb.245:
	s_and_saveexec_b64 s[2:3], s[8:9]
	s_xor_b64 s[2:3], exec, s[2:3]
; %bb.246:
	v_lshrrev_b32_e32 v1, 31, v19
	v_add_co_u32_e32 v1, vcc, -1, v1
	v_addc_co_u32_e64 v2, s[8:9], 0, -1, vcc
	v_or_b32_e32 v2, 0x80000000, v2
	v_xor_b32_e32 v6, v2, v19
	v_xor_b32_e32 v5, v1, v18
; %bb.247:
	s_or_b64 exec, exec, s[2:3]
	s_and_saveexec_b64 s[2:3], s[0:1]
	v_readlane_b32 s24, v47, 20
	v_readlane_b32 s28, v47, 25
	;; [unrolled: 1-line block ×6, first 2 shown]
; %bb.248:
	v_mov_b32_e32 v1, 0
	v_mov_b32_e32 v2, s40
	ds_write_b32 v1, v2 offset:4108
; %bb.249:
	s_or_b64 exec, exec, s[2:3]
	v_mov_b32_e32 v1, 0
	s_waitcnt lgkmcnt(0)
	s_barrier
	ds_read_b32 v1, v1 offset:4108
	s_waitcnt lgkmcnt(0)
	v_min_i32_e32 v1, s40, v1
	v_cmp_lt_i32_e32 vcc, v0, v1
	s_and_saveexec_b64 s[8:9], vcc
	s_cbranch_execz .LBB42_259
; %bb.250:
	v_cmp_u_f64_e32 vcc, v[5:6], v[5:6]
	s_mov_b64 s[10:11], 0
	v_mov_b32_e32 v3, s27
                                        ; implicit-def: $sgpr12_sgpr13
                                        ; implicit-def: $sgpr18_sgpr19
                                        ; implicit-def: $sgpr16_sgpr17
	s_xor_b64 s[14:15], vcc, -1
	s_branch .LBB42_252
.LBB42_251:                             ;   in Loop: Header=BB42_252 Depth=1
	s_or_b64 exec, exec, s[2:3]
	s_and_b64 s[2:3], exec, s[18:19]
	s_or_b64 s[10:11], s[2:3], s[10:11]
	s_andn2_b64 s[2:3], s[12:13], exec
	s_and_b64 s[12:13], s[16:17], exec
	s_or_b64 s[12:13], s[2:3], s[12:13]
	s_andn2_b64 exec, exec, s[10:11]
	s_cbranch_execz .LBB42_254
.LBB42_252:                             ; =>This Inner Loop Header: Depth=1
	v_ashrrev_i32_e32 v12, 31, v11
	v_lshlrev_b64 v[7:8], 3, v[11:12]
	v_mov_b32_e32 v2, v0
	v_add_co_u32_e32 v7, vcc, s42, v7
	v_addc_co_u32_e32 v8, vcc, v3, v8, vcc
	global_load_dwordx2 v[7:8], v[7:8], off
	s_or_b64 s[16:17], s[16:17], exec
	s_or_b64 s[18:19], s[18:19], exec
                                        ; implicit-def: $vgpr0
	s_waitcnt vmcnt(0)
	v_cmp_o_f64_e32 vcc, v[7:8], v[7:8]
	v_cmp_neq_f64_e64 s[2:3], v[7:8], v[5:6]
	s_or_b64 s[20:21], vcc, s[14:15]
	s_and_b64 s[20:21], s[2:3], s[20:21]
	s_and_saveexec_b64 s[2:3], s[20:21]
	s_cbranch_execz .LBB42_251
; %bb.253:                              ;   in Loop: Header=BB42_252 Depth=1
	v_add_u32_e32 v0, s26, v2
	v_cmp_ge_i32_e32 vcc, v0, v1
	s_andn2_b64 s[18:19], s[18:19], exec
	s_and_b64 s[20:21], vcc, exec
	v_add_u32_e32 v11, s44, v11
	s_andn2_b64 s[16:17], s[16:17], exec
	s_or_b64 s[18:19], s[18:19], s[20:21]
	s_branch .LBB42_251
.LBB42_254:
	s_or_b64 exec, exec, s[10:11]
	s_and_saveexec_b64 s[2:3], s[12:13]
	s_xor_b64 s[2:3], exec, s[2:3]
	s_cbranch_execz .LBB42_259
; %bb.255:
	s_mov_b64 s[2:3], exec
	s_brev_b32 s10, -2
.LBB42_256:                             ; =>This Inner Loop Header: Depth=1
	s_ff1_i32_b64 s11, s[2:3]
	v_readlane_b32 s14, v2, s11
	s_lshl_b64 s[12:13], 1, s11
	s_min_i32 s10, s10, s14
	s_andn2_b64 s[2:3], s[2:3], s[12:13]
	s_cmp_lg_u64 s[2:3], 0
	s_cbranch_scc1 .LBB42_256
; %bb.257:
	v_mbcnt_lo_u32_b32 v0, exec_lo, 0
	v_mbcnt_hi_u32_b32 v0, exec_hi, v0
	v_cmp_eq_u32_e32 vcc, 0, v0
	s_and_saveexec_b64 s[2:3], vcc
	s_xor_b64 s[2:3], exec, s[2:3]
; %bb.258:
	v_mov_b32_e32 v0, 0
	v_mov_b32_e32 v1, s10
	ds_min_i32 v0, v1 offset:4108
.LBB42_259:
	s_or_b64 exec, exec, s[8:9]
	s_waitcnt lgkmcnt(0)
	s_barrier
	s_and_saveexec_b64 s[2:3], s[0:1]
	s_cbranch_execz .LBB42_261
; %bb.260:
	v_readlane_b32 s15, v47, 18
	v_readlane_b32 s8, v47, 0
	s_mul_i32 s0, s15, s25
	v_readlane_b32 s10, v47, 2
	s_sub_i32 s0, s22, s0
	v_readlane_b32 s9, v47, 1
	v_readlane_b32 s11, v47, 3
	s_mov_b32 s14, s10
	s_mov_b64 s[12:13], s[8:9]
	s_mul_i32 s0, s0, s14
	v_readlane_b32 s1, v47, 19
	v_readlane_b32 s8, v47, 22
	v_readlane_b32 s11, v47, 10
	v_readlane_b32 s14, v47, 14
	s_xor_b32 s1, s1, s8
	s_mul_i32 s8, s14, s11
	v_readlane_b32 s9, v47, 13
	s_sub_i32 s8, s9, s8
	s_add_i32 s9, s14, 1
	s_sub_i32 s10, s8, s11
	s_cmp_ge_u32 s8, s11
	s_cselect_b32 s9, s9, s14
	s_cselect_b32 s8, s10, s8
	s_add_i32 s10, s9, 1
	s_cmp_ge_u32 s8, s11
	s_cselect_b32 s8, s10, s9
	s_xor_b32 s8, s8, s1
	s_sub_i32 s1, s8, s1
	s_mul_i32 s8, s1, s24
	s_sub_i32 s8, s15, s8
	s_mul_i32 s8, s8, s13
	s_add_i32 s0, s8, s0
	s_mul_i32 s1, s1, s12
	v_readlane_b32 s8, v47, 4
	s_add_i32 s0, s0, s1
	s_mul_i32 s1, s23, s29
	v_readlane_b32 s10, v47, 6
	s_sub_i32 s1, s22, s1
	v_readlane_b32 s9, v47, 5
	s_mov_b32 s14, s10
	s_mov_b64 s[12:13], s[8:9]
	s_mul_i32 s1, s1, s14
	v_readlane_b32 s8, v47, 24
	v_readlane_b32 s9, v47, 27
	;; [unrolled: 1-line block ×4, first 2 shown]
	s_xor_b32 s8, s8, s9
	s_mul_i32 s9, s15, s14
	v_readlane_b32 s10, v47, 16
	v_readlane_b32 s11, v47, 7
	s_sub_i32 s9, s10, s9
	s_add_i32 s10, s15, 1
	s_sub_i32 s11, s9, s14
	s_cmp_ge_u32 s9, s14
	s_cselect_b32 s10, s10, s15
	s_cselect_b32 s9, s11, s9
	s_add_i32 s11, s10, 1
	s_cmp_ge_u32 s9, s14
	s_cselect_b32 s9, s11, s10
	s_xor_b32 s9, s9, s8
	s_sub_i32 s8, s9, s8
	s_mul_i32 s9, s8, s28
	s_sub_i32 s9, s23, s9
	s_mul_i32 s9, s9, s13
	s_add_i32 s1, s9, s1
	s_mul_i32 s8, s8, s12
	s_add_i32 s8, s1, s8
	s_ashr_i32 s1, s0, 31
	v_mov_b32_e32 v2, 0
	s_lshl_b64 s[0:1], s[0:1], 3
	v_readlane_b32 s10, v47, 11
	ds_read_b32 v0, v2 offset:4108
	v_readlane_b32 s11, v47, 12
	s_add_u32 s0, s10, s0
	s_addc_u32 s1, s11, s1
	s_ashr_i32 s9, s8, 31
	s_lshl_b64 s[8:9], s[8:9], 3
	v_readlane_b32 s10, v47, 8
	v_readlane_b32 s11, v47, 9
	s_add_u32 s8, s10, s8
	s_addc_u32 s9, s11, s9
	s_waitcnt lgkmcnt(0)
	v_ashrrev_i32_e32 v1, 31, v0
	global_store_dwordx2 v2, v[0:1], s[8:9]
	global_store_dwordx2 v2, v[5:6], s[0:1]
.LBB42_261:
	s_or_b64 exec, exec, s[2:3]
.LBB42_262:
	s_or_saveexec_b64 s[0:1], s[6:7]
	s_mov_b64 s[2:3], 0
	s_xor_b64 exec, exec, s[0:1]
	s_cbranch_execnz .LBB42_265
.LBB42_263:
	s_or_b64 exec, exec, s[0:1]
	s_and_b64 s[2:3], s[2:3], exec
	s_andn2_saveexec_b64 s[0:1], s[4:5]
	s_cbranch_execz .LBB42_241
.LBB42_264:
	s_or_b64 s[2:3], s[2:3], exec
	s_trap 2
	s_or_b64 exec, exec, s[0:1]
	s_and_saveexec_b64 s[0:1], s[2:3]
	s_cbranch_execnz .LBB42_242
	s_branch .LBB42_243
.LBB42_265:
	s_mov_b64 s[2:3], exec
	s_trap 2
	s_branch .LBB42_263
	.section	.rodata,"a",@progbits
	.p2align	6, 0x0
	.amdhsa_kernel _ZN2at6native12_GLOBAL__N_114gatherKthValueIdiLi3EEEvNS_4cuda6detail10TensorInfoIKT_T0_EES8_S8_S8_S8_NS5_IS6_S8_EENS5_IlS8_EE
		.amdhsa_group_segment_fixed_size 4112
		.amdhsa_private_segment_fixed_size 0
		.amdhsa_kernarg_size 920
		.amdhsa_user_sgpr_count 6
		.amdhsa_user_sgpr_private_segment_buffer 1
		.amdhsa_user_sgpr_dispatch_ptr 0
		.amdhsa_user_sgpr_queue_ptr 0
		.amdhsa_user_sgpr_kernarg_segment_ptr 1
		.amdhsa_user_sgpr_dispatch_id 0
		.amdhsa_user_sgpr_flat_scratch_init 0
		.amdhsa_user_sgpr_private_segment_size 0
		.amdhsa_uses_dynamic_stack 0
		.amdhsa_system_sgpr_private_segment_wavefront_offset 0
		.amdhsa_system_sgpr_workgroup_id_x 1
		.amdhsa_system_sgpr_workgroup_id_y 1
		.amdhsa_system_sgpr_workgroup_id_z 1
		.amdhsa_system_sgpr_workgroup_info 0
		.amdhsa_system_vgpr_workitem_id 0
		.amdhsa_next_free_vgpr 48
		.amdhsa_next_free_sgpr 96
		.amdhsa_reserve_vcc 1
		.amdhsa_reserve_flat_scratch 0
		.amdhsa_float_round_mode_32 0
		.amdhsa_float_round_mode_16_64 0
		.amdhsa_float_denorm_mode_32 3
		.amdhsa_float_denorm_mode_16_64 3
		.amdhsa_dx10_clamp 1
		.amdhsa_ieee_mode 1
		.amdhsa_fp16_overflow 0
		.amdhsa_exception_fp_ieee_invalid_op 0
		.amdhsa_exception_fp_denorm_src 0
		.amdhsa_exception_fp_ieee_div_zero 0
		.amdhsa_exception_fp_ieee_overflow 0
		.amdhsa_exception_fp_ieee_underflow 0
		.amdhsa_exception_fp_ieee_inexact 0
		.amdhsa_exception_int_div_zero 0
	.end_amdhsa_kernel
	.section	.text._ZN2at6native12_GLOBAL__N_114gatherKthValueIdiLi3EEEvNS_4cuda6detail10TensorInfoIKT_T0_EES8_S8_S8_S8_NS5_IS6_S8_EENS5_IlS8_EE,"axG",@progbits,_ZN2at6native12_GLOBAL__N_114gatherKthValueIdiLi3EEEvNS_4cuda6detail10TensorInfoIKT_T0_EES8_S8_S8_S8_NS5_IS6_S8_EENS5_IlS8_EE,comdat
.Lfunc_end42:
	.size	_ZN2at6native12_GLOBAL__N_114gatherKthValueIdiLi3EEEvNS_4cuda6detail10TensorInfoIKT_T0_EES8_S8_S8_S8_NS5_IS6_S8_EENS5_IlS8_EE, .Lfunc_end42-_ZN2at6native12_GLOBAL__N_114gatherKthValueIdiLi3EEEvNS_4cuda6detail10TensorInfoIKT_T0_EES8_S8_S8_S8_NS5_IS6_S8_EENS5_IlS8_EE
                                        ; -- End function
	.set _ZN2at6native12_GLOBAL__N_114gatherKthValueIdiLi3EEEvNS_4cuda6detail10TensorInfoIKT_T0_EES8_S8_S8_S8_NS5_IS6_S8_EENS5_IlS8_EE.num_vgpr, 48
	.set _ZN2at6native12_GLOBAL__N_114gatherKthValueIdiLi3EEEvNS_4cuda6detail10TensorInfoIKT_T0_EES8_S8_S8_S8_NS5_IS6_S8_EENS5_IlS8_EE.num_agpr, 0
	.set _ZN2at6native12_GLOBAL__N_114gatherKthValueIdiLi3EEEvNS_4cuda6detail10TensorInfoIKT_T0_EES8_S8_S8_S8_NS5_IS6_S8_EENS5_IlS8_EE.numbered_sgpr, 96
	.set _ZN2at6native12_GLOBAL__N_114gatherKthValueIdiLi3EEEvNS_4cuda6detail10TensorInfoIKT_T0_EES8_S8_S8_S8_NS5_IS6_S8_EENS5_IlS8_EE.num_named_barrier, 0
	.set _ZN2at6native12_GLOBAL__N_114gatherKthValueIdiLi3EEEvNS_4cuda6detail10TensorInfoIKT_T0_EES8_S8_S8_S8_NS5_IS6_S8_EENS5_IlS8_EE.private_seg_size, 0
	.set _ZN2at6native12_GLOBAL__N_114gatherKthValueIdiLi3EEEvNS_4cuda6detail10TensorInfoIKT_T0_EES8_S8_S8_S8_NS5_IS6_S8_EENS5_IlS8_EE.uses_vcc, 1
	.set _ZN2at6native12_GLOBAL__N_114gatherKthValueIdiLi3EEEvNS_4cuda6detail10TensorInfoIKT_T0_EES8_S8_S8_S8_NS5_IS6_S8_EENS5_IlS8_EE.uses_flat_scratch, 0
	.set _ZN2at6native12_GLOBAL__N_114gatherKthValueIdiLi3EEEvNS_4cuda6detail10TensorInfoIKT_T0_EES8_S8_S8_S8_NS5_IS6_S8_EENS5_IlS8_EE.has_dyn_sized_stack, 0
	.set _ZN2at6native12_GLOBAL__N_114gatherKthValueIdiLi3EEEvNS_4cuda6detail10TensorInfoIKT_T0_EES8_S8_S8_S8_NS5_IS6_S8_EENS5_IlS8_EE.has_recursion, 0
	.set _ZN2at6native12_GLOBAL__N_114gatherKthValueIdiLi3EEEvNS_4cuda6detail10TensorInfoIKT_T0_EES8_S8_S8_S8_NS5_IS6_S8_EENS5_IlS8_EE.has_indirect_call, 0
	.section	.AMDGPU.csdata,"",@progbits
; Kernel info:
; codeLenInByte = 10596
; TotalNumSgprs: 100
; NumVgprs: 48
; ScratchSize: 0
; MemoryBound: 0
; FloatMode: 240
; IeeeMode: 1
; LDSByteSize: 4112 bytes/workgroup (compile time only)
; SGPRBlocks: 12
; VGPRBlocks: 11
; NumSGPRsForWavesPerEU: 100
; NumVGPRsForWavesPerEU: 48
; Occupancy: 5
; WaveLimiterHint : 1
; COMPUTE_PGM_RSRC2:SCRATCH_EN: 0
; COMPUTE_PGM_RSRC2:USER_SGPR: 6
; COMPUTE_PGM_RSRC2:TRAP_HANDLER: 0
; COMPUTE_PGM_RSRC2:TGID_X_EN: 1
; COMPUTE_PGM_RSRC2:TGID_Y_EN: 1
; COMPUTE_PGM_RSRC2:TGID_Z_EN: 1
; COMPUTE_PGM_RSRC2:TIDIG_COMP_CNT: 0
	.section	.text._ZN2at6native12_GLOBAL__N_114gatherKthValueIdiLin1EEEvNS_4cuda6detail10TensorInfoIKT_T0_EES8_S8_S8_S8_NS5_IS6_S8_EENS5_IlS8_EE,"axG",@progbits,_ZN2at6native12_GLOBAL__N_114gatherKthValueIdiLin1EEEvNS_4cuda6detail10TensorInfoIKT_T0_EES8_S8_S8_S8_NS5_IS6_S8_EENS5_IlS8_EE,comdat
	.globl	_ZN2at6native12_GLOBAL__N_114gatherKthValueIdiLin1EEEvNS_4cuda6detail10TensorInfoIKT_T0_EES8_S8_S8_S8_NS5_IS6_S8_EENS5_IlS8_EE ; -- Begin function _ZN2at6native12_GLOBAL__N_114gatherKthValueIdiLin1EEEvNS_4cuda6detail10TensorInfoIKT_T0_EES8_S8_S8_S8_NS5_IS6_S8_EENS5_IlS8_EE
	.p2align	8
	.type	_ZN2at6native12_GLOBAL__N_114gatherKthValueIdiLin1EEEvNS_4cuda6detail10TensorInfoIKT_T0_EES8_S8_S8_S8_NS5_IS6_S8_EENS5_IlS8_EE,@function
_ZN2at6native12_GLOBAL__N_114gatherKthValueIdiLin1EEEvNS_4cuda6detail10TensorInfoIKT_T0_EES8_S8_S8_S8_NS5_IS6_S8_EENS5_IlS8_EE: ; @_ZN2at6native12_GLOBAL__N_114gatherKthValueIdiLin1EEEvNS_4cuda6detail10TensorInfoIKT_T0_EES8_S8_S8_S8_NS5_IS6_S8_EENS5_IlS8_EE
; %bb.0:
	s_load_dwordx2 s[12:13], s[4:5], 0x298
	s_load_dwordx4 s[28:31], s[4:5], 0xd8
	s_add_u32 s10, s4, 0x298
	s_addc_u32 s11, s5, 0
	s_waitcnt lgkmcnt(0)
	s_mul_i32 s0, s13, s8
	s_add_i32 s0, s0, s7
	s_mul_i32 s0, s0, s12
	s_add_i32 s33, s0, s6
	s_cmp_ge_i32 s33, s30
	s_cbranch_scc1 .LBB43_252
; %bb.1:
	s_load_dword s0, s[4:5], 0xd0
	s_mov_b32 s3, 0
	s_mov_b32 s2, s33
	s_waitcnt lgkmcnt(0)
	s_cmp_lt_i32 s0, 2
	s_cbranch_scc1 .LBB43_4
; %bb.2:
	s_add_i32 s2, s0, -1
	s_add_i32 s7, s0, 1
	s_lshl_b64 s[0:1], s[2:3], 2
	s_add_u32 s0, s4, s0
	s_addc_u32 s1, s5, s1
	s_add_u32 s0, s0, 8
	s_addc_u32 s1, s1, 0
	s_mov_b32 s2, s33
.LBB43_3:                               ; =>This Inner Loop Header: Depth=1
	s_load_dword s8, s[0:1], 0x0
	s_load_dword s13, s[0:1], 0x64
	s_mov_b32 s9, s2
	s_abs_i32 s2, s2
	s_waitcnt lgkmcnt(0)
	s_abs_i32 s15, s8
	v_cvt_f32_u32_e32 v1, s15
	s_sub_i32 s16, 0, s15
	s_xor_b32 s14, s9, s8
	s_ashr_i32 s14, s14, 31
	v_rcp_iflag_f32_e32 v1, v1
	v_mul_f32_e32 v1, 0x4f7ffffe, v1
	v_cvt_u32_f32_e32 v1, v1
	v_readfirstlane_b32 s17, v1
	s_mul_i32 s16, s16, s17
	s_mul_hi_u32 s16, s17, s16
	s_add_i32 s17, s17, s16
	s_mul_hi_u32 s16, s2, s17
	s_mul_i32 s17, s16, s15
	s_sub_i32 s2, s2, s17
	s_add_i32 s18, s16, 1
	s_sub_i32 s17, s2, s15
	s_cmp_ge_u32 s2, s15
	s_cselect_b32 s16, s18, s16
	s_cselect_b32 s2, s17, s2
	s_add_i32 s17, s16, 1
	s_cmp_ge_u32 s2, s15
	s_cselect_b32 s2, s17, s16
	s_xor_b32 s2, s2, s14
	s_sub_i32 s2, s2, s14
	s_mul_i32 s8, s2, s8
	s_sub_i32 s8, s9, s8
	s_mul_i32 s8, s13, s8
	s_add_i32 s7, s7, -1
	s_add_i32 s3, s8, s3
	s_add_u32 s0, s0, -4
	s_addc_u32 s1, s1, -1
	s_cmp_gt_u32 s7, 2
	s_cbranch_scc1 .LBB43_3
.LBB43_4:
	s_load_dword s8, s[4:5], 0x1b8
	s_add_u32 s0, s4, 0xe8
	s_addc_u32 s1, s5, 0
	s_mov_b32 s35, 0
	s_mov_b32 s30, s33
	s_waitcnt lgkmcnt(0)
	s_cmp_lt_i32 s8, 2
	s_cbranch_scc1 .LBB43_7
; %bb.5:
	s_add_i32 s34, s8, -1
	s_add_i32 s7, s8, 1
	s_lshl_b64 s[8:9], s[34:35], 2
	s_add_u32 s8, s0, s8
	s_addc_u32 s9, s1, s9
	s_add_u32 s8, s8, 8
	s_addc_u32 s9, s9, 0
	s_mov_b32 s30, s33
.LBB43_6:                               ; =>This Inner Loop Header: Depth=1
	s_load_dword s13, s[8:9], 0x0
	s_load_dword s15, s[8:9], 0x64
	s_abs_i32 s16, s30
	s_mov_b32 s14, s30
	s_waitcnt lgkmcnt(0)
	s_abs_i32 s18, s13
	v_cvt_f32_u32_e32 v1, s18
	s_sub_i32 s19, 0, s18
	s_xor_b32 s17, s30, s13
	s_ashr_i32 s17, s17, 31
	v_rcp_iflag_f32_e32 v1, v1
	v_mul_f32_e32 v1, 0x4f7ffffe, v1
	v_cvt_u32_f32_e32 v1, v1
	v_readfirstlane_b32 s20, v1
	s_mul_i32 s19, s19, s20
	s_mul_hi_u32 s19, s20, s19
	s_add_i32 s20, s20, s19
	s_mul_hi_u32 s19, s16, s20
	s_mul_i32 s20, s19, s18
	s_sub_i32 s16, s16, s20
	s_add_i32 s21, s19, 1
	s_sub_i32 s20, s16, s18
	s_cmp_ge_u32 s16, s18
	s_cselect_b32 s19, s21, s19
	s_cselect_b32 s16, s20, s16
	s_add_i32 s20, s19, 1
	s_cmp_ge_u32 s16, s18
	s_cselect_b32 s16, s20, s19
	s_xor_b32 s16, s16, s17
	s_sub_i32 s30, s16, s17
	s_mul_i32 s13, s30, s13
	s_sub_i32 s13, s14, s13
	s_mul_i32 s13, s15, s13
	s_add_i32 s7, s7, -1
	s_add_i32 s35, s13, s35
	s_add_u32 s8, s8, -4
	s_addc_u32 s9, s9, -1
	s_cmp_gt_u32 s7, 2
	s_cbranch_scc1 .LBB43_6
.LBB43_7:
	s_load_dword s7, s[4:5], 0x6c
	s_load_dword s14, s[4:5], 0x290
	s_add_u32 s8, s4, 0x1c0
	s_addc_u32 s9, s5, 0
	s_mov_b32 s37, 0
	s_waitcnt lgkmcnt(0)
	s_cmp_lt_i32 s14, 2
	s_cbranch_scc1 .LBB43_10
; %bb.8:
	s_add_i32 s36, s14, -1
	s_add_i32 s13, s14, 1
	s_lshl_b64 s[14:15], s[36:37], 2
	s_add_u32 s8, s8, s14
	s_addc_u32 s9, s9, s15
	s_add_u32 s8, s8, 8
	s_addc_u32 s9, s9, 0
.LBB43_9:                               ; =>This Inner Loop Header: Depth=1
	s_load_dword s14, s[8:9], 0x0
	s_load_dword s16, s[8:9], 0x64
	s_abs_i32 s17, s33
	s_mov_b32 s15, s33
	s_waitcnt lgkmcnt(0)
	s_abs_i32 s19, s14
	v_cvt_f32_u32_e32 v1, s19
	s_sub_i32 s20, 0, s19
	s_xor_b32 s18, s33, s14
	s_ashr_i32 s18, s18, 31
	v_rcp_iflag_f32_e32 v1, v1
	v_mul_f32_e32 v1, 0x4f7ffffe, v1
	v_cvt_u32_f32_e32 v1, v1
	v_readfirstlane_b32 s21, v1
	s_mul_i32 s20, s20, s21
	s_mul_hi_u32 s20, s21, s20
	s_add_i32 s21, s21, s20
	s_mul_hi_u32 s20, s17, s21
	s_mul_i32 s21, s20, s19
	s_sub_i32 s17, s17, s21
	s_add_i32 s22, s20, 1
	s_sub_i32 s21, s17, s19
	s_cmp_ge_u32 s17, s19
	s_cselect_b32 s20, s22, s20
	s_cselect_b32 s17, s21, s17
	s_add_i32 s21, s20, 1
	s_cmp_ge_u32 s17, s19
	s_cselect_b32 s17, s21, s20
	s_xor_b32 s17, s17, s18
	s_sub_i32 s33, s17, s18
	s_mul_i32 s14, s33, s14
	s_sub_i32 s14, s15, s14
	s_mul_i32 s14, s16, s14
	s_add_i32 s13, s13, -1
	s_add_i32 s37, s14, s37
	s_add_u32 s8, s8, -4
	s_addc_u32 s9, s9, -1
	s_cmp_gt_u32 s13, 2
	s_cbranch_scc1 .LBB43_9
.LBB43_10:
	s_load_dword s0, s[0:1], 0x6c
                                        ; implicit-def: $vgpr47 : SGPR spill to VGPR lane
	s_mov_b32 s50, 0
	s_load_dwordx2 s[94:95], s[4:5], 0x1c0
	s_waitcnt lgkmcnt(0)
	v_writelane_b32 v47, s0, 0
	s_load_dwordx2 s[8:9], s[4:5], 0x0
	s_load_dwordx2 s[0:1], s[4:5], 0xe8
	s_waitcnt lgkmcnt(0)
	v_writelane_b32 v47, s0, 1
	v_writelane_b32 v47, s1, 2
	v_cmp_eq_u32_e64 s[0:1], 0, v0
	s_and_saveexec_b64 s[14:15], s[0:1]
; %bb.11:
	v_mov_b32_e32 v1, 0
	v_mov_b32_e32 v2, s28
	;; [unrolled: 1-line block ×3, first 2 shown]
	ds_write_b96 v1, v[1:3] offset:4096
; %bb.12:
	s_or_b64 exec, exec, s[14:15]
	s_load_dword s4, s[4:5], 0x22c
	s_mul_i32 s2, s7, s2
	s_waitcnt lgkmcnt(0)
	s_barrier
	v_writelane_b32 v47, s4, 3
	s_load_dword s4, s[10:11], 0xc
	v_mul_lo_u32 v11, s31, v0
	s_add_i32 s2, s2, s3
	s_ashr_i32 s3, s2, 31
	v_mov_b32_e32 v13, 0
	s_lshl_b64 s[2:3], s[2:3], 3
	v_mbcnt_lo_u32_b32 v1, -1, 0
	v_mov_b32_e32 v12, v13
	s_add_u32 s34, s8, s2
	v_mbcnt_hi_u32_b32 v27, -1, v1
	v_lshlrev_b64 v[1:2], 3, v[11:12]
	s_addc_u32 s48, s9, s3
	s_waitcnt lgkmcnt(0)
	s_and_b32 s36, s4, 0xffff
	s_bfe_u32 s7, s4, 0xa0006
	v_cmp_gt_u32_e32 vcc, 64, v0
	v_cmp_gt_i32_e64 s[4:5], 4, v27
	s_and_b64 s[42:43], vcc, s[4:5]
	v_mov_b32_e32 v3, s48
	v_add_co_u32_e32 v14, vcc, s34, v1
	v_addc_co_u32_e32 v15, vcc, v3, v2, vcc
	v_lshlrev_b64 v[2:3], v27, -1
	s_add_i32 s9, s36, -1
	v_not_b32_e32 v32, v2
	v_lshrrev_b32_e32 v2, 2, v0
	s_lshl_b32 s8, s36, 2
	s_add_i32 s17, s9, s28
	v_and_b32_e32 v2, 0xf0, v2
	s_cmpk_gt_i32 s28, 0x180
	v_or_b32_e32 v33, 0xc00, v2
	v_cvt_f32_u32_e32 v2, s8
	s_cselect_b64 s[44:45], -1, 0
	s_cmp_gt_u32 s36, 63
	v_writelane_b32 v47, s9, 4
	v_cmp_gt_u32_e64 s[14:15], s28, v0
	s_cselect_b64 s[46:47], -1, 0
	s_cmp_lt_u32 s6, s12
	v_writelane_b32 v47, s14, 5
	s_cselect_b32 s6, 12, 18
	v_writelane_b32 v47, s15, 6
	v_cmp_gt_i32_e64 s[14:15], s28, v0
	s_add_u32 s10, s10, s6
	v_rcp_iflag_f32_e32 v2, v2
	v_writelane_b32 v47, s14, 7
	s_addc_u32 s11, s11, 0
	s_add_i32 s6, s7, -1
	v_writelane_b32 v47, s15, 8
	s_bfe_u32 s9, s36, 0x30006
	s_and_b32 s6, s6, 0xffff
	v_writelane_b32 v47, s10, 9
	s_cmp_gt_u32 s6, 6
	v_writelane_b32 v47, s11, 10
	s_cselect_b64 s[10:11], -1, 0
	v_mul_f32_e32 v2, 0x4f7ffffe, v2
	v_writelane_b32 v47, s10, 11
	s_and_b32 s51, s7, 0x3f8
	v_cvt_u32_f32_e32 v2, v2
	v_writelane_b32 v47, s11, 12
	s_cmp_lg_u32 s9, 0
	v_writelane_b32 v47, s9, 13
	s_cselect_b64 s[6:7], -1, 0
	v_writelane_b32 v47, s6, 14
	v_writelane_b32 v47, s7, 15
	s_sub_i32 s6, 0, s8
	v_readfirstlane_b32 s7, v2
	s_mul_i32 s6, s6, s7
	s_mul_hi_u32 s6, s7, s6
	s_add_i32 s52, s7, s6
	s_mul_hi_u32 s6, s28, s52
	s_mul_i32 s6, s6, s8
	s_sub_i32 s6, s28, s6
	s_sub_i32 s7, s6, s8
	s_cmp_ge_u32 s6, s8
	s_cselect_b32 s6, s7, s6
	s_sub_i32 s7, s6, s8
	s_cmp_ge_u32 s6, s8
	s_cselect_b32 s6, s7, s6
	s_sub_i32 s53, s28, s6
	v_add_u32_e32 v34, s53, v0
	v_cvt_f32_u32_e32 v4, s36
	v_mul_lo_u32 v2, v34, s31
	v_not_b32_e32 v31, v3
	s_sub_i32 s16, 0, s36
	v_rcp_iflag_f32_e32 v4, v4
	v_ashrrev_i32_e32 v3, 31, v2
	v_lshlrev_b64 v[2:3], 3, v[2:3]
	s_abs_i32 s9, s17
	v_add_co_u32_e32 v16, vcc, s34, v2
	v_mul_f32_e32 v2, 0x4f7ffffe, v4
	v_cvt_u32_f32_e32 v2, v2
	s_ashr_i32 s7, s17, 31
	v_lshlrev_b32_e32 v26, 2, v0
	v_mov_b32_e32 v5, s48
	v_readfirstlane_b32 s18, v2
	s_mul_i32 s16, s16, s18
	s_mul_hi_u32 s16, s18, s16
	s_add_i32 s16, s18, s16
	v_writelane_b32 v47, s16, 16
	s_mul_hi_u32 s16, s9, s16
	s_mul_i32 s16, s16, s36
	s_sub_i32 s9, s9, s16
	s_sub_i32 s16, s9, s36
	s_cmp_ge_u32 s9, s36
	s_cselect_b32 s9, s16, s9
	s_sub_i32 s16, s9, s36
	v_mul_lo_u32 v2, s31, v26
	s_cmp_ge_u32 s9, s36
	s_cselect_b32 s9, s16, s9
	s_xor_b32 s9, s9, s7
	s_sub_i32 s7, s7, s9
	v_add_u32_e32 v35, s31, v2
	v_or_b32_e32 v2, 2, v26
	s_add_i32 s17, s17, s7
	v_mul_lo_u32 v36, s31, v2
	v_or_b32_e32 v2, 3, v26
	s_add_i32 s7, s36, s28
	v_mul_lo_u32 v37, s31, v2
	v_add_u32_e32 v2, s7, v0
	v_subrev_u32_e32 v2, s6, v2
	v_mul_lo_u32 v39, s31, v2
	v_lshlrev_b32_e32 v28, 3, v0
	v_lshlrev_b32_e32 v1, 2, v27
	v_addc_co_u32_e32 v17, vcc, v5, v3, vcc
	v_cmp_gt_i32_e64 s[18:19], s17, v0
	s_mul_i32 s49, s31, s36
	v_mov_b32_e32 v18, 0
	v_mov_b32_e32 v20, 0
	;; [unrolled: 1-line block ×3, first 2 shown]
	v_cmp_eq_u32_e64 s[2:3], 0, v27
	v_cmp_gt_u32_e64 s[4:5], 2, v0
	v_add_u32_e32 v29, 0xc00, v28
	v_and_b32_e32 v30, 0x100, v1
	v_cmp_gt_i32_e64 s[10:11], s53, v26
	v_cmp_gt_u32_e64 s[12:13], s28, v34
	v_cmp_gt_i32_e64 s[14:15], s28, v34
	v_writelane_b32 v47, s18, 17
	s_lshl_b32 s9, s49, 2
	v_lshlrev_b32_e32 v38, 2, v11
	v_lshlrev_b32_e32 v40, 5, v0
	s_lshl_b32 s16, s36, 5
	s_lshl_b32 s24, s36, 3
	v_or_b32_e32 v41, 0xc00, v1
	s_mov_b32 s25, 62
	s_mov_b64 s[54:55], 0
	v_mov_b32_e32 v42, s29
	v_mov_b32_e32 v19, 0
	;; [unrolled: 1-line block ×5, first 2 shown]
	v_writelane_b32 v47, s19, 18
                                        ; implicit-def: $sgpr56_sgpr57
                                        ; implicit-def: $sgpr60_sgpr61
                                        ; implicit-def: $sgpr58_sgpr59
                                        ; implicit-def: $sgpr64_sgpr65
                                        ; implicit-def: $sgpr66_sgpr67
                                        ; implicit-def: $sgpr62_sgpr63
	s_branch .LBB43_16
.LBB43_13:                              ;   in Loop: Header=BB43_16 Depth=1
	s_or_b64 exec, exec, s[38:39]
	s_and_b64 s[22:23], s[22:23], exec
	s_andn2_b64 s[68:69], s[68:69], exec
	s_andn2_b64 s[26:27], s[26:27], exec
	s_orn2_b64 s[20:21], s[20:21], exec
.LBB43_14:                              ;   in Loop: Header=BB43_16 Depth=1
	s_or_b64 exec, exec, s[6:7]
	s_andn2_b64 s[6:7], s[62:63], exec
	s_and_b64 s[22:23], s[22:23], exec
	s_or_b64 s[62:63], s[6:7], s[22:23]
	s_andn2_b64 s[6:7], s[66:67], exec
	s_and_b64 s[22:23], s[68:69], exec
	s_or_b64 s[66:67], s[6:7], s[22:23]
	;; [unrolled: 3-line block ×3, first 2 shown]
	s_orn2_b64 s[20:21], s[20:21], exec
.LBB43_15:                              ;   in Loop: Header=BB43_16 Depth=1
	s_or_b64 exec, exec, s[18:19]
	s_and_b64 s[6:7], exec, s[20:21]
	s_or_b64 s[54:55], s[6:7], s[54:55]
	s_andn2_b64 s[6:7], s[58:59], exec
	s_and_b64 s[18:19], s[62:63], exec
	s_or_b64 s[58:59], s[6:7], s[18:19]
	s_andn2_b64 s[6:7], s[60:61], exec
	s_and_b64 s[18:19], s[66:67], exec
	;; [unrolled: 3-line block ×3, first 2 shown]
	s_or_b64 s[56:57], s[6:7], s[18:19]
	s_mov_b32 s50, s41
	s_mov_b32 s25, s40
	v_mov_b32_e32 v42, v10
	s_andn2_b64 exec, exec, s[54:55]
	s_cbranch_execz .LBB43_248
.LBB43_16:                              ; =>This Loop Header: Depth=1
                                        ;     Child Loop BB43_22 Depth 2
                                        ;     Child Loop BB43_37 Depth 2
	;; [unrolled: 1-line block ×16, first 2 shown]
	ds_read_b64 v[3:4], v13 offset:4096
	s_waitcnt lgkmcnt(0)
	v_readfirstlane_b32 s29, v3
	s_cmp_gt_i32 s29, 0
	s_cbranch_scc1 .LBB43_44
; %bb.17:                               ;   in Loop: Header=BB43_16 Depth=1
	s_and_b64 vcc, exec, s[44:45]
	s_cbranch_vccz .LBB43_30
; %bb.18:                               ;   in Loop: Header=BB43_16 Depth=1
	s_movk_i32 s6, 0x181
	v_cmp_gt_i32_e32 vcc, s6, v4
	s_mov_b64 s[18:19], 0
	s_mov_b64 s[6:7], 0
	s_cbranch_vccz .LBB43_31
; %bb.19:                               ;   in Loop: Header=BB43_16 Depth=1
	s_mov_b64 s[20:21], exec
	v_readlane_b32 s6, v47, 5
	v_readlane_b32 s7, v47, 6
	s_and_b64 s[6:7], s[20:21], s[6:7]
	s_mov_b64 exec, s[6:7]
	s_cbranch_execz .LBB43_76
; %bb.20:                               ;   in Loop: Header=BB43_16 Depth=1
	v_readlane_b32 s6, v47, 9
	v_readlane_b32 s7, v47, 10
	s_nop 4
	global_load_ushort v1, v13, s[6:7]
	global_load_dwordx2 v[3:4], v[14:15], off
	s_mov_b64 s[22:23], 0
	v_mov_b32_e32 v10, v0
	s_waitcnt vmcnt(1)
	v_add_u32_e32 v7, v0, v1
	v_mul_lo_u32 v12, s31, v7
	v_mul_lo_u32 v9, s31, v1
	s_branch .LBB43_22
.LBB43_21:                              ;   in Loop: Header=BB43_22 Depth=2
	s_or_b64 exec, exec, s[6:7]
	v_cmp_le_i32_e32 vcc, s28, v10
	v_mov_b32_e32 v3, v7
	v_add_u32_e32 v12, v12, v9
	s_or_b64 s[22:23], vcc, s[22:23]
	v_mov_b32_e32 v4, v8
	s_andn2_b64 exec, exec, s[22:23]
	s_cbranch_execz .LBB43_76
.LBB43_22:                              ;   Parent Loop BB43_16 Depth=1
                                        ; =>  This Inner Loop Header: Depth=2
	v_add_u32_e32 v10, v10, v1
	v_mov_b32_e32 v7, 0
	v_mov_b32_e32 v8, 0
	v_cmp_gt_u32_e32 vcc, s28, v10
	s_and_saveexec_b64 s[6:7], vcc
	s_cbranch_execz .LBB43_24
; %bb.23:                               ;   in Loop: Header=BB43_22 Depth=2
	v_lshlrev_b64 v[7:8], 3, v[12:13]
	s_waitcnt lgkmcnt(0)
	v_mov_b32_e32 v22, s48
	v_add_co_u32_e32 v7, vcc, s34, v7
	v_addc_co_u32_e32 v8, vcc, v22, v8, vcc
	global_load_dwordx2 v[7:8], v[7:8], off
.LBB43_24:                              ;   in Loop: Header=BB43_22 Depth=2
	s_or_b64 exec, exec, s[6:7]
	s_waitcnt vmcnt(0)
	v_cmp_o_f64_e32 vcc, v[3:4], v[3:4]
	s_waitcnt lgkmcnt(0)
	v_ashrrev_i32_e32 v22, 31, v4
	v_or_b32_e32 v23, 0x80000000, v22
	v_xor_b32_e32 v23, v23, v4
	v_xor_b32_e32 v22, v22, v3
	v_cndmask_b32_e32 v23, -1, v23, vcc
	v_cndmask_b32_e32 v22, -1, v22, vcc
	v_and_b32_e32 v23, v23, v21
	v_and_b32_e32 v22, v22, v20
	v_cmp_eq_u64_e32 vcc, v[22:23], v[18:19]
	v_mov_b32_e32 v22, 0
	s_cmp_lg_u64 vcc, 0
	s_cselect_b64 s[6:7], -1, 0
	s_and_b64 s[6:7], s[2:3], s[6:7]
	s_and_saveexec_b64 s[26:27], s[6:7]
	s_cbranch_execz .LBB43_28
; %bb.25:                               ;   in Loop: Header=BB43_22 Depth=2
	s_mov_b64 s[40:41], exec
	v_mbcnt_lo_u32_b32 v22, s40, 0
	v_mbcnt_hi_u32_b32 v22, s41, v22
	s_bcnt1_i32_b64 s68, vcc
	v_cmp_eq_u32_e64 s[6:7], 0, v22
                                        ; implicit-def: $vgpr23
	s_and_saveexec_b64 s[38:39], s[6:7]
; %bb.26:                               ;   in Loop: Header=BB43_22 Depth=2
	s_bcnt1_i32_b64 s6, s[40:41]
	s_mul_i32 s6, s68, s6
	v_mov_b32_e32 v23, s6
	ds_add_rtn_u32 v23, v13, v23 offset:4104
; %bb.27:                               ;   in Loop: Header=BB43_22 Depth=2
	s_or_b64 exec, exec, s[38:39]
	s_waitcnt lgkmcnt(0)
	v_readfirstlane_b32 s6, v23
	v_mov_b32_e32 v23, s6
	v_mad_u32_u24 v22, s68, v22, v23
.LBB43_28:                              ;   in Loop: Header=BB43_22 Depth=2
	s_or_b64 exec, exec, s[26:27]
	ds_bpermute_b32 v22, v30, v22
	s_and_saveexec_b64 s[6:7], vcc
	s_cbranch_execz .LBB43_21
; %bb.29:                               ;   in Loop: Header=BB43_22 Depth=2
	v_and_b32_e32 v24, vcc_lo, v32
	v_and_b32_e32 v23, vcc_hi, v31
	v_bcnt_u32_b32 v24, v24, 0
	v_bcnt_u32_b32 v23, v23, v24
	v_lshlrev_b32_e32 v23, 3, v23
	s_waitcnt lgkmcnt(0)
	v_lshl_add_u32 v22, v22, 3, v23
	ds_write_b64 v22, v[3:4]
	s_branch .LBB43_21
.LBB43_30:                              ;   in Loop: Header=BB43_16 Depth=1
	s_mov_b64 s[18:19], -1
	s_mov_b64 s[6:7], 0
.LBB43_31:                              ;   in Loop: Header=BB43_16 Depth=1
	s_and_b64 vcc, exec, s[18:19]
	s_cbranch_vccz .LBB43_42
.LBB43_32:                              ;   in Loop: Header=BB43_16 Depth=1
	v_mov_b32_e32 v3, 0
	v_mov_b32_e32 v4, 0
	s_mov_b64 s[6:7], exec
	v_readlane_b32 s18, v47, 5
	v_readlane_b32 s19, v47, 6
	s_and_b64 s[18:19], s[6:7], s[18:19]
	s_mov_b64 exec, s[18:19]
	s_cbranch_execz .LBB43_34
; %bb.33:                               ;   in Loop: Header=BB43_16 Depth=1
	global_load_dwordx2 v[3:4], v[14:15], off
.LBB43_34:                              ;   in Loop: Header=BB43_16 Depth=1
	s_or_b64 exec, exec, s[6:7]
	s_mov_b64 s[6:7], exec
	v_readlane_b32 s18, v47, 7
	v_readlane_b32 s19, v47, 8
	s_and_b64 s[18:19], s[6:7], s[18:19]
	s_mov_b64 exec, s[18:19]
	s_cbranch_execz .LBB43_39
; %bb.35:                               ;   in Loop: Header=BB43_16 Depth=1
	v_readlane_b32 s18, v47, 9
	v_readlane_b32 s19, v47, 10
	v_mov_b32_e32 v22, v28
	v_mov_b32_e32 v23, v0
	s_nop 2
	global_load_ushort v1, v13, s[18:19]
	s_mov_b64 s[18:19], 0
	s_waitcnt vmcnt(0)
	v_add_u32_e32 v7, v0, v1
	v_mul_lo_u32 v12, s31, v7
	v_mul_lo_u32 v10, s31, v1
	v_lshlrev_b32_e32 v9, 3, v1
	s_branch .LBB43_37
.LBB43_36:                              ;   in Loop: Header=BB43_37 Depth=2
	s_or_b64 exec, exec, s[20:21]
	ds_write_b64 v22, v[3:4]
	v_cmp_le_i32_e32 vcc, s28, v23
	s_waitcnt vmcnt(0)
	v_mov_b32_e32 v3, v7
	v_add_u32_e32 v22, v22, v9
	v_add_u32_e32 v12, v12, v10
	s_or_b64 s[18:19], vcc, s[18:19]
	v_mov_b32_e32 v4, v8
	s_andn2_b64 exec, exec, s[18:19]
	s_cbranch_execz .LBB43_39
.LBB43_37:                              ;   Parent Loop BB43_16 Depth=1
                                        ; =>  This Inner Loop Header: Depth=2
	v_add_u32_e32 v23, v23, v1
	v_mov_b32_e32 v7, 0
	v_mov_b32_e32 v8, 0
	v_cmp_gt_u32_e32 vcc, s28, v23
	s_and_saveexec_b64 s[20:21], vcc
	s_cbranch_execz .LBB43_36
; %bb.38:                               ;   in Loop: Header=BB43_37 Depth=2
	v_lshlrev_b64 v[7:8], 3, v[12:13]
	v_mov_b32_e32 v24, s48
	v_add_co_u32_e32 v7, vcc, s34, v7
	v_addc_co_u32_e32 v8, vcc, v24, v8, vcc
	global_load_dwordx2 v[7:8], v[7:8], off
	s_branch .LBB43_36
.LBB43_39:                              ;   in Loop: Header=BB43_16 Depth=1
	s_or_b64 exec, exec, s[6:7]
	s_waitcnt vmcnt(0) lgkmcnt(0)
	s_barrier
	s_and_saveexec_b64 s[6:7], s[0:1]
; %bb.40:                               ;   in Loop: Header=BB43_16 Depth=1
	v_mov_b32_e32 v1, s28
	ds_write_b32 v13, v1 offset:4096
; %bb.41:                               ;   in Loop: Header=BB43_16 Depth=1
	s_or_b64 exec, exec, s[6:7]
	s_mov_b64 s[6:7], -1
	s_waitcnt lgkmcnt(0)
	s_barrier
.LBB43_42:                              ;   in Loop: Header=BB43_16 Depth=1
	s_and_b64 vcc, exec, s[6:7]
	s_cbranch_vccz .LBB43_44
; %bb.43:                               ;   in Loop: Header=BB43_16 Depth=1
	ds_read_b32 v1, v13 offset:4096
	s_waitcnt lgkmcnt(0)
	v_readfirstlane_b32 s29, v1
.LBB43_44:                              ;   in Loop: Header=BB43_16 Depth=1
	s_cmp_lt_i32 s29, 1
	s_mov_b64 s[6:7], -1
                                        ; implicit-def: $vgpr7
	s_cbranch_scc1 .LBB43_54
; %bb.45:                               ;   in Loop: Header=BB43_16 Depth=1
	s_and_b64 vcc, exec, s[6:7]
	s_cbranch_vccnz .LBB43_67
.LBB43_46:                              ;   in Loop: Header=BB43_16 Depth=1
	s_lshl_b32 s18, s50, 6
	s_and_saveexec_b64 s[6:7], s[2:3]
.LBB43_47:                              ;   in Loop: Header=BB43_16 Depth=1
	v_lshl_add_u32 v1, s18, 2, v33
	ds_write_b128 v1, v[7:10]
.LBB43_48:                              ;   in Loop: Header=BB43_16 Depth=1
	s_or_b64 exec, exec, s[6:7]
	s_waitcnt vmcnt(0) lgkmcnt(0)
	s_barrier
	s_and_saveexec_b64 s[6:7], s[42:43]
	s_cbranch_execz .LBB43_84
; %bb.49:                               ;   in Loop: Header=BB43_16 Depth=1
	s_andn2_b64 vcc, exec, s[46:47]
	v_mov_b32_e32 v1, 0
	s_cbranch_vccnz .LBB43_83
; %bb.50:                               ;   in Loop: Header=BB43_16 Depth=1
	v_readlane_b32 s20, v47, 11
	v_readlane_b32 s21, v47, 12
	s_andn2_b64 vcc, exec, s[20:21]
	s_cbranch_vccnz .LBB43_79
; %bb.51:                               ;   in Loop: Header=BB43_16 Depth=1
	v_lshl_add_u32 v3, s50, 8, v41
	s_mov_b32 s19, 0
	v_mov_b32_e32 v1, 0
.LBB43_52:                              ;   Parent Loop BB43_16 Depth=1
                                        ; =>  This Inner Loop Header: Depth=2
	ds_read2_b32 v[7:8], v3 offset1:4
	ds_read2_b32 v[9:10], v3 offset0:8 offset1:12
	ds_read2_b32 v[22:23], v3 offset0:16 offset1:20
	;; [unrolled: 1-line block ×3, first 2 shown]
	s_add_i32 s19, s19, 8
	s_waitcnt lgkmcnt(3)
	v_add3_u32 v1, v7, v1, v8
	s_waitcnt lgkmcnt(2)
	v_add3_u32 v1, v9, v1, v10
	;; [unrolled: 2-line block ×3, first 2 shown]
	v_add_u32_e32 v3, 0x80, v3
	s_cmp_eq_u32 s51, s19
	s_waitcnt lgkmcnt(0)
	v_add3_u32 v1, v24, v1, v25
	s_cbranch_scc0 .LBB43_52
; %bb.53:                               ;   in Loop: Header=BB43_16 Depth=1
	s_mov_b32 s19, s51
	s_branch .LBB43_80
.LBB43_54:                              ;   in Loop: Header=BB43_16 Depth=1
	v_mov_b32_e32 v7, 0
	v_mov_b32_e32 v8, 0
	;; [unrolled: 1-line block ×4, first 2 shown]
	s_and_saveexec_b64 s[26:27], s[10:11]
	s_cbranch_execz .LBB43_58
; %bb.55:                               ;   in Loop: Header=BB43_16 Depth=1
	s_mov_b32 s38, 0
	s_mov_b64 s[68:69], 0
	s_mov_b32 s39, 0
	s_mov_b32 s40, 0
	;; [unrolled: 1-line block ×4, first 2 shown]
	v_mov_b32_e32 v1, v26
.LBB43_56:                              ;   Parent Loop BB43_16 Depth=1
                                        ; =>  This Inner Loop Header: Depth=2
	v_add_u32_e32 v3, s38, v38
	v_ashrrev_i32_e32 v4, 31, v3
	v_lshlrev_b64 v[3:4], 3, v[3:4]
	v_mov_b32_e32 v12, s48
	v_add_co_u32_e32 v3, vcc, s34, v3
	v_addc_co_u32_e32 v4, vcc, v12, v4, vcc
	global_load_dwordx2 v[3:4], v[3:4], off
	v_add_u32_e32 v7, s38, v35
	v_ashrrev_i32_e32 v8, 31, v7
	v_lshlrev_b64 v[7:8], 3, v[7:8]
	v_add_u32_e32 v9, s38, v36
	v_add_co_u32_e32 v7, vcc, s34, v7
	v_addc_co_u32_e32 v8, vcc, v12, v8, vcc
	global_load_dwordx2 v[7:8], v[7:8], off
	v_ashrrev_i32_e32 v10, 31, v9
	v_lshlrev_b64 v[9:10], 3, v[9:10]
	v_add_u32_e32 v22, s38, v37
	v_add_co_u32_e32 v9, vcc, s34, v9
	v_addc_co_u32_e32 v10, vcc, v12, v10, vcc
	global_load_dwordx2 v[9:10], v[9:10], off
	;; [unrolled: 6-line block ×3, first 2 shown]
	s_add_i32 s38, s38, s9
	s_waitcnt vmcnt(3)
	v_cmp_o_f64_e32 vcc, v[3:4], v[3:4]
	v_ashrrev_i32_e32 v12, 31, v4
	v_or_b32_e32 v24, 0x80000000, v12
	v_xor_b32_e32 v4, v24, v4
	v_xor_b32_e32 v3, v12, v3
	v_cndmask_b32_e32 v4, -1, v4, vcc
	v_cndmask_b32_e32 v3, -1, v3, vcc
	s_waitcnt vmcnt(2)
	v_cmp_o_f64_e32 vcc, v[7:8], v[7:8]
	v_ashrrev_i32_e32 v12, 31, v8
	v_or_b32_e32 v24, 0x80000000, v12
	v_xor_b32_e32 v8, v24, v8
	v_xor_b32_e32 v7, v12, v7
	v_cndmask_b32_e32 v25, -1, v8, vcc
	v_cndmask_b32_e32 v24, -1, v7, vcc
	;; [unrolled: 8-line block ×3, first 2 shown]
	s_waitcnt vmcnt(0)
	v_cmp_o_f64_e32 vcc, v[22:23], v[22:23]
	v_ashrrev_i32_e32 v7, 31, v23
	v_or_b32_e32 v8, 0x80000000, v7
	v_xor_b32_e32 v8, v8, v23
	v_xor_b32_e32 v7, v7, v22
	v_and_b32_e32 v23, v4, v21
	v_and_b32_e32 v22, v3, v20
	v_lshrrev_b64 v[3:4], s25, v[3:4]
	v_cndmask_b32_e32 v8, -1, v8, vcc
	v_and_b32_e32 v12, 3, v3
	v_lshrrev_b64 v[3:4], s25, v[24:25]
	v_cndmask_b32_e32 v7, -1, v7, vcc
	v_cmp_eq_u64_e32 vcc, v[22:23], v[18:19]
	v_and_b32_e32 v23, v25, v21
	v_and_b32_e32 v22, v24, v20
	v_cmp_eq_u64_e64 s[6:7], 0, v[12:13]
	v_cmp_eq_u64_e64 s[18:19], v[22:23], v[18:19]
	v_and_b32_e32 v23, v10, v21
	v_and_b32_e32 v22, v9, v20
	;; [unrolled: 1-line block ×3, first 2 shown]
	v_mov_b32_e32 v4, v13
	v_lshrrev_b64 v[9:10], s25, v[9:10]
	s_and_b64 s[72:73], vcc, s[6:7]
	v_cmp_eq_u64_e64 s[6:7], 0, v[3:4]
	v_cmp_eq_u64_e64 s[20:21], v[22:23], v[18:19]
	v_and_b32_e32 v23, v8, v21
	v_and_b32_e32 v22, v7, v20
	;; [unrolled: 1-line block ×3, first 2 shown]
	v_mov_b32_e32 v10, v13
	v_lshrrev_b64 v[7:8], s25, v[7:8]
	s_and_b64 s[74:75], s[18:19], s[6:7]
	v_cmp_eq_u64_e64 s[6:7], 0, v[9:10]
	v_and_b32_e32 v7, 3, v7
	v_mov_b32_e32 v8, v13
	v_cmp_eq_u64_e64 s[22:23], v[22:23], v[18:19]
	s_and_b64 s[76:77], s[20:21], s[6:7]
	v_cmp_eq_u64_e64 s[6:7], 0, v[7:8]
	v_cndmask_b32_e64 v22, 0, 1, s[72:73]
	s_and_b64 s[78:79], s[22:23], s[6:7]
	v_cmp_ne_u32_e64 s[6:7], 0, v22
	v_cndmask_b32_e64 v22, 0, 1, s[74:75]
	s_bcnt1_i32_b64 s71, s[6:7]
	v_cmp_ne_u32_e64 s[6:7], 0, v22
	v_cndmask_b32_e64 v22, 0, 1, s[76:77]
	s_bcnt1_i32_b64 s72, s[6:7]
	;; [unrolled: 3-line block ×3, first 2 shown]
	v_cmp_ne_u32_e64 s[6:7], 0, v22
	s_bcnt1_i32_b64 s6, s[6:7]
	s_add_i32 s7, s70, s71
	s_add_i32 s7, s7, s72
	;; [unrolled: 1-line block ×4, first 2 shown]
	v_cmp_eq_u64_e64 s[6:7], 1, v[12:13]
	s_and_b64 s[72:73], vcc, s[6:7]
	v_cmp_eq_u64_e64 s[6:7], 1, v[3:4]
	v_cndmask_b32_e64 v22, 0, 1, s[72:73]
	s_and_b64 s[74:75], s[18:19], s[6:7]
	v_cmp_eq_u64_e64 s[6:7], 1, v[9:10]
	s_and_b64 s[76:77], s[20:21], s[6:7]
	v_cmp_eq_u64_e64 s[6:7], 1, v[7:8]
	s_and_b64 s[78:79], s[22:23], s[6:7]
	v_cmp_ne_u32_e64 s[6:7], 0, v22
	v_cndmask_b32_e64 v22, 0, 1, s[74:75]
	s_bcnt1_i32_b64 s71, s[6:7]
	v_cmp_ne_u32_e64 s[6:7], 0, v22
	v_cndmask_b32_e64 v22, 0, 1, s[76:77]
	s_bcnt1_i32_b64 s72, s[6:7]
	;; [unrolled: 3-line block ×3, first 2 shown]
	v_cmp_ne_u32_e64 s[6:7], 0, v22
	s_bcnt1_i32_b64 s6, s[6:7]
	s_add_i32 s7, s41, s71
	s_add_i32 s7, s7, s72
	;; [unrolled: 1-line block ×4, first 2 shown]
	v_cmp_eq_u64_e64 s[6:7], 2, v[12:13]
	s_and_b64 s[72:73], vcc, s[6:7]
	v_cmp_eq_u64_e64 s[6:7], 2, v[3:4]
	v_cndmask_b32_e64 v22, 0, 1, s[72:73]
	s_and_b64 s[74:75], s[18:19], s[6:7]
	v_cmp_eq_u64_e64 s[6:7], 2, v[9:10]
	s_and_b64 s[76:77], s[20:21], s[6:7]
	v_cmp_eq_u64_e64 s[6:7], 2, v[7:8]
	s_and_b64 s[78:79], s[22:23], s[6:7]
	v_cmp_ne_u32_e64 s[6:7], 0, v22
	v_cndmask_b32_e64 v22, 0, 1, s[74:75]
	s_bcnt1_i32_b64 s71, s[6:7]
	v_cmp_ne_u32_e64 s[6:7], 0, v22
	v_cndmask_b32_e64 v22, 0, 1, s[76:77]
	s_bcnt1_i32_b64 s72, s[6:7]
	;; [unrolled: 3-line block ×3, first 2 shown]
	v_cmp_ne_u32_e64 s[6:7], 0, v22
	s_bcnt1_i32_b64 s6, s[6:7]
	s_add_i32 s7, s40, s71
	s_add_i32 s7, s7, s72
	;; [unrolled: 1-line block ×4, first 2 shown]
	v_cmp_eq_u64_e64 s[6:7], 3, v[12:13]
	s_and_b64 s[6:7], vcc, s[6:7]
	v_cmp_eq_u64_e32 vcc, 3, v[3:4]
	v_cndmask_b32_e64 v3, 0, 1, s[6:7]
	s_and_b64 s[18:19], s[18:19], vcc
	v_cmp_eq_u64_e32 vcc, 3, v[9:10]
	v_mov_b32_e32 v9, s40
	s_and_b64 s[20:21], s[20:21], vcc
	v_cmp_eq_u64_e32 vcc, 3, v[7:8]
	v_mov_b32_e32 v7, s70
	s_and_b64 s[22:23], s[22:23], vcc
	v_cmp_ne_u32_e32 vcc, 0, v3
	v_cndmask_b32_e64 v3, 0, 1, s[18:19]
	s_bcnt1_i32_b64 s6, vcc
	v_cmp_ne_u32_e32 vcc, 0, v3
	v_cndmask_b32_e64 v3, 0, 1, s[20:21]
	s_bcnt1_i32_b64 s7, vcc
	v_cmp_ne_u32_e32 vcc, 0, v3
	v_cndmask_b32_e64 v3, 0, 1, s[22:23]
	s_add_i32 s6, s39, s6
	s_bcnt1_i32_b64 s18, vcc
	v_cmp_ne_u32_e32 vcc, 0, v3
	s_add_i32 s6, s6, s7
	s_bcnt1_i32_b64 s19, vcc
	s_add_i32 s6, s6, s18
	s_add_i32 s39, s6, s19
	v_cmp_le_i32_e32 vcc, s53, v1
	s_or_b64 s[68:69], vcc, s[68:69]
	v_mov_b32_e32 v8, s41
	v_mov_b32_e32 v10, s39
	s_andn2_b64 exec, exec, s[68:69]
	s_cbranch_execnz .LBB43_56
; %bb.57:                               ;   in Loop: Header=BB43_16 Depth=1
	s_or_b64 exec, exec, s[68:69]
.LBB43_58:                              ;   in Loop: Header=BB43_16 Depth=1
	s_or_b64 exec, exec, s[26:27]
	v_mov_b32_e32 v22, 0
	v_mov_b32_e32 v23, 0
	s_and_saveexec_b64 s[6:7], s[12:13]
	s_cbranch_execz .LBB43_60
; %bb.59:                               ;   in Loop: Header=BB43_16 Depth=1
	global_load_dwordx2 v[22:23], v[16:17], off
.LBB43_60:                              ;   in Loop: Header=BB43_16 Depth=1
	s_or_b64 exec, exec, s[6:7]
	s_and_saveexec_b64 s[20:21], s[14:15]
	s_cbranch_execz .LBB43_66
; %bb.61:                               ;   in Loop: Header=BB43_16 Depth=1
	s_mov_b64 s[22:23], 0
	v_mov_b32_e32 v3, v39
	v_mov_b32_e32 v1, v34
	s_branch .LBB43_63
.LBB43_62:                              ;   in Loop: Header=BB43_63 Depth=2
	s_or_b64 exec, exec, s[6:7]
	s_waitcnt vmcnt(0)
	v_cmp_o_f64_e32 vcc, v[22:23], v[22:23]
	v_ashrrev_i32_e32 v4, 31, v23
	v_or_b32_e32 v12, 0x80000000, v4
	v_xor_b32_e32 v12, v12, v23
	v_xor_b32_e32 v4, v4, v22
	v_add_u32_e32 v3, s49, v3
	v_cndmask_b32_e32 v23, -1, v12, vcc
	v_cndmask_b32_e32 v22, -1, v4, vcc
	v_and_b32_e32 v44, v23, v21
	v_and_b32_e32 v43, v22, v20
	v_lshrrev_b64 v[22:23], s25, v[22:23]
	v_cmp_eq_u64_e32 vcc, v[43:44], v[18:19]
	v_and_b32_e32 v12, 3, v22
	v_cmp_eq_u64_e64 s[6:7], 0, v[12:13]
	v_cmp_eq_u64_e64 s[18:19], 1, v[12:13]
	s_and_b64 s[6:7], vcc, s[6:7]
	v_cndmask_b32_e64 v4, 0, 1, s[6:7]
	v_cmp_ne_u32_e64 s[6:7], 0, v4
	s_bcnt1_i32_b64 s6, s[6:7]
	v_add_u32_e32 v7, s6, v7
	s_and_b64 s[6:7], vcc, s[18:19]
	v_cndmask_b32_e64 v4, 0, 1, s[6:7]
	v_cmp_ne_u32_e64 s[6:7], 0, v4
	s_bcnt1_i32_b64 s18, s[6:7]
	v_cmp_eq_u64_e64 s[6:7], 2, v[12:13]
	v_add_u32_e32 v8, s18, v8
	s_and_b64 s[6:7], vcc, s[6:7]
	v_cndmask_b32_e64 v4, 0, 1, s[6:7]
	v_cmp_ne_u32_e64 s[6:7], 0, v4
	s_bcnt1_i32_b64 s18, s[6:7]
	v_cmp_eq_u64_e64 s[6:7], 3, v[12:13]
	v_mov_b32_e32 v22, v24
	s_and_b64 s[6:7], vcc, s[6:7]
	v_cndmask_b32_e64 v4, 0, 1, s[6:7]
	v_cmp_ne_u32_e32 vcc, 0, v4
	s_bcnt1_i32_b64 s6, vcc
	v_cmp_le_i32_e32 vcc, s28, v1
	v_add_u32_e32 v9, s18, v9
	v_add_u32_e32 v10, s6, v10
	s_or_b64 s[22:23], vcc, s[22:23]
	v_mov_b32_e32 v23, v25
	s_andn2_b64 exec, exec, s[22:23]
	s_cbranch_execz .LBB43_65
.LBB43_63:                              ;   Parent Loop BB43_16 Depth=1
                                        ; =>  This Inner Loop Header: Depth=2
	v_add_u32_e32 v1, s36, v1
	v_mov_b32_e32 v24, 0
	v_mov_b32_e32 v25, 0
	v_cmp_gt_u32_e32 vcc, s28, v1
	s_and_saveexec_b64 s[6:7], vcc
	s_cbranch_execz .LBB43_62
; %bb.64:                               ;   in Loop: Header=BB43_63 Depth=2
	v_ashrrev_i32_e32 v4, 31, v3
	v_lshlrev_b64 v[24:25], 3, v[3:4]
	v_mov_b32_e32 v4, s48
	v_add_co_u32_e32 v24, vcc, s34, v24
	v_addc_co_u32_e32 v25, vcc, v4, v25, vcc
	global_load_dwordx2 v[24:25], v[24:25], off
	s_branch .LBB43_62
.LBB43_65:                              ;   in Loop: Header=BB43_16 Depth=1
	s_or_b64 exec, exec, s[22:23]
.LBB43_66:                              ;   in Loop: Header=BB43_16 Depth=1
	s_or_b64 exec, exec, s[20:21]
	s_branch .LBB43_46
.LBB43_67:                              ;   in Loop: Header=BB43_16 Depth=1
	s_mul_hi_u32 s6, s29, s52
	s_mul_i32 s6, s6, s8
	s_sub_i32 s6, s29, s6
	s_sub_i32 s7, s6, s8
	s_cmp_ge_u32 s6, s8
	s_cselect_b32 s6, s7, s6
	s_sub_i32 s7, s6, s8
	s_cmp_ge_u32 s6, s8
	s_cselect_b32 s6, s7, s6
	s_sub_i32 s38, s29, s6
	v_cmp_gt_u32_e32 vcc, s38, v26
	v_mov_b32_e32 v7, 0
	v_mov_b32_e32 v8, 0
	v_mov_b32_e32 v9, 0
	v_mov_b32_e32 v10, 0
	s_and_saveexec_b64 s[26:27], vcc
	s_cbranch_execz .LBB43_71
; %bb.68:                               ;   in Loop: Header=BB43_16 Depth=1
	s_mov_b32 s39, 0
	s_mov_b64 s[68:69], 0
	v_mov_b32_e32 v1, v40
	s_mov_b32 s40, 0
	s_mov_b32 s41, 0
	;; [unrolled: 1-line block ×3, first 2 shown]
	s_waitcnt vmcnt(0)
	v_mov_b32_e32 v22, v26
.LBB43_69:                              ;   Parent Loop BB43_16 Depth=1
                                        ; =>  This Inner Loop Header: Depth=2
	ds_read_b128 v[7:10], v1
	ds_read_b128 v[43:46], v1 offset:16
	v_add_u32_e32 v22, s8, v22
	v_add_u32_e32 v1, s16, v1
	s_waitcnt lgkmcnt(1)
	v_cmp_o_f64_e32 vcc, v[7:8], v[7:8]
	v_ashrrev_i32_e32 v3, 31, v8
	v_or_b32_e32 v4, 0x80000000, v3
	v_xor_b32_e32 v4, v4, v8
	v_xor_b32_e32 v3, v3, v7
	v_ashrrev_i32_e32 v7, 31, v10
	v_or_b32_e32 v8, 0x80000000, v7
	v_xor_b32_e32 v8, v8, v10
	v_cndmask_b32_e32 v4, -1, v4, vcc
	v_cndmask_b32_e32 v3, -1, v3, vcc
	v_cmp_o_f64_e32 vcc, v[9:10], v[9:10]
	v_xor_b32_e32 v7, v7, v9
	v_cndmask_b32_e32 v24, -1, v8, vcc
	v_cndmask_b32_e32 v23, -1, v7, vcc
	s_waitcnt lgkmcnt(0)
	v_cmp_o_f64_e32 vcc, v[43:44], v[43:44]
	v_ashrrev_i32_e32 v7, 31, v44
	v_or_b32_e32 v8, 0x80000000, v7
	v_xor_b32_e32 v8, v8, v44
	v_xor_b32_e32 v7, v7, v43
	v_and_b32_e32 v44, v4, v21
	v_and_b32_e32 v43, v3, v20
	v_lshrrev_b64 v[3:4], s25, v[3:4]
	v_cndmask_b32_e32 v10, -1, v8, vcc
	v_cndmask_b32_e32 v9, -1, v7, vcc
	v_cmp_o_f64_e32 vcc, v[45:46], v[45:46]
	v_ashrrev_i32_e32 v7, 31, v46
	v_or_b32_e32 v8, 0x80000000, v7
	v_xor_b32_e32 v8, v8, v46
	v_xor_b32_e32 v7, v7, v45
	v_and_b32_e32 v12, 3, v3
	v_lshrrev_b64 v[3:4], s25, v[23:24]
	v_cmp_eq_u64_e64 s[6:7], 0, v[12:13]
	v_cndmask_b32_e32 v8, -1, v8, vcc
	v_cndmask_b32_e32 v7, -1, v7, vcc
	v_cmp_eq_u64_e32 vcc, v[43:44], v[18:19]
	v_and_b32_e32 v44, v24, v21
	v_and_b32_e32 v43, v23, v20
	v_cmp_eq_u64_e64 s[18:19], v[43:44], v[18:19]
	v_and_b32_e32 v44, v10, v21
	v_and_b32_e32 v43, v9, v20
	;; [unrolled: 1-line block ×3, first 2 shown]
	v_mov_b32_e32 v4, v13
	v_lshrrev_b64 v[9:10], s25, v[9:10]
	s_and_b64 s[72:73], vcc, s[6:7]
	v_cmp_eq_u64_e64 s[6:7], 0, v[3:4]
	v_cmp_eq_u64_e64 s[20:21], v[43:44], v[18:19]
	v_and_b32_e32 v44, v8, v21
	v_and_b32_e32 v43, v7, v20
	;; [unrolled: 1-line block ×3, first 2 shown]
	v_mov_b32_e32 v10, v13
	v_lshrrev_b64 v[7:8], s25, v[7:8]
	s_and_b64 s[74:75], s[18:19], s[6:7]
	v_cmp_eq_u64_e64 s[6:7], 0, v[9:10]
	v_and_b32_e32 v7, 3, v7
	v_mov_b32_e32 v8, v13
	v_cmp_eq_u64_e64 s[22:23], v[43:44], v[18:19]
	s_and_b64 s[76:77], s[20:21], s[6:7]
	v_cmp_eq_u64_e64 s[6:7], 0, v[7:8]
	v_cndmask_b32_e64 v23, 0, 1, s[72:73]
	s_and_b64 s[78:79], s[22:23], s[6:7]
	v_cmp_ne_u32_e64 s[6:7], 0, v23
	v_cndmask_b32_e64 v23, 0, 1, s[74:75]
	s_bcnt1_i32_b64 s71, s[6:7]
	v_cmp_ne_u32_e64 s[6:7], 0, v23
	v_cndmask_b32_e64 v23, 0, 1, s[76:77]
	s_bcnt1_i32_b64 s72, s[6:7]
	;; [unrolled: 3-line block ×3, first 2 shown]
	v_cmp_ne_u32_e64 s[6:7], 0, v23
	s_bcnt1_i32_b64 s6, s[6:7]
	s_add_i32 s7, s70, s71
	s_add_i32 s7, s7, s72
	;; [unrolled: 1-line block ×4, first 2 shown]
	v_cmp_eq_u64_e64 s[6:7], 1, v[12:13]
	s_and_b64 s[72:73], vcc, s[6:7]
	v_cmp_eq_u64_e64 s[6:7], 1, v[3:4]
	v_cndmask_b32_e64 v23, 0, 1, s[72:73]
	s_and_b64 s[74:75], s[18:19], s[6:7]
	v_cmp_eq_u64_e64 s[6:7], 1, v[9:10]
	s_and_b64 s[76:77], s[20:21], s[6:7]
	v_cmp_eq_u64_e64 s[6:7], 1, v[7:8]
	s_and_b64 s[78:79], s[22:23], s[6:7]
	v_cmp_ne_u32_e64 s[6:7], 0, v23
	v_cndmask_b32_e64 v23, 0, 1, s[74:75]
	s_bcnt1_i32_b64 s71, s[6:7]
	v_cmp_ne_u32_e64 s[6:7], 0, v23
	v_cndmask_b32_e64 v23, 0, 1, s[76:77]
	s_bcnt1_i32_b64 s72, s[6:7]
	v_cmp_ne_u32_e64 s[6:7], 0, v23
	v_cndmask_b32_e64 v23, 0, 1, s[78:79]
	s_bcnt1_i32_b64 s73, s[6:7]
	v_cmp_ne_u32_e64 s[6:7], 0, v23
	s_bcnt1_i32_b64 s6, s[6:7]
	s_add_i32 s7, s41, s71
	s_add_i32 s7, s7, s72
	;; [unrolled: 1-line block ×4, first 2 shown]
	v_cmp_eq_u64_e64 s[6:7], 2, v[12:13]
	s_and_b64 s[72:73], vcc, s[6:7]
	v_cmp_eq_u64_e64 s[6:7], 2, v[3:4]
	v_cndmask_b32_e64 v23, 0, 1, s[72:73]
	s_and_b64 s[74:75], s[18:19], s[6:7]
	v_cmp_eq_u64_e64 s[6:7], 2, v[9:10]
	s_and_b64 s[76:77], s[20:21], s[6:7]
	v_cmp_eq_u64_e64 s[6:7], 2, v[7:8]
	s_and_b64 s[78:79], s[22:23], s[6:7]
	v_cmp_ne_u32_e64 s[6:7], 0, v23
	v_cndmask_b32_e64 v23, 0, 1, s[74:75]
	s_bcnt1_i32_b64 s71, s[6:7]
	v_cmp_ne_u32_e64 s[6:7], 0, v23
	v_cndmask_b32_e64 v23, 0, 1, s[76:77]
	s_bcnt1_i32_b64 s72, s[6:7]
	;; [unrolled: 3-line block ×3, first 2 shown]
	v_cmp_ne_u32_e64 s[6:7], 0, v23
	s_bcnt1_i32_b64 s6, s[6:7]
	s_add_i32 s7, s40, s71
	s_add_i32 s7, s7, s72
	;; [unrolled: 1-line block ×4, first 2 shown]
	v_cmp_eq_u64_e64 s[6:7], 3, v[12:13]
	s_and_b64 s[6:7], vcc, s[6:7]
	v_cmp_eq_u64_e32 vcc, 3, v[3:4]
	v_cndmask_b32_e64 v3, 0, 1, s[6:7]
	s_and_b64 s[18:19], s[18:19], vcc
	v_cmp_eq_u64_e32 vcc, 3, v[9:10]
	v_mov_b32_e32 v9, s40
	s_and_b64 s[20:21], s[20:21], vcc
	v_cmp_eq_u64_e32 vcc, 3, v[7:8]
	v_mov_b32_e32 v7, s70
	s_and_b64 s[22:23], s[22:23], vcc
	v_cmp_ne_u32_e32 vcc, 0, v3
	v_cndmask_b32_e64 v3, 0, 1, s[18:19]
	s_bcnt1_i32_b64 s6, vcc
	v_cmp_ne_u32_e32 vcc, 0, v3
	v_cndmask_b32_e64 v3, 0, 1, s[20:21]
	s_bcnt1_i32_b64 s7, vcc
	v_cmp_ne_u32_e32 vcc, 0, v3
	v_cndmask_b32_e64 v3, 0, 1, s[22:23]
	s_add_i32 s6, s39, s6
	s_bcnt1_i32_b64 s18, vcc
	v_cmp_ne_u32_e32 vcc, 0, v3
	s_add_i32 s6, s6, s7
	s_bcnt1_i32_b64 s19, vcc
	s_add_i32 s6, s6, s18
	s_add_i32 s39, s6, s19
	v_cmp_le_i32_e32 vcc, s38, v22
	s_or_b64 s[68:69], vcc, s[68:69]
	v_mov_b32_e32 v8, s41
	v_mov_b32_e32 v10, s39
	s_andn2_b64 exec, exec, s[68:69]
	s_cbranch_execnz .LBB43_69
; %bb.70:                               ;   in Loop: Header=BB43_16 Depth=1
	s_or_b64 exec, exec, s[68:69]
.LBB43_71:                              ;   in Loop: Header=BB43_16 Depth=1
	s_or_b64 exec, exec, s[26:27]
	v_add_u32_e32 v1, s38, v0
	v_cmp_gt_i32_e32 vcc, s29, v1
	s_and_saveexec_b64 s[68:69], vcc
	s_cbranch_execz .LBB43_75
; %bb.72:                               ;   in Loop: Header=BB43_16 Depth=1
	v_lshlrev_b32_e32 v3, 3, v1
	s_mov_b64 s[38:39], 0
.LBB43_73:                              ;   Parent Loop BB43_16 Depth=1
                                        ; =>  This Inner Loop Header: Depth=2
	s_waitcnt vmcnt(0)
	ds_read_b64 v[22:23], v3
	v_add_u32_e32 v1, s36, v1
	v_cmp_le_i32_e32 vcc, s29, v1
	v_add_u32_e32 v3, s24, v3
	s_waitcnt lgkmcnt(0)
	v_cmp_o_f64_e64 s[6:7], v[22:23], v[22:23]
	v_ashrrev_i32_e32 v4, 31, v23
	v_or_b32_e32 v12, 0x80000000, v4
	v_xor_b32_e32 v4, v4, v22
	v_xor_b32_e32 v12, v12, v23
	v_cndmask_b32_e64 v23, -1, v12, s[6:7]
	v_cndmask_b32_e64 v22, -1, v4, s[6:7]
	v_and_b32_e32 v25, v23, v21
	v_and_b32_e32 v24, v22, v20
	v_lshrrev_b64 v[22:23], s25, v[22:23]
	v_cmp_eq_u64_e64 s[6:7], v[24:25], v[18:19]
	v_and_b32_e32 v12, 3, v22
	v_cmp_eq_u64_e64 s[18:19], 0, v[12:13]
	v_cmp_eq_u64_e64 s[20:21], 1, v[12:13]
	;; [unrolled: 1-line block ×4, first 2 shown]
	s_and_b64 s[18:19], s[6:7], s[18:19]
	v_cndmask_b32_e64 v4, 0, 1, s[18:19]
	s_and_b64 s[18:19], s[6:7], s[20:21]
	v_cndmask_b32_e64 v12, 0, 1, s[18:19]
	s_and_b64 s[18:19], s[6:7], s[22:23]
	s_and_b64 s[6:7], s[6:7], s[26:27]
	v_cndmask_b32_e64 v22, 0, 1, s[18:19]
	v_cndmask_b32_e64 v23, 0, 1, s[6:7]
	v_cmp_ne_u32_e64 s[6:7], 0, v4
	v_cmp_ne_u32_e64 s[18:19], 0, v12
	;; [unrolled: 1-line block ×4, first 2 shown]
	s_bcnt1_i32_b64 s6, s[6:7]
	s_bcnt1_i32_b64 s7, s[18:19]
	;; [unrolled: 1-line block ×4, first 2 shown]
	v_add_u32_e32 v7, s6, v7
	v_add_u32_e32 v8, s7, v8
	;; [unrolled: 1-line block ×3, first 2 shown]
	s_or_b64 s[38:39], vcc, s[38:39]
	v_add_u32_e32 v10, s19, v10
	s_andn2_b64 exec, exec, s[38:39]
	s_cbranch_execnz .LBB43_73
; %bb.74:                               ;   in Loop: Header=BB43_16 Depth=1
	s_or_b64 exec, exec, s[38:39]
.LBB43_75:                              ;   in Loop: Header=BB43_16 Depth=1
	s_or_b64 exec, exec, s[68:69]
	s_lshl_b32 s18, s50, 6
	s_and_saveexec_b64 s[6:7], s[2:3]
	s_cbranch_execnz .LBB43_47
	s_branch .LBB43_48
.LBB43_76:                              ;   in Loop: Header=BB43_16 Depth=1
	s_or_b64 exec, exec, s[20:21]
	s_waitcnt lgkmcnt(0)
	s_barrier
	s_and_saveexec_b64 s[6:7], s[0:1]
	s_cbranch_execz .LBB43_78
; %bb.77:                               ;   in Loop: Header=BB43_16 Depth=1
	ds_read_b32 v1, v13 offset:4104
	s_waitcnt lgkmcnt(0)
	ds_write_b32 v13, v1 offset:4096
.LBB43_78:                              ;   in Loop: Header=BB43_16 Depth=1
	s_or_b64 exec, exec, s[6:7]
	s_waitcnt lgkmcnt(0)
	s_barrier
	s_mov_b64 s[6:7], -1
	s_and_b64 vcc, exec, s[18:19]
	s_cbranch_vccnz .LBB43_32
	s_branch .LBB43_42
.LBB43_79:                              ;   in Loop: Header=BB43_16 Depth=1
	v_mov_b32_e32 v1, 0
	s_mov_b32 s19, 0
.LBB43_80:                              ;   in Loop: Header=BB43_16 Depth=1
	v_readlane_b32 s20, v47, 14
	v_readlane_b32 s21, v47, 15
	s_andn2_b64 vcc, exec, s[20:21]
	s_cbranch_vccnz .LBB43_83
; %bb.81:                               ;   in Loop: Header=BB43_16 Depth=1
	s_lshl_b32 s20, s50, 8
	s_lshl_b32 s19, s19, 4
	s_add_i32 s20, s20, s19
	v_add_u32_e32 v3, s20, v41
	v_readlane_b32 s19, v47, 13
.LBB43_82:                              ;   Parent Loop BB43_16 Depth=1
                                        ; =>  This Inner Loop Header: Depth=2
	ds_read_b32 v4, v3
	s_add_i32 s19, s19, -1
	v_add_u32_e32 v3, 16, v3
	s_cmp_lg_u32 s19, 0
	s_waitcnt lgkmcnt(0)
	v_add_u32_e32 v1, v4, v1
	s_cbranch_scc1 .LBB43_82
.LBB43_83:                              ;   in Loop: Header=BB43_16 Depth=1
	v_add_lshl_u32 v3, s18, v27, 2
	ds_write_b32 v3, v1 offset:3072
.LBB43_84:                              ;   in Loop: Header=BB43_16 Depth=1
	s_or_b64 exec, exec, s[6:7]
	s_lshl_b32 s6, s18, 2
	v_mov_b32_e32 v1, s6
	s_waitcnt lgkmcnt(0)
	s_barrier
	ds_read_b128 v[7:10], v1 offset:3072
	s_lshl_b64 s[6:7], 3, s25
	s_not_b64 s[70:71], s[6:7]
	v_cmp_eq_u32_e32 vcc, 1, v42
	s_mov_b64 s[20:21], -1
	s_waitcnt lgkmcnt(0)
	v_readfirstlane_b32 s80, v7
	s_cmp_eq_u32 s80, 1
	s_cselect_b64 s[18:19], -1, 0
	v_readfirstlane_b32 s84, v8
	v_readfirstlane_b32 s92, v9
	v_readfirstlane_b32 s29, v10
	s_and_b64 s[22:23], s[18:19], vcc
	s_mov_b64 s[38:39], -1
                                        ; implicit-def: $sgpr68_sgpr69
                                        ; implicit-def: $sgpr26_sgpr27
	s_and_saveexec_b64 s[18:19], s[22:23]
	s_cbranch_execz .LBB43_112
; %bb.85:                               ;   in Loop: Header=BB43_16 Depth=1
	ds_read_b32 v1, v13 offset:4096
	s_waitcnt lgkmcnt(0)
	s_barrier
	v_readfirstlane_b32 s81, v1
	s_and_saveexec_b64 s[26:27], s[4:5]
; %bb.86:                               ;   in Loop: Header=BB43_16 Depth=1
	v_mov_b32_e32 v12, v13
	ds_write_b64 v29, v[12:13]
; %bb.87:                               ;   in Loop: Header=BB43_16 Depth=1
	s_or_b64 exec, exec, s[26:27]
	v_and_b32_e32 v19, s71, v19
	v_and_b32_e32 v18, s70, v18
	v_or_b32_e32 v21, s7, v21
	v_or_b32_e32 v20, s6, v20
	s_mov_b64 s[26:27], -1
	s_mov_b64 s[68:69], 0
	s_cmp_lt_i32 s81, 1
	s_mov_b64 s[72:73], 0
	s_mov_b64 s[74:75], -1
	s_waitcnt lgkmcnt(0)
	s_barrier
                                        ; implicit-def: $vgpr5_vgpr6
	s_cbranch_scc0 .LBB43_99
; %bb.88:                               ;   in Loop: Header=BB43_16 Depth=1
	s_mov_b64 s[74:75], 0
                                        ; implicit-def: $vgpr5_vgpr6
	s_mov_b64 s[76:77], exec
	v_readlane_b32 s38, v47, 17
	v_readlane_b32 s39, v47, 18
	s_and_b64 s[38:39], s[76:77], s[38:39]
	s_mov_b64 exec, s[38:39]
	s_cbranch_execz .LBB43_98
; %bb.89:                               ;   in Loop: Header=BB43_16 Depth=1
	v_mov_b32_e32 v7, v11
	v_mov_b32_e32 v9, v0
                                        ; implicit-def: $sgpr38_sgpr39
	s_branch .LBB43_93
.LBB43_90:                              ;   in Loop: Header=BB43_93 Depth=2
	s_or_b64 exec, exec, s[40:41]
	s_waitcnt lgkmcnt(0)
	s_barrier
	ds_read_b128 v[3:6], v13 offset:3072
	s_waitcnt lgkmcnt(0)
	s_barrier
	v_cmp_neq_f64_e32 vcc, 0, v[3:4]
	s_cbranch_vccnz .LBB43_96
; %bb.91:                               ;   in Loop: Header=BB43_93 Depth=2
	v_add_u32_e32 v9, s36, v9
	v_cmp_le_i32_e32 vcc, s17, v9
	v_add_u32_e32 v7, s49, v7
	s_mov_b64 s[40:41], 0
	s_orn2_b64 s[78:79], vcc, exec
.LBB43_92:                              ;   in Loop: Header=BB43_93 Depth=2
	s_and_b64 s[78:79], exec, s[78:79]
	s_or_b64 s[72:73], s[78:79], s[72:73]
	s_andn2_b64 s[38:39], s[38:39], exec
	s_and_b64 s[40:41], s[40:41], exec
	s_or_b64 s[38:39], s[38:39], s[40:41]
	s_andn2_b64 exec, exec, s[72:73]
	s_cbranch_execz .LBB43_97
.LBB43_93:                              ;   Parent Loop BB43_16 Depth=1
                                        ; =>  This Inner Loop Header: Depth=2
	v_cmp_gt_i32_e32 vcc, s28, v9
	s_and_saveexec_b64 s[40:41], vcc
	s_cbranch_execz .LBB43_90
; %bb.94:                               ;   in Loop: Header=BB43_93 Depth=2
	v_ashrrev_i32_e32 v8, 31, v7
	v_lshlrev_b64 v[3:4], 3, v[7:8]
	v_mov_b32_e32 v1, s48
	v_add_co_u32_e32 v3, vcc, s34, v3
	v_addc_co_u32_e32 v4, vcc, v1, v4, vcc
	global_load_dwordx2 v[3:4], v[3:4], off
	s_waitcnt vmcnt(0)
	v_cmp_o_f64_e32 vcc, v[3:4], v[3:4]
	v_ashrrev_i32_e32 v1, 31, v4
	v_or_b32_e32 v5, 0x80000000, v1
	v_xor_b32_e32 v5, v5, v4
	v_xor_b32_e32 v1, v1, v3
	v_cndmask_b32_e32 v5, -1, v5, vcc
	v_cndmask_b32_e32 v1, -1, v1, vcc
	v_and_b32_e32 v6, v5, v21
	v_and_b32_e32 v5, v1, v20
	v_cmp_eq_u64_e32 vcc, v[5:6], v[18:19]
	s_and_b64 exec, exec, vcc
	s_cbranch_execz .LBB43_90
; %bb.95:                               ;   in Loop: Header=BB43_93 Depth=2
	v_mov_b32_e32 v1, v13
	ds_write_b128 v13, v[1:4] offset:3072
	s_branch .LBB43_90
.LBB43_96:                              ;   in Loop: Header=BB43_93 Depth=2
	s_mov_b64 s[78:79], -1
                                        ; implicit-def: $vgpr9
                                        ; implicit-def: $vgpr7
	s_mov_b64 s[40:41], -1
	s_branch .LBB43_92
.LBB43_97:                              ;   in Loop: Header=BB43_16 Depth=1
	s_or_b64 exec, exec, s[72:73]
	s_and_b64 s[72:73], s[38:39], exec
.LBB43_98:                              ;   in Loop: Header=BB43_16 Depth=1
	s_or_b64 exec, exec, s[76:77]
.LBB43_99:                              ;   in Loop: Header=BB43_16 Depth=1
	s_and_b64 vcc, exec, s[74:75]
	s_cbranch_vccz .LBB43_111
; %bb.100:                              ;   in Loop: Header=BB43_16 Depth=1
	v_readlane_b32 s26, v47, 4
	s_add_i32 s76, s81, s26
	s_abs_i32 s27, s76
	v_readlane_b32 s38, v47, 16
	s_mul_hi_u32 s38, s27, s38
	s_mul_i32 s38, s38, s36
	s_sub_i32 s27, s27, s38
	s_ashr_i32 s26, s76, 31
	s_sub_i32 s38, s27, s36
	s_cmp_ge_u32 s27, s36
	s_cselect_b32 s27, s38, s27
	s_sub_i32 s38, s27, s36
	s_cmp_ge_u32 s27, s36
	s_cselect_b32 s27, s38, s27
	s_xor_b32 s27, s27, s26
	s_sub_i32 s26, s26, s27
	s_add_i32 s76, s76, s26
	v_cmp_gt_i32_e32 vcc, s76, v0
                                        ; implicit-def: $vgpr5_vgpr6
	s_and_saveexec_b64 s[26:27], vcc
	s_cbranch_execz .LBB43_110
; %bb.101:                              ;   in Loop: Header=BB43_16 Depth=1
	s_mov_b64 s[68:69], 0
	v_mov_b32_e32 v7, v28
	v_mov_b32_e32 v8, v0
                                        ; implicit-def: $sgpr38_sgpr39
	s_branch .LBB43_105
.LBB43_102:                             ;   in Loop: Header=BB43_105 Depth=2
	s_or_b64 exec, exec, s[40:41]
	s_waitcnt lgkmcnt(0)
	s_barrier
	ds_read_b128 v[3:6], v13 offset:3072
	s_waitcnt lgkmcnt(0)
	s_barrier
	v_cmp_neq_f64_e32 vcc, 0, v[3:4]
	s_cbranch_vccnz .LBB43_108
; %bb.103:                              ;   in Loop: Header=BB43_105 Depth=2
	v_add_u32_e32 v8, s36, v8
	v_cmp_le_i32_e32 vcc, s76, v8
	v_add_u32_e32 v7, s24, v7
	s_mov_b64 s[40:41], 0
	s_orn2_b64 s[74:75], vcc, exec
.LBB43_104:                             ;   in Loop: Header=BB43_105 Depth=2
	s_and_b64 s[74:75], exec, s[74:75]
	s_or_b64 s[68:69], s[74:75], s[68:69]
	s_andn2_b64 s[38:39], s[38:39], exec
	s_and_b64 s[40:41], s[40:41], exec
	s_or_b64 s[38:39], s[38:39], s[40:41]
	s_andn2_b64 exec, exec, s[68:69]
	s_cbranch_execz .LBB43_109
.LBB43_105:                             ;   Parent Loop BB43_16 Depth=1
                                        ; =>  This Inner Loop Header: Depth=2
	v_cmp_gt_i32_e32 vcc, s81, v8
	s_and_saveexec_b64 s[40:41], vcc
	s_cbranch_execz .LBB43_102
; %bb.106:                              ;   in Loop: Header=BB43_105 Depth=2
	ds_read_b64 v[3:4], v7
	s_waitcnt lgkmcnt(0)
	v_cmp_o_f64_e32 vcc, v[3:4], v[3:4]
	v_ashrrev_i32_e32 v1, 31, v4
	v_or_b32_e32 v5, 0x80000000, v1
	v_xor_b32_e32 v5, v5, v4
	v_xor_b32_e32 v1, v1, v3
	v_cndmask_b32_e32 v5, -1, v5, vcc
	v_cndmask_b32_e32 v1, -1, v1, vcc
	v_and_b32_e32 v6, v5, v21
	v_and_b32_e32 v5, v1, v20
	v_cmp_eq_u64_e32 vcc, v[5:6], v[18:19]
	s_and_b64 exec, exec, vcc
	s_cbranch_execz .LBB43_102
; %bb.107:                              ;   in Loop: Header=BB43_105 Depth=2
	v_mov_b32_e32 v1, v13
	ds_write_b128 v13, v[1:4] offset:3072
	s_branch .LBB43_102
.LBB43_108:                             ;   in Loop: Header=BB43_105 Depth=2
	s_mov_b64 s[74:75], -1
                                        ; implicit-def: $vgpr8
                                        ; implicit-def: $vgpr7
	s_mov_b64 s[40:41], -1
	s_branch .LBB43_104
.LBB43_109:                             ;   in Loop: Header=BB43_16 Depth=1
	s_or_b64 exec, exec, s[68:69]
	s_andn2_b64 s[40:41], s[72:73], exec
	s_and_b64 s[38:39], s[38:39], exec
	s_or_b64 s[72:73], s[40:41], s[38:39]
.LBB43_110:                             ;   in Loop: Header=BB43_16 Depth=1
	s_or_b64 exec, exec, s[26:27]
	s_mov_b64 s[26:27], 0
	s_mov_b64 s[68:69], -1
.LBB43_111:                             ;   in Loop: Header=BB43_16 Depth=1
	s_orn2_b64 s[38:39], s[72:73], exec
.LBB43_112:                             ;   in Loop: Header=BB43_16 Depth=1
	s_or_b64 exec, exec, s[18:19]
	s_andn2_b64 s[18:19], s[66:67], exec
	s_and_b64 s[66:67], s[68:69], exec
	s_or_b64 s[66:67], s[18:19], s[66:67]
	s_andn2_b64 s[18:19], s[64:65], exec
	s_and_b64 s[26:27], s[26:27], exec
	v_readfirstlane_b32 s40, v0
	v_readfirstlane_b32 s41, v0
	s_andn2_b64 s[62:63], s[62:63], exec
	s_or_b64 s[64:65], s[18:19], s[26:27]
                                        ; implicit-def: $vgpr10
	s_and_saveexec_b64 s[18:19], s[38:39]
	s_cbranch_execz .LBB43_15
; %bb.113:                              ;   in Loop: Header=BB43_16 Depth=1
	s_xor_b64 s[26:27], s[22:23], -1
	s_mov_b64 s[22:23], 0
	v_mov_b32_e32 v10, 1
	v_mov_b32_e32 v9, 1
	s_and_saveexec_b64 s[20:21], s[26:27]
	s_cbranch_execz .LBB43_122
; %bb.114:                              ;   in Loop: Header=BB43_16 Depth=1
	v_cmp_ge_i32_e32 vcc, s80, v42
	s_and_saveexec_b64 s[22:23], vcc
	s_xor_b64 s[22:23], exec, s[22:23]
	s_cbranch_execz .LBB43_119
; %bb.115:                              ;   in Loop: Header=BB43_16 Depth=1
	ds_read_b32 v1, v13 offset:4096
	v_and_b32_e32 v19, s71, v19
	v_and_b32_e32 v18, s70, v18
	v_or_b32_e32 v21, s7, v21
	v_or_b32_e32 v20, s6, v20
	s_waitcnt lgkmcnt(0)
	v_cmp_ne_u32_e32 vcc, 0, v1
	s_cbranch_vccnz .LBB43_119
; %bb.116:                              ;   in Loop: Header=BB43_16 Depth=1
	s_and_saveexec_b64 s[26:27], s[0:1]
; %bb.117:                              ;   in Loop: Header=BB43_16 Depth=1
	v_mov_b32_e32 v1, s80
	ds_write_b32 v13, v1 offset:4100
; %bb.118:                              ;   in Loop: Header=BB43_16 Depth=1
	s_or_b64 exec, exec, s[26:27]
	s_waitcnt lgkmcnt(0)
	s_barrier
.LBB43_119:                             ;   in Loop: Header=BB43_16 Depth=1
	s_or_saveexec_b64 s[22:23], s[22:23]
	s_mov_b64 s[26:27], 0
	v_mov_b32_e32 v9, 8
	s_xor_b64 exec, exec, s[22:23]
; %bb.120:                              ;   in Loop: Header=BB43_16 Depth=1
	s_mov_b64 s[26:27], exec
	v_subrev_u32_e32 v42, s80, v42
	v_mov_b32_e32 v9, 0
; %bb.121:                              ;   in Loop: Header=BB43_16 Depth=1
	s_or_b64 exec, exec, s[22:23]
	s_and_b64 s[22:23], s[26:27], exec
	v_mov_b32_e32 v10, v42
.LBB43_122:                             ;   in Loop: Header=BB43_16 Depth=1
	s_or_b64 exec, exec, s[20:21]
	s_mov_b64 s[20:21], -1
	s_mov_b64 s[38:39], -1
                                        ; implicit-def: $sgpr26_sgpr27
                                        ; implicit-def: $sgpr68_sgpr69
	s_and_saveexec_b64 s[40:41], s[22:23]
	s_xor_b64 s[22:23], exec, s[40:41]
	s_cbranch_execz .LBB43_245
; %bb.123:                              ;   in Loop: Header=BB43_16 Depth=1
	s_cmp_eq_u32 s84, 1
	s_cselect_b64 s[26:27], -1, 0
	v_cmp_eq_u32_e32 vcc, 1, v10
	s_and_b64 s[74:75], s[26:27], vcc
                                        ; implicit-def: $sgpr68_sgpr69
                                        ; implicit-def: $sgpr26_sgpr27
	s_and_saveexec_b64 s[72:73], s[74:75]
	s_cbranch_execz .LBB43_151
; %bb.124:                              ;   in Loop: Header=BB43_16 Depth=1
	ds_read_b32 v1, v13 offset:4096
	s_waitcnt lgkmcnt(0)
	s_barrier
	v_readfirstlane_b32 s85, v1
	s_and_saveexec_b64 s[26:27], s[4:5]
; %bb.125:                              ;   in Loop: Header=BB43_16 Depth=1
	v_mov_b32_e32 v12, v13
	ds_write_b64 v29, v[12:13]
; %bb.126:                              ;   in Loop: Header=BB43_16 Depth=1
	s_or_b64 exec, exec, s[26:27]
	s_lshl_b64 s[26:27], 1, s25
	v_and_b32_e32 v1, s71, v19
	v_and_b32_e32 v3, s70, v18
	v_or_b32_e32 v19, s27, v1
	v_or_b32_e32 v18, s26, v3
	;; [unrolled: 1-line block ×4, first 2 shown]
	s_mov_b64 s[26:27], -1
	s_mov_b64 s[68:69], 0
	s_cmp_gt_i32 s85, 0
	s_mov_b64 s[76:77], 0
	s_mov_b64 s[78:79], -1
	s_waitcnt lgkmcnt(0)
	s_barrier
                                        ; implicit-def: $vgpr5_vgpr6
	s_cbranch_scc1 .LBB43_138
; %bb.127:                              ;   in Loop: Header=BB43_16 Depth=1
	s_mov_b64 s[78:79], 0
                                        ; implicit-def: $vgpr5_vgpr6
	s_mov_b64 s[80:81], exec
	v_readlane_b32 s38, v47, 17
	v_readlane_b32 s39, v47, 18
	s_and_b64 s[38:39], s[80:81], s[38:39]
	s_mov_b64 exec, s[38:39]
	s_cbranch_execz .LBB43_137
; %bb.128:                              ;   in Loop: Header=BB43_16 Depth=1
	v_mov_b32_e32 v7, v11
	v_mov_b32_e32 v12, v0
                                        ; implicit-def: $sgpr82_sgpr83
	s_branch .LBB43_132
.LBB43_129:                             ;   in Loop: Header=BB43_132 Depth=2
	s_or_b64 exec, exec, s[38:39]
	s_waitcnt lgkmcnt(0)
	s_barrier
	ds_read_b128 v[3:6], v13 offset:3072
	s_waitcnt lgkmcnt(0)
	s_barrier
	v_cmp_neq_f64_e32 vcc, 0, v[3:4]
	s_cbranch_vccnz .LBB43_135
; %bb.130:                              ;   in Loop: Header=BB43_132 Depth=2
	v_add_u32_e32 v12, s36, v12
	v_cmp_le_i32_e32 vcc, s17, v12
	v_add_u32_e32 v7, s49, v7
	s_mov_b64 s[38:39], 0
	s_orn2_b64 s[40:41], vcc, exec
.LBB43_131:                             ;   in Loop: Header=BB43_132 Depth=2
	s_and_b64 s[40:41], exec, s[40:41]
	s_or_b64 s[76:77], s[40:41], s[76:77]
	s_andn2_b64 s[40:41], s[82:83], exec
	s_and_b64 s[38:39], s[38:39], exec
	s_or_b64 s[82:83], s[40:41], s[38:39]
	s_andn2_b64 exec, exec, s[76:77]
	s_cbranch_execz .LBB43_136
.LBB43_132:                             ;   Parent Loop BB43_16 Depth=1
                                        ; =>  This Inner Loop Header: Depth=2
	v_cmp_gt_i32_e32 vcc, s28, v12
	s_and_saveexec_b64 s[38:39], vcc
	s_cbranch_execz .LBB43_129
; %bb.133:                              ;   in Loop: Header=BB43_132 Depth=2
	v_ashrrev_i32_e32 v8, 31, v7
	v_lshlrev_b64 v[3:4], 3, v[7:8]
	v_mov_b32_e32 v1, s48
	v_add_co_u32_e32 v3, vcc, s34, v3
	v_addc_co_u32_e32 v4, vcc, v1, v4, vcc
	global_load_dwordx2 v[3:4], v[3:4], off
	s_waitcnt vmcnt(0)
	v_cmp_o_f64_e32 vcc, v[3:4], v[3:4]
	v_ashrrev_i32_e32 v1, 31, v4
	v_or_b32_e32 v5, 0x80000000, v1
	v_xor_b32_e32 v5, v5, v4
	v_xor_b32_e32 v1, v1, v3
	v_cndmask_b32_e32 v5, -1, v5, vcc
	v_cndmask_b32_e32 v1, -1, v1, vcc
	v_and_b32_e32 v6, v5, v21
	v_and_b32_e32 v5, v1, v20
	v_cmp_eq_u64_e32 vcc, v[5:6], v[18:19]
	s_and_b64 exec, exec, vcc
	s_cbranch_execz .LBB43_129
; %bb.134:                              ;   in Loop: Header=BB43_132 Depth=2
	v_mov_b32_e32 v1, v13
	ds_write_b128 v13, v[1:4] offset:3072
	s_branch .LBB43_129
.LBB43_135:                             ;   in Loop: Header=BB43_132 Depth=2
	s_mov_b64 s[40:41], -1
                                        ; implicit-def: $vgpr12
                                        ; implicit-def: $vgpr7
	s_mov_b64 s[38:39], -1
	s_branch .LBB43_131
.LBB43_136:                             ;   in Loop: Header=BB43_16 Depth=1
	s_or_b64 exec, exec, s[76:77]
	s_and_b64 s[76:77], s[82:83], exec
.LBB43_137:                             ;   in Loop: Header=BB43_16 Depth=1
	s_or_b64 exec, exec, s[80:81]
.LBB43_138:                             ;   in Loop: Header=BB43_16 Depth=1
	s_and_b64 vcc, exec, s[78:79]
	s_cbranch_vccz .LBB43_150
; %bb.139:                              ;   in Loop: Header=BB43_16 Depth=1
	v_readlane_b32 s26, v47, 4
	s_add_i32 s80, s85, s26
	s_abs_i32 s27, s80
	v_readlane_b32 s38, v47, 16
	s_mul_hi_u32 s38, s27, s38
	s_mul_i32 s38, s38, s36
	s_sub_i32 s27, s27, s38
	s_ashr_i32 s26, s80, 31
	s_sub_i32 s38, s27, s36
	s_cmp_ge_u32 s27, s36
	s_cselect_b32 s27, s38, s27
	s_sub_i32 s38, s27, s36
	s_cmp_ge_u32 s27, s36
	s_cselect_b32 s27, s38, s27
	s_xor_b32 s27, s27, s26
	s_sub_i32 s26, s26, s27
	s_add_i32 s80, s80, s26
	v_cmp_gt_i32_e32 vcc, s80, v0
                                        ; implicit-def: $vgpr5_vgpr6
	s_and_saveexec_b64 s[26:27], vcc
	s_cbranch_execz .LBB43_149
; %bb.140:                              ;   in Loop: Header=BB43_16 Depth=1
	s_mov_b64 s[38:39], 0
	v_mov_b32_e32 v7, v28
	v_mov_b32_e32 v8, v0
                                        ; implicit-def: $sgpr68_sgpr69
	s_branch .LBB43_144
.LBB43_141:                             ;   in Loop: Header=BB43_144 Depth=2
	s_or_b64 exec, exec, s[40:41]
	s_waitcnt lgkmcnt(0)
	s_barrier
	ds_read_b128 v[3:6], v13 offset:3072
	s_waitcnt lgkmcnt(0)
	s_barrier
	v_cmp_eq_f64_e32 vcc, 0, v[3:4]
	s_cbranch_vccz .LBB43_147
; %bb.142:                              ;   in Loop: Header=BB43_144 Depth=2
	v_add_u32_e32 v8, s36, v8
	v_cmp_le_i32_e32 vcc, s80, v8
	v_add_u32_e32 v7, s24, v7
	s_mov_b64 s[40:41], 0
	s_orn2_b64 s[78:79], vcc, exec
.LBB43_143:                             ;   in Loop: Header=BB43_144 Depth=2
	s_and_b64 s[78:79], exec, s[78:79]
	s_or_b64 s[38:39], s[78:79], s[38:39]
	s_andn2_b64 s[68:69], s[68:69], exec
	s_and_b64 s[40:41], s[40:41], exec
	s_or_b64 s[68:69], s[68:69], s[40:41]
	s_andn2_b64 exec, exec, s[38:39]
	s_cbranch_execz .LBB43_148
.LBB43_144:                             ;   Parent Loop BB43_16 Depth=1
                                        ; =>  This Inner Loop Header: Depth=2
	v_cmp_gt_i32_e32 vcc, s85, v8
	s_and_saveexec_b64 s[40:41], vcc
	s_cbranch_execz .LBB43_141
; %bb.145:                              ;   in Loop: Header=BB43_144 Depth=2
	ds_read_b64 v[3:4], v7
	s_waitcnt lgkmcnt(0)
	v_cmp_o_f64_e32 vcc, v[3:4], v[3:4]
	v_ashrrev_i32_e32 v1, 31, v4
	v_or_b32_e32 v5, 0x80000000, v1
	v_xor_b32_e32 v5, v5, v4
	v_xor_b32_e32 v1, v1, v3
	v_cndmask_b32_e32 v5, -1, v5, vcc
	v_cndmask_b32_e32 v1, -1, v1, vcc
	v_and_b32_e32 v6, v5, v21
	v_and_b32_e32 v5, v1, v20
	v_cmp_eq_u64_e32 vcc, v[5:6], v[18:19]
	s_and_b64 exec, exec, vcc
	s_cbranch_execz .LBB43_141
; %bb.146:                              ;   in Loop: Header=BB43_144 Depth=2
	v_mov_b32_e32 v1, v13
	ds_write_b128 v13, v[1:4] offset:3072
	s_branch .LBB43_141
.LBB43_147:                             ;   in Loop: Header=BB43_144 Depth=2
	s_mov_b64 s[78:79], -1
                                        ; implicit-def: $vgpr8
                                        ; implicit-def: $vgpr7
	s_mov_b64 s[40:41], -1
	s_branch .LBB43_143
.LBB43_148:                             ;   in Loop: Header=BB43_16 Depth=1
	s_or_b64 exec, exec, s[38:39]
	s_andn2_b64 s[38:39], s[76:77], exec
	s_and_b64 s[40:41], s[68:69], exec
	s_or_b64 s[76:77], s[38:39], s[40:41]
.LBB43_149:                             ;   in Loop: Header=BB43_16 Depth=1
	s_or_b64 exec, exec, s[26:27]
	s_mov_b64 s[26:27], 0
	s_mov_b64 s[68:69], -1
.LBB43_150:                             ;   in Loop: Header=BB43_16 Depth=1
	s_orn2_b64 s[38:39], s[76:77], exec
.LBB43_151:                             ;   in Loop: Header=BB43_16 Depth=1
	s_or_b64 exec, exec, s[72:73]
	s_mov_b64 s[40:41], 0
	s_and_saveexec_b64 s[72:73], s[38:39]
	s_cbranch_execz .LBB43_244
; %bb.152:                              ;   in Loop: Header=BB43_16 Depth=1
	s_xor_b64 s[74:75], s[74:75], -1
	v_mov_b32_e32 v22, 1
	v_mov_b32_e32 v9, 1
	s_and_saveexec_b64 s[38:39], s[74:75]
	s_cbranch_execz .LBB43_161
; %bb.153:                              ;   in Loop: Header=BB43_16 Depth=1
	v_cmp_ge_i32_e32 vcc, s84, v10
	s_and_saveexec_b64 s[40:41], vcc
	s_xor_b64 s[74:75], exec, s[40:41]
	s_cbranch_execz .LBB43_158
; %bb.154:                              ;   in Loop: Header=BB43_16 Depth=1
	ds_read_b32 v3, v13 offset:4096
	s_lshl_b64 s[40:41], 1, s25
	v_and_b32_e32 v1, s71, v19
	v_and_b32_e32 v4, s70, v18
	v_or_b32_e32 v19, s41, v1
	s_waitcnt lgkmcnt(0)
	v_cmp_ne_u32_e32 vcc, 0, v3
	v_or_b32_e32 v18, s40, v4
	v_or_b32_e32 v21, s7, v21
	;; [unrolled: 1-line block ×3, first 2 shown]
	s_cbranch_vccnz .LBB43_158
; %bb.155:                              ;   in Loop: Header=BB43_16 Depth=1
	s_and_saveexec_b64 s[40:41], s[0:1]
; %bb.156:                              ;   in Loop: Header=BB43_16 Depth=1
	v_mov_b32_e32 v1, s84
	ds_write_b32 v13, v1 offset:4100
; %bb.157:                              ;   in Loop: Header=BB43_16 Depth=1
	s_or_b64 exec, exec, s[40:41]
	s_waitcnt lgkmcnt(0)
	s_barrier
.LBB43_158:                             ;   in Loop: Header=BB43_16 Depth=1
	s_or_saveexec_b64 s[40:41], s[74:75]
	s_mov_b64 s[74:75], 0
	v_mov_b32_e32 v9, 8
	s_xor_b64 exec, exec, s[40:41]
; %bb.159:                              ;   in Loop: Header=BB43_16 Depth=1
	s_mov_b64 s[74:75], exec
	v_subrev_u32_e32 v10, s84, v10
	v_mov_b32_e32 v9, 0
; %bb.160:                              ;   in Loop: Header=BB43_16 Depth=1
	s_or_b64 exec, exec, s[40:41]
	s_and_b64 s[40:41], s[74:75], exec
	v_mov_b32_e32 v22, v10
.LBB43_161:                             ;   in Loop: Header=BB43_16 Depth=1
	s_or_b64 exec, exec, s[38:39]
	s_mov_b64 s[38:39], -1
                                        ; implicit-def: $sgpr76_sgpr77
                                        ; implicit-def: $sgpr78_sgpr79
	s_and_saveexec_b64 s[74:75], s[40:41]
	s_cbranch_execz .LBB43_243
; %bb.162:                              ;   in Loop: Header=BB43_16 Depth=1
	s_cmp_eq_u32 s92, 1
	s_cselect_b64 s[38:39], -1, 0
	v_cmp_eq_u32_e32 vcc, 1, v22
	s_and_b64 s[82:83], s[38:39], vcc
	s_mov_b64 s[38:39], -1
                                        ; implicit-def: $sgpr78_sgpr79
                                        ; implicit-def: $sgpr76_sgpr77
	s_and_saveexec_b64 s[80:81], s[82:83]
	s_cbranch_execz .LBB43_190
; %bb.163:                              ;   in Loop: Header=BB43_16 Depth=1
	ds_read_b32 v1, v13 offset:4096
	s_waitcnt lgkmcnt(0)
	s_barrier
	v_readfirstlane_b32 s93, v1
	s_and_saveexec_b64 s[38:39], s[4:5]
; %bb.164:                              ;   in Loop: Header=BB43_16 Depth=1
	v_mov_b32_e32 v12, v13
	ds_write_b64 v29, v[12:13]
; %bb.165:                              ;   in Loop: Header=BB43_16 Depth=1
	s_or_b64 exec, exec, s[38:39]
	s_lshl_b64 s[38:39], 2, s25
	v_and_b32_e32 v1, s71, v19
	v_and_b32_e32 v3, s70, v18
	v_or_b32_e32 v19, s39, v1
	v_or_b32_e32 v18, s38, v3
	;; [unrolled: 1-line block ×4, first 2 shown]
	s_mov_b64 s[76:77], -1
	s_mov_b64 s[78:79], 0
	s_cmp_gt_i32 s93, 0
	s_mov_b64 s[84:85], 0
	s_mov_b64 s[86:87], -1
	s_waitcnt lgkmcnt(0)
	s_barrier
                                        ; implicit-def: $vgpr5_vgpr6
	s_cbranch_scc1 .LBB43_177
; %bb.166:                              ;   in Loop: Header=BB43_16 Depth=1
	s_mov_b64 s[86:87], 0
                                        ; implicit-def: $vgpr5_vgpr6
	s_mov_b64 s[88:89], exec
	v_readlane_b32 s38, v47, 17
	v_readlane_b32 s39, v47, 18
	s_and_b64 s[38:39], s[88:89], s[38:39]
	s_mov_b64 exec, s[38:39]
	s_cbranch_execz .LBB43_176
; %bb.167:                              ;   in Loop: Header=BB43_16 Depth=1
	v_mov_b32_e32 v7, v11
	v_mov_b32_e32 v10, v0
                                        ; implicit-def: $sgpr90_sgpr91
	s_branch .LBB43_171
.LBB43_168:                             ;   in Loop: Header=BB43_171 Depth=2
	s_or_b64 exec, exec, s[38:39]
	s_waitcnt lgkmcnt(0)
	s_barrier
	ds_read_b128 v[3:6], v13 offset:3072
	s_waitcnt lgkmcnt(0)
	s_barrier
	v_cmp_neq_f64_e32 vcc, 0, v[3:4]
	s_cbranch_vccnz .LBB43_174
; %bb.169:                              ;   in Loop: Header=BB43_171 Depth=2
	v_add_u32_e32 v10, s36, v10
	v_cmp_le_i32_e32 vcc, s17, v10
	v_add_u32_e32 v7, s49, v7
	s_mov_b64 s[38:39], 0
	s_orn2_b64 s[40:41], vcc, exec
.LBB43_170:                             ;   in Loop: Header=BB43_171 Depth=2
	s_and_b64 s[40:41], exec, s[40:41]
	s_or_b64 s[84:85], s[40:41], s[84:85]
	s_andn2_b64 s[40:41], s[90:91], exec
	s_and_b64 s[38:39], s[38:39], exec
	s_or_b64 s[90:91], s[40:41], s[38:39]
	s_andn2_b64 exec, exec, s[84:85]
	s_cbranch_execz .LBB43_175
.LBB43_171:                             ;   Parent Loop BB43_16 Depth=1
                                        ; =>  This Inner Loop Header: Depth=2
	v_cmp_gt_i32_e32 vcc, s28, v10
	s_and_saveexec_b64 s[38:39], vcc
	s_cbranch_execz .LBB43_168
; %bb.172:                              ;   in Loop: Header=BB43_171 Depth=2
	v_ashrrev_i32_e32 v8, 31, v7
	v_lshlrev_b64 v[3:4], 3, v[7:8]
	v_mov_b32_e32 v1, s48
	v_add_co_u32_e32 v3, vcc, s34, v3
	v_addc_co_u32_e32 v4, vcc, v1, v4, vcc
	global_load_dwordx2 v[3:4], v[3:4], off
	s_waitcnt vmcnt(0)
	v_cmp_o_f64_e32 vcc, v[3:4], v[3:4]
	v_ashrrev_i32_e32 v1, 31, v4
	v_or_b32_e32 v5, 0x80000000, v1
	v_xor_b32_e32 v5, v5, v4
	v_xor_b32_e32 v1, v1, v3
	v_cndmask_b32_e32 v5, -1, v5, vcc
	v_cndmask_b32_e32 v1, -1, v1, vcc
	v_and_b32_e32 v6, v5, v21
	v_and_b32_e32 v5, v1, v20
	v_cmp_eq_u64_e32 vcc, v[5:6], v[18:19]
	s_and_b64 exec, exec, vcc
	s_cbranch_execz .LBB43_168
; %bb.173:                              ;   in Loop: Header=BB43_171 Depth=2
	v_mov_b32_e32 v1, v13
	ds_write_b128 v13, v[1:4] offset:3072
	s_branch .LBB43_168
.LBB43_174:                             ;   in Loop: Header=BB43_171 Depth=2
	s_mov_b64 s[40:41], -1
                                        ; implicit-def: $vgpr10
                                        ; implicit-def: $vgpr7
	s_mov_b64 s[38:39], -1
	s_branch .LBB43_170
.LBB43_175:                             ;   in Loop: Header=BB43_16 Depth=1
	s_or_b64 exec, exec, s[84:85]
	s_and_b64 s[84:85], s[90:91], exec
.LBB43_176:                             ;   in Loop: Header=BB43_16 Depth=1
	s_or_b64 exec, exec, s[88:89]
.LBB43_177:                             ;   in Loop: Header=BB43_16 Depth=1
	s_and_b64 vcc, exec, s[86:87]
	s_cbranch_vccz .LBB43_189
; %bb.178:                              ;   in Loop: Header=BB43_16 Depth=1
	v_readlane_b32 s38, v47, 4
	s_add_i32 s88, s93, s38
	s_abs_i32 s39, s88
	v_readlane_b32 s40, v47, 16
	s_mul_hi_u32 s40, s39, s40
	s_mul_i32 s40, s40, s36
	s_sub_i32 s39, s39, s40
	s_ashr_i32 s38, s88, 31
	s_sub_i32 s40, s39, s36
	s_cmp_ge_u32 s39, s36
	s_cselect_b32 s39, s40, s39
	s_sub_i32 s40, s39, s36
	s_cmp_ge_u32 s39, s36
	s_cselect_b32 s39, s40, s39
	s_xor_b32 s39, s39, s38
	s_sub_i32 s38, s38, s39
	s_add_i32 s88, s88, s38
	v_cmp_gt_i32_e32 vcc, s88, v0
                                        ; implicit-def: $vgpr5_vgpr6
	s_and_saveexec_b64 s[76:77], vcc
	s_cbranch_execz .LBB43_188
; %bb.179:                              ;   in Loop: Header=BB43_16 Depth=1
	s_mov_b64 s[38:39], 0
	v_mov_b32_e32 v7, v28
	v_mov_b32_e32 v8, v0
                                        ; implicit-def: $sgpr78_sgpr79
	s_branch .LBB43_183
.LBB43_180:                             ;   in Loop: Header=BB43_183 Depth=2
	s_or_b64 exec, exec, s[40:41]
	s_waitcnt lgkmcnt(0)
	s_barrier
	ds_read_b128 v[3:6], v13 offset:3072
	s_waitcnt lgkmcnt(0)
	s_barrier
	v_cmp_eq_f64_e32 vcc, 0, v[3:4]
	s_cbranch_vccz .LBB43_186
; %bb.181:                              ;   in Loop: Header=BB43_183 Depth=2
	v_add_u32_e32 v8, s36, v8
	v_cmp_le_i32_e32 vcc, s88, v8
	v_add_u32_e32 v7, s24, v7
	s_mov_b64 s[40:41], 0
	s_orn2_b64 s[86:87], vcc, exec
.LBB43_182:                             ;   in Loop: Header=BB43_183 Depth=2
	s_and_b64 s[86:87], exec, s[86:87]
	s_or_b64 s[38:39], s[86:87], s[38:39]
	s_andn2_b64 s[78:79], s[78:79], exec
	s_and_b64 s[40:41], s[40:41], exec
	s_or_b64 s[78:79], s[78:79], s[40:41]
	s_andn2_b64 exec, exec, s[38:39]
	s_cbranch_execz .LBB43_187
.LBB43_183:                             ;   Parent Loop BB43_16 Depth=1
                                        ; =>  This Inner Loop Header: Depth=2
	v_cmp_gt_i32_e32 vcc, s93, v8
	s_and_saveexec_b64 s[40:41], vcc
	s_cbranch_execz .LBB43_180
; %bb.184:                              ;   in Loop: Header=BB43_183 Depth=2
	ds_read_b64 v[3:4], v7
	s_waitcnt lgkmcnt(0)
	v_cmp_o_f64_e32 vcc, v[3:4], v[3:4]
	v_ashrrev_i32_e32 v1, 31, v4
	v_or_b32_e32 v5, 0x80000000, v1
	v_xor_b32_e32 v5, v5, v4
	v_xor_b32_e32 v1, v1, v3
	v_cndmask_b32_e32 v5, -1, v5, vcc
	v_cndmask_b32_e32 v1, -1, v1, vcc
	v_and_b32_e32 v6, v5, v21
	v_and_b32_e32 v5, v1, v20
	v_cmp_eq_u64_e32 vcc, v[5:6], v[18:19]
	s_and_b64 exec, exec, vcc
	s_cbranch_execz .LBB43_180
; %bb.185:                              ;   in Loop: Header=BB43_183 Depth=2
	v_mov_b32_e32 v1, v13
	ds_write_b128 v13, v[1:4] offset:3072
	s_branch .LBB43_180
.LBB43_186:                             ;   in Loop: Header=BB43_183 Depth=2
	s_mov_b64 s[86:87], -1
                                        ; implicit-def: $vgpr8
                                        ; implicit-def: $vgpr7
	s_mov_b64 s[40:41], -1
	s_branch .LBB43_182
.LBB43_187:                             ;   in Loop: Header=BB43_16 Depth=1
	s_or_b64 exec, exec, s[38:39]
	s_andn2_b64 s[38:39], s[84:85], exec
	s_and_b64 s[40:41], s[78:79], exec
	s_or_b64 s[84:85], s[38:39], s[40:41]
.LBB43_188:                             ;   in Loop: Header=BB43_16 Depth=1
	s_or_b64 exec, exec, s[76:77]
	s_mov_b64 s[76:77], 0
	s_mov_b64 s[78:79], -1
.LBB43_189:                             ;   in Loop: Header=BB43_16 Depth=1
	s_orn2_b64 s[38:39], s[84:85], exec
.LBB43_190:                             ;   in Loop: Header=BB43_16 Depth=1
	s_or_b64 exec, exec, s[80:81]
	s_mov_b64 s[40:41], 0
	s_and_saveexec_b64 s[80:81], s[38:39]
	s_cbranch_execz .LBB43_242
; %bb.191:                              ;   in Loop: Header=BB43_16 Depth=1
	s_xor_b64 s[38:39], s[82:83], -1
	v_mov_b32_e32 v10, 1
	v_mov_b32_e32 v9, 1
	s_and_saveexec_b64 s[82:83], s[38:39]
	s_cbranch_execz .LBB43_200
; %bb.192:                              ;   in Loop: Header=BB43_16 Depth=1
	v_cmp_ge_i32_e32 vcc, s92, v22
	s_and_saveexec_b64 s[38:39], vcc
	s_xor_b64 s[38:39], exec, s[38:39]
	s_cbranch_execz .LBB43_197
; %bb.193:                              ;   in Loop: Header=BB43_16 Depth=1
	s_lshl_b64 s[40:41], 2, s25
	v_and_b32_e32 v1, s71, v19
	v_or_b32_e32 v19, s41, v1
	ds_read_b32 v1, v13 offset:4096
	v_and_b32_e32 v3, s70, v18
	v_or_b32_e32 v18, s40, v3
	v_or_b32_e32 v21, s7, v21
	;; [unrolled: 1-line block ×3, first 2 shown]
	s_waitcnt lgkmcnt(0)
	v_cmp_ne_u32_e32 vcc, 0, v1
	s_cbranch_vccnz .LBB43_197
; %bb.194:                              ;   in Loop: Header=BB43_16 Depth=1
	s_and_saveexec_b64 s[40:41], s[0:1]
; %bb.195:                              ;   in Loop: Header=BB43_16 Depth=1
	v_mov_b32_e32 v1, s92
	ds_write_b32 v13, v1 offset:4100
; %bb.196:                              ;   in Loop: Header=BB43_16 Depth=1
	s_or_b64 exec, exec, s[40:41]
	s_waitcnt lgkmcnt(0)
	s_barrier
.LBB43_197:                             ;   in Loop: Header=BB43_16 Depth=1
	s_or_saveexec_b64 s[38:39], s[38:39]
	s_mov_b64 s[40:41], 0
	v_mov_b32_e32 v9, 8
	s_xor_b64 exec, exec, s[38:39]
; %bb.198:                              ;   in Loop: Header=BB43_16 Depth=1
	v_subrev_u32_e32 v22, s92, v22
	v_mov_b32_e32 v9, 0
	s_mov_b64 s[40:41], exec
; %bb.199:                              ;   in Loop: Header=BB43_16 Depth=1
	s_or_b64 exec, exec, s[38:39]
	s_and_b64 s[40:41], s[40:41], exec
	v_mov_b32_e32 v10, v22
.LBB43_200:                             ;   in Loop: Header=BB43_16 Depth=1
	s_or_b64 exec, exec, s[82:83]
	s_mov_b64 s[38:39], -1
                                        ; implicit-def: $sgpr86_sgpr87
                                        ; implicit-def: $sgpr82_sgpr83
	s_and_saveexec_b64 s[70:71], s[40:41]
	s_cbranch_execz .LBB43_241
; %bb.201:                              ;   in Loop: Header=BB43_16 Depth=1
	s_cmp_eq_u32 s29, 1
	s_cselect_b64 s[38:39], -1, 0
	v_cmp_eq_u32_e32 vcc, 1, v10
	s_and_b64 s[84:85], s[38:39], vcc
	s_mov_b64 s[38:39], -1
                                        ; implicit-def: $sgpr86_sgpr87
                                        ; implicit-def: $sgpr82_sgpr83
	s_and_saveexec_b64 s[88:89], s[84:85]
	s_cbranch_execz .LBB43_229
; %bb.202:                              ;   in Loop: Header=BB43_16 Depth=1
	ds_read_b32 v1, v13 offset:4096
	v_writelane_b32 v47, s94, 19
	v_writelane_b32 v47, s95, 20
	s_waitcnt lgkmcnt(0)
	s_barrier
	v_readfirstlane_b32 s94, v1
	s_and_saveexec_b64 s[38:39], s[4:5]
; %bb.203:                              ;   in Loop: Header=BB43_16 Depth=1
	v_mov_b32_e32 v12, v13
	ds_write_b64 v29, v[12:13]
; %bb.204:                              ;   in Loop: Header=BB43_16 Depth=1
	s_or_b64 exec, exec, s[38:39]
	v_or_b32_e32 v19, s7, v19
	v_or_b32_e32 v18, s6, v18
	;; [unrolled: 1-line block ×4, first 2 shown]
	s_mov_b64 s[82:83], -1
	s_mov_b64 s[86:87], 0
	s_cmp_gt_i32 s94, 0
	s_mov_b64 s[90:91], 0
	s_mov_b64 s[92:93], -1
	s_waitcnt lgkmcnt(0)
	s_barrier
                                        ; implicit-def: $vgpr5_vgpr6
	s_cbranch_scc1 .LBB43_216
; %bb.205:                              ;   in Loop: Header=BB43_16 Depth=1
	s_mov_b64 s[92:93], 0
                                        ; implicit-def: $vgpr5_vgpr6
	s_mov_b64 s[40:41], exec
	v_readlane_b32 s38, v47, 17
	v_readlane_b32 s39, v47, 18
	s_and_b64 s[38:39], s[40:41], s[38:39]
	s_mov_b64 exec, s[38:39]
	s_cbranch_execz .LBB43_215
; %bb.206:                              ;   in Loop: Header=BB43_16 Depth=1
	v_writelane_b32 v47, s40, 21
	v_mov_b32_e32 v7, v11
	v_mov_b32_e32 v12, v0
	v_writelane_b32 v47, s41, 22
                                        ; implicit-def: $sgpr38_sgpr39
	s_branch .LBB43_210
.LBB43_207:                             ;   in Loop: Header=BB43_210 Depth=2
	s_or_b64 exec, exec, s[40:41]
	s_waitcnt lgkmcnt(0)
	s_barrier
	ds_read_b128 v[3:6], v13 offset:3072
	s_waitcnt lgkmcnt(0)
	s_barrier
	v_cmp_neq_f64_e32 vcc, 0, v[3:4]
	s_cbranch_vccnz .LBB43_213
; %bb.208:                              ;   in Loop: Header=BB43_210 Depth=2
	v_add_u32_e32 v12, s36, v12
	v_cmp_le_i32_e32 vcc, s17, v12
	v_add_u32_e32 v7, s49, v7
	s_mov_b64 s[40:41], 0
	s_orn2_b64 vcc, vcc, exec
.LBB43_209:                             ;   in Loop: Header=BB43_210 Depth=2
	s_and_b64 vcc, exec, vcc
	s_or_b64 s[90:91], vcc, s[90:91]
	s_andn2_b64 s[38:39], s[38:39], exec
	s_and_b64 s[40:41], s[40:41], exec
	s_or_b64 s[38:39], s[38:39], s[40:41]
	s_andn2_b64 exec, exec, s[90:91]
	s_cbranch_execz .LBB43_214
.LBB43_210:                             ;   Parent Loop BB43_16 Depth=1
                                        ; =>  This Inner Loop Header: Depth=2
	v_cmp_gt_i32_e32 vcc, s28, v12
	s_and_saveexec_b64 s[40:41], vcc
	s_cbranch_execz .LBB43_207
; %bb.211:                              ;   in Loop: Header=BB43_210 Depth=2
	v_ashrrev_i32_e32 v8, 31, v7
	v_lshlrev_b64 v[3:4], 3, v[7:8]
	v_mov_b32_e32 v1, s48
	v_add_co_u32_e32 v3, vcc, s34, v3
	v_addc_co_u32_e32 v4, vcc, v1, v4, vcc
	global_load_dwordx2 v[3:4], v[3:4], off
	s_waitcnt vmcnt(0)
	v_cmp_o_f64_e32 vcc, v[3:4], v[3:4]
	v_ashrrev_i32_e32 v1, 31, v4
	v_or_b32_e32 v5, 0x80000000, v1
	v_xor_b32_e32 v5, v5, v4
	v_xor_b32_e32 v1, v1, v3
	v_cndmask_b32_e32 v5, -1, v5, vcc
	v_cndmask_b32_e32 v1, -1, v1, vcc
	v_and_b32_e32 v6, v5, v21
	v_and_b32_e32 v5, v1, v20
	v_cmp_eq_u64_e32 vcc, v[5:6], v[18:19]
	s_and_b64 exec, exec, vcc
	s_cbranch_execz .LBB43_207
; %bb.212:                              ;   in Loop: Header=BB43_210 Depth=2
	v_mov_b32_e32 v1, v13
	ds_write_b128 v13, v[1:4] offset:3072
	s_branch .LBB43_207
.LBB43_213:                             ;   in Loop: Header=BB43_210 Depth=2
	s_mov_b64 vcc, -1
                                        ; implicit-def: $vgpr12
                                        ; implicit-def: $vgpr7
	s_mov_b64 s[40:41], -1
	s_branch .LBB43_209
.LBB43_214:                             ;   in Loop: Header=BB43_16 Depth=1
	s_or_b64 exec, exec, s[90:91]
	v_readlane_b32 s40, v47, 21
	s_and_b64 s[90:91], s[38:39], exec
	v_readlane_b32 s41, v47, 22
.LBB43_215:                             ;   in Loop: Header=BB43_16 Depth=1
	s_or_b64 exec, exec, s[40:41]
.LBB43_216:                             ;   in Loop: Header=BB43_16 Depth=1
	s_and_b64 vcc, exec, s[92:93]
	s_cbranch_vccz .LBB43_228
; %bb.217:                              ;   in Loop: Header=BB43_16 Depth=1
	v_readlane_b32 s38, v47, 4
	s_add_i32 s95, s94, s38
	s_abs_i32 s39, s95
	v_readlane_b32 s40, v47, 16
	s_mul_hi_u32 s40, s39, s40
	s_mul_i32 s40, s40, s36
	s_sub_i32 s39, s39, s40
	s_ashr_i32 s38, s95, 31
	s_sub_i32 s40, s39, s36
	s_cmp_ge_u32 s39, s36
	s_cselect_b32 s39, s40, s39
	s_sub_i32 s40, s39, s36
	s_cmp_ge_u32 s39, s36
	s_cselect_b32 s39, s40, s39
	s_xor_b32 s39, s39, s38
	s_sub_i32 s38, s38, s39
	s_add_i32 s95, s95, s38
	v_cmp_gt_i32_e32 vcc, s95, v0
                                        ; implicit-def: $vgpr5_vgpr6
	s_and_saveexec_b64 s[82:83], vcc
	s_cbranch_execz .LBB43_227
; %bb.218:                              ;   in Loop: Header=BB43_16 Depth=1
	s_mov_b64 s[38:39], 0
	v_mov_b32_e32 v7, v28
	v_mov_b32_e32 v8, v0
                                        ; implicit-def: $sgpr86_sgpr87
	s_branch .LBB43_222
.LBB43_219:                             ;   in Loop: Header=BB43_222 Depth=2
	s_or_b64 exec, exec, s[40:41]
	s_waitcnt lgkmcnt(0)
	s_barrier
	ds_read_b128 v[3:6], v13 offset:3072
	s_waitcnt lgkmcnt(0)
	s_barrier
	v_cmp_eq_f64_e32 vcc, 0, v[3:4]
	s_cbranch_vccz .LBB43_225
; %bb.220:                              ;   in Loop: Header=BB43_222 Depth=2
	v_add_u32_e32 v8, s36, v8
	v_cmp_le_i32_e32 vcc, s95, v8
	v_add_u32_e32 v7, s24, v7
	s_mov_b64 s[40:41], 0
	s_orn2_b64 s[92:93], vcc, exec
.LBB43_221:                             ;   in Loop: Header=BB43_222 Depth=2
	s_and_b64 s[92:93], exec, s[92:93]
	s_or_b64 s[38:39], s[92:93], s[38:39]
	s_andn2_b64 s[86:87], s[86:87], exec
	s_and_b64 s[40:41], s[40:41], exec
	s_or_b64 s[86:87], s[86:87], s[40:41]
	s_andn2_b64 exec, exec, s[38:39]
	s_cbranch_execz .LBB43_226
.LBB43_222:                             ;   Parent Loop BB43_16 Depth=1
                                        ; =>  This Inner Loop Header: Depth=2
	v_cmp_gt_i32_e32 vcc, s94, v8
	s_and_saveexec_b64 s[40:41], vcc
	s_cbranch_execz .LBB43_219
; %bb.223:                              ;   in Loop: Header=BB43_222 Depth=2
	ds_read_b64 v[3:4], v7
	s_waitcnt lgkmcnt(0)
	v_cmp_o_f64_e32 vcc, v[3:4], v[3:4]
	v_ashrrev_i32_e32 v1, 31, v4
	v_or_b32_e32 v5, 0x80000000, v1
	v_xor_b32_e32 v5, v5, v4
	v_xor_b32_e32 v1, v1, v3
	v_cndmask_b32_e32 v5, -1, v5, vcc
	v_cndmask_b32_e32 v1, -1, v1, vcc
	v_and_b32_e32 v6, v5, v21
	v_and_b32_e32 v5, v1, v20
	v_cmp_eq_u64_e32 vcc, v[5:6], v[18:19]
	s_and_b64 exec, exec, vcc
	s_cbranch_execz .LBB43_219
; %bb.224:                              ;   in Loop: Header=BB43_222 Depth=2
	v_mov_b32_e32 v1, v13
	ds_write_b128 v13, v[1:4] offset:3072
	s_branch .LBB43_219
.LBB43_225:                             ;   in Loop: Header=BB43_222 Depth=2
	s_mov_b64 s[92:93], -1
                                        ; implicit-def: $vgpr8
                                        ; implicit-def: $vgpr7
	s_mov_b64 s[40:41], -1
	s_branch .LBB43_221
.LBB43_226:                             ;   in Loop: Header=BB43_16 Depth=1
	s_or_b64 exec, exec, s[38:39]
	s_andn2_b64 s[38:39], s[90:91], exec
	s_and_b64 s[40:41], s[86:87], exec
	s_or_b64 s[90:91], s[38:39], s[40:41]
.LBB43_227:                             ;   in Loop: Header=BB43_16 Depth=1
	s_or_b64 exec, exec, s[82:83]
	s_mov_b64 s[82:83], 0
	s_mov_b64 s[86:87], -1
.LBB43_228:                             ;   in Loop: Header=BB43_16 Depth=1
	v_readlane_b32 s94, v47, 19
	s_orn2_b64 s[38:39], s[90:91], exec
	v_readlane_b32 s95, v47, 20
.LBB43_229:                             ;   in Loop: Header=BB43_16 Depth=1
	s_or_b64 exec, exec, s[88:89]
	s_mov_b64 s[40:41], 0
	s_and_saveexec_b64 s[88:89], s[38:39]
	s_cbranch_execz .LBB43_240
; %bb.230:                              ;   in Loop: Header=BB43_16 Depth=1
	s_xor_b64 s[38:39], s[84:85], -1
	v_mov_b32_e32 v9, 1
	v_mov_b32_e32 v1, 1
	s_and_saveexec_b64 s[84:85], s[38:39]
	s_cbranch_execz .LBB43_239
; %bb.231:                              ;   in Loop: Header=BB43_16 Depth=1
	v_cmp_ge_i32_e32 vcc, s29, v10
	s_and_saveexec_b64 s[38:39], vcc
	s_xor_b64 s[38:39], exec, s[38:39]
	s_cbranch_execz .LBB43_236
; %bb.232:                              ;   in Loop: Header=BB43_16 Depth=1
	ds_read_b32 v1, v13 offset:4096
	v_or_b32_e32 v19, s7, v19
	v_or_b32_e32 v18, s6, v18
	;; [unrolled: 1-line block ×4, first 2 shown]
	s_waitcnt lgkmcnt(0)
	v_cmp_ne_u32_e32 vcc, 0, v1
	s_cbranch_vccnz .LBB43_236
; %bb.233:                              ;   in Loop: Header=BB43_16 Depth=1
	s_and_saveexec_b64 s[6:7], s[0:1]
; %bb.234:                              ;   in Loop: Header=BB43_16 Depth=1
	v_mov_b32_e32 v1, s29
	ds_write_b32 v13, v1 offset:4100
; %bb.235:                              ;   in Loop: Header=BB43_16 Depth=1
	s_or_b64 exec, exec, s[6:7]
	s_waitcnt lgkmcnt(0)
	s_barrier
.LBB43_236:                             ;   in Loop: Header=BB43_16 Depth=1
	s_andn2_saveexec_b64 s[6:7], s[38:39]
; %bb.237:                              ;   in Loop: Header=BB43_16 Depth=1
	v_subrev_u32_e32 v10, s29, v10
; %bb.238:                              ;   in Loop: Header=BB43_16 Depth=1
	s_or_b64 exec, exec, s[6:7]
	v_mov_b32_e32 v9, 8
	v_mov_b32_e32 v1, v10
.LBB43_239:                             ;   in Loop: Header=BB43_16 Depth=1
	s_or_b64 exec, exec, s[84:85]
	s_mov_b64 s[40:41], exec
	v_mov_b32_e32 v10, v1
.LBB43_240:                             ;   in Loop: Header=BB43_16 Depth=1
	s_or_b64 exec, exec, s[88:89]
	s_orn2_b64 s[38:39], s[40:41], exec
.LBB43_241:                             ;   in Loop: Header=BB43_16 Depth=1
	s_or_b64 exec, exec, s[70:71]
	s_andn2_b64 s[6:7], s[78:79], exec
	s_and_b64 s[40:41], s[86:87], exec
	s_or_b64 s[78:79], s[6:7], s[40:41]
	s_andn2_b64 s[6:7], s[76:77], exec
	s_and_b64 s[40:41], s[82:83], exec
	s_or_b64 s[76:77], s[6:7], s[40:41]
	s_and_b64 s[40:41], s[38:39], exec
	v_mov_b32_e32 v22, v10
.LBB43_242:                             ;   in Loop: Header=BB43_16 Depth=1
	s_or_b64 exec, exec, s[80:81]
	s_orn2_b64 s[38:39], s[40:41], exec
.LBB43_243:                             ;   in Loop: Header=BB43_16 Depth=1
	s_or_b64 exec, exec, s[74:75]
	s_andn2_b64 s[6:7], s[68:69], exec
	s_and_b64 s[40:41], s[78:79], exec
	s_or_b64 s[68:69], s[6:7], s[40:41]
	s_andn2_b64 s[6:7], s[26:27], exec
	s_and_b64 s[26:27], s[76:77], exec
	s_or_b64 s[26:27], s[6:7], s[26:27]
	s_and_b64 s[40:41], s[38:39], exec
	v_mov_b32_e32 v10, v22
.LBB43_244:                             ;   in Loop: Header=BB43_16 Depth=1
	s_or_b64 exec, exec, s[72:73]
	s_orn2_b64 s[38:39], s[40:41], exec
.LBB43_245:                             ;   in Loop: Header=BB43_16 Depth=1
	s_or_b64 exec, exec, s[22:23]
	s_mov_b64 s[22:23], 0
                                        ; implicit-def: $sgpr40
                                        ; implicit-def: $sgpr41
	s_and_saveexec_b64 s[6:7], s[38:39]
	s_xor_b64 s[6:7], exec, s[6:7]
	s_cbranch_execz .LBB43_14
; %bb.246:                              ;   in Loop: Header=BB43_16 Depth=1
	v_and_b32_e32 v1, 7, v9
	v_cmp_eq_u32_e32 vcc, 0, v1
	s_mov_b64 s[20:21], -1
	s_mov_b64 s[22:23], -1
                                        ; implicit-def: $sgpr40
                                        ; implicit-def: $sgpr41
	s_and_saveexec_b64 s[38:39], vcc
	s_cbranch_execz .LBB43_13
; %bb.247:                              ;   in Loop: Header=BB43_16 Depth=1
	s_xor_b32 s41, s50, 1
	s_add_i32 s40, s25, -2
	s_cmp_eq_u32 s25, 0
	s_cselect_b64 s[20:21], -1, 0
	s_xor_b64 s[22:23], exec, -1
	s_orn2_b64 s[20:21], s[20:21], exec
	s_branch .LBB43_13
.LBB43_248:
	s_or_b64 exec, exec, s[54:55]
	s_xor_b64 s[6:7], s[60:61], -1
	s_xor_b64 s[4:5], s[56:57], -1
	;; [unrolled: 1-line block ×3, first 2 shown]
	s_mov_b64 s[2:3], 0
	s_and_saveexec_b64 s[10:11], s[4:5]
	s_xor_b64 s[4:5], exec, s[10:11]
	s_cbranch_execnz .LBB43_253
; %bb.249:
	s_andn2_saveexec_b64 s[0:1], s[4:5]
	s_cbranch_execnz .LBB43_273
.LBB43_250:
	s_or_b64 exec, exec, s[0:1]
	s_and_saveexec_b64 s[0:1], s[2:3]
.LBB43_251:
	; divergent unreachable
.LBB43_252:
	s_endpgm
.LBB43_253:
	s_and_saveexec_b64 s[2:3], s[6:7]
	s_xor_b64 s[6:7], exec, s[2:3]
	s_cbranch_execz .LBB43_271
; %bb.254:
	s_and_saveexec_b64 s[2:3], s[8:9]
	s_xor_b64 s[2:3], exec, s[2:3]
; %bb.255:
	v_lshrrev_b32_e32 v1, 31, v19
	v_add_co_u32_e32 v1, vcc, -1, v1
	v_addc_co_u32_e64 v2, s[8:9], 0, -1, vcc
	v_or_b32_e32 v2, 0x80000000, v2
	v_xor_b32_e32 v6, v2, v19
	v_xor_b32_e32 v5, v1, v18
; %bb.256:
	s_or_b64 exec, exec, s[2:3]
	s_and_saveexec_b64 s[2:3], s[0:1]
; %bb.257:
	v_mov_b32_e32 v1, 0
	v_mov_b32_e32 v2, s28
	ds_write_b32 v1, v2 offset:4108
; %bb.258:
	s_or_b64 exec, exec, s[2:3]
	v_mov_b32_e32 v1, 0
	s_waitcnt lgkmcnt(0)
	s_barrier
	ds_read_b32 v1, v1 offset:4108
	s_waitcnt lgkmcnt(0)
	v_min_i32_e32 v1, s28, v1
	v_cmp_lt_i32_e32 vcc, v0, v1
	s_and_saveexec_b64 s[8:9], vcc
	s_cbranch_execz .LBB43_268
; %bb.259:
	v_cmp_u_f64_e32 vcc, v[5:6], v[5:6]
	s_mov_b64 s[10:11], 0
	v_mov_b32_e32 v3, s48
                                        ; implicit-def: $sgpr12_sgpr13
                                        ; implicit-def: $sgpr18_sgpr19
                                        ; implicit-def: $sgpr16_sgpr17
	s_xor_b64 s[14:15], vcc, -1
	s_branch .LBB43_261
.LBB43_260:                             ;   in Loop: Header=BB43_261 Depth=1
	s_or_b64 exec, exec, s[2:3]
	s_and_b64 s[2:3], exec, s[18:19]
	s_or_b64 s[10:11], s[2:3], s[10:11]
	s_andn2_b64 s[2:3], s[12:13], exec
	s_and_b64 s[12:13], s[16:17], exec
	s_or_b64 s[12:13], s[2:3], s[12:13]
	s_andn2_b64 exec, exec, s[10:11]
	s_cbranch_execz .LBB43_263
.LBB43_261:                             ; =>This Inner Loop Header: Depth=1
	v_ashrrev_i32_e32 v12, 31, v11
	v_lshlrev_b64 v[7:8], 3, v[11:12]
	v_mov_b32_e32 v2, v0
	v_add_co_u32_e32 v7, vcc, s34, v7
	v_addc_co_u32_e32 v8, vcc, v3, v8, vcc
	global_load_dwordx2 v[7:8], v[7:8], off
	s_or_b64 s[16:17], s[16:17], exec
	s_or_b64 s[18:19], s[18:19], exec
                                        ; implicit-def: $vgpr0
	s_waitcnt vmcnt(0)
	v_cmp_o_f64_e32 vcc, v[7:8], v[7:8]
	v_cmp_neq_f64_e64 s[2:3], v[7:8], v[5:6]
	s_or_b64 s[20:21], vcc, s[14:15]
	s_and_b64 s[20:21], s[2:3], s[20:21]
	s_and_saveexec_b64 s[2:3], s[20:21]
	s_cbranch_execz .LBB43_260
; %bb.262:                              ;   in Loop: Header=BB43_261 Depth=1
	v_add_u32_e32 v0, s36, v2
	v_cmp_ge_i32_e32 vcc, v0, v1
	s_andn2_b64 s[18:19], s[18:19], exec
	s_and_b64 s[20:21], vcc, exec
	v_add_u32_e32 v11, s49, v11
	s_andn2_b64 s[16:17], s[16:17], exec
	s_or_b64 s[18:19], s[18:19], s[20:21]
	s_branch .LBB43_260
.LBB43_263:
	s_or_b64 exec, exec, s[10:11]
	s_and_saveexec_b64 s[2:3], s[12:13]
	s_xor_b64 s[2:3], exec, s[2:3]
	s_cbranch_execz .LBB43_268
; %bb.264:
	s_mov_b64 s[2:3], exec
	s_brev_b32 s10, -2
.LBB43_265:                             ; =>This Inner Loop Header: Depth=1
	s_ff1_i32_b64 s11, s[2:3]
	v_readlane_b32 s14, v2, s11
	s_lshl_b64 s[12:13], 1, s11
	s_min_i32 s10, s10, s14
	s_andn2_b64 s[2:3], s[2:3], s[12:13]
	s_cmp_lg_u64 s[2:3], 0
	s_cbranch_scc1 .LBB43_265
; %bb.266:
	v_mbcnt_lo_u32_b32 v0, exec_lo, 0
	v_mbcnt_hi_u32_b32 v0, exec_hi, v0
	v_cmp_eq_u32_e32 vcc, 0, v0
	s_and_saveexec_b64 s[2:3], vcc
	s_xor_b64 s[2:3], exec, s[2:3]
; %bb.267:
	v_mov_b32_e32 v0, 0
	v_mov_b32_e32 v1, s10
	ds_min_i32 v0, v1 offset:4108
.LBB43_268:
	s_or_b64 exec, exec, s[8:9]
	s_waitcnt lgkmcnt(0)
	s_barrier
	s_and_saveexec_b64 s[2:3], s[0:1]
	s_cbranch_execz .LBB43_270
; %bb.269:
	v_readlane_b32 s0, v47, 0
	s_mul_i32 s0, s0, s30
	v_readlane_b32 s1, v47, 3
	s_add_i32 s0, s0, s35
	s_mul_i32 s1, s1, s33
	s_add_i32 s8, s1, s37
	s_ashr_i32 s1, s0, 31
	v_mov_b32_e32 v2, 0
	s_lshl_b64 s[0:1], s[0:1], 3
	v_readlane_b32 s10, v47, 1
	ds_read_b32 v0, v2 offset:4108
	v_readlane_b32 s11, v47, 2
	s_add_u32 s0, s10, s0
	s_addc_u32 s1, s11, s1
	s_ashr_i32 s9, s8, 31
	s_lshl_b64 s[8:9], s[8:9], 3
	s_add_u32 s8, s94, s8
	s_addc_u32 s9, s95, s9
	s_waitcnt lgkmcnt(0)
	v_ashrrev_i32_e32 v1, 31, v0
	global_store_dwordx2 v2, v[0:1], s[8:9]
	global_store_dwordx2 v2, v[5:6], s[0:1]
.LBB43_270:
	s_or_b64 exec, exec, s[2:3]
.LBB43_271:
	s_or_saveexec_b64 s[0:1], s[6:7]
	s_mov_b64 s[2:3], 0
	s_xor_b64 exec, exec, s[0:1]
	s_cbranch_execnz .LBB43_274
.LBB43_272:
	s_or_b64 exec, exec, s[0:1]
	s_and_b64 s[2:3], s[2:3], exec
	s_andn2_saveexec_b64 s[0:1], s[4:5]
	s_cbranch_execz .LBB43_250
.LBB43_273:
	s_or_b64 s[2:3], s[2:3], exec
	s_trap 2
	s_or_b64 exec, exec, s[0:1]
	s_and_saveexec_b64 s[0:1], s[2:3]
	s_cbranch_execnz .LBB43_251
	s_branch .LBB43_252
.LBB43_274:
	s_mov_b64 s[2:3], exec
	s_trap 2
	s_branch .LBB43_272
	.section	.rodata,"a",@progbits
	.p2align	6, 0x0
	.amdhsa_kernel _ZN2at6native12_GLOBAL__N_114gatherKthValueIdiLin1EEEvNS_4cuda6detail10TensorInfoIKT_T0_EES8_S8_S8_S8_NS5_IS6_S8_EENS5_IlS8_EE
		.amdhsa_group_segment_fixed_size 4112
		.amdhsa_private_segment_fixed_size 0
		.amdhsa_kernarg_size 920
		.amdhsa_user_sgpr_count 6
		.amdhsa_user_sgpr_private_segment_buffer 1
		.amdhsa_user_sgpr_dispatch_ptr 0
		.amdhsa_user_sgpr_queue_ptr 0
		.amdhsa_user_sgpr_kernarg_segment_ptr 1
		.amdhsa_user_sgpr_dispatch_id 0
		.amdhsa_user_sgpr_flat_scratch_init 0
		.amdhsa_user_sgpr_private_segment_size 0
		.amdhsa_uses_dynamic_stack 0
		.amdhsa_system_sgpr_private_segment_wavefront_offset 0
		.amdhsa_system_sgpr_workgroup_id_x 1
		.amdhsa_system_sgpr_workgroup_id_y 1
		.amdhsa_system_sgpr_workgroup_id_z 1
		.amdhsa_system_sgpr_workgroup_info 0
		.amdhsa_system_vgpr_workitem_id 0
		.amdhsa_next_free_vgpr 48
		.amdhsa_next_free_sgpr 96
		.amdhsa_reserve_vcc 1
		.amdhsa_reserve_flat_scratch 0
		.amdhsa_float_round_mode_32 0
		.amdhsa_float_round_mode_16_64 0
		.amdhsa_float_denorm_mode_32 3
		.amdhsa_float_denorm_mode_16_64 3
		.amdhsa_dx10_clamp 1
		.amdhsa_ieee_mode 1
		.amdhsa_fp16_overflow 0
		.amdhsa_exception_fp_ieee_invalid_op 0
		.amdhsa_exception_fp_denorm_src 0
		.amdhsa_exception_fp_ieee_div_zero 0
		.amdhsa_exception_fp_ieee_overflow 0
		.amdhsa_exception_fp_ieee_underflow 0
		.amdhsa_exception_fp_ieee_inexact 0
		.amdhsa_exception_int_div_zero 0
	.end_amdhsa_kernel
	.section	.text._ZN2at6native12_GLOBAL__N_114gatherKthValueIdiLin1EEEvNS_4cuda6detail10TensorInfoIKT_T0_EES8_S8_S8_S8_NS5_IS6_S8_EENS5_IlS8_EE,"axG",@progbits,_ZN2at6native12_GLOBAL__N_114gatherKthValueIdiLin1EEEvNS_4cuda6detail10TensorInfoIKT_T0_EES8_S8_S8_S8_NS5_IS6_S8_EENS5_IlS8_EE,comdat
.Lfunc_end43:
	.size	_ZN2at6native12_GLOBAL__N_114gatherKthValueIdiLin1EEEvNS_4cuda6detail10TensorInfoIKT_T0_EES8_S8_S8_S8_NS5_IS6_S8_EENS5_IlS8_EE, .Lfunc_end43-_ZN2at6native12_GLOBAL__N_114gatherKthValueIdiLin1EEEvNS_4cuda6detail10TensorInfoIKT_T0_EES8_S8_S8_S8_NS5_IS6_S8_EENS5_IlS8_EE
                                        ; -- End function
	.set _ZN2at6native12_GLOBAL__N_114gatherKthValueIdiLin1EEEvNS_4cuda6detail10TensorInfoIKT_T0_EES8_S8_S8_S8_NS5_IS6_S8_EENS5_IlS8_EE.num_vgpr, 48
	.set _ZN2at6native12_GLOBAL__N_114gatherKthValueIdiLin1EEEvNS_4cuda6detail10TensorInfoIKT_T0_EES8_S8_S8_S8_NS5_IS6_S8_EENS5_IlS8_EE.num_agpr, 0
	.set _ZN2at6native12_GLOBAL__N_114gatherKthValueIdiLin1EEEvNS_4cuda6detail10TensorInfoIKT_T0_EES8_S8_S8_S8_NS5_IS6_S8_EENS5_IlS8_EE.numbered_sgpr, 96
	.set _ZN2at6native12_GLOBAL__N_114gatherKthValueIdiLin1EEEvNS_4cuda6detail10TensorInfoIKT_T0_EES8_S8_S8_S8_NS5_IS6_S8_EENS5_IlS8_EE.num_named_barrier, 0
	.set _ZN2at6native12_GLOBAL__N_114gatherKthValueIdiLin1EEEvNS_4cuda6detail10TensorInfoIKT_T0_EES8_S8_S8_S8_NS5_IS6_S8_EENS5_IlS8_EE.private_seg_size, 0
	.set _ZN2at6native12_GLOBAL__N_114gatherKthValueIdiLin1EEEvNS_4cuda6detail10TensorInfoIKT_T0_EES8_S8_S8_S8_NS5_IS6_S8_EENS5_IlS8_EE.uses_vcc, 1
	.set _ZN2at6native12_GLOBAL__N_114gatherKthValueIdiLin1EEEvNS_4cuda6detail10TensorInfoIKT_T0_EES8_S8_S8_S8_NS5_IS6_S8_EENS5_IlS8_EE.uses_flat_scratch, 0
	.set _ZN2at6native12_GLOBAL__N_114gatherKthValueIdiLin1EEEvNS_4cuda6detail10TensorInfoIKT_T0_EES8_S8_S8_S8_NS5_IS6_S8_EENS5_IlS8_EE.has_dyn_sized_stack, 0
	.set _ZN2at6native12_GLOBAL__N_114gatherKthValueIdiLin1EEEvNS_4cuda6detail10TensorInfoIKT_T0_EES8_S8_S8_S8_NS5_IS6_S8_EENS5_IlS8_EE.has_recursion, 0
	.set _ZN2at6native12_GLOBAL__N_114gatherKthValueIdiLin1EEEvNS_4cuda6detail10TensorInfoIKT_T0_EES8_S8_S8_S8_NS5_IS6_S8_EENS5_IlS8_EE.has_indirect_call, 0
	.section	.AMDGPU.csdata,"",@progbits
; Kernel info:
; codeLenInByte = 10276
; TotalNumSgprs: 100
; NumVgprs: 48
; ScratchSize: 0
; MemoryBound: 0
; FloatMode: 240
; IeeeMode: 1
; LDSByteSize: 4112 bytes/workgroup (compile time only)
; SGPRBlocks: 12
; VGPRBlocks: 11
; NumSGPRsForWavesPerEU: 100
; NumVGPRsForWavesPerEU: 48
; Occupancy: 5
; WaveLimiterHint : 1
; COMPUTE_PGM_RSRC2:SCRATCH_EN: 0
; COMPUTE_PGM_RSRC2:USER_SGPR: 6
; COMPUTE_PGM_RSRC2:TRAP_HANDLER: 0
; COMPUTE_PGM_RSRC2:TGID_X_EN: 1
; COMPUTE_PGM_RSRC2:TGID_Y_EN: 1
; COMPUTE_PGM_RSRC2:TGID_Z_EN: 1
; COMPUTE_PGM_RSRC2:TIDIG_COMP_CNT: 0
	.section	.text._ZN2at6native12_GLOBAL__N_114gatherKthValueIdlLi1EEEvNS_4cuda6detail10TensorInfoIKT_T0_EES8_S8_S8_S8_NS5_IS6_S8_EENS5_IlS8_EE,"axG",@progbits,_ZN2at6native12_GLOBAL__N_114gatherKthValueIdlLi1EEEvNS_4cuda6detail10TensorInfoIKT_T0_EES8_S8_S8_S8_NS5_IS6_S8_EENS5_IlS8_EE,comdat
	.globl	_ZN2at6native12_GLOBAL__N_114gatherKthValueIdlLi1EEEvNS_4cuda6detail10TensorInfoIKT_T0_EES8_S8_S8_S8_NS5_IS6_S8_EENS5_IlS8_EE ; -- Begin function _ZN2at6native12_GLOBAL__N_114gatherKthValueIdlLi1EEEvNS_4cuda6detail10TensorInfoIKT_T0_EES8_S8_S8_S8_NS5_IS6_S8_EENS5_IlS8_EE
	.p2align	8
	.type	_ZN2at6native12_GLOBAL__N_114gatherKthValueIdlLi1EEEvNS_4cuda6detail10TensorInfoIKT_T0_EES8_S8_S8_S8_NS5_IS6_S8_EENS5_IlS8_EE,@function
_ZN2at6native12_GLOBAL__N_114gatherKthValueIdlLi1EEEvNS_4cuda6detail10TensorInfoIKT_T0_EES8_S8_S8_S8_NS5_IS6_S8_EENS5_IlS8_EE: ; @_ZN2at6native12_GLOBAL__N_114gatherKthValueIdlLi1EEEvNS_4cuda6detail10TensorInfoIKT_T0_EES8_S8_S8_S8_NS5_IS6_S8_EENS5_IlS8_EE
; %bb.0:
	s_load_dwordx2 s[14:15], s[4:5], 0x500
	s_load_dwordx8 s[24:31], s[4:5], 0x1a0
	s_add_u32 s12, s4, 0x500
	s_addc_u32 s13, s5, 0
	s_mov_b32 s11, 0
	s_waitcnt lgkmcnt(0)
	s_mul_i32 s0, s15, s8
	s_add_i32 s0, s0, s7
	s_mul_i32 s0, s0, s14
	s_add_i32 s10, s0, s6
	v_mov_b32_e32 v1, s10
	v_mov_b32_e32 v2, s11
	v_cmp_le_i64_e32 vcc, s[28:29], v[1:2]
	s_cbranch_vccnz .LBB44_277
; %bb.1:
	s_load_dwordx2 s[0:1], s[4:5], 0x430
                                        ; implicit-def: $vgpr57 : SGPR spill to VGPR lane
	s_load_dwordx2 s[8:9], s[4:5], 0xd0
	s_load_dwordx2 s[2:3], s[4:5], 0x0
	v_cmp_eq_u32_e64 s[94:95], 0, v0
	s_waitcnt lgkmcnt(0)
	v_writelane_b32 v57, s0, 0
	v_writelane_b32 v57, s1, 1
	s_load_dwordx2 s[0:1], s[4:5], 0x360
	s_waitcnt lgkmcnt(0)
	v_writelane_b32 v57, s0, 2
	v_writelane_b32 v57, s1, 3
	s_load_dwordx2 s[0:1], s[4:5], 0x290
	;; [unrolled: 4-line block ×3, first 2 shown]
	s_waitcnt lgkmcnt(0)
	v_writelane_b32 v57, s0, 6
	v_writelane_b32 v57, s1, 7
	s_and_saveexec_b64 s[4:5], s[94:95]
	s_cbranch_execz .LBB44_3
; %bb.2:
	v_mov_b32_e32 v1, 0
	v_mov_b32_e32 v3, s24
	;; [unrolled: 1-line block ×4, first 2 shown]
	ds_write_b32 v1, v1 offset:5136
	ds_write_b128 v1, v[1:4] offset:5120
.LBB44_3:
	s_or_b64 exec, exec, s[4:5]
	s_mul_i32 s0, s9, s10
	s_mul_hi_u32 s1, s8, s10
	s_add_i32 s1, s1, s0
	s_mov_b32 s0, s10
	v_writelane_b32 v57, s0, 8
	v_writelane_b32 v57, s1, 9
	s_mul_i32 s0, s8, s10
	s_lshl_b64 s[0:1], s[0:1], 3
	s_add_u32 s42, s2, s0
	s_addc_u32 s43, s3, s1
	v_mad_u64_u32 v[2:3], s[0:1], s30, v0, 0
	v_mbcnt_lo_u32_b32 v1, -1, 0
	v_mbcnt_hi_u32_b32 v40, -1, v1
	v_mov_b32_e32 v4, 0x180
	v_mov_b32_e32 v1, v3
	;; [unrolled: 1-line block ×3, first 2 shown]
	v_mad_u64_u32 v[6:7], s[0:1], s31, v0, v[1:2]
	v_cmp_gt_i64_e64 s[0:1], s[24:25], v[4:5]
	v_mov_b32_e32 v19, 0
	v_mov_b32_e32 v1, v19
	v_writelane_b32 v57, s0, 10
	v_writelane_b32 v57, s1, 11
	v_cmp_gt_u64_e64 s[0:1], s[24:25], v[0:1]
	s_waitcnt lgkmcnt(0)
	v_writelane_b32 v57, s0, 12
	s_barrier
	v_writelane_b32 v57, s1, 13
	s_load_dword s0, s[12:13], 0xc
	v_mov_b32_e32 v3, v6
	v_lshlrev_b64 v[4:5], 3, v[2:3]
	v_cmp_gt_u32_e32 vcc, 64, v0
	v_cmp_gt_i32_e64 s[2:3], 4, v40
	s_and_b64 s[46:47], vcc, s[2:3]
	v_mov_b32_e32 v6, s43
	v_add_co_u32_e32 v16, vcc, s42, v4
	s_waitcnt lgkmcnt(0)
	s_and_b32 s33, s0, 0xffff
	s_bfe_u32 s2, s0, 0xa0006
	v_addc_co_u32_e32 v17, vcc, v6, v5, vcc
	v_lshlrev_b64 v[4:5], v40, -1
	s_cmp_gt_u32 s33, 63
	s_cselect_b64 s[0:1], -1, 0
	v_lshlrev_b32_e32 v44, 5, v0
	v_not_b32_e32 v42, v5
	v_writelane_b32 v57, s0, 14
	v_or_b32_e32 v5, 24, v44
	v_writelane_b32 v57, s1, 15
	v_mad_u64_u32 v[22:23], s[0:1], s30, v5, 0
	s_add_u32 s3, s33, -1
	v_lshlrev_b32_e32 v6, 2, v40
	s_addc_u32 s0, 0, -1
	v_and_b32_e32 v41, 0x100, v6
	v_writelane_b32 v57, s3, 16
	s_add_u32 s35, s3, s24
	v_or_b32_e32 v6, 16, v44
	v_not_b32_e32 v43, v4
	v_writelane_b32 v57, s0, 17
	s_addc_u32 s51, s0, s25
	v_mov_b32_e32 v4, v23
	v_mad_u64_u32 v[23:24], s[0:1], s30, v6, 0
	v_or_b32_e32 v7, 8, v44
	v_mad_u64_u32 v[25:26], s[0:1], s30, v7, 0
	v_mad_u64_u32 v[4:5], s[0:1], s31, v5, v[4:5]
	v_mov_b32_e32 v5, v24
	v_mad_u64_u32 v[5:6], s[0:1], s31, v6, v[5:6]
	v_mov_b32_e32 v6, v26
	v_mad_u64_u32 v[6:7], s[0:1], s31, v7, v[6:7]
	s_cmp_lt_u32 s6, s14
	s_cselect_b32 s0, 12, 18
	s_add_u32 s52, s12, s0
	s_addc_u32 s53, s13, 0
	s_add_i32 s0, s2, -1
	s_bfe_u32 s1, s33, 0x30006
	s_and_b32 s0, s0, 0xffff
	s_cmp_gt_u32 s0, 6
	s_cselect_b64 s[6:7], -1, 0
	v_writelane_b32 v57, s6, 18
	s_and_b32 s34, s2, 0x3f8
	v_writelane_b32 v57, s7, 19
	s_cmp_lg_u32 s1, 0
	v_writelane_b32 v57, s1, 20
	s_cselect_b64 s[0:1], -1, 0
	v_lshrrev_b32_e32 v7, 1, v0
	v_writelane_b32 v57, s0, 21
	v_cmp_gt_i64_e64 s[48:49], s[24:25], v[0:1]
	v_and_b32_e32 v7, 0x1e0, v7
	v_writelane_b32 v57, s1, 22
	v_lshlrev_b64 v[26:27], 5, v[2:3]
	v_mov_b32_e32 v2, s25
	v_add_co_u32_e32 v48, vcc, s24, v0
	s_mul_i32 s0, s31, s33
	s_mul_hi_u32 s1, s30, s33
	v_or_b32_e32 v24, 0xc00, v7
	v_mov_b32_e32 v47, v6
	v_addc_co_u32_e32 v49, vcc, 0, v2, vcc
	v_mov_b32_e32 v2, 0xc00
	s_add_i32 s1, s1, s0
	s_mul_i32 s0, s30, s33
	v_lshlrev_b32_e32 v51, 3, v0
	v_mov_b32_e32 v33, s27
	v_mov_b32_e32 v28, 0
	;; [unrolled: 1-line block ×4, first 2 shown]
	s_mov_b32 s45, 0
	v_cmp_eq_u32_e64 s[4:5], 0, v40
	v_cmp_gt_u32_e64 s[18:19], 2, v0
	v_lshlrev_b32_e32 v20, 2, v0
	v_mov_b32_e32 v21, v19
	s_lshl_b64 s[58:59], s[30:31], 3
	v_mov_b32_e32 v45, v4
	s_lshl_b64 s[60:61], s[30:31], 5
	v_mov_b32_e32 v46, v5
	v_lshl_or_b32 v50, v40, 3, v2
	s_lshl_b64 s[40:41], s[0:1], 3
	s_lshl_b32 s0, s33, 3
	s_mov_b32 s1, 62
	s_mov_b64 s[62:63], 0
	s_mov_b32 s8, 0
	v_add_u32_e32 v52, 0xc00, v51
	v_mov_b32_e32 v32, s26
	v_mov_b32_e32 v29, 0
	;; [unrolled: 1-line block ×5, first 2 shown]
	v_writelane_b32 v57, s48, 23
                                        ; implicit-def: $sgpr64_sgpr65
                                        ; implicit-def: $sgpr68_sgpr69
                                        ; implicit-def: $sgpr66_sgpr67
                                        ; implicit-def: $sgpr72_sgpr73
                                        ; implicit-def: $sgpr74_sgpr75
                                        ; implicit-def: $sgpr70_sgpr71
	v_writelane_b32 v57, s49, 24
	s_branch .LBB44_7
.LBB44_4:                               ;   in Loop: Header=BB44_7 Depth=1
	s_or_b64 exec, exec, s[14:15]
	s_and_b64 s[2:3], s[2:3], exec
	s_andn2_b64 s[78:79], s[78:79], exec
	s_andn2_b64 s[6:7], s[6:7], exec
	s_orn2_b64 s[20:21], s[12:13], exec
.LBB44_5:                               ;   in Loop: Header=BB44_7 Depth=1
	s_or_b64 exec, exec, s[10:11]
	s_andn2_b64 s[10:11], s[70:71], exec
	s_and_b64 s[2:3], s[2:3], exec
	s_or_b64 s[70:71], s[10:11], s[2:3]
	s_andn2_b64 s[2:3], s[74:75], exec
	s_and_b64 s[10:11], s[78:79], exec
	s_or_b64 s[74:75], s[2:3], s[10:11]
	;; [unrolled: 3-line block ×3, first 2 shown]
	s_orn2_b64 s[6:7], s[20:21], exec
.LBB44_6:                               ;   in Loop: Header=BB44_7 Depth=1
	s_or_b64 exec, exec, s[16:17]
	s_and_b64 s[2:3], exec, s[6:7]
	s_or_b64 s[62:63], s[2:3], s[62:63]
	s_andn2_b64 s[2:3], s[66:67], exec
	s_and_b64 s[6:7], s[70:71], exec
	s_or_b64 s[66:67], s[2:3], s[6:7]
	s_andn2_b64 s[2:3], s[68:69], exec
	s_and_b64 s[6:7], s[74:75], exec
	;; [unrolled: 3-line block ×3, first 2 shown]
	v_mov_b32_e32 v33, v13
	s_or_b64 s[64:65], s[2:3], s[6:7]
	v_mov_b32_e32 v32, v12
	s_andn2_b64 exec, exec, s[62:63]
	s_cbranch_execz .LBB44_273
.LBB44_7:                               ; =>This Loop Header: Depth=1
                                        ;     Child Loop BB44_13 Depth 2
                                        ;     Child Loop BB44_26 Depth 2
	;; [unrolled: 1-line block ×16, first 2 shown]
	ds_read_b128 v[8:11], v19 offset:5120
	s_waitcnt lgkmcnt(0)
	v_readfirstlane_b32 s21, v9
	v_readfirstlane_b32 s20, v8
	v_cmp_gt_i64_e64 s[2:3], s[20:21], 0
	s_and_b64 vcc, exec, s[2:3]
	s_cbranch_vccnz .LBB44_34
; %bb.8:                                ;   in Loop: Header=BB44_7 Depth=1
	v_readlane_b32 s2, v57, 10
	v_readlane_b32 s3, v57, 11
	s_and_b64 vcc, exec, s[2:3]
	s_cbranch_vccz .LBB44_21
; %bb.9:                                ;   in Loop: Header=BB44_7 Depth=1
	s_mov_b64 s[2:3], 0x181
	v_cmp_gt_i64_e32 vcc, s[2:3], v[10:11]
	s_mov_b64 s[14:15], 0
	s_mov_b64 s[2:3], 0
	s_cbranch_vccz .LBB44_22
; %bb.10:                               ;   in Loop: Header=BB44_7 Depth=1
	s_mov_b64 s[16:17], exec
	v_readlane_b32 s2, v57, 12
	v_readlane_b32 s3, v57, 13
	s_and_b64 s[2:3], s[16:17], s[2:3]
	s_mov_b64 exec, s[2:3]
	s_cbranch_execz .LBB44_68
; %bb.11:                               ;   in Loop: Header=BB44_7 Depth=1
	global_load_ushort v2, v19, s[52:53]
	global_load_dwordx2 v[8:9], v[16:17], off
	v_mov_b32_e32 v4, s42
	v_mov_b32_e32 v5, s43
	s_mov_b64 s[10:11], 0
	s_waitcnt vmcnt(1)
	v_readfirstlane_b32 s2, v2
	s_and_b32 s6, 0xffff, s2
	v_add_u32_e32 v10, s6, v0
	v_mad_u64_u32 v[4:5], s[2:3], s58, v10, v[4:5]
	s_mul_i32 s7, s59, s6
	s_mul_i32 s9, s58, s6
	v_mad_u64_u32 v[10:11], s[2:3], s59, v10, v[5:6]
	s_mul_hi_u32 s2, s58, s6
	s_add_i32 s21, s2, s7
	v_mov_b32_e32 v5, v10
	v_mov_b32_e32 v11, v1
	;; [unrolled: 1-line block ×3, first 2 shown]
	s_branch .LBB44_13
.LBB44_12:                              ;   in Loop: Header=BB44_13 Depth=2
	s_or_b64 exec, exec, s[2:3]
	v_mov_b32_e32 v8, s21
	v_add_co_u32_e32 v4, vcc, s9, v4
	v_addc_co_u32_e32 v5, vcc, v5, v8, vcc
	v_mov_b32_e32 v8, v12
	v_mov_b32_e32 v9, v13
	s_andn2_b64 exec, exec, s[10:11]
	s_cbranch_execz .LBB44_68
.LBB44_13:                              ;   Parent Loop BB44_7 Depth=1
                                        ; =>  This Inner Loop Header: Depth=2
	v_add_co_u32_sdwa v10, vcc, v10, v2 dst_sel:DWORD dst_unused:UNUSED_PAD src0_sel:DWORD src1_sel:WORD_0
	v_addc_co_u32_e32 v11, vcc, 0, v11, vcc
	v_cmp_gt_i64_e64 s[6:7], s[24:25], v[10:11]
	v_cmp_le_i64_e32 vcc, s[24:25], v[10:11]
	v_mov_b32_e32 v12, 0
	v_mov_b32_e32 v13, 0
	s_and_saveexec_b64 s[2:3], s[6:7]
	s_cbranch_execz .LBB44_15
; %bb.14:                               ;   in Loop: Header=BB44_13 Depth=2
	global_load_dwordx2 v[12:13], v[4:5], off
.LBB44_15:                              ;   in Loop: Header=BB44_13 Depth=2
	s_or_b64 exec, exec, s[2:3]
	s_waitcnt vmcnt(0)
	v_cmp_o_f64_e64 s[6:7], v[8:9], v[8:9]
	s_waitcnt lgkmcnt(0)
	v_ashrrev_i32_e32 v14, 31, v9
	v_or_b32_e32 v15, 0x80000000, v14
	v_xor_b32_e32 v15, v15, v9
	v_xor_b32_e32 v14, v14, v8
	v_cndmask_b32_e64 v15, -1, v15, s[6:7]
	v_cndmask_b32_e64 v14, -1, v14, s[6:7]
	v_and_b32_e32 v15, v15, v31
	v_and_b32_e32 v14, v14, v30
	v_cmp_eq_u64_e64 s[12:13], v[14:15], v[28:29]
	v_mov_b32_e32 v14, 0
	s_cmp_lg_u64 s[12:13], 0
	s_cselect_b64 s[2:3], -1, 0
	s_and_b64 s[6:7], s[4:5], s[2:3]
	s_and_saveexec_b64 s[2:3], s[6:7]
	s_cbranch_execz .LBB44_19
; %bb.16:                               ;   in Loop: Header=BB44_13 Depth=2
	s_mov_b64 s[26:27], exec
	v_mbcnt_lo_u32_b32 v14, s26, 0
	v_mbcnt_hi_u32_b32 v14, s27, v14
	s_bcnt1_i32_b64 s28, s[12:13]
	v_cmp_eq_u32_e64 s[6:7], 0, v14
                                        ; implicit-def: $vgpr15
	s_and_saveexec_b64 s[22:23], s[6:7]
; %bb.17:                               ;   in Loop: Header=BB44_13 Depth=2
	s_bcnt1_i32_b64 s6, s[26:27]
	s_mul_i32 s6, s28, s6
	v_mov_b32_e32 v15, s6
	ds_add_rtn_u32 v15, v19, v15 offset:5136
; %bb.18:                               ;   in Loop: Header=BB44_13 Depth=2
	s_or_b64 exec, exec, s[22:23]
	s_waitcnt lgkmcnt(0)
	v_readfirstlane_b32 s6, v15
	v_mov_b32_e32 v15, s6
	v_mad_u32_u24 v14, s28, v14, v15
.LBB44_19:                              ;   in Loop: Header=BB44_13 Depth=2
	s_or_b64 exec, exec, s[2:3]
	ds_bpermute_b32 v14, v41, v14
	s_and_b64 s[2:3], exec, vcc
	s_or_b64 s[10:11], s[2:3], s[10:11]
	s_and_saveexec_b64 s[2:3], s[12:13]
	s_cbranch_execz .LBB44_12
; %bb.20:                               ;   in Loop: Header=BB44_13 Depth=2
	v_and_b32_e32 v18, s12, v43
	v_and_b32_e32 v15, s13, v42
	v_bcnt_u32_b32 v18, v18, 0
	v_bcnt_u32_b32 v15, v15, v18
	v_lshlrev_b32_e32 v15, 3, v15
	s_waitcnt lgkmcnt(0)
	v_lshl_add_u32 v14, v14, 3, v15
	ds_write_b64 v14, v[8:9]
	s_branch .LBB44_12
.LBB44_21:                              ;   in Loop: Header=BB44_7 Depth=1
	s_mov_b64 s[14:15], -1
	s_mov_b64 s[2:3], 0
.LBB44_22:                              ;   in Loop: Header=BB44_7 Depth=1
	s_and_b64 vcc, exec, s[14:15]
	s_cbranch_vccz .LBB44_32
.LBB44_23:                              ;   in Loop: Header=BB44_7 Depth=1
	s_and_saveexec_b64 s[10:11], s[48:49]
	s_cbranch_execz .LBB44_29
; %bb.24:                               ;   in Loop: Header=BB44_7 Depth=1
	global_load_ushort v2, v19, s[52:53]
	global_load_dwordx2 v[4:5], v[16:17], off
	s_waitcnt vmcnt(1)
	v_add_u32_sdwa v18, v2, v0 dst_sel:DWORD dst_unused:UNUSED_PAD src0_sel:WORD_0 src1_sel:DWORD
	v_cmp_gt_i64_e32 vcc, s[24:25], v[18:19]
	v_readfirstlane_b32 s2, v2
	v_mov_b32_e32 v2, v0
	s_and_saveexec_b64 s[12:13], vcc
	s_cbranch_execz .LBB44_28
; %bb.25:                               ;   in Loop: Header=BB44_7 Depth=1
	v_mov_b32_e32 v8, s42
	v_mov_b32_e32 v9, s43
	v_mad_u64_u32 v[8:9], s[6:7], s58, v18, v[8:9]
	s_and_b32 s2, s2, 0xffff
	s_mul_i32 s3, s59, s2
	v_mov_b32_e32 v2, v9
	v_mad_u64_u32 v[9:10], s[6:7], s59, v18, v[2:3]
	s_mul_hi_u32 s6, s58, s2
	v_mov_b32_e32 v12, v18
	v_mov_b32_e32 v15, v1
	s_add_i32 s3, s6, s3
	s_mul_i32 s9, s58, s2
	s_mov_b64 s[14:15], 0
	v_mov_b32_e32 v13, v19
	v_mov_b32_e32 v14, v0
.LBB44_26:                              ;   Parent Loop BB44_7 Depth=1
                                        ; =>  This Inner Loop Header: Depth=2
	global_load_dwordx2 v[10:11], v[8:9], off
	v_mov_b32_e32 v35, v13
	v_mov_b32_e32 v34, v12
	v_lshlrev_b32_e32 v2, 3, v14
	v_mov_b32_e32 v14, s3
	v_add_co_u32_e32 v8, vcc, s9, v8
	v_add_co_u32_e64 v12, s[6:7], s2, v34
	v_addc_co_u32_e64 v13, s[6:7], 0, v35, s[6:7]
	v_addc_co_u32_e32 v9, vcc, v9, v14, vcc
	v_cmp_le_i64_e32 vcc, s[24:25], v[12:13]
	s_waitcnt vmcnt(1)
	ds_write_b64 v2, v[4:5]
	v_mov_b32_e32 v14, v34
	s_or_b64 s[14:15], vcc, s[14:15]
	v_mov_b32_e32 v15, v35
	s_waitcnt vmcnt(0)
	v_mov_b32_e32 v4, v10
	v_mov_b32_e32 v5, v11
	s_andn2_b64 exec, exec, s[14:15]
	s_cbranch_execnz .LBB44_26
; %bb.27:                               ;   in Loop: Header=BB44_7 Depth=1
	s_or_b64 exec, exec, s[14:15]
	v_mov_b32_e32 v4, v10
	v_subrev_u32_e32 v2, s2, v12
	v_mov_b32_e32 v5, v11
.LBB44_28:                              ;   in Loop: Header=BB44_7 Depth=1
	s_or_b64 exec, exec, s[12:13]
	v_lshlrev_b32_e32 v2, 3, v2
	s_waitcnt vmcnt(0)
	ds_write_b64 v2, v[4:5]
.LBB44_29:                              ;   in Loop: Header=BB44_7 Depth=1
	s_or_b64 exec, exec, s[10:11]
	s_waitcnt lgkmcnt(0)
	s_barrier
	s_and_saveexec_b64 s[2:3], s[94:95]
; %bb.30:                               ;   in Loop: Header=BB44_7 Depth=1
	v_mov_b32_e32 v4, s24
	v_mov_b32_e32 v5, s25
	ds_write_b64 v19, v[4:5] offset:5120
; %bb.31:                               ;   in Loop: Header=BB44_7 Depth=1
	s_or_b64 exec, exec, s[2:3]
	s_mov_b64 s[2:3], -1
	s_waitcnt lgkmcnt(0)
	s_barrier
.LBB44_32:                              ;   in Loop: Header=BB44_7 Depth=1
	s_and_b64 vcc, exec, s[2:3]
	s_cbranch_vccz .LBB44_34
; %bb.33:                               ;   in Loop: Header=BB44_7 Depth=1
	ds_read_b64 v[4:5], v19 offset:5120
	s_waitcnt lgkmcnt(0)
	v_readfirstlane_b32 s20, v4
.LBB44_34:                              ;   in Loop: Header=BB44_7 Depth=1
	s_cmp_lt_i32 s20, 1
	s_mov_b64 s[2:3], -1
                                        ; implicit-def: $vgpr8_vgpr9
                                        ; implicit-def: $vgpr12_vgpr13
	s_cbranch_scc1 .LBB44_44
; %bb.35:                               ;   in Loop: Header=BB44_7 Depth=1
	s_and_b64 vcc, exec, s[2:3]
	s_cbranch_vccnz .LBB44_58
.LBB44_36:                              ;   in Loop: Header=BB44_7 Depth=1
	s_lshl_b32 s9, s8, 6
	s_and_saveexec_b64 s[2:3], s[4:5]
	s_cbranch_execz .LBB44_38
.LBB44_37:                              ;   in Loop: Header=BB44_7 Depth=1
	v_lshl_add_u32 v2, s9, 3, v24
	ds_write_b128 v2, v[8:11]
	ds_write_b128 v2, v[12:15] offset:16
.LBB44_38:                              ;   in Loop: Header=BB44_7 Depth=1
	s_or_b64 exec, exec, s[2:3]
	s_waitcnt lgkmcnt(0)
	s_barrier
	s_and_saveexec_b64 s[6:7], s[46:47]
	s_cbranch_execz .LBB44_76
; %bb.39:                               ;   in Loop: Header=BB44_7 Depth=1
	v_readlane_b32 s2, v57, 14
	v_mov_b32_e32 v4, 0
	v_readlane_b32 s3, v57, 15
	v_mov_b32_e32 v5, 0
	s_andn2_b64 vcc, exec, s[2:3]
	s_cbranch_vccnz .LBB44_75
; %bb.40:                               ;   in Loop: Header=BB44_7 Depth=1
	v_readlane_b32 s2, v57, 18
	v_readlane_b32 s3, v57, 19
	s_andn2_b64 vcc, exec, s[2:3]
	s_cbranch_vccnz .LBB44_71
; %bb.41:                               ;   in Loop: Header=BB44_7 Depth=1
	v_mov_b32_e32 v4, 0
	v_lshl_add_u32 v2, s8, 9, v50
	v_mov_b32_e32 v5, 0
	s_mov_b32 s2, 0
.LBB44_42:                              ;   Parent Loop BB44_7 Depth=1
                                        ; =>  This Inner Loop Header: Depth=2
	ds_read2_b64 v[8:11], v2 offset1:4
	ds_read2_b64 v[12:15], v2 offset0:8 offset1:12
	ds_read2_b64 v[34:37], v2 offset0:16 offset1:20
	;; [unrolled: 1-line block ×3, first 2 shown]
	s_add_i32 s2, s2, 8
	s_waitcnt lgkmcnt(3)
	v_add_co_u32_e32 v4, vcc, v8, v4
	v_addc_co_u32_e32 v5, vcc, v9, v5, vcc
	v_add_co_u32_e32 v4, vcc, v10, v4
	v_addc_co_u32_e32 v5, vcc, v11, v5, vcc
	s_waitcnt lgkmcnt(2)
	v_add_co_u32_e32 v4, vcc, v12, v4
	v_addc_co_u32_e32 v5, vcc, v13, v5, vcc
	v_add_co_u32_e32 v4, vcc, v14, v4
	v_addc_co_u32_e32 v5, vcc, v15, v5, vcc
	;; [unrolled: 5-line block ×3, first 2 shown]
	s_waitcnt lgkmcnt(0)
	v_add_co_u32_e32 v4, vcc, v53, v4
	v_addc_co_u32_e32 v5, vcc, v54, v5, vcc
	v_add_co_u32_e32 v4, vcc, v55, v4
	v_add_u32_e32 v2, 0x100, v2
	s_cmp_eq_u32 s34, s2
	v_addc_co_u32_e32 v5, vcc, v56, v5, vcc
	s_cbranch_scc0 .LBB44_42
; %bb.43:                               ;   in Loop: Header=BB44_7 Depth=1
	s_mov_b32 s2, s34
	s_branch .LBB44_72
.LBB44_44:                              ;   in Loop: Header=BB44_7 Depth=1
	global_load_ushort v2, v19, s[52:53]
	s_mov_b32 s2, s45
	s_waitcnt vmcnt(0)
	v_readfirstlane_b32 s3, v2
	s_and_b32 s9, s3, 0xffff
	s_lshl_b32 s10, s9, 2
	s_mov_b32 s3, s25
	s_cmp_lg_u64 s[2:3], 0
	s_cbranch_scc0 .LBB44_67
; %bb.45:                               ;   in Loop: Header=BB44_7 Depth=1
	s_add_u32 s2, s10, 0
	s_addc_u32 s3, 0, 0
	s_xor_b64 s[6:7], s[2:3], 0
	v_cvt_f32_u32_e32 v2, s6
	v_cvt_f32_u32_e32 v4, s7
	s_sub_u32 s11, 0, s6
	s_subb_u32 s12, 0, s7
	v_mac_f32_e32 v2, 0x4f800000, v4
	v_rcp_f32_e32 v2, v2
	v_mul_f32_e32 v2, 0x5f7ffffc, v2
	v_mul_f32_e32 v4, 0x2f800000, v2
	v_trunc_f32_e32 v4, v4
	v_mac_f32_e32 v2, 0xcf800000, v4
	v_cvt_u32_f32_e32 v4, v4
	v_cvt_u32_f32_e32 v2, v2
	v_readfirstlane_b32 s13, v4
	v_readfirstlane_b32 s2, v2
	s_mul_i32 s3, s11, s13
	s_mul_hi_u32 s15, s11, s2
	s_mul_i32 s14, s12, s2
	s_add_i32 s3, s15, s3
	s_mul_i32 s16, s11, s2
	s_add_i32 s3, s3, s14
	s_mul_i32 s15, s2, s3
	s_mul_hi_u32 s17, s2, s16
	s_mul_hi_u32 s14, s2, s3
	s_add_u32 s15, s17, s15
	s_addc_u32 s14, 0, s14
	s_mul_hi_u32 s21, s13, s16
	s_mul_i32 s16, s13, s16
	s_add_u32 s15, s15, s16
	s_mul_hi_u32 s17, s13, s3
	s_addc_u32 s14, s14, s21
	s_addc_u32 s15, s17, 0
	s_mul_i32 s3, s13, s3
	s_add_u32 s3, s14, s3
	s_addc_u32 s14, 0, s15
	s_add_u32 s15, s2, s3
	s_cselect_b64 s[2:3], -1, 0
	s_cmp_lg_u64 s[2:3], 0
	s_addc_u32 s13, s13, s14
	s_mul_i32 s2, s11, s13
	s_mul_hi_u32 s3, s11, s15
	s_add_i32 s2, s3, s2
	s_mul_i32 s12, s12, s15
	s_add_i32 s2, s2, s12
	s_mul_i32 s11, s11, s15
	s_mul_hi_u32 s12, s13, s11
	s_mul_i32 s14, s13, s11
	s_mul_i32 s17, s15, s2
	s_mul_hi_u32 s11, s15, s11
	s_mul_hi_u32 s16, s15, s2
	s_add_u32 s11, s11, s17
	s_addc_u32 s16, 0, s16
	s_add_u32 s11, s11, s14
	s_mul_hi_u32 s3, s13, s2
	s_addc_u32 s11, s16, s12
	s_addc_u32 s3, s3, 0
	s_mul_i32 s2, s13, s2
	s_add_u32 s2, s11, s2
	s_addc_u32 s11, 0, s3
	s_add_u32 s14, s15, s2
	s_cselect_b64 s[2:3], -1, 0
	s_cmp_lg_u64 s[2:3], 0
	s_addc_u32 s11, s13, s11
	s_ashr_i32 s2, s25, 31
	s_add_u32 s12, s24, s2
	s_mov_b32 s3, s2
	s_addc_u32 s13, s25, s2
	s_xor_b64 s[12:13], s[12:13], s[2:3]
	s_mul_i32 s16, s12, s11
	s_mul_hi_u32 s17, s12, s14
	s_mul_hi_u32 s15, s12, s11
	s_add_u32 s16, s17, s16
	s_addc_u32 s15, 0, s15
	s_mul_hi_u32 s21, s13, s14
	s_mul_i32 s14, s13, s14
	s_add_u32 s14, s16, s14
	s_mul_hi_u32 s17, s13, s11
	s_addc_u32 s14, s15, s21
	s_addc_u32 s15, s17, 0
	s_mul_i32 s11, s13, s11
	s_add_u32 s11, s14, s11
	s_addc_u32 s14, 0, s15
	s_mul_i32 s14, s6, s14
	s_mul_hi_u32 s15, s6, s11
	s_add_i32 s14, s15, s14
	s_mul_i32 s15, s7, s11
	s_add_i32 s21, s14, s15
	s_sub_i32 s16, s13, s21
	s_mul_i32 s11, s6, s11
	s_sub_u32 s11, s12, s11
	s_cselect_b64 s[14:15], -1, 0
	s_cmp_lg_u64 s[14:15], 0
	s_subb_u32 s12, s16, s7
	s_sub_u32 s22, s11, s6
	s_cselect_b64 s[16:17], -1, 0
	s_cmp_lg_u64 s[16:17], 0
	s_subb_u32 s23, s12, 0
	s_cmp_ge_u32 s23, s7
	s_cselect_b32 s26, -1, 0
	s_cmp_ge_u32 s22, s6
	s_cselect_b32 s27, -1, 0
	s_cmp_eq_u32 s23, s7
	s_cselect_b32 s26, s27, s26
	s_cmp_lg_u64 s[16:17], 0
	s_subb_u32 s12, s12, s7
	s_sub_u32 s27, s22, s6
	s_cselect_b64 s[16:17], -1, 0
	s_cmp_lg_u64 s[16:17], 0
	s_subb_u32 s12, s12, 0
	s_cmp_lg_u32 s26, 0
	s_cselect_b32 s16, s27, s22
	s_cselect_b32 s12, s12, s23
	s_cmp_lg_u64 s[14:15], 0
	s_subb_u32 s13, s13, s21
	s_cmp_ge_u32 s13, s7
	s_cselect_b32 s14, -1, 0
	s_cmp_ge_u32 s11, s6
	s_cselect_b32 s6, -1, 0
	s_cmp_eq_u32 s13, s7
	s_cselect_b32 s6, s6, s14
	s_cmp_lg_u32 s6, 0
	s_cselect_b32 s7, s12, s13
	s_cselect_b32 s6, s16, s11
	s_xor_b64 s[6:7], s[6:7], s[2:3]
	s_sub_u32 s26, s6, s2
	s_subb_u32 s27, s7, s2
	s_cbranch_execnz .LBB44_47
.LBB44_46:                              ;   in Loop: Header=BB44_7 Depth=1
	v_cvt_f32_u32_e32 v2, s10
	s_sub_i32 s2, 0, s10
	v_rcp_iflag_f32_e32 v2, v2
	v_mul_f32_e32 v2, 0x4f7ffffe, v2
	v_cvt_u32_f32_e32 v2, v2
	v_readfirstlane_b32 s3, v2
	s_mul_i32 s2, s2, s3
	s_mul_hi_u32 s2, s3, s2
	s_add_i32 s3, s3, s2
	s_mul_hi_u32 s2, s24, s3
	s_mul_i32 s2, s2, s10
	s_sub_i32 s2, s24, s2
	s_sub_i32 s3, s2, s10
	s_cmp_ge_u32 s2, s10
	s_cselect_b32 s2, s3, s2
	s_sub_i32 s3, s2, s10
	s_cmp_ge_u32 s2, s10
	s_cselect_b32 s44, s3, s2
	s_mov_b64 s[26:27], s[44:45]
.LBB44_47:                              ;   in Loop: Header=BB44_7 Depth=1
	s_sub_u32 s76, s24, s26
	s_subb_u32 s77, s25, s27
	v_cmp_gt_i64_e32 vcc, s[76:77], v[20:21]
	v_mov_b32_e32 v8, 0
	v_mov_b32_e32 v10, 0
	;; [unrolled: 1-line block ×8, first 2 shown]
	s_and_saveexec_b64 s[78:79], vcc
	s_cbranch_execz .LBB44_51
; %bb.48:                               ;   in Loop: Header=BB44_7 Depth=1
	s_mul_i32 s2, s61, s9
	s_mul_hi_u32 s3, s60, s9
	v_mov_b32_e32 v4, v20
	s_add_i32 s2, s3, s2
	s_mov_b64 s[80:81], 0
	s_mov_b64 s[82:83], s[42:43]
	;; [unrolled: 1-line block ×6, first 2 shown]
	v_mov_b32_e32 v5, v21
.LBB44_49:                              ;   Parent Loop BB44_7 Depth=1
                                        ; =>  This Inner Loop Header: Depth=2
	v_add_co_u32_e32 v8, vcc, s82, v26
	v_mov_b32_e32 v2, s83
	v_addc_co_u32_e32 v9, vcc, v2, v27, vcc
	global_load_dwordx2 v[8:9], v[8:9], off
	v_add_co_u32_e32 v10, vcc, s82, v25
	v_addc_co_u32_e32 v11, vcc, v2, v47, vcc
	global_load_dwordx2 v[10:11], v[10:11], off
	v_add_co_u32_e32 v12, vcc, s82, v23
	;; [unrolled: 3-line block ×3, first 2 shown]
	v_addc_co_u32_e32 v15, vcc, v2, v45, vcc
	global_load_dwordx2 v[14:15], v[14:15], off
	s_waitcnt vmcnt(3)
	v_cmp_o_f64_e32 vcc, v[8:9], v[8:9]
	v_ashrrev_i32_e32 v2, 31, v9
	v_or_b32_e32 v18, 0x80000000, v2
	v_xor_b32_e32 v9, v18, v9
	v_xor_b32_e32 v2, v2, v8
	v_cndmask_b32_e32 v9, -1, v9, vcc
	v_cndmask_b32_e32 v8, -1, v2, vcc
	s_waitcnt vmcnt(2)
	v_cmp_o_f64_e32 vcc, v[10:11], v[10:11]
	v_ashrrev_i32_e32 v2, 31, v11
	v_or_b32_e32 v18, 0x80000000, v2
	v_xor_b32_e32 v11, v18, v11
	v_xor_b32_e32 v2, v2, v10
	v_cndmask_b32_e32 v35, -1, v11, vcc
	v_cndmask_b32_e32 v34, -1, v2, vcc
	s_waitcnt vmcnt(1)
	v_cmp_o_f64_e32 vcc, v[12:13], v[12:13]
	v_ashrrev_i32_e32 v2, 31, v13
	v_or_b32_e32 v10, 0x80000000, v2
	v_xor_b32_e32 v10, v10, v13
	v_xor_b32_e32 v2, v2, v12
	v_cndmask_b32_e32 v13, -1, v10, vcc
	v_cndmask_b32_e32 v12, -1, v2, vcc
	s_waitcnt vmcnt(0)
	v_cmp_o_f64_e32 vcc, v[14:15], v[14:15]
	v_ashrrev_i32_e32 v2, 31, v15
	v_or_b32_e32 v10, 0x80000000, v2
	v_xor_b32_e32 v10, v10, v15
	v_xor_b32_e32 v2, v2, v14
	v_and_b32_e32 v15, v9, v31
	v_and_b32_e32 v14, v8, v30
	v_lshrrev_b64 v[8:9], s1, v[8:9]
	v_cndmask_b32_e32 v11, -1, v10, vcc
	v_and_b32_e32 v18, 3, v8
	v_lshrrev_b64 v[8:9], s1, v[34:35]
	v_cndmask_b32_e32 v10, -1, v2, vcc
	v_cmp_eq_u64_e32 vcc, v[14:15], v[28:29]
	v_and_b32_e32 v15, v35, v31
	v_and_b32_e32 v14, v34, v30
	v_cmp_eq_u64_e64 s[6:7], 0, v[18:19]
	v_cmp_eq_u64_e64 s[12:13], v[14:15], v[28:29]
	v_and_b32_e32 v15, v13, v31
	v_and_b32_e32 v14, v12, v30
	;; [unrolled: 1-line block ×3, first 2 shown]
	v_mov_b32_e32 v9, v19
	v_lshrrev_b64 v[12:13], s1, v[12:13]
	s_and_b64 s[22:23], vcc, s[6:7]
	v_cmp_eq_u64_e64 s[6:7], 0, v[8:9]
	v_cmp_eq_u64_e64 s[14:15], v[14:15], v[28:29]
	v_and_b32_e32 v15, v11, v31
	v_and_b32_e32 v14, v10, v30
	;; [unrolled: 1-line block ×3, first 2 shown]
	v_mov_b32_e32 v13, v19
	v_lshrrev_b64 v[10:11], s1, v[10:11]
	s_and_b64 s[28:29], s[12:13], s[6:7]
	v_cmp_eq_u64_e64 s[6:7], 0, v[12:13]
	v_and_b32_e32 v10, 3, v10
	v_mov_b32_e32 v11, v19
	v_cmp_eq_u64_e64 s[16:17], v[14:15], v[28:29]
	s_and_b64 s[36:37], s[14:15], s[6:7]
	v_cmp_eq_u64_e64 s[6:7], 0, v[10:11]
	v_cndmask_b32_e64 v2, 0, 1, s[22:23]
	s_and_b64 s[38:39], s[16:17], s[6:7]
	v_cmp_ne_u32_e64 s[6:7], 0, v2
	v_cndmask_b32_e64 v2, 0, 1, s[28:29]
	s_bcnt1_i32_b64 s3, s[6:7]
	v_cmp_ne_u32_e64 s[6:7], 0, v2
	v_cndmask_b32_e64 v2, 0, 1, s[36:37]
	s_bcnt1_i32_b64 s11, s[6:7]
	;; [unrolled: 3-line block ×3, first 2 shown]
	v_cmp_ne_u32_e64 s[6:7], 0, v2
	s_bcnt1_i32_b64 s6, s[6:7]
	s_add_u32 s3, s3, s90
	s_addc_u32 s7, 0, s91
	s_add_u32 s3, s3, s11
	s_addc_u32 s7, s7, 0
	;; [unrolled: 2-line block ×4, first 2 shown]
	v_cmp_eq_u64_e64 s[6:7], 1, v[18:19]
	s_and_b64 s[22:23], vcc, s[6:7]
	v_cmp_eq_u64_e64 s[6:7], 1, v[8:9]
	v_cndmask_b32_e64 v2, 0, 1, s[22:23]
	s_and_b64 s[28:29], s[12:13], s[6:7]
	v_cmp_eq_u64_e64 s[6:7], 1, v[12:13]
	s_and_b64 s[36:37], s[14:15], s[6:7]
	v_cmp_eq_u64_e64 s[6:7], 1, v[10:11]
	s_and_b64 s[38:39], s[16:17], s[6:7]
	v_cmp_ne_u32_e64 s[6:7], 0, v2
	v_cndmask_b32_e64 v2, 0, 1, s[28:29]
	s_bcnt1_i32_b64 s3, s[6:7]
	v_cmp_ne_u32_e64 s[6:7], 0, v2
	v_cndmask_b32_e64 v2, 0, 1, s[36:37]
	s_bcnt1_i32_b64 s11, s[6:7]
	v_cmp_ne_u32_e64 s[6:7], 0, v2
	v_cndmask_b32_e64 v2, 0, 1, s[38:39]
	s_bcnt1_i32_b64 s21, s[6:7]
	v_cmp_ne_u32_e64 s[6:7], 0, v2
	s_bcnt1_i32_b64 s6, s[6:7]
	s_add_u32 s3, s3, s88
	s_addc_u32 s7, 0, s89
	s_add_u32 s3, s3, s11
	s_addc_u32 s7, s7, 0
	;; [unrolled: 2-line block ×4, first 2 shown]
	v_cmp_eq_u64_e64 s[6:7], 2, v[18:19]
	s_and_b64 s[22:23], vcc, s[6:7]
	v_cmp_eq_u64_e64 s[6:7], 2, v[8:9]
	v_cndmask_b32_e64 v2, 0, 1, s[22:23]
	s_and_b64 s[28:29], s[12:13], s[6:7]
	v_cmp_eq_u64_e64 s[6:7], 2, v[12:13]
	s_and_b64 s[36:37], s[14:15], s[6:7]
	v_cmp_eq_u64_e64 s[6:7], 2, v[10:11]
	s_and_b64 s[38:39], s[16:17], s[6:7]
	v_cmp_ne_u32_e64 s[6:7], 0, v2
	v_cndmask_b32_e64 v2, 0, 1, s[28:29]
	s_bcnt1_i32_b64 s3, s[6:7]
	v_cmp_ne_u32_e64 s[6:7], 0, v2
	v_cndmask_b32_e64 v2, 0, 1, s[36:37]
	s_bcnt1_i32_b64 s11, s[6:7]
	;; [unrolled: 3-line block ×3, first 2 shown]
	v_cmp_ne_u32_e64 s[6:7], 0, v2
	s_bcnt1_i32_b64 s6, s[6:7]
	s_add_u32 s3, s3, s86
	s_addc_u32 s7, 0, s87
	s_add_u32 s3, s3, s11
	s_addc_u32 s7, s7, 0
	;; [unrolled: 2-line block ×4, first 2 shown]
	v_cmp_eq_u64_e64 s[6:7], 3, v[18:19]
	s_and_b64 s[6:7], vcc, s[6:7]
	v_cmp_eq_u64_e32 vcc, 3, v[8:9]
	v_cndmask_b32_e64 v2, 0, 1, s[6:7]
	s_and_b64 s[12:13], s[12:13], vcc
	v_cmp_eq_u64_e32 vcc, 3, v[12:13]
	v_mov_b32_e32 v8, s90
	s_and_b64 s[14:15], s[14:15], vcc
	v_cmp_eq_u64_e32 vcc, 3, v[10:11]
	v_mov_b32_e32 v10, s88
	s_and_b64 s[16:17], s[16:17], vcc
	v_cmp_ne_u32_e32 vcc, 0, v2
	v_cndmask_b32_e64 v2, 0, 1, s[12:13]
	s_bcnt1_i32_b64 s3, vcc
	v_cmp_ne_u32_e32 vcc, 0, v2
	v_cndmask_b32_e64 v2, 0, 1, s[14:15]
	s_bcnt1_i32_b64 s6, vcc
	;; [unrolled: 3-line block ×3, first 2 shown]
	v_cmp_ne_u32_e32 vcc, 0, v2
	s_bcnt1_i32_b64 s11, vcc
	s_add_u32 s3, s3, s84
	s_addc_u32 s12, 0, s85
	s_add_u32 s3, s3, s6
	s_addc_u32 s6, s12, 0
	;; [unrolled: 2-line block ×3, first 2 shown]
	s_add_u32 s84, s3, s11
	v_add_co_u32_e32 v4, vcc, s10, v4
	s_addc_u32 s85, s6, 0
	v_addc_co_u32_e32 v5, vcc, 0, v5, vcc
	s_mul_i32 s3, s60, s9
	s_add_u32 s82, s82, s3
	v_cmp_le_i64_e32 vcc, s[76:77], v[4:5]
	s_addc_u32 s83, s83, s2
	v_mov_b32_e32 v12, s86
	v_mov_b32_e32 v14, s84
	s_or_b64 s[80:81], vcc, s[80:81]
	v_mov_b32_e32 v9, s91
	v_mov_b32_e32 v11, s89
	;; [unrolled: 1-line block ×4, first 2 shown]
	s_andn2_b64 exec, exec, s[80:81]
	s_cbranch_execnz .LBB44_49
; %bb.50:                               ;   in Loop: Header=BB44_7 Depth=1
	s_or_b64 exec, exec, s[80:81]
.LBB44_51:                              ;   in Loop: Header=BB44_7 Depth=1
	s_or_b64 exec, exec, s[78:79]
	v_mov_b32_e32 v2, s77
	v_add_co_u32_e32 v4, vcc, s76, v0
	v_addc_co_u32_e32 v5, vcc, 0, v2, vcc
	v_cmp_gt_i64_e32 vcc, s[24:25], v[4:5]
	s_and_saveexec_b64 s[14:15], vcc
	s_cbranch_execz .LBB44_57
; %bb.52:                               ;   in Loop: Header=BB44_7 Depth=1
	v_mul_lo_u32 v2, v5, s30
	v_mul_lo_u32 v18, v4, s31
	v_mad_u64_u32 v[34:35], s[2:3], v4, s30, 0
	s_mul_i32 s17, s58, s9
	s_mov_b64 s[10:11], 0
	v_add3_u32 v35, v35, v18, v2
	v_lshlrev_b64 v[34:35], 3, v[34:35]
	v_mov_b32_e32 v2, s43
	v_add_co_u32_e32 v34, vcc, s42, v34
	v_addc_co_u32_e32 v35, vcc, v2, v35, vcc
	global_load_dwordx2 v[38:39], v[34:35], off
	v_add_co_u32_e32 v2, vcc, s9, v48
	v_addc_co_u32_e32 v18, vcc, 0, v49, vcc
	v_mov_b32_e32 v34, s27
	v_subrev_co_u32_e32 v2, vcc, s26, v2
	v_subb_co_u32_e32 v18, vcc, v18, v34, vcc
	v_mov_b32_e32 v34, s42
	v_mov_b32_e32 v35, s43
	v_mul_lo_u32 v18, s58, v18
	v_mul_lo_u32 v36, s59, v2
	v_mad_u64_u32 v[34:35], s[2:3], s58, v2, v[34:35]
	s_mul_i32 s2, s59, s9
	s_mul_hi_u32 s3, s58, s9
	v_add3_u32 v35, v36, v35, v18
	s_add_i32 s16, s3, s2
	s_branch .LBB44_54
.LBB44_53:                              ;   in Loop: Header=BB44_54 Depth=2
	s_or_b64 exec, exec, s[2:3]
	s_waitcnt vmcnt(0)
	v_cmp_o_f64_e64 s[6:7], v[38:39], v[38:39]
	v_ashrrev_i32_e32 v2, 31, v39
	v_or_b32_e32 v18, 0x80000000, v2
	v_xor_b32_e32 v18, v18, v39
	v_xor_b32_e32 v2, v2, v38
	s_and_b64 s[2:3], exec, vcc
	s_or_b64 s[10:11], s[2:3], s[10:11]
	v_cndmask_b32_e64 v39, -1, v18, s[6:7]
	v_cndmask_b32_e64 v38, -1, v2, s[6:7]
	v_and_b32_e32 v54, v39, v31
	v_and_b32_e32 v53, v38, v30
	v_lshrrev_b64 v[38:39], s1, v[38:39]
	v_cmp_eq_u64_e32 vcc, v[53:54], v[28:29]
	v_and_b32_e32 v18, 3, v38
	v_cmp_eq_u64_e64 s[6:7], 0, v[18:19]
	v_mov_b32_e32 v39, v37
	s_and_b64 s[2:3], vcc, s[6:7]
	v_cndmask_b32_e64 v2, 0, 1, s[2:3]
	v_cmp_ne_u32_e64 s[6:7], 0, v2
	s_bcnt1_i32_b64 s2, s[6:7]
	v_cmp_eq_u64_e64 s[6:7], 1, v[18:19]
	v_add_co_u32_e64 v8, s[12:13], s2, v8
	s_and_b64 s[2:3], vcc, s[6:7]
	v_cndmask_b32_e64 v2, 0, 1, s[2:3]
	v_cmp_ne_u32_e64 s[6:7], 0, v2
	s_bcnt1_i32_b64 s2, s[6:7]
	v_cmp_eq_u64_e64 s[6:7], 2, v[18:19]
	v_addc_co_u32_e64 v9, s[12:13], 0, v9, s[12:13]
	v_add_co_u32_e64 v10, s[12:13], s2, v10
	s_and_b64 s[2:3], vcc, s[6:7]
	v_cndmask_b32_e64 v2, 0, 1, s[2:3]
	v_cmp_ne_u32_e64 s[6:7], 0, v2
	s_bcnt1_i32_b64 s2, s[6:7]
	v_cmp_eq_u64_e64 s[6:7], 3, v[18:19]
	v_addc_co_u32_e64 v11, s[12:13], 0, v11, s[12:13]
	v_add_co_u32_e64 v12, s[12:13], s2, v12
	s_and_b64 s[2:3], vcc, s[6:7]
	v_cndmask_b32_e64 v2, 0, 1, s[2:3]
	v_cmp_ne_u32_e32 vcc, 0, v2
	s_bcnt1_i32_b64 s2, vcc
	v_add_co_u32_e32 v14, vcc, s2, v14
	v_addc_co_u32_e32 v15, vcc, 0, v15, vcc
	v_mov_b32_e32 v2, s16
	v_add_co_u32_e32 v34, vcc, s17, v34
	v_addc_co_u32_e64 v13, s[12:13], 0, v13, s[12:13]
	v_addc_co_u32_e32 v35, vcc, v35, v2, vcc
	v_mov_b32_e32 v38, v36
	s_andn2_b64 exec, exec, s[10:11]
	s_cbranch_execz .LBB44_56
.LBB44_54:                              ;   Parent Loop BB44_7 Depth=1
                                        ; =>  This Inner Loop Header: Depth=2
	v_add_co_u32_e32 v4, vcc, s9, v4
	v_addc_co_u32_e32 v5, vcc, 0, v5, vcc
	v_cmp_gt_i64_e64 s[6:7], s[24:25], v[4:5]
	v_cmp_le_i64_e32 vcc, s[24:25], v[4:5]
	v_mov_b32_e32 v36, 0
	v_mov_b32_e32 v37, 0
	s_and_saveexec_b64 s[2:3], s[6:7]
	s_cbranch_execz .LBB44_53
; %bb.55:                               ;   in Loop: Header=BB44_54 Depth=2
	global_load_dwordx2 v[36:37], v[34:35], off
	s_branch .LBB44_53
.LBB44_56:                              ;   in Loop: Header=BB44_7 Depth=1
	s_or_b64 exec, exec, s[10:11]
.LBB44_57:                              ;   in Loop: Header=BB44_7 Depth=1
	s_or_b64 exec, exec, s[14:15]
	s_branch .LBB44_36
.LBB44_58:                              ;   in Loop: Header=BB44_7 Depth=1
	global_load_ushort v2, v19, s[52:53]
	v_mov_b32_e32 v8, 0
	v_mov_b32_e32 v10, 0
	;; [unrolled: 1-line block ×8, first 2 shown]
	s_waitcnt vmcnt(0)
	v_readfirstlane_b32 s2, v2
	s_and_b32 s2, 0xffff, s2
	s_lshl_b32 s3, s2, 2
	v_cvt_f32_u32_e32 v4, s3
	s_sub_i32 s6, 0, s3
	v_rcp_iflag_f32_e32 v4, v4
	v_mul_f32_e32 v4, 0x4f7ffffe, v4
	v_cvt_u32_f32_e32 v4, v4
	v_readfirstlane_b32 s7, v4
	s_mul_i32 s6, s6, s7
	s_mul_hi_u32 s6, s7, s6
	s_add_i32 s7, s7, s6
	s_mul_hi_u32 s6, s20, s7
	s_mul_i32 s7, s6, s3
	s_sub_i32 s7, s20, s7
	s_add_i32 s9, s6, 1
	s_sub_i32 s10, s7, s3
	s_cmp_ge_u32 s7, s3
	s_cselect_b32 s6, s9, s6
	s_cselect_b32 s7, s10, s7
	s_add_i32 s9, s6, 1
	s_cmp_ge_u32 s7, s3
	s_cselect_b32 s6, s9, s6
	s_mul_hi_u32 s27, s2, s6
	s_mul_i32 s26, s2, s6
	s_lshl_b64 s[76:77], s[26:27], 2
	v_cmp_gt_u64_e32 vcc, s[76:77], v[20:21]
	s_and_saveexec_b64 s[78:79], vcc
	s_cbranch_execz .LBB44_62
; %bb.59:                               ;   in Loop: Header=BB44_7 Depth=1
	v_mov_b32_e32 v4, v20
	s_lshl_b32 s9, s2, 5
	s_mov_b64 s[80:81], 0
	v_mov_b32_e32 v34, v44
	s_mov_b64 s[82:83], 0
	s_mov_b64 s[84:85], 0
	s_mov_b64 s[86:87], 0
	s_mov_b64 s[88:89], 0
	v_mov_b32_e32 v5, v21
.LBB44_60:                              ;   Parent Loop BB44_7 Depth=1
                                        ; =>  This Inner Loop Header: Depth=2
	ds_read_b128 v[8:11], v34
	ds_read_b128 v[12:15], v34 offset:16
	v_add_u32_e32 v34, s9, v34
	s_waitcnt lgkmcnt(1)
	v_cmp_o_f64_e32 vcc, v[8:9], v[8:9]
	v_ashrrev_i32_e32 v18, 31, v9
	v_or_b32_e32 v35, 0x80000000, v18
	v_xor_b32_e32 v9, v35, v9
	v_xor_b32_e32 v8, v18, v8
	v_ashrrev_i32_e32 v18, 31, v11
	v_or_b32_e32 v35, 0x80000000, v18
	v_cndmask_b32_e32 v9, -1, v9, vcc
	v_cndmask_b32_e32 v8, -1, v8, vcc
	v_cmp_o_f64_e32 vcc, v[10:11], v[10:11]
	v_xor_b32_e32 v11, v35, v11
	v_xor_b32_e32 v10, v18, v10
	v_cndmask_b32_e32 v36, -1, v11, vcc
	v_cndmask_b32_e32 v35, -1, v10, vcc
	s_waitcnt lgkmcnt(0)
	v_cmp_o_f64_e32 vcc, v[12:13], v[12:13]
	v_ashrrev_i32_e32 v10, 31, v13
	v_or_b32_e32 v11, 0x80000000, v10
	v_xor_b32_e32 v11, v11, v13
	v_xor_b32_e32 v10, v10, v12
	v_cndmask_b32_e32 v13, -1, v11, vcc
	v_cndmask_b32_e32 v12, -1, v10, vcc
	v_cmp_o_f64_e32 vcc, v[14:15], v[14:15]
	v_ashrrev_i32_e32 v10, 31, v15
	v_or_b32_e32 v11, 0x80000000, v10
	v_xor_b32_e32 v11, v11, v15
	v_xor_b32_e32 v10, v10, v14
	v_and_b32_e32 v15, v9, v31
	v_and_b32_e32 v14, v8, v30
	v_lshrrev_b64 v[8:9], s1, v[8:9]
	v_cndmask_b32_e32 v11, -1, v11, vcc
	v_and_b32_e32 v18, 3, v8
	v_lshrrev_b64 v[8:9], s1, v[35:36]
	v_cndmask_b32_e32 v10, -1, v10, vcc
	v_cmp_eq_u64_e32 vcc, v[14:15], v[28:29]
	v_and_b32_e32 v15, v36, v31
	v_and_b32_e32 v14, v35, v30
	v_cmp_eq_u64_e64 s[6:7], 0, v[18:19]
	v_cmp_eq_u64_e64 s[12:13], v[14:15], v[28:29]
	v_and_b32_e32 v15, v13, v31
	v_and_b32_e32 v14, v12, v30
	;; [unrolled: 1-line block ×3, first 2 shown]
	v_mov_b32_e32 v9, v19
	v_lshrrev_b64 v[12:13], s1, v[12:13]
	s_and_b64 s[10:11], vcc, s[6:7]
	v_cmp_eq_u64_e64 s[6:7], 0, v[8:9]
	v_cmp_eq_u64_e64 s[14:15], v[14:15], v[28:29]
	v_and_b32_e32 v15, v11, v31
	v_and_b32_e32 v14, v10, v30
	;; [unrolled: 1-line block ×3, first 2 shown]
	v_mov_b32_e32 v13, v19
	v_lshrrev_b64 v[10:11], s1, v[10:11]
	s_and_b64 s[22:23], s[12:13], s[6:7]
	v_cmp_eq_u64_e64 s[6:7], 0, v[12:13]
	v_and_b32_e32 v10, 3, v10
	v_mov_b32_e32 v11, v19
	v_cmp_eq_u64_e64 s[16:17], v[14:15], v[28:29]
	s_and_b64 s[28:29], s[14:15], s[6:7]
	v_cmp_eq_u64_e64 s[6:7], 0, v[10:11]
	v_cndmask_b32_e64 v14, 0, 1, s[10:11]
	s_and_b64 s[36:37], s[16:17], s[6:7]
	v_cmp_ne_u32_e64 s[6:7], 0, v14
	v_cndmask_b32_e64 v14, 0, 1, s[22:23]
	s_bcnt1_i32_b64 s10, s[6:7]
	v_cmp_ne_u32_e64 s[6:7], 0, v14
	v_cndmask_b32_e64 v14, 0, 1, s[28:29]
	s_bcnt1_i32_b64 s11, s[6:7]
	;; [unrolled: 3-line block ×3, first 2 shown]
	v_cmp_ne_u32_e64 s[6:7], 0, v14
	s_bcnt1_i32_b64 s6, s[6:7]
	s_add_u32 s7, s10, s88
	s_addc_u32 s10, 0, s89
	s_add_u32 s7, s7, s11
	s_addc_u32 s10, s10, 0
	;; [unrolled: 2-line block ×3, first 2 shown]
	s_add_u32 s88, s7, s6
	v_cmp_eq_u64_e64 s[6:7], 1, v[18:19]
	s_addc_u32 s89, s10, 0
	s_and_b64 s[10:11], vcc, s[6:7]
	v_cmp_eq_u64_e64 s[6:7], 1, v[8:9]
	v_cndmask_b32_e64 v14, 0, 1, s[10:11]
	s_and_b64 s[22:23], s[12:13], s[6:7]
	v_cmp_eq_u64_e64 s[6:7], 1, v[12:13]
	s_and_b64 s[28:29], s[14:15], s[6:7]
	v_cmp_eq_u64_e64 s[6:7], 1, v[10:11]
	s_and_b64 s[36:37], s[16:17], s[6:7]
	v_cmp_ne_u32_e64 s[6:7], 0, v14
	v_cndmask_b32_e64 v14, 0, 1, s[22:23]
	s_bcnt1_i32_b64 s10, s[6:7]
	v_cmp_ne_u32_e64 s[6:7], 0, v14
	v_cndmask_b32_e64 v14, 0, 1, s[28:29]
	s_bcnt1_i32_b64 s11, s[6:7]
	v_cmp_ne_u32_e64 s[6:7], 0, v14
	v_cndmask_b32_e64 v14, 0, 1, s[36:37]
	s_bcnt1_i32_b64 s21, s[6:7]
	v_cmp_ne_u32_e64 s[6:7], 0, v14
	s_bcnt1_i32_b64 s6, s[6:7]
	s_add_u32 s7, s10, s86
	s_addc_u32 s10, 0, s87
	s_add_u32 s7, s7, s11
	s_addc_u32 s10, s10, 0
	;; [unrolled: 2-line block ×3, first 2 shown]
	s_add_u32 s86, s7, s6
	v_cmp_eq_u64_e64 s[6:7], 2, v[18:19]
	s_addc_u32 s87, s10, 0
	s_and_b64 s[10:11], vcc, s[6:7]
	v_cmp_eq_u64_e64 s[6:7], 2, v[8:9]
	v_cndmask_b32_e64 v14, 0, 1, s[10:11]
	s_and_b64 s[22:23], s[12:13], s[6:7]
	v_cmp_eq_u64_e64 s[6:7], 2, v[12:13]
	s_and_b64 s[28:29], s[14:15], s[6:7]
	v_cmp_eq_u64_e64 s[6:7], 2, v[10:11]
	s_and_b64 s[36:37], s[16:17], s[6:7]
	v_cmp_ne_u32_e64 s[6:7], 0, v14
	v_cndmask_b32_e64 v14, 0, 1, s[22:23]
	s_bcnt1_i32_b64 s10, s[6:7]
	v_cmp_ne_u32_e64 s[6:7], 0, v14
	v_cndmask_b32_e64 v14, 0, 1, s[28:29]
	s_bcnt1_i32_b64 s11, s[6:7]
	;; [unrolled: 3-line block ×3, first 2 shown]
	v_cmp_ne_u32_e64 s[6:7], 0, v14
	s_bcnt1_i32_b64 s6, s[6:7]
	s_add_u32 s7, s10, s84
	s_addc_u32 s10, 0, s85
	s_add_u32 s7, s7, s11
	s_addc_u32 s10, s10, 0
	;; [unrolled: 2-line block ×3, first 2 shown]
	s_add_u32 s84, s7, s6
	v_cmp_eq_u64_e64 s[6:7], 3, v[18:19]
	s_addc_u32 s85, s10, 0
	s_and_b64 s[6:7], vcc, s[6:7]
	v_cmp_eq_u64_e32 vcc, 3, v[8:9]
	v_cndmask_b32_e64 v8, 0, 1, s[6:7]
	s_and_b64 s[10:11], s[12:13], vcc
	v_cmp_eq_u64_e32 vcc, 3, v[12:13]
	v_mov_b32_e32 v12, s84
	s_and_b64 s[12:13], s[14:15], vcc
	v_cmp_eq_u64_e32 vcc, 3, v[10:11]
	v_mov_b32_e32 v10, s86
	s_and_b64 s[14:15], s[16:17], vcc
	v_cmp_ne_u32_e32 vcc, 0, v8
	v_cndmask_b32_e64 v8, 0, 1, s[10:11]
	s_bcnt1_i32_b64 s6, vcc
	v_cmp_ne_u32_e32 vcc, 0, v8
	v_cndmask_b32_e64 v8, 0, 1, s[12:13]
	s_bcnt1_i32_b64 s7, vcc
	;; [unrolled: 3-line block ×3, first 2 shown]
	v_cmp_ne_u32_e32 vcc, 0, v8
	s_bcnt1_i32_b64 s11, vcc
	s_add_u32 s6, s6, s82
	s_addc_u32 s12, 0, s83
	s_add_u32 s6, s6, s7
	s_addc_u32 s7, s12, 0
	s_add_u32 s6, s6, s10
	v_add_co_u32_e32 v4, vcc, s3, v4
	s_addc_u32 s7, s7, 0
	v_addc_co_u32_e32 v5, vcc, 0, v5, vcc
	s_add_u32 s82, s6, s11
	v_cmp_le_u64_e32 vcc, s[76:77], v[4:5]
	s_addc_u32 s83, s7, 0
	v_mov_b32_e32 v8, s88
	v_mov_b32_e32 v14, s82
	s_or_b64 s[80:81], vcc, s[80:81]
	v_mov_b32_e32 v9, s89
	v_mov_b32_e32 v11, s87
	;; [unrolled: 1-line block ×4, first 2 shown]
	s_andn2_b64 exec, exec, s[80:81]
	s_cbranch_execnz .LBB44_60
; %bb.61:                               ;   in Loop: Header=BB44_7 Depth=1
	s_or_b64 exec, exec, s[80:81]
.LBB44_62:                              ;   in Loop: Header=BB44_7 Depth=1
	s_or_b64 exec, exec, s[78:79]
	v_mov_b32_e32 v5, s77
	v_add_co_u32_e32 v4, vcc, s76, v0
	s_and_b32 s44, s20, 0x7fffffff
	v_addc_co_u32_e32 v5, vcc, 0, v5, vcc
	v_cmp_gt_u64_e32 vcc, s[44:45], v[4:5]
	s_and_saveexec_b64 s[22:23], vcc
	s_cbranch_execz .LBB44_66
; %bb.63:                               ;   in Loop: Header=BB44_7 Depth=1
	v_lshl_add_u32 v34, s26, 5, v51
	s_lshl_b32 s2, s2, 3
	s_mov_b64 s[26:27], 0
.LBB44_64:                              ;   Parent Loop BB44_7 Depth=1
                                        ; =>  This Inner Loop Header: Depth=2
	ds_read_b64 v[35:36], v34
	v_add_co_u32_sdwa v4, vcc, v4, v2 dst_sel:DWORD dst_unused:UNUSED_PAD src0_sel:DWORD src1_sel:WORD_0
	v_addc_co_u32_e32 v5, vcc, 0, v5, vcc
	s_waitcnt lgkmcnt(0)
	v_cmp_o_f64_e64 s[6:7], v[35:36], v[35:36]
	v_ashrrev_i32_e32 v18, 31, v36
	v_or_b32_e32 v37, 0x80000000, v18
	v_xor_b32_e32 v18, v18, v35
	v_xor_b32_e32 v37, v37, v36
	v_cmp_le_u64_e32 vcc, s[44:45], v[4:5]
	v_add_u32_e32 v34, s2, v34
	v_cndmask_b32_e64 v36, -1, v37, s[6:7]
	v_cndmask_b32_e64 v35, -1, v18, s[6:7]
	v_and_b32_e32 v38, v36, v31
	v_and_b32_e32 v37, v35, v30
	v_lshrrev_b64 v[35:36], s1, v[35:36]
	v_cmp_eq_u64_e64 s[6:7], v[37:38], v[28:29]
	v_and_b32_e32 v18, 3, v35
	v_cmp_eq_u64_e64 s[12:13], 0, v[18:19]
	v_cmp_eq_u64_e64 s[14:15], 1, v[18:19]
	;; [unrolled: 1-line block ×4, first 2 shown]
	s_and_b64 s[10:11], s[6:7], s[12:13]
	v_cndmask_b32_e64 v18, 0, 1, s[10:11]
	s_and_b64 s[10:11], s[6:7], s[14:15]
	v_cndmask_b32_e64 v35, 0, 1, s[10:11]
	s_and_b64 s[10:11], s[6:7], s[16:17]
	s_and_b64 s[6:7], s[6:7], s[20:21]
	v_cndmask_b32_e64 v37, 0, 1, s[6:7]
	v_cmp_ne_u32_e64 s[6:7], 0, v18
	s_bcnt1_i32_b64 s3, s[6:7]
	v_cmp_ne_u32_e64 s[12:13], 0, v35
	v_add_co_u32_e64 v8, s[6:7], s3, v8
	v_cndmask_b32_e64 v36, 0, 1, s[10:11]
	s_bcnt1_i32_b64 s9, s[12:13]
	v_addc_co_u32_e64 v9, s[6:7], 0, v9, s[6:7]
	v_cmp_ne_u32_e64 s[14:15], 0, v36
	v_cmp_ne_u32_e64 s[16:17], 0, v37
	v_add_co_u32_e64 v10, s[6:7], s9, v10
	s_bcnt1_i32_b64 s10, s[14:15]
	s_bcnt1_i32_b64 s11, s[16:17]
	v_addc_co_u32_e64 v11, s[6:7], 0, v11, s[6:7]
	v_add_co_u32_e64 v12, s[6:7], s10, v12
	s_or_b64 s[26:27], vcc, s[26:27]
	v_add_co_u32_e32 v14, vcc, s11, v14
	v_addc_co_u32_e64 v13, s[6:7], 0, v13, s[6:7]
	v_addc_co_u32_e32 v15, vcc, 0, v15, vcc
	s_andn2_b64 exec, exec, s[26:27]
	s_cbranch_execnz .LBB44_64
; %bb.65:                               ;   in Loop: Header=BB44_7 Depth=1
	s_or_b64 exec, exec, s[26:27]
.LBB44_66:                              ;   in Loop: Header=BB44_7 Depth=1
	s_or_b64 exec, exec, s[22:23]
	s_lshl_b32 s9, s8, 6
	s_and_saveexec_b64 s[2:3], s[4:5]
	s_cbranch_execnz .LBB44_37
	s_branch .LBB44_38
.LBB44_67:                              ;   in Loop: Header=BB44_7 Depth=1
                                        ; implicit-def: $sgpr26_sgpr27
	s_branch .LBB44_46
.LBB44_68:                              ;   in Loop: Header=BB44_7 Depth=1
	s_or_b64 exec, exec, s[16:17]
	s_waitcnt lgkmcnt(0)
	s_barrier
	s_and_saveexec_b64 s[2:3], s[94:95]
	s_cbranch_execz .LBB44_70
; %bb.69:                               ;   in Loop: Header=BB44_7 Depth=1
	ds_read_b32 v4, v19 offset:5136
	s_waitcnt lgkmcnt(0)
	v_ashrrev_i32_e32 v5, 31, v4
	ds_write_b64 v19, v[4:5] offset:5120
.LBB44_70:                              ;   in Loop: Header=BB44_7 Depth=1
	s_or_b64 exec, exec, s[2:3]
	s_waitcnt lgkmcnt(0)
	s_barrier
	s_mov_b64 s[2:3], -1
	s_and_b64 vcc, exec, s[14:15]
	s_cbranch_vccnz .LBB44_23
	s_branch .LBB44_32
.LBB44_71:                              ;   in Loop: Header=BB44_7 Depth=1
	v_mov_b32_e32 v4, 0
	v_mov_b32_e32 v5, 0
	s_mov_b32 s2, 0
.LBB44_72:                              ;   in Loop: Header=BB44_7 Depth=1
	v_readlane_b32 s10, v57, 21
	v_readlane_b32 s11, v57, 22
	s_andn2_b64 vcc, exec, s[10:11]
	s_cbranch_vccnz .LBB44_75
; %bb.73:                               ;   in Loop: Header=BB44_7 Depth=1
	s_lshl_b32 s3, s8, 9
	s_lshl_b32 s2, s2, 5
	s_add_i32 s3, s3, s2
	v_add_u32_e32 v2, s3, v50
	v_readlane_b32 s2, v57, 20
.LBB44_74:                              ;   Parent Loop BB44_7 Depth=1
                                        ; =>  This Inner Loop Header: Depth=2
	ds_read_b64 v[8:9], v2
	s_add_i32 s2, s2, -1
	v_add_u32_e32 v2, 32, v2
	s_cmp_lg_u32 s2, 0
	s_waitcnt lgkmcnt(0)
	v_add_co_u32_e32 v4, vcc, v8, v4
	v_addc_co_u32_e32 v5, vcc, v9, v5, vcc
	s_cbranch_scc1 .LBB44_74
.LBB44_75:                              ;   in Loop: Header=BB44_7 Depth=1
	v_add_lshl_u32 v2, s9, v40, 3
	ds_write_b64 v2, v[4:5] offset:3072
.LBB44_76:                              ;   in Loop: Header=BB44_7 Depth=1
	s_or_b64 exec, exec, s[6:7]
	s_lshl_b32 s2, s9, 3
	v_mov_b32_e32 v2, s2
	s_waitcnt lgkmcnt(0)
	s_barrier
	ds_read_b128 v[12:15], v2 offset:3088
	ds_read_b128 v[8:11], v2 offset:3072
	v_cmp_eq_u64_e64 s[6:7], 1, v[32:33]
	s_lshl_b64 s[14:15], 3, s1
	s_not_b64 s[80:81], s[14:15]
	s_waitcnt lgkmcnt(1)
	v_readfirstlane_b32 s76, v12
	s_waitcnt lgkmcnt(0)
	v_cmp_eq_u64_e32 vcc, 1, v[8:9]
	v_readfirstlane_b32 s77, v13
	v_readfirstlane_b32 s12, v14
	;; [unrolled: 1-line block ×3, first 2 shown]
	s_and_b64 s[20:21], vcc, s[6:7]
	s_mov_b64 s[6:7], -1
	s_mov_b64 s[10:11], -1
                                        ; implicit-def: $sgpr28_sgpr29
                                        ; implicit-def: $sgpr22_sgpr23
	s_and_saveexec_b64 s[16:17], s[20:21]
	s_cbranch_execz .LBB44_110
; %bb.77:                               ;   in Loop: Header=BB44_7 Depth=1
	ds_read_b64 v[4:5], v19 offset:5120
	s_waitcnt lgkmcnt(0)
	s_barrier
	v_readfirstlane_b32 s26, v4
	v_readfirstlane_b32 s27, v5
	s_and_saveexec_b64 s[2:3], s[18:19]
; %bb.78:                               ;   in Loop: Header=BB44_7 Depth=1
	v_mov_b32_e32 v18, v19
	ds_write_b64 v52, v[18:19]
; %bb.79:                               ;   in Loop: Header=BB44_7 Depth=1
	s_or_b64 exec, exec, s[2:3]
	v_cmp_lt_i64_e64 s[2:3], s[26:27], 1
	v_and_b32_e32 v29, s81, v29
	v_and_b32_e32 v28, s80, v28
	v_or_b32_e32 v31, s15, v31
	v_or_b32_e32 v30, s14, v30
	s_mov_b64 s[22:23], -1
	s_mov_b64 s[28:29], 0
	s_and_b64 vcc, exec, s[2:3]
	s_mov_b64 s[36:37], 0
	s_mov_b64 s[38:39], -1
	s_waitcnt lgkmcnt(0)
	s_barrier
                                        ; implicit-def: $vgpr6_vgpr7
	s_cbranch_vccz .LBB44_94
; %bb.80:                               ;   in Loop: Header=BB44_7 Depth=1
	s_mov_b32 s50, s45
	s_cmp_lg_u64 s[50:51], 0
	s_cbranch_scc0 .LBB44_137
; %bb.81:                               ;   in Loop: Header=BB44_7 Depth=1
	s_add_u32 s2, s33, 0
	s_addc_u32 s3, 0, 0
	s_xor_b64 s[36:37], s[2:3], 0
	v_cvt_f32_u32_e32 v2, s36
	v_cvt_f32_u32_e32 v4, s37
	s_sub_u32 s9, 0, s36
	s_subb_u32 s10, 0, s37
	v_mac_f32_e32 v2, 0x4f800000, v4
	v_rcp_f32_e32 v2, v2
	v_mul_f32_e32 v2, 0x5f7ffffc, v2
	v_mul_f32_e32 v4, 0x2f800000, v2
	v_trunc_f32_e32 v4, v4
	v_mac_f32_e32 v2, 0xcf800000, v4
	v_cvt_u32_f32_e32 v4, v4
	v_cvt_u32_f32_e32 v2, v2
	v_readfirstlane_b32 s11, v4
	v_readfirstlane_b32 s2, v2
	s_mul_i32 s3, s9, s11
	s_mul_hi_u32 s39, s9, s2
	s_mul_i32 s38, s10, s2
	s_add_i32 s3, s39, s3
	s_mul_i32 s44, s9, s2
	s_add_i32 s3, s3, s38
	s_mul_i32 s39, s2, s3
	s_mul_hi_u32 s50, s2, s44
	s_mul_hi_u32 s38, s2, s3
	s_add_u32 s39, s50, s39
	s_addc_u32 s38, 0, s38
	s_mul_hi_u32 s54, s11, s44
	s_mul_i32 s44, s11, s44
	s_add_u32 s39, s39, s44
	s_mul_hi_u32 s50, s11, s3
	s_addc_u32 s38, s38, s54
	s_addc_u32 s39, s50, 0
	s_mul_i32 s3, s11, s3
	s_add_u32 s3, s38, s3
	s_addc_u32 s38, 0, s39
	s_add_u32 s39, s2, s3
	s_cselect_b64 s[2:3], -1, 0
	s_cmp_lg_u64 s[2:3], 0
	s_addc_u32 s11, s11, s38
	s_mul_i32 s2, s9, s11
	s_mul_hi_u32 s3, s9, s39
	s_add_i32 s2, s3, s2
	s_mul_i32 s10, s10, s39
	s_add_i32 s2, s2, s10
	s_mul_i32 s9, s9, s39
	s_mul_hi_u32 s10, s11, s9
	s_mul_i32 s38, s11, s9
	s_mul_i32 s50, s39, s2
	s_mul_hi_u32 s9, s39, s9
	s_mul_hi_u32 s44, s39, s2
	s_add_u32 s9, s9, s50
	s_addc_u32 s44, 0, s44
	s_add_u32 s9, s9, s38
	s_mul_hi_u32 s3, s11, s2
	s_addc_u32 s9, s44, s10
	s_addc_u32 s3, s3, 0
	s_mul_i32 s2, s11, s2
	s_add_u32 s2, s9, s2
	s_addc_u32 s9, 0, s3
	s_add_u32 s38, s39, s2
	s_cselect_b64 s[2:3], -1, 0
	s_cmp_lg_u64 s[2:3], 0
	s_addc_u32 s9, s11, s9
	s_ashr_i32 s10, s51, 31
	s_add_u32 s2, s35, s10
	s_mov_b32 s11, s10
	s_addc_u32 s3, s51, s10
	s_xor_b64 s[2:3], s[2:3], s[10:11]
	s_mul_i32 s44, s2, s9
	s_mul_hi_u32 s50, s2, s38
	s_mul_hi_u32 s39, s2, s9
	s_add_u32 s44, s50, s44
	s_addc_u32 s39, 0, s39
	s_mul_hi_u32 s54, s3, s38
	s_mul_i32 s38, s3, s38
	s_add_u32 s38, s44, s38
	s_mul_hi_u32 s50, s3, s9
	s_addc_u32 s38, s39, s54
	s_addc_u32 s39, s50, 0
	s_mul_i32 s9, s3, s9
	s_add_u32 s9, s38, s9
	s_addc_u32 s38, 0, s39
	s_mul_i32 s38, s36, s38
	s_mul_hi_u32 s39, s36, s9
	s_add_i32 s38, s39, s38
	s_mul_i32 s39, s37, s9
	s_add_i32 s44, s38, s39
	s_sub_i32 s50, s3, s44
	s_mul_i32 s9, s36, s9
	s_sub_u32 s2, s2, s9
	s_cselect_b64 s[38:39], -1, 0
	s_cmp_lg_u64 s[38:39], 0
	s_subb_u32 s9, s50, s37
	s_sub_u32 s50, s2, s36
	s_cselect_b64 s[54:55], -1, 0
	s_cmp_lg_u64 s[54:55], 0
	s_subb_u32 s56, s9, 0
	s_cmp_ge_u32 s56, s37
	s_cselect_b32 s57, -1, 0
	s_cmp_ge_u32 s50, s36
	s_cselect_b32 s78, -1, 0
	s_cmp_eq_u32 s56, s37
	s_cselect_b32 s57, s78, s57
	s_cmp_lg_u64 s[54:55], 0
	s_subb_u32 s9, s9, s37
	s_sub_u32 s78, s50, s36
	s_cselect_b64 s[54:55], -1, 0
	s_cmp_lg_u64 s[54:55], 0
	s_subb_u32 s9, s9, 0
	s_cmp_lg_u32 s57, 0
	s_cselect_b32 s50, s78, s50
	s_cselect_b32 s9, s9, s56
	s_cmp_lg_u64 s[38:39], 0
	s_subb_u32 s3, s3, s44
	s_cmp_ge_u32 s3, s37
	s_cselect_b32 s38, -1, 0
	s_cmp_ge_u32 s2, s36
	s_cselect_b32 s36, -1, 0
	s_cmp_eq_u32 s3, s37
	s_cselect_b32 s36, s36, s38
	s_cmp_lg_u32 s36, 0
	s_cselect_b32 s3, s9, s3
	s_cselect_b32 s2, s50, s2
	s_xor_b64 s[2:3], s[2:3], s[10:11]
	s_sub_u32 s2, s2, s10
	s_subb_u32 s3, s3, s10
	s_cbranch_execnz .LBB44_83
.LBB44_82:                              ;   in Loop: Header=BB44_7 Depth=1
	v_cvt_f32_u32_e32 v2, s33
	s_sub_i32 s2, 0, s33
	v_rcp_iflag_f32_e32 v2, v2
	v_mul_f32_e32 v2, 0x4f7ffffe, v2
	v_cvt_u32_f32_e32 v2, v2
	v_readfirstlane_b32 s3, v2
	s_mul_i32 s2, s2, s3
	s_mul_hi_u32 s2, s3, s2
	s_add_i32 s3, s3, s2
	s_mul_hi_u32 s2, s35, s3
	s_mul_i32 s2, s2, s33
	s_sub_i32 s2, s35, s2
	s_sub_i32 s3, s2, s33
	s_cmp_ge_u32 s2, s33
	s_cselect_b32 s2, s3, s2
	s_sub_i32 s3, s2, s33
	s_cmp_ge_u32 s2, s33
	s_cselect_b32 s44, s3, s2
	s_mov_b64 s[2:3], s[44:45]
.LBB44_83:                              ;   in Loop: Header=BB44_7 Depth=1
	s_sub_u32 s54, s35, s2
	s_subb_u32 s55, s51, s3
	v_cmp_gt_i64_e32 vcc, s[54:55], v[0:1]
	s_mov_b64 s[38:39], 0
	s_mov_b64 s[36:37], 0
                                        ; implicit-def: $vgpr6_vgpr7
	s_and_saveexec_b64 s[10:11], vcc
	s_cbranch_execz .LBB44_93
; %bb.84:                               ;   in Loop: Header=BB44_7 Depth=1
	v_mov_b32_e32 v12, v16
	v_mov_b32_e32 v15, v1
	;; [unrolled: 1-line block ×4, first 2 shown]
                                        ; implicit-def: $sgpr56_sgpr57
	s_branch .LBB44_88
.LBB44_85:                              ;   in Loop: Header=BB44_88 Depth=2
	s_or_b64 exec, exec, s[2:3]
	s_waitcnt lgkmcnt(0)
	s_barrier
	ds_read_b128 v[4:7], v19 offset:3072
	s_waitcnt lgkmcnt(0)
	s_barrier
	v_cmp_neq_f64_e32 vcc, 0, v[4:5]
	s_cbranch_vccnz .LBB44_91
; %bb.86:                               ;   in Loop: Header=BB44_88 Depth=2
	v_add_co_u32_e32 v14, vcc, s33, v14
	v_addc_co_u32_e32 v15, vcc, 0, v15, vcc
	v_mov_b32_e32 v2, s41
	v_add_co_u32_e32 v12, vcc, s40, v12
	v_addc_co_u32_e32 v13, vcc, v13, v2, vcc
	v_cmp_le_i64_e32 vcc, s[54:55], v[14:15]
	s_mov_b64 s[2:3], 0
	s_orn2_b64 s[78:79], vcc, exec
.LBB44_87:                              ;   in Loop: Header=BB44_88 Depth=2
	s_and_b64 s[78:79], exec, s[78:79]
	s_or_b64 s[36:37], s[78:79], s[36:37]
	s_andn2_b64 s[56:57], s[56:57], exec
	s_and_b64 s[2:3], s[2:3], exec
	s_or_b64 s[56:57], s[56:57], s[2:3]
	s_andn2_b64 exec, exec, s[36:37]
	s_cbranch_execz .LBB44_92
.LBB44_88:                              ;   Parent Loop BB44_7 Depth=1
                                        ; =>  This Inner Loop Header: Depth=2
	v_cmp_gt_i64_e32 vcc, s[24:25], v[14:15]
	s_and_saveexec_b64 s[2:3], vcc
	s_cbranch_execz .LBB44_85
; %bb.89:                               ;   in Loop: Header=BB44_88 Depth=2
	global_load_dwordx2 v[4:5], v[12:13], off
	s_waitcnt vmcnt(0)
	v_cmp_o_f64_e32 vcc, v[4:5], v[4:5]
	v_ashrrev_i32_e32 v2, 31, v5
	v_or_b32_e32 v6, 0x80000000, v2
	v_xor_b32_e32 v6, v6, v5
	v_xor_b32_e32 v2, v2, v4
	v_cndmask_b32_e32 v6, -1, v6, vcc
	v_cndmask_b32_e32 v2, -1, v2, vcc
	v_and_b32_e32 v7, v6, v31
	v_and_b32_e32 v6, v2, v30
	v_cmp_eq_u64_e32 vcc, v[6:7], v[28:29]
	s_and_b64 exec, exec, vcc
	s_cbranch_execz .LBB44_85
; %bb.90:                               ;   in Loop: Header=BB44_88 Depth=2
	v_mov_b32_e32 v2, v19
	ds_write_b128 v19, v[2:5] offset:3072
	s_branch .LBB44_85
.LBB44_91:                              ;   in Loop: Header=BB44_88 Depth=2
	s_mov_b64 s[78:79], -1
                                        ; implicit-def: $vgpr14_vgpr15
                                        ; implicit-def: $vgpr12_vgpr13
	s_mov_b64 s[2:3], -1
	s_branch .LBB44_87
.LBB44_92:                              ;   in Loop: Header=BB44_7 Depth=1
	s_or_b64 exec, exec, s[36:37]
	s_and_b64 s[36:37], s[56:57], exec
.LBB44_93:                              ;   in Loop: Header=BB44_7 Depth=1
	s_or_b64 exec, exec, s[10:11]
.LBB44_94:                              ;   in Loop: Header=BB44_7 Depth=1
	s_and_b64 vcc, exec, s[38:39]
	s_cbranch_vccz .LBB44_109
; %bb.95:                               ;   in Loop: Header=BB44_7 Depth=1
	v_readlane_b32 s2, v57, 16
	s_add_u32 s9, s26, s2
	v_readlane_b32 s2, v57, 17
	s_addc_u32 s23, s27, s2
	s_mov_b32 s22, s45
	s_cmp_lg_u64 s[22:23], 0
	s_cbranch_scc0 .LBB44_138
; %bb.96:                               ;   in Loop: Header=BB44_7 Depth=1
	s_add_u32 s2, s33, 0
	s_addc_u32 s3, 0, 0
	s_xor_b64 s[28:29], s[2:3], 0
	v_cvt_f32_u32_e32 v2, s28
	v_cvt_f32_u32_e32 v4, s29
	s_sub_u32 s10, 0, s28
	s_subb_u32 s11, 0, s29
	v_mac_f32_e32 v2, 0x4f800000, v4
	v_rcp_f32_e32 v2, v2
	v_mul_f32_e32 v2, 0x5f7ffffc, v2
	v_mul_f32_e32 v4, 0x2f800000, v2
	v_trunc_f32_e32 v4, v4
	v_mac_f32_e32 v2, 0xcf800000, v4
	v_cvt_u32_f32_e32 v4, v4
	v_cvt_u32_f32_e32 v2, v2
	v_readfirstlane_b32 s22, v4
	v_readfirstlane_b32 s2, v2
	s_mul_i32 s3, s10, s22
	s_mul_hi_u32 s39, s10, s2
	s_mul_i32 s38, s11, s2
	s_add_i32 s3, s39, s3
	s_mul_i32 s44, s10, s2
	s_add_i32 s3, s3, s38
	s_mul_i32 s39, s2, s3
	s_mul_hi_u32 s50, s2, s44
	s_mul_hi_u32 s38, s2, s3
	s_add_u32 s39, s50, s39
	s_addc_u32 s38, 0, s38
	s_mul_hi_u32 s54, s22, s44
	s_mul_i32 s44, s22, s44
	s_add_u32 s39, s39, s44
	s_mul_hi_u32 s50, s22, s3
	s_addc_u32 s38, s38, s54
	s_addc_u32 s39, s50, 0
	s_mul_i32 s3, s22, s3
	s_add_u32 s3, s38, s3
	s_addc_u32 s38, 0, s39
	s_add_u32 s39, s2, s3
	s_cselect_b64 s[2:3], -1, 0
	s_cmp_lg_u64 s[2:3], 0
	s_addc_u32 s22, s22, s38
	s_mul_i32 s2, s10, s22
	s_mul_hi_u32 s3, s10, s39
	s_add_i32 s2, s3, s2
	s_mul_i32 s11, s11, s39
	s_add_i32 s2, s2, s11
	s_mul_i32 s10, s10, s39
	s_mul_hi_u32 s11, s22, s10
	s_mul_i32 s38, s22, s10
	s_mul_i32 s50, s39, s2
	s_mul_hi_u32 s10, s39, s10
	s_mul_hi_u32 s44, s39, s2
	s_add_u32 s10, s10, s50
	s_addc_u32 s44, 0, s44
	s_add_u32 s10, s10, s38
	s_mul_hi_u32 s3, s22, s2
	s_addc_u32 s10, s44, s11
	s_addc_u32 s3, s3, 0
	s_mul_i32 s2, s22, s2
	s_add_u32 s2, s10, s2
	s_addc_u32 s10, 0, s3
	s_add_u32 s38, s39, s2
	s_cselect_b64 s[2:3], -1, 0
	s_cmp_lg_u64 s[2:3], 0
	s_addc_u32 s22, s22, s10
	s_ashr_i32 s10, s23, 31
	s_add_u32 s2, s9, s10
	s_mov_b32 s11, s10
	s_addc_u32 s3, s23, s10
	s_xor_b64 s[2:3], s[2:3], s[10:11]
	s_mul_i32 s44, s2, s22
	s_mul_hi_u32 s50, s2, s38
	s_mul_hi_u32 s39, s2, s22
	s_add_u32 s44, s50, s44
	s_addc_u32 s39, 0, s39
	s_mul_hi_u32 s54, s3, s38
	s_mul_i32 s38, s3, s38
	s_add_u32 s38, s44, s38
	s_mul_hi_u32 s50, s3, s22
	s_addc_u32 s38, s39, s54
	s_addc_u32 s39, s50, 0
	s_mul_i32 s22, s3, s22
	s_add_u32 s22, s38, s22
	s_addc_u32 s38, 0, s39
	s_mul_i32 s38, s28, s38
	s_mul_hi_u32 s39, s28, s22
	s_add_i32 s38, s39, s38
	s_mul_i32 s39, s29, s22
	s_add_i32 s44, s38, s39
	s_sub_i32 s50, s3, s44
	s_mul_i32 s22, s28, s22
	s_sub_u32 s2, s2, s22
	s_cselect_b64 s[38:39], -1, 0
	s_cmp_lg_u64 s[38:39], 0
	s_subb_u32 s22, s50, s29
	s_sub_u32 s50, s2, s28
	s_cselect_b64 s[54:55], -1, 0
	s_cmp_lg_u64 s[54:55], 0
	s_subb_u32 s56, s22, 0
	s_cmp_ge_u32 s56, s29
	s_cselect_b32 s57, -1, 0
	s_cmp_ge_u32 s50, s28
	s_cselect_b32 s78, -1, 0
	s_cmp_eq_u32 s56, s29
	s_cselect_b32 s57, s78, s57
	s_cmp_lg_u64 s[54:55], 0
	s_subb_u32 s22, s22, s29
	s_sub_u32 s78, s50, s28
	s_cselect_b64 s[54:55], -1, 0
	s_cmp_lg_u64 s[54:55], 0
	s_subb_u32 s22, s22, 0
	s_cmp_lg_u32 s57, 0
	s_cselect_b32 s50, s78, s50
	s_cselect_b32 s22, s22, s56
	s_cmp_lg_u64 s[38:39], 0
	s_subb_u32 s3, s3, s44
	s_cmp_ge_u32 s3, s29
	s_cselect_b32 s38, -1, 0
	s_cmp_ge_u32 s2, s28
	s_cselect_b32 s28, -1, 0
	s_cmp_eq_u32 s3, s29
	s_cselect_b32 s28, s28, s38
	s_cmp_lg_u32 s28, 0
	s_cselect_b32 s3, s22, s3
	s_cselect_b32 s2, s50, s2
	s_xor_b64 s[2:3], s[2:3], s[10:11]
	s_sub_u32 s2, s2, s10
	s_subb_u32 s3, s3, s10
	s_cbranch_execnz .LBB44_98
.LBB44_97:                              ;   in Loop: Header=BB44_7 Depth=1
	v_cvt_f32_u32_e32 v2, s33
	s_sub_i32 s2, 0, s33
	v_rcp_iflag_f32_e32 v2, v2
	v_mul_f32_e32 v2, 0x4f7ffffe, v2
	v_cvt_u32_f32_e32 v2, v2
	v_readfirstlane_b32 s3, v2
	s_mul_i32 s2, s2, s3
	s_mul_hi_u32 s2, s3, s2
	s_add_i32 s3, s3, s2
	s_mul_hi_u32 s2, s9, s3
	s_mul_i32 s2, s2, s33
	s_sub_i32 s2, s9, s2
	s_sub_i32 s3, s2, s33
	s_cmp_ge_u32 s2, s33
	s_cselect_b32 s2, s3, s2
	s_sub_i32 s3, s2, s33
	s_cmp_ge_u32 s2, s33
	s_cselect_b32 s44, s3, s2
	s_mov_b64 s[2:3], s[44:45]
.LBB44_98:                              ;   in Loop: Header=BB44_7 Depth=1
	s_sub_u32 s22, s9, s2
	s_subb_u32 s23, s23, s3
	v_cmp_gt_i64_e32 vcc, s[22:23], v[0:1]
                                        ; implicit-def: $vgpr6_vgpr7
	s_and_saveexec_b64 s[10:11], vcc
	s_cbranch_execz .LBB44_108
; %bb.99:                               ;   in Loop: Header=BB44_7 Depth=1
	v_mov_b32_e32 v13, v1
	s_mov_b64 s[38:39], 0
	v_mov_b32_e32 v14, v51
	v_mov_b32_e32 v12, v0
                                        ; implicit-def: $sgpr28_sgpr29
	s_branch .LBB44_103
.LBB44_100:                             ;   in Loop: Header=BB44_103 Depth=2
	s_or_b64 exec, exec, s[2:3]
	s_waitcnt lgkmcnt(0)
	s_barrier
	ds_read_b128 v[4:7], v19 offset:3072
	s_waitcnt lgkmcnt(0)
	s_barrier
	v_cmp_neq_f64_e32 vcc, 0, v[4:5]
	s_cbranch_vccnz .LBB44_106
; %bb.101:                              ;   in Loop: Header=BB44_103 Depth=2
	v_add_co_u32_e32 v12, vcc, s33, v12
	v_addc_co_u32_e32 v13, vcc, 0, v13, vcc
	v_cmp_le_i64_e32 vcc, s[22:23], v[12:13]
	v_add_u32_e32 v14, s0, v14
	s_mov_b64 s[2:3], 0
	s_orn2_b64 s[54:55], vcc, exec
.LBB44_102:                             ;   in Loop: Header=BB44_103 Depth=2
	s_and_b64 s[54:55], exec, s[54:55]
	s_or_b64 s[38:39], s[54:55], s[38:39]
	s_andn2_b64 s[28:29], s[28:29], exec
	s_and_b64 s[2:3], s[2:3], exec
	s_or_b64 s[28:29], s[28:29], s[2:3]
	s_andn2_b64 exec, exec, s[38:39]
	s_cbranch_execz .LBB44_107
.LBB44_103:                             ;   Parent Loop BB44_7 Depth=1
                                        ; =>  This Inner Loop Header: Depth=2
	v_cmp_gt_u64_e32 vcc, s[26:27], v[12:13]
	s_and_saveexec_b64 s[2:3], vcc
	s_cbranch_execz .LBB44_100
; %bb.104:                              ;   in Loop: Header=BB44_103 Depth=2
	ds_read_b64 v[4:5], v14
	s_waitcnt lgkmcnt(0)
	v_cmp_o_f64_e32 vcc, v[4:5], v[4:5]
	v_ashrrev_i32_e32 v2, 31, v5
	v_or_b32_e32 v6, 0x80000000, v2
	v_xor_b32_e32 v6, v6, v5
	v_xor_b32_e32 v2, v2, v4
	v_cndmask_b32_e32 v6, -1, v6, vcc
	v_cndmask_b32_e32 v2, -1, v2, vcc
	v_and_b32_e32 v7, v6, v31
	v_and_b32_e32 v6, v2, v30
	v_cmp_eq_u64_e32 vcc, v[6:7], v[28:29]
	s_and_b64 exec, exec, vcc
	s_cbranch_execz .LBB44_100
; %bb.105:                              ;   in Loop: Header=BB44_103 Depth=2
	v_mov_b32_e32 v2, v19
	ds_write_b128 v19, v[2:5] offset:3072
	s_branch .LBB44_100
.LBB44_106:                             ;   in Loop: Header=BB44_103 Depth=2
	s_mov_b64 s[54:55], -1
                                        ; implicit-def: $vgpr12_vgpr13
                                        ; implicit-def: $vgpr14
	s_mov_b64 s[2:3], -1
	s_branch .LBB44_102
.LBB44_107:                             ;   in Loop: Header=BB44_7 Depth=1
	s_or_b64 exec, exec, s[38:39]
	s_andn2_b64 s[2:3], s[36:37], exec
	s_and_b64 s[22:23], s[28:29], exec
	s_or_b64 s[36:37], s[2:3], s[22:23]
.LBB44_108:                             ;   in Loop: Header=BB44_7 Depth=1
	s_or_b64 exec, exec, s[10:11]
	s_mov_b64 s[22:23], 0
	s_mov_b64 s[28:29], -1
.LBB44_109:                             ;   in Loop: Header=BB44_7 Depth=1
	s_orn2_b64 s[10:11], s[36:37], exec
.LBB44_110:                             ;   in Loop: Header=BB44_7 Depth=1
	s_or_b64 exec, exec, s[16:17]
	s_andn2_b64 s[2:3], s[74:75], exec
	s_and_b64 s[16:17], s[28:29], exec
	s_or_b64 s[74:75], s[2:3], s[16:17]
	s_andn2_b64 s[2:3], s[72:73], exec
	s_and_b64 s[16:17], s[22:23], exec
	s_andn2_b64 s[70:71], s[70:71], exec
	s_or_b64 s[72:73], s[2:3], s[16:17]
                                        ; implicit-def: $vgpr12_vgpr13
	s_and_saveexec_b64 s[16:17], s[10:11]
	s_cbranch_execz .LBB44_6
; %bb.111:                              ;   in Loop: Header=BB44_7 Depth=1
	v_mov_b32_e32 v12, 1
	s_xor_b64 s[10:11], s[20:21], -1
	v_mov_b32_e32 v34, 1
	v_mov_b32_e32 v13, 0
	s_mov_b64 s[2:3], 0
	s_and_saveexec_b64 s[6:7], s[10:11]
	s_cbranch_execz .LBB44_120
; %bb.112:                              ;   in Loop: Header=BB44_7 Depth=1
	v_cmp_le_i64_e32 vcc, v[32:33], v[8:9]
	s_and_saveexec_b64 s[2:3], vcc
	s_xor_b64 s[10:11], exec, s[2:3]
	s_cbranch_execz .LBB44_117
; %bb.113:                              ;   in Loop: Header=BB44_7 Depth=1
	ds_read_b64 v[4:5], v19 offset:5120
	v_and_b32_e32 v29, s81, v29
	v_and_b32_e32 v28, s80, v28
	v_or_b32_e32 v31, s15, v31
	v_or_b32_e32 v30, s14, v30
	s_waitcnt lgkmcnt(0)
	v_cmp_ne_u64_e32 vcc, 0, v[4:5]
	s_cbranch_vccnz .LBB44_117
; %bb.114:                              ;   in Loop: Header=BB44_7 Depth=1
	s_and_saveexec_b64 s[2:3], s[94:95]
; %bb.115:                              ;   in Loop: Header=BB44_7 Depth=1
	ds_write_b64 v19, v[8:9] offset:5128
; %bb.116:                              ;   in Loop: Header=BB44_7 Depth=1
	s_or_b64 exec, exec, s[2:3]
	s_waitcnt lgkmcnt(0)
	s_barrier
.LBB44_117:                             ;   in Loop: Header=BB44_7 Depth=1
	s_or_saveexec_b64 s[2:3], s[10:11]
	s_mov_b64 s[10:11], 0
	v_mov_b32_e32 v34, 8
	s_xor_b64 exec, exec, s[2:3]
; %bb.118:                              ;   in Loop: Header=BB44_7 Depth=1
	v_sub_co_u32_e32 v32, vcc, v32, v8
	s_mov_b64 s[10:11], exec
	v_subb_co_u32_e32 v33, vcc, v33, v9, vcc
	v_mov_b32_e32 v34, 0
; %bb.119:                              ;   in Loop: Header=BB44_7 Depth=1
	s_or_b64 exec, exec, s[2:3]
	v_mov_b32_e32 v12, v32
	s_and_b64 s[2:3], s[10:11], exec
	v_mov_b32_e32 v13, v33
.LBB44_120:                             ;   in Loop: Header=BB44_7 Depth=1
	s_or_b64 exec, exec, s[6:7]
	s_mov_b64 s[20:21], -1
	s_mov_b64 s[10:11], -1
                                        ; implicit-def: $sgpr6_sgpr7
                                        ; implicit-def: $sgpr78_sgpr79
	s_and_saveexec_b64 s[22:23], s[2:3]
	s_xor_b64 s[26:27], exec, s[22:23]
	s_cbranch_execz .LBB44_268
; %bb.121:                              ;   in Loop: Header=BB44_7 Depth=1
	v_cmp_eq_u64_e32 vcc, 1, v[10:11]
	v_cmp_eq_u64_e64 s[6:7], 1, v[12:13]
	s_mov_b64 s[2:3], -1
	s_and_b64 s[84:85], vcc, s[6:7]
                                        ; implicit-def: $sgpr78_sgpr79
                                        ; implicit-def: $sgpr6_sgpr7
	s_and_saveexec_b64 s[82:83], s[84:85]
	s_cbranch_execz .LBB44_157
; %bb.122:                              ;   in Loop: Header=BB44_7 Depth=1
	ds_read_b64 v[4:5], v19 offset:5120
	s_waitcnt lgkmcnt(0)
	s_barrier
	v_readfirstlane_b32 s86, v4
	v_readfirstlane_b32 s87, v5
	s_and_saveexec_b64 s[2:3], s[18:19]
; %bb.123:                              ;   in Loop: Header=BB44_7 Depth=1
	v_mov_b32_e32 v18, v19
	ds_write_b64 v52, v[18:19]
; %bb.124:                              ;   in Loop: Header=BB44_7 Depth=1
	s_or_b64 exec, exec, s[2:3]
	s_lshl_b64 s[2:3], 1, s1
	v_and_b32_e32 v2, s81, v29
	v_and_b32_e32 v4, s80, v28
	v_or_b32_e32 v29, s3, v2
	v_or_b32_e32 v28, s2, v4
	v_cmp_gt_i64_e64 s[2:3], s[86:87], 0
	v_or_b32_e32 v31, s15, v31
	v_or_b32_e32 v30, s14, v30
	s_mov_b64 s[6:7], -1
	s_mov_b64 s[78:79], 0
	s_and_b64 vcc, exec, s[2:3]
	s_mov_b64 s[22:23], 0
	s_mov_b64 s[28:29], -1
	s_waitcnt lgkmcnt(0)
	s_barrier
                                        ; implicit-def: $vgpr6_vgpr7
	s_cbranch_vccnz .LBB44_141
; %bb.125:                              ;   in Loop: Header=BB44_7 Depth=1
	s_mov_b32 s50, s45
	s_cmp_lg_u64 s[50:51], 0
	s_cbranch_scc0 .LBB44_185
; %bb.126:                              ;   in Loop: Header=BB44_7 Depth=1
	s_add_u32 s2, s33, 0
	s_addc_u32 s3, 0, 0
	s_xor_b64 s[22:23], s[2:3], 0
	v_cvt_f32_u32_e32 v2, s22
	v_cvt_f32_u32_e32 v4, s23
	s_sub_u32 s9, 0, s22
	s_subb_u32 s10, 0, s23
	v_mac_f32_e32 v2, 0x4f800000, v4
	v_rcp_f32_e32 v2, v2
	v_mul_f32_e32 v2, 0x5f7ffffc, v2
	v_mul_f32_e32 v4, 0x2f800000, v2
	v_trunc_f32_e32 v4, v4
	v_mac_f32_e32 v2, 0xcf800000, v4
	v_cvt_u32_f32_e32 v4, v4
	v_cvt_u32_f32_e32 v2, v2
	v_readfirstlane_b32 s11, v4
	v_readfirstlane_b32 s2, v2
	s_mul_i32 s3, s9, s11
	s_mul_hi_u32 s29, s9, s2
	s_mul_i32 s28, s10, s2
	s_add_i32 s3, s29, s3
	s_mul_i32 s36, s9, s2
	s_add_i32 s3, s3, s28
	s_mul_i32 s29, s2, s3
	s_mul_hi_u32 s37, s2, s36
	s_mul_hi_u32 s28, s2, s3
	s_add_u32 s29, s37, s29
	s_addc_u32 s28, 0, s28
	s_mul_hi_u32 s38, s11, s36
	s_mul_i32 s36, s11, s36
	s_add_u32 s29, s29, s36
	s_mul_hi_u32 s37, s11, s3
	s_addc_u32 s28, s28, s38
	s_addc_u32 s29, s37, 0
	s_mul_i32 s3, s11, s3
	s_add_u32 s3, s28, s3
	s_addc_u32 s28, 0, s29
	s_add_u32 s29, s2, s3
	s_cselect_b64 s[2:3], -1, 0
	s_cmp_lg_u64 s[2:3], 0
	s_addc_u32 s11, s11, s28
	s_mul_i32 s2, s9, s11
	s_mul_hi_u32 s3, s9, s29
	s_add_i32 s2, s3, s2
	s_mul_i32 s10, s10, s29
	s_add_i32 s2, s2, s10
	s_mul_i32 s9, s9, s29
	s_mul_hi_u32 s10, s11, s9
	s_mul_i32 s28, s11, s9
	s_mul_i32 s37, s29, s2
	s_mul_hi_u32 s9, s29, s9
	s_mul_hi_u32 s36, s29, s2
	s_add_u32 s9, s9, s37
	s_addc_u32 s36, 0, s36
	s_add_u32 s9, s9, s28
	s_mul_hi_u32 s3, s11, s2
	s_addc_u32 s9, s36, s10
	s_addc_u32 s3, s3, 0
	s_mul_i32 s2, s11, s2
	s_add_u32 s2, s9, s2
	s_addc_u32 s9, 0, s3
	s_add_u32 s28, s29, s2
	s_cselect_b64 s[2:3], -1, 0
	s_cmp_lg_u64 s[2:3], 0
	s_addc_u32 s9, s11, s9
	s_ashr_i32 s10, s51, 31
	s_add_u32 s2, s35, s10
	s_mov_b32 s11, s10
	s_addc_u32 s3, s51, s10
	s_xor_b64 s[2:3], s[2:3], s[10:11]
	s_mul_i32 s36, s2, s9
	s_mul_hi_u32 s37, s2, s28
	s_mul_hi_u32 s29, s2, s9
	s_add_u32 s36, s37, s36
	s_addc_u32 s29, 0, s29
	s_mul_hi_u32 s38, s3, s28
	s_mul_i32 s28, s3, s28
	s_add_u32 s28, s36, s28
	s_mul_hi_u32 s37, s3, s9
	s_addc_u32 s28, s29, s38
	s_addc_u32 s29, s37, 0
	s_mul_i32 s9, s3, s9
	s_add_u32 s9, s28, s9
	s_addc_u32 s28, 0, s29
	s_mul_i32 s28, s22, s28
	s_mul_hi_u32 s29, s22, s9
	s_add_i32 s28, s29, s28
	s_mul_i32 s29, s23, s9
	s_add_i32 s38, s28, s29
	s_sub_i32 s36, s3, s38
	s_mul_i32 s9, s22, s9
	s_sub_u32 s2, s2, s9
	s_cselect_b64 s[28:29], -1, 0
	s_cmp_lg_u64 s[28:29], 0
	s_subb_u32 s9, s36, s23
	s_sub_u32 s39, s2, s22
	s_cselect_b64 s[36:37], -1, 0
	s_cmp_lg_u64 s[36:37], 0
	s_subb_u32 s44, s9, 0
	s_cmp_ge_u32 s44, s23
	s_cselect_b32 s50, -1, 0
	s_cmp_ge_u32 s39, s22
	s_cselect_b32 s54, -1, 0
	s_cmp_eq_u32 s44, s23
	s_cselect_b32 s50, s54, s50
	s_cmp_lg_u64 s[36:37], 0
	s_subb_u32 s9, s9, s23
	s_sub_u32 s54, s39, s22
	s_cselect_b64 s[36:37], -1, 0
	s_cmp_lg_u64 s[36:37], 0
	s_subb_u32 s9, s9, 0
	s_cmp_lg_u32 s50, 0
	s_cselect_b32 s36, s54, s39
	s_cselect_b32 s9, s9, s44
	s_cmp_lg_u64 s[28:29], 0
	s_subb_u32 s3, s3, s38
	s_cmp_ge_u32 s3, s23
	s_cselect_b32 s28, -1, 0
	s_cmp_ge_u32 s2, s22
	s_cselect_b32 s22, -1, 0
	s_cmp_eq_u32 s3, s23
	s_cselect_b32 s22, s22, s28
	s_cmp_lg_u32 s22, 0
	s_cselect_b32 s3, s9, s3
	s_cselect_b32 s2, s36, s2
	s_xor_b64 s[2:3], s[2:3], s[10:11]
	s_sub_u32 s2, s2, s10
	s_subb_u32 s3, s3, s10
	s_cbranch_execnz .LBB44_128
.LBB44_127:                             ;   in Loop: Header=BB44_7 Depth=1
	v_cvt_f32_u32_e32 v2, s33
	s_sub_i32 s2, 0, s33
	v_rcp_iflag_f32_e32 v2, v2
	v_mul_f32_e32 v2, 0x4f7ffffe, v2
	v_cvt_u32_f32_e32 v2, v2
	v_readfirstlane_b32 s3, v2
	s_mul_i32 s2, s2, s3
	s_mul_hi_u32 s2, s3, s2
	s_add_i32 s3, s3, s2
	s_mul_hi_u32 s2, s35, s3
	s_mul_i32 s2, s2, s33
	s_sub_i32 s2, s35, s2
	s_sub_i32 s3, s2, s33
	s_cmp_ge_u32 s2, s33
	s_cselect_b32 s2, s3, s2
	s_sub_i32 s3, s2, s33
	s_cmp_ge_u32 s2, s33
	s_cselect_b32 s44, s3, s2
	s_mov_b64 s[2:3], s[44:45]
.LBB44_128:                             ;   in Loop: Header=BB44_7 Depth=1
	s_sub_u32 s10, s35, s2
	s_subb_u32 s11, s51, s3
	v_cmp_gt_i64_e32 vcc, s[10:11], v[0:1]
	s_mov_b64 s[28:29], 0
	s_mov_b64 s[22:23], 0
                                        ; implicit-def: $vgpr6_vgpr7
	s_and_saveexec_b64 s[36:37], vcc
	s_cbranch_execz .LBB44_140
; %bb.129:                              ;   in Loop: Header=BB44_7 Depth=1
	v_mov_b32_e32 v8, v16
	v_mov_b32_e32 v15, v1
	;; [unrolled: 1-line block ×4, first 2 shown]
                                        ; implicit-def: $sgpr38_sgpr39
	s_branch .LBB44_133
.LBB44_130:                             ;   in Loop: Header=BB44_133 Depth=2
	s_or_b64 exec, exec, s[54:55]
	s_waitcnt lgkmcnt(0)
	s_barrier
	ds_read_b128 v[4:7], v19 offset:3072
	s_waitcnt lgkmcnt(0)
	s_barrier
	v_cmp_neq_f64_e32 vcc, 0, v[4:5]
	s_cbranch_vccnz .LBB44_136
; %bb.131:                              ;   in Loop: Header=BB44_133 Depth=2
	v_add_co_u32_e32 v14, vcc, s33, v14
	v_addc_co_u32_e32 v15, vcc, 0, v15, vcc
	v_mov_b32_e32 v2, s41
	v_add_co_u32_e32 v8, vcc, s40, v8
	v_addc_co_u32_e32 v9, vcc, v9, v2, vcc
	v_cmp_le_i64_e32 vcc, s[10:11], v[14:15]
	s_mov_b64 s[2:3], 0
	s_orn2_b64 s[54:55], vcc, exec
.LBB44_132:                             ;   in Loop: Header=BB44_133 Depth=2
	s_and_b64 s[54:55], exec, s[54:55]
	s_or_b64 s[22:23], s[54:55], s[22:23]
	s_andn2_b64 s[38:39], s[38:39], exec
	s_and_b64 s[2:3], s[2:3], exec
	s_or_b64 s[38:39], s[38:39], s[2:3]
	s_andn2_b64 exec, exec, s[22:23]
	s_cbranch_execz .LBB44_139
.LBB44_133:                             ;   Parent Loop BB44_7 Depth=1
                                        ; =>  This Inner Loop Header: Depth=2
	v_cmp_gt_i64_e32 vcc, s[24:25], v[14:15]
	s_and_saveexec_b64 s[54:55], vcc
	s_cbranch_execz .LBB44_130
; %bb.134:                              ;   in Loop: Header=BB44_133 Depth=2
	global_load_dwordx2 v[4:5], v[8:9], off
	s_waitcnt vmcnt(0)
	v_cmp_o_f64_e32 vcc, v[4:5], v[4:5]
	v_ashrrev_i32_e32 v2, 31, v5
	v_or_b32_e32 v6, 0x80000000, v2
	v_xor_b32_e32 v6, v6, v5
	v_xor_b32_e32 v2, v2, v4
	v_cndmask_b32_e32 v6, -1, v6, vcc
	v_cndmask_b32_e32 v2, -1, v2, vcc
	v_and_b32_e32 v7, v6, v31
	v_and_b32_e32 v6, v2, v30
	v_cmp_eq_u64_e32 vcc, v[6:7], v[28:29]
	s_and_b64 exec, exec, vcc
	s_cbranch_execz .LBB44_130
; %bb.135:                              ;   in Loop: Header=BB44_133 Depth=2
	v_mov_b32_e32 v2, v19
	ds_write_b128 v19, v[2:5] offset:3072
	s_branch .LBB44_130
.LBB44_136:                             ;   in Loop: Header=BB44_133 Depth=2
	s_mov_b64 s[54:55], -1
                                        ; implicit-def: $vgpr14_vgpr15
                                        ; implicit-def: $vgpr8_vgpr9
	s_mov_b64 s[2:3], -1
	s_branch .LBB44_132
.LBB44_137:                             ;   in Loop: Header=BB44_7 Depth=1
                                        ; implicit-def: $sgpr2_sgpr3
	s_andn2_b64 vcc, exec, s[10:11]
	s_cbranch_vccz .LBB44_82
	s_branch .LBB44_83
.LBB44_138:                             ;   in Loop: Header=BB44_7 Depth=1
                                        ; implicit-def: $sgpr2_sgpr3
	s_branch .LBB44_97
.LBB44_139:                             ;   in Loop: Header=BB44_7 Depth=1
	s_or_b64 exec, exec, s[22:23]
	s_and_b64 s[22:23], s[38:39], exec
.LBB44_140:                             ;   in Loop: Header=BB44_7 Depth=1
	s_or_b64 exec, exec, s[36:37]
.LBB44_141:                             ;   in Loop: Header=BB44_7 Depth=1
	s_and_b64 vcc, exec, s[28:29]
	s_cbranch_vccz .LBB44_156
; %bb.142:                              ;   in Loop: Header=BB44_7 Depth=1
	v_readlane_b32 s2, v57, 16
	s_add_u32 s9, s86, s2
	v_readlane_b32 s2, v57, 17
	s_addc_u32 s7, s87, s2
	s_mov_b32 s6, s45
	s_cmp_lg_u64 s[6:7], 0
	s_cbranch_scc0 .LBB44_186
; %bb.143:                              ;   in Loop: Header=BB44_7 Depth=1
	s_add_u32 s2, s33, 0
	s_addc_u32 s3, 0, 0
	s_xor_b64 s[28:29], s[2:3], 0
	v_cvt_f32_u32_e32 v2, s28
	v_cvt_f32_u32_e32 v4, s29
	s_sub_u32 s6, 0, s28
	s_subb_u32 s10, 0, s29
	v_mac_f32_e32 v2, 0x4f800000, v4
	v_rcp_f32_e32 v2, v2
	v_mul_f32_e32 v2, 0x5f7ffffc, v2
	v_mul_f32_e32 v4, 0x2f800000, v2
	v_trunc_f32_e32 v4, v4
	v_mac_f32_e32 v2, 0xcf800000, v4
	v_cvt_u32_f32_e32 v4, v4
	v_cvt_u32_f32_e32 v2, v2
	v_readfirstlane_b32 s11, v4
	v_readfirstlane_b32 s2, v2
	s_mul_i32 s3, s6, s11
	s_mul_hi_u32 s37, s6, s2
	s_mul_i32 s36, s10, s2
	s_add_i32 s3, s37, s3
	s_mul_i32 s38, s6, s2
	s_add_i32 s3, s3, s36
	s_mul_i32 s37, s2, s3
	s_mul_hi_u32 s39, s2, s38
	s_mul_hi_u32 s36, s2, s3
	s_add_u32 s37, s39, s37
	s_addc_u32 s36, 0, s36
	s_mul_hi_u32 s44, s11, s38
	s_mul_i32 s38, s11, s38
	s_add_u32 s37, s37, s38
	s_mul_hi_u32 s39, s11, s3
	s_addc_u32 s36, s36, s44
	s_addc_u32 s37, s39, 0
	s_mul_i32 s3, s11, s3
	s_add_u32 s3, s36, s3
	s_addc_u32 s36, 0, s37
	s_add_u32 s37, s2, s3
	s_cselect_b64 s[2:3], -1, 0
	s_cmp_lg_u64 s[2:3], 0
	s_addc_u32 s11, s11, s36
	s_mul_i32 s2, s6, s11
	s_mul_hi_u32 s3, s6, s37
	s_add_i32 s2, s3, s2
	s_mul_i32 s10, s10, s37
	s_add_i32 s2, s2, s10
	s_mul_i32 s6, s6, s37
	s_mul_hi_u32 s10, s11, s6
	s_mul_i32 s36, s11, s6
	s_mul_i32 s39, s37, s2
	s_mul_hi_u32 s6, s37, s6
	s_mul_hi_u32 s38, s37, s2
	s_add_u32 s6, s6, s39
	s_addc_u32 s38, 0, s38
	s_add_u32 s6, s6, s36
	s_mul_hi_u32 s3, s11, s2
	s_addc_u32 s6, s38, s10
	s_addc_u32 s3, s3, 0
	s_mul_i32 s2, s11, s2
	s_add_u32 s2, s6, s2
	s_addc_u32 s6, 0, s3
	s_add_u32 s36, s37, s2
	s_cselect_b64 s[2:3], -1, 0
	s_cmp_lg_u64 s[2:3], 0
	s_addc_u32 s6, s11, s6
	s_ashr_i32 s10, s7, 31
	s_add_u32 s2, s9, s10
	s_mov_b32 s11, s10
	s_addc_u32 s3, s7, s10
	s_xor_b64 s[2:3], s[2:3], s[10:11]
	s_mul_i32 s38, s2, s6
	s_mul_hi_u32 s39, s2, s36
	s_mul_hi_u32 s37, s2, s6
	s_add_u32 s38, s39, s38
	s_addc_u32 s37, 0, s37
	s_mul_hi_u32 s44, s3, s36
	s_mul_i32 s36, s3, s36
	s_add_u32 s36, s38, s36
	s_mul_hi_u32 s39, s3, s6
	s_addc_u32 s36, s37, s44
	s_addc_u32 s37, s39, 0
	s_mul_i32 s6, s3, s6
	s_add_u32 s6, s36, s6
	s_addc_u32 s36, 0, s37
	s_mul_i32 s36, s28, s36
	s_mul_hi_u32 s37, s28, s6
	s_add_i32 s36, s37, s36
	s_mul_i32 s37, s29, s6
	s_add_i32 s44, s36, s37
	s_sub_i32 s38, s3, s44
	s_mul_i32 s6, s28, s6
	s_sub_u32 s2, s2, s6
	s_cselect_b64 s[36:37], -1, 0
	s_cmp_lg_u64 s[36:37], 0
	s_subb_u32 s6, s38, s29
	s_sub_u32 s50, s2, s28
	s_cselect_b64 s[38:39], -1, 0
	s_cmp_lg_u64 s[38:39], 0
	s_subb_u32 s54, s6, 0
	s_cmp_ge_u32 s54, s29
	s_cselect_b32 s55, -1, 0
	s_cmp_ge_u32 s50, s28
	s_cselect_b32 s56, -1, 0
	s_cmp_eq_u32 s54, s29
	s_cselect_b32 s55, s56, s55
	s_cmp_lg_u64 s[38:39], 0
	s_subb_u32 s6, s6, s29
	s_sub_u32 s56, s50, s28
	s_cselect_b64 s[38:39], -1, 0
	s_cmp_lg_u64 s[38:39], 0
	s_subb_u32 s6, s6, 0
	s_cmp_lg_u32 s55, 0
	s_cselect_b32 s38, s56, s50
	s_cselect_b32 s6, s6, s54
	s_cmp_lg_u64 s[36:37], 0
	s_subb_u32 s3, s3, s44
	s_cmp_ge_u32 s3, s29
	s_cselect_b32 s36, -1, 0
	s_cmp_ge_u32 s2, s28
	s_cselect_b32 s28, -1, 0
	s_cmp_eq_u32 s3, s29
	s_cselect_b32 s28, s28, s36
	s_cmp_lg_u32 s28, 0
	s_cselect_b32 s3, s6, s3
	s_cselect_b32 s2, s38, s2
	s_xor_b64 s[2:3], s[2:3], s[10:11]
	s_sub_u32 s2, s2, s10
	s_subb_u32 s3, s3, s10
	s_cbranch_execnz .LBB44_145
.LBB44_144:                             ;   in Loop: Header=BB44_7 Depth=1
	v_cvt_f32_u32_e32 v2, s33
	s_sub_i32 s2, 0, s33
	v_rcp_iflag_f32_e32 v2, v2
	v_mul_f32_e32 v2, 0x4f7ffffe, v2
	v_cvt_u32_f32_e32 v2, v2
	v_readfirstlane_b32 s3, v2
	s_mul_i32 s2, s2, s3
	s_mul_hi_u32 s2, s3, s2
	s_add_i32 s3, s3, s2
	s_mul_hi_u32 s2, s9, s3
	s_mul_i32 s2, s2, s33
	s_sub_i32 s2, s9, s2
	s_sub_i32 s3, s2, s33
	s_cmp_ge_u32 s2, s33
	s_cselect_b32 s2, s3, s2
	s_sub_i32 s3, s2, s33
	s_cmp_ge_u32 s2, s33
	s_cselect_b32 s44, s3, s2
	s_mov_b64 s[2:3], s[44:45]
.LBB44_145:                             ;   in Loop: Header=BB44_7 Depth=1
	s_sub_u32 s10, s9, s2
	s_subb_u32 s11, s7, s3
	v_cmp_gt_i64_e32 vcc, s[10:11], v[0:1]
                                        ; implicit-def: $vgpr6_vgpr7
	s_and_saveexec_b64 s[6:7], vcc
	s_cbranch_execz .LBB44_155
; %bb.146:                              ;   in Loop: Header=BB44_7 Depth=1
	v_mov_b32_e32 v9, v1
	s_mov_b64 s[28:29], 0
	v_mov_b32_e32 v14, v51
	v_mov_b32_e32 v8, v0
                                        ; implicit-def: $sgpr36_sgpr37
	s_branch .LBB44_150
.LBB44_147:                             ;   in Loop: Header=BB44_150 Depth=2
	s_or_b64 exec, exec, s[38:39]
	s_waitcnt lgkmcnt(0)
	s_barrier
	ds_read_b128 v[4:7], v19 offset:3072
	s_waitcnt lgkmcnt(0)
	s_barrier
	v_cmp_eq_f64_e32 vcc, 0, v[4:5]
	s_cbranch_vccz .LBB44_153
; %bb.148:                              ;   in Loop: Header=BB44_150 Depth=2
	v_add_co_u32_e32 v8, vcc, s33, v8
	v_addc_co_u32_e32 v9, vcc, 0, v9, vcc
	v_cmp_le_i64_e32 vcc, s[10:11], v[8:9]
	v_add_u32_e32 v14, s0, v14
	s_mov_b64 s[2:3], 0
	s_orn2_b64 s[38:39], vcc, exec
.LBB44_149:                             ;   in Loop: Header=BB44_150 Depth=2
	s_and_b64 s[38:39], exec, s[38:39]
	s_or_b64 s[28:29], s[38:39], s[28:29]
	s_andn2_b64 s[36:37], s[36:37], exec
	s_and_b64 s[2:3], s[2:3], exec
	s_or_b64 s[36:37], s[36:37], s[2:3]
	s_andn2_b64 exec, exec, s[28:29]
	s_cbranch_execz .LBB44_154
.LBB44_150:                             ;   Parent Loop BB44_7 Depth=1
                                        ; =>  This Inner Loop Header: Depth=2
	v_cmp_gt_u64_e32 vcc, s[86:87], v[8:9]
	s_and_saveexec_b64 s[38:39], vcc
	s_cbranch_execz .LBB44_147
; %bb.151:                              ;   in Loop: Header=BB44_150 Depth=2
	ds_read_b64 v[4:5], v14
	s_waitcnt lgkmcnt(0)
	v_cmp_o_f64_e32 vcc, v[4:5], v[4:5]
	v_ashrrev_i32_e32 v2, 31, v5
	v_or_b32_e32 v6, 0x80000000, v2
	v_xor_b32_e32 v6, v6, v5
	v_xor_b32_e32 v2, v2, v4
	v_cndmask_b32_e32 v6, -1, v6, vcc
	v_cndmask_b32_e32 v2, -1, v2, vcc
	v_and_b32_e32 v7, v6, v31
	v_and_b32_e32 v6, v2, v30
	v_cmp_eq_u64_e32 vcc, v[6:7], v[28:29]
	s_and_b64 exec, exec, vcc
	s_cbranch_execz .LBB44_147
; %bb.152:                              ;   in Loop: Header=BB44_150 Depth=2
	v_mov_b32_e32 v2, v19
	ds_write_b128 v19, v[2:5] offset:3072
	s_branch .LBB44_147
.LBB44_153:                             ;   in Loop: Header=BB44_150 Depth=2
	s_mov_b64 s[38:39], -1
                                        ; implicit-def: $vgpr8_vgpr9
                                        ; implicit-def: $vgpr14
	s_mov_b64 s[2:3], -1
	s_branch .LBB44_149
.LBB44_154:                             ;   in Loop: Header=BB44_7 Depth=1
	s_or_b64 exec, exec, s[28:29]
	s_andn2_b64 s[2:3], s[22:23], exec
	s_and_b64 s[10:11], s[36:37], exec
	s_or_b64 s[22:23], s[2:3], s[10:11]
.LBB44_155:                             ;   in Loop: Header=BB44_7 Depth=1
	s_or_b64 exec, exec, s[6:7]
	s_mov_b64 s[6:7], 0
	s_mov_b64 s[78:79], -1
.LBB44_156:                             ;   in Loop: Header=BB44_7 Depth=1
	s_orn2_b64 s[2:3], s[22:23], exec
.LBB44_157:                             ;   in Loop: Header=BB44_7 Depth=1
	s_or_b64 exec, exec, s[82:83]
	s_mov_b64 s[10:11], 0
	s_and_saveexec_b64 s[82:83], s[2:3]
	s_cbranch_execz .LBB44_267
; %bb.158:                              ;   in Loop: Header=BB44_7 Depth=1
	v_mov_b32_e32 v8, 1
	s_xor_b64 s[22:23], s[84:85], -1
	v_mov_b32_e32 v34, 1
	v_mov_b32_e32 v9, 0
	s_mov_b64 s[2:3], 0
	s_and_saveexec_b64 s[10:11], s[22:23]
	s_cbranch_execz .LBB44_168
; %bb.159:                              ;   in Loop: Header=BB44_7 Depth=1
	v_cmp_le_i64_e32 vcc, v[12:13], v[10:11]
	s_and_saveexec_b64 s[2:3], vcc
	s_xor_b64 s[22:23], exec, s[2:3]
	s_cbranch_execz .LBB44_165
; %bb.160:                              ;   in Loop: Header=BB44_7 Depth=1
	ds_read_b64 v[4:5], v19 offset:5120
	s_lshl_b64 s[2:3], 1, s1
	v_and_b32_e32 v2, s81, v29
	v_and_b32_e32 v8, s80, v28
	v_or_b32_e32 v29, s3, v2
	s_waitcnt lgkmcnt(0)
	v_cmp_ne_u64_e32 vcc, 0, v[4:5]
	v_or_b32_e32 v28, s2, v8
	v_or_b32_e32 v31, s15, v31
	;; [unrolled: 1-line block ×3, first 2 shown]
	s_cbranch_vccnz .LBB44_164
; %bb.161:                              ;   in Loop: Header=BB44_7 Depth=1
	s_and_saveexec_b64 s[2:3], s[94:95]
; %bb.162:                              ;   in Loop: Header=BB44_7 Depth=1
	ds_write_b64 v19, v[10:11] offset:5128
; %bb.163:                              ;   in Loop: Header=BB44_7 Depth=1
	s_or_b64 exec, exec, s[2:3]
	s_waitcnt lgkmcnt(0)
	s_barrier
.LBB44_164:                             ;   in Loop: Header=BB44_7 Depth=1
                                        ; implicit-def: $vgpr8_vgpr9_vgpr10_vgpr11
.LBB44_165:                             ;   in Loop: Header=BB44_7 Depth=1
	s_or_saveexec_b64 s[2:3], s[22:23]
	s_mov_b64 s[22:23], 0
	v_mov_b32_e32 v34, 8
	s_xor_b64 exec, exec, s[2:3]
; %bb.166:                              ;   in Loop: Header=BB44_7 Depth=1
	v_sub_co_u32_e32 v12, vcc, v12, v10
	s_mov_b64 s[22:23], exec
	v_subb_co_u32_e32 v13, vcc, v13, v11, vcc
	v_mov_b32_e32 v34, 0
; %bb.167:                              ;   in Loop: Header=BB44_7 Depth=1
	s_or_b64 exec, exec, s[2:3]
	v_mov_b32_e32 v8, v12
	s_and_b64 s[2:3], s[22:23], exec
	v_mov_b32_e32 v9, v13
.LBB44_168:                             ;   in Loop: Header=BB44_7 Depth=1
	s_or_b64 exec, exec, s[10:11]
	s_mov_b64 s[10:11], -1
                                        ; implicit-def: $sgpr86_sgpr87
                                        ; implicit-def: $sgpr88_sgpr89
	s_and_saveexec_b64 s[84:85], s[2:3]
	s_cbranch_execz .LBB44_266
; %bb.169:                              ;   in Loop: Header=BB44_7 Depth=1
	s_cmp_eq_u64 s[76:77], 1
	v_cmp_eq_u64_e32 vcc, 1, v[8:9]
	s_cselect_b64 s[2:3], -1, 0
	s_and_b64 s[92:93], s[2:3], vcc
	s_mov_b64 s[2:3], -1
                                        ; implicit-def: $sgpr88_sgpr89
                                        ; implicit-def: $sgpr86_sgpr87
	s_and_saveexec_b64 s[90:91], s[92:93]
	s_cbranch_execz .LBB44_205
; %bb.170:                              ;   in Loop: Header=BB44_7 Depth=1
	ds_read_b64 v[4:5], v19 offset:5120
	s_mov_b64 s[48:49], s[94:95]
	s_waitcnt lgkmcnt(0)
	s_barrier
	v_readfirstlane_b32 s94, v4
	v_readfirstlane_b32 s95, v5
	s_and_saveexec_b64 s[2:3], s[18:19]
; %bb.171:                              ;   in Loop: Header=BB44_7 Depth=1
	v_mov_b32_e32 v18, v19
	ds_write_b64 v52, v[18:19]
; %bb.172:                              ;   in Loop: Header=BB44_7 Depth=1
	s_or_b64 exec, exec, s[2:3]
	s_lshl_b64 s[2:3], 2, s1
	v_and_b32_e32 v2, s81, v29
	v_and_b32_e32 v4, s80, v28
	v_or_b32_e32 v29, s3, v2
	v_or_b32_e32 v28, s2, v4
	v_cmp_gt_i64_e64 s[2:3], s[94:95], 0
	v_or_b32_e32 v31, s15, v31
	v_or_b32_e32 v30, s14, v30
	s_mov_b64 s[86:87], -1
	s_mov_b64 s[88:89], 0
	s_and_b64 vcc, exec, s[2:3]
	s_mov_b64 s[22:23], 0
	s_mov_b64 s[28:29], -1
	s_waitcnt lgkmcnt(0)
	s_barrier
                                        ; implicit-def: $vgpr6_vgpr7
	s_cbranch_vccnz .LBB44_189
; %bb.173:                              ;   in Loop: Header=BB44_7 Depth=1
	s_mov_b32 s50, s45
	s_cmp_lg_u64 s[50:51], 0
	s_cbranch_scc0 .LBB44_232
; %bb.174:                              ;   in Loop: Header=BB44_7 Depth=1
	s_add_u32 s2, s33, 0
	s_addc_u32 s3, 0, 0
	s_xor_b64 s[22:23], s[2:3], 0
	v_cvt_f32_u32_e32 v2, s22
	v_cvt_f32_u32_e32 v4, s23
	s_sub_u32 s9, 0, s22
	s_subb_u32 s10, 0, s23
	v_mac_f32_e32 v2, 0x4f800000, v4
	v_rcp_f32_e32 v2, v2
	v_mul_f32_e32 v2, 0x5f7ffffc, v2
	v_mul_f32_e32 v4, 0x2f800000, v2
	v_trunc_f32_e32 v4, v4
	v_mac_f32_e32 v2, 0xcf800000, v4
	v_cvt_u32_f32_e32 v4, v4
	v_cvt_u32_f32_e32 v2, v2
	v_readfirstlane_b32 s11, v4
	v_readfirstlane_b32 s2, v2
	s_mul_i32 s3, s9, s11
	s_mul_hi_u32 s29, s9, s2
	s_mul_i32 s28, s10, s2
	s_add_i32 s3, s29, s3
	s_mul_i32 s36, s9, s2
	s_add_i32 s3, s3, s28
	s_mul_i32 s29, s2, s3
	s_mul_hi_u32 s37, s2, s36
	s_mul_hi_u32 s28, s2, s3
	s_add_u32 s29, s37, s29
	s_addc_u32 s28, 0, s28
	s_mul_hi_u32 s38, s11, s36
	s_mul_i32 s36, s11, s36
	s_add_u32 s29, s29, s36
	s_mul_hi_u32 s37, s11, s3
	s_addc_u32 s28, s28, s38
	s_addc_u32 s29, s37, 0
	s_mul_i32 s3, s11, s3
	s_add_u32 s3, s28, s3
	s_addc_u32 s28, 0, s29
	s_add_u32 s29, s2, s3
	s_cselect_b64 s[2:3], -1, 0
	s_cmp_lg_u64 s[2:3], 0
	s_addc_u32 s11, s11, s28
	s_mul_i32 s2, s9, s11
	s_mul_hi_u32 s3, s9, s29
	s_add_i32 s2, s3, s2
	s_mul_i32 s10, s10, s29
	s_add_i32 s2, s2, s10
	s_mul_i32 s9, s9, s29
	s_mul_hi_u32 s10, s11, s9
	s_mul_i32 s28, s11, s9
	s_mul_i32 s37, s29, s2
	s_mul_hi_u32 s9, s29, s9
	s_mul_hi_u32 s36, s29, s2
	s_add_u32 s9, s9, s37
	s_addc_u32 s36, 0, s36
	s_add_u32 s9, s9, s28
	s_mul_hi_u32 s3, s11, s2
	s_addc_u32 s9, s36, s10
	s_addc_u32 s3, s3, 0
	s_mul_i32 s2, s11, s2
	s_add_u32 s2, s9, s2
	s_addc_u32 s9, 0, s3
	s_add_u32 s28, s29, s2
	s_cselect_b64 s[2:3], -1, 0
	s_cmp_lg_u64 s[2:3], 0
	s_addc_u32 s9, s11, s9
	s_ashr_i32 s10, s51, 31
	s_add_u32 s2, s35, s10
	s_mov_b32 s11, s10
	s_addc_u32 s3, s51, s10
	s_xor_b64 s[2:3], s[2:3], s[10:11]
	s_mul_i32 s36, s2, s9
	s_mul_hi_u32 s37, s2, s28
	s_mul_hi_u32 s29, s2, s9
	s_add_u32 s36, s37, s36
	s_addc_u32 s29, 0, s29
	s_mul_hi_u32 s38, s3, s28
	s_mul_i32 s28, s3, s28
	s_add_u32 s28, s36, s28
	s_mul_hi_u32 s37, s3, s9
	s_addc_u32 s28, s29, s38
	s_addc_u32 s29, s37, 0
	s_mul_i32 s9, s3, s9
	s_add_u32 s9, s28, s9
	s_addc_u32 s28, 0, s29
	s_mul_i32 s28, s22, s28
	s_mul_hi_u32 s29, s22, s9
	s_add_i32 s28, s29, s28
	s_mul_i32 s29, s23, s9
	s_add_i32 s38, s28, s29
	s_sub_i32 s36, s3, s38
	s_mul_i32 s9, s22, s9
	s_sub_u32 s2, s2, s9
	s_cselect_b64 s[28:29], -1, 0
	s_cmp_lg_u64 s[28:29], 0
	s_subb_u32 s9, s36, s23
	s_sub_u32 s39, s2, s22
	s_cselect_b64 s[36:37], -1, 0
	s_cmp_lg_u64 s[36:37], 0
	s_subb_u32 s44, s9, 0
	s_cmp_ge_u32 s44, s23
	s_cselect_b32 s50, -1, 0
	s_cmp_ge_u32 s39, s22
	s_cselect_b32 s54, -1, 0
	s_cmp_eq_u32 s44, s23
	s_cselect_b32 s50, s54, s50
	s_cmp_lg_u64 s[36:37], 0
	s_subb_u32 s9, s9, s23
	s_sub_u32 s54, s39, s22
	s_cselect_b64 s[36:37], -1, 0
	s_cmp_lg_u64 s[36:37], 0
	s_subb_u32 s9, s9, 0
	s_cmp_lg_u32 s50, 0
	s_cselect_b32 s36, s54, s39
	s_cselect_b32 s9, s9, s44
	s_cmp_lg_u64 s[28:29], 0
	s_subb_u32 s3, s3, s38
	s_cmp_ge_u32 s3, s23
	s_cselect_b32 s28, -1, 0
	s_cmp_ge_u32 s2, s22
	s_cselect_b32 s22, -1, 0
	s_cmp_eq_u32 s3, s23
	s_cselect_b32 s22, s22, s28
	s_cmp_lg_u32 s22, 0
	s_cselect_b32 s3, s9, s3
	s_cselect_b32 s2, s36, s2
	s_xor_b64 s[2:3], s[2:3], s[10:11]
	s_sub_u32 s2, s2, s10
	s_subb_u32 s3, s3, s10
	s_cbranch_execnz .LBB44_176
.LBB44_175:                             ;   in Loop: Header=BB44_7 Depth=1
	v_cvt_f32_u32_e32 v2, s33
	s_sub_i32 s2, 0, s33
	v_rcp_iflag_f32_e32 v2, v2
	v_mul_f32_e32 v2, 0x4f7ffffe, v2
	v_cvt_u32_f32_e32 v2, v2
	v_readfirstlane_b32 s3, v2
	s_mul_i32 s2, s2, s3
	s_mul_hi_u32 s2, s3, s2
	s_add_i32 s3, s3, s2
	s_mul_hi_u32 s2, s35, s3
	s_mul_i32 s2, s2, s33
	s_sub_i32 s2, s35, s2
	s_sub_i32 s3, s2, s33
	s_cmp_ge_u32 s2, s33
	s_cselect_b32 s2, s3, s2
	s_sub_i32 s3, s2, s33
	s_cmp_ge_u32 s2, s33
	s_cselect_b32 s44, s3, s2
	s_mov_b64 s[2:3], s[44:45]
.LBB44_176:                             ;   in Loop: Header=BB44_7 Depth=1
	s_sub_u32 s10, s35, s2
	s_subb_u32 s11, s51, s3
	v_cmp_gt_i64_e32 vcc, s[10:11], v[0:1]
	s_mov_b64 s[28:29], 0
	s_mov_b64 s[22:23], 0
                                        ; implicit-def: $vgpr6_vgpr7
	s_and_saveexec_b64 s[36:37], vcc
	s_cbranch_execz .LBB44_188
; %bb.177:                              ;   in Loop: Header=BB44_7 Depth=1
	v_mov_b32_e32 v10, v16
	v_mov_b32_e32 v13, v1
	v_mov_b32_e32 v11, v17
	v_mov_b32_e32 v12, v0
                                        ; implicit-def: $sgpr38_sgpr39
	s_branch .LBB44_181
.LBB44_178:                             ;   in Loop: Header=BB44_181 Depth=2
	s_or_b64 exec, exec, s[54:55]
	s_waitcnt lgkmcnt(0)
	s_barrier
	ds_read_b128 v[4:7], v19 offset:3072
	s_waitcnt lgkmcnt(0)
	s_barrier
	v_cmp_neq_f64_e32 vcc, 0, v[4:5]
	s_cbranch_vccnz .LBB44_184
; %bb.179:                              ;   in Loop: Header=BB44_181 Depth=2
	v_add_co_u32_e32 v12, vcc, s33, v12
	v_addc_co_u32_e32 v13, vcc, 0, v13, vcc
	v_mov_b32_e32 v2, s41
	v_add_co_u32_e32 v10, vcc, s40, v10
	v_addc_co_u32_e32 v11, vcc, v11, v2, vcc
	v_cmp_le_i64_e32 vcc, s[10:11], v[12:13]
	s_mov_b64 s[2:3], 0
	s_orn2_b64 s[54:55], vcc, exec
.LBB44_180:                             ;   in Loop: Header=BB44_181 Depth=2
	s_and_b64 s[54:55], exec, s[54:55]
	s_or_b64 s[22:23], s[54:55], s[22:23]
	s_andn2_b64 s[38:39], s[38:39], exec
	s_and_b64 s[2:3], s[2:3], exec
	s_or_b64 s[38:39], s[38:39], s[2:3]
	s_andn2_b64 exec, exec, s[22:23]
	s_cbranch_execz .LBB44_187
.LBB44_181:                             ;   Parent Loop BB44_7 Depth=1
                                        ; =>  This Inner Loop Header: Depth=2
	v_cmp_gt_i64_e32 vcc, s[24:25], v[12:13]
	s_and_saveexec_b64 s[54:55], vcc
	s_cbranch_execz .LBB44_178
; %bb.182:                              ;   in Loop: Header=BB44_181 Depth=2
	global_load_dwordx2 v[4:5], v[10:11], off
	s_waitcnt vmcnt(0)
	v_cmp_o_f64_e32 vcc, v[4:5], v[4:5]
	v_ashrrev_i32_e32 v2, 31, v5
	v_or_b32_e32 v6, 0x80000000, v2
	v_xor_b32_e32 v6, v6, v5
	v_xor_b32_e32 v2, v2, v4
	v_cndmask_b32_e32 v6, -1, v6, vcc
	v_cndmask_b32_e32 v2, -1, v2, vcc
	v_and_b32_e32 v7, v6, v31
	v_and_b32_e32 v6, v2, v30
	v_cmp_eq_u64_e32 vcc, v[6:7], v[28:29]
	s_and_b64 exec, exec, vcc
	s_cbranch_execz .LBB44_178
; %bb.183:                              ;   in Loop: Header=BB44_181 Depth=2
	v_mov_b32_e32 v2, v19
	ds_write_b128 v19, v[2:5] offset:3072
	s_branch .LBB44_178
.LBB44_184:                             ;   in Loop: Header=BB44_181 Depth=2
	s_mov_b64 s[54:55], -1
                                        ; implicit-def: $vgpr12_vgpr13
                                        ; implicit-def: $vgpr10_vgpr11
	s_mov_b64 s[2:3], -1
	s_branch .LBB44_180
.LBB44_185:                             ;   in Loop: Header=BB44_7 Depth=1
                                        ; implicit-def: $sgpr2_sgpr3
	s_andn2_b64 vcc, exec, s[10:11]
	s_cbranch_vccz .LBB44_127
	s_branch .LBB44_128
.LBB44_186:                             ;   in Loop: Header=BB44_7 Depth=1
                                        ; implicit-def: $sgpr2_sgpr3
	s_branch .LBB44_144
.LBB44_187:                             ;   in Loop: Header=BB44_7 Depth=1
	s_or_b64 exec, exec, s[22:23]
	s_and_b64 s[22:23], s[38:39], exec
.LBB44_188:                             ;   in Loop: Header=BB44_7 Depth=1
	s_or_b64 exec, exec, s[36:37]
.LBB44_189:                             ;   in Loop: Header=BB44_7 Depth=1
	s_and_b64 vcc, exec, s[28:29]
	s_cbranch_vccz .LBB44_204
; %bb.190:                              ;   in Loop: Header=BB44_7 Depth=1
	v_readlane_b32 s2, v57, 16
	s_add_u32 s9, s94, s2
	v_readlane_b32 s2, v57, 17
	s_addc_u32 s29, s95, s2
	s_mov_b32 s28, s45
	s_cmp_lg_u64 s[28:29], 0
	s_cbranch_scc0 .LBB44_233
; %bb.191:                              ;   in Loop: Header=BB44_7 Depth=1
	s_add_u32 s2, s33, 0
	s_addc_u32 s3, 0, 0
	s_xor_b64 s[36:37], s[2:3], 0
	v_cvt_f32_u32_e32 v2, s36
	v_cvt_f32_u32_e32 v4, s37
	s_sub_u32 s10, 0, s36
	s_subb_u32 s11, 0, s37
	v_mac_f32_e32 v2, 0x4f800000, v4
	v_rcp_f32_e32 v2, v2
	v_mul_f32_e32 v2, 0x5f7ffffc, v2
	v_mul_f32_e32 v4, 0x2f800000, v2
	v_trunc_f32_e32 v4, v4
	v_mac_f32_e32 v2, 0xcf800000, v4
	v_cvt_u32_f32_e32 v4, v4
	v_cvt_u32_f32_e32 v2, v2
	v_readfirstlane_b32 s28, v4
	v_readfirstlane_b32 s2, v2
	s_mul_i32 s3, s10, s28
	s_mul_hi_u32 s39, s10, s2
	s_mul_i32 s38, s11, s2
	s_add_i32 s3, s39, s3
	s_mul_i32 s44, s10, s2
	s_add_i32 s3, s3, s38
	s_mul_i32 s39, s2, s3
	s_mul_hi_u32 s50, s2, s44
	s_mul_hi_u32 s38, s2, s3
	s_add_u32 s39, s50, s39
	s_addc_u32 s38, 0, s38
	s_mul_hi_u32 s54, s28, s44
	s_mul_i32 s44, s28, s44
	s_add_u32 s39, s39, s44
	s_mul_hi_u32 s50, s28, s3
	s_addc_u32 s38, s38, s54
	s_addc_u32 s39, s50, 0
	s_mul_i32 s3, s28, s3
	s_add_u32 s3, s38, s3
	s_addc_u32 s38, 0, s39
	s_add_u32 s39, s2, s3
	s_cselect_b64 s[2:3], -1, 0
	s_cmp_lg_u64 s[2:3], 0
	s_addc_u32 s28, s28, s38
	s_mul_i32 s2, s10, s28
	s_mul_hi_u32 s3, s10, s39
	s_add_i32 s2, s3, s2
	s_mul_i32 s11, s11, s39
	s_add_i32 s2, s2, s11
	s_mul_i32 s10, s10, s39
	s_mul_hi_u32 s11, s28, s10
	s_mul_i32 s38, s28, s10
	s_mul_i32 s50, s39, s2
	s_mul_hi_u32 s10, s39, s10
	s_mul_hi_u32 s44, s39, s2
	s_add_u32 s10, s10, s50
	s_addc_u32 s44, 0, s44
	s_add_u32 s10, s10, s38
	s_mul_hi_u32 s3, s28, s2
	s_addc_u32 s10, s44, s11
	s_addc_u32 s3, s3, 0
	s_mul_i32 s2, s28, s2
	s_add_u32 s2, s10, s2
	s_addc_u32 s10, 0, s3
	s_add_u32 s38, s39, s2
	s_cselect_b64 s[2:3], -1, 0
	s_cmp_lg_u64 s[2:3], 0
	s_addc_u32 s28, s28, s10
	s_ashr_i32 s10, s29, 31
	s_add_u32 s2, s9, s10
	s_mov_b32 s11, s10
	s_addc_u32 s3, s29, s10
	s_xor_b64 s[2:3], s[2:3], s[10:11]
	s_mul_i32 s44, s2, s28
	s_mul_hi_u32 s50, s2, s38
	s_mul_hi_u32 s39, s2, s28
	s_add_u32 s44, s50, s44
	s_addc_u32 s39, 0, s39
	s_mul_hi_u32 s54, s3, s38
	s_mul_i32 s38, s3, s38
	s_add_u32 s38, s44, s38
	s_mul_hi_u32 s50, s3, s28
	s_addc_u32 s38, s39, s54
	s_addc_u32 s39, s50, 0
	s_mul_i32 s28, s3, s28
	s_add_u32 s28, s38, s28
	s_addc_u32 s38, 0, s39
	s_mul_i32 s38, s36, s38
	s_mul_hi_u32 s39, s36, s28
	s_add_i32 s38, s39, s38
	s_mul_i32 s39, s37, s28
	s_add_i32 s44, s38, s39
	s_sub_i32 s50, s3, s44
	s_mul_i32 s28, s36, s28
	s_sub_u32 s2, s2, s28
	s_cselect_b64 s[38:39], -1, 0
	s_cmp_lg_u64 s[38:39], 0
	s_subb_u32 s28, s50, s37
	s_sub_u32 s50, s2, s36
	s_cselect_b64 s[54:55], -1, 0
	s_cmp_lg_u64 s[54:55], 0
	s_subb_u32 s56, s28, 0
	s_cmp_ge_u32 s56, s37
	s_cselect_b32 s57, -1, 0
	s_cmp_ge_u32 s50, s36
	s_cselect_b32 s86, -1, 0
	s_cmp_eq_u32 s56, s37
	s_cselect_b32 s57, s86, s57
	s_cmp_lg_u64 s[54:55], 0
	s_subb_u32 s28, s28, s37
	s_sub_u32 s86, s50, s36
	s_cselect_b64 s[54:55], -1, 0
	s_cmp_lg_u64 s[54:55], 0
	s_subb_u32 s28, s28, 0
	s_cmp_lg_u32 s57, 0
	s_cselect_b32 s50, s86, s50
	s_cselect_b32 s28, s28, s56
	s_cmp_lg_u64 s[38:39], 0
	s_subb_u32 s3, s3, s44
	s_cmp_ge_u32 s3, s37
	s_cselect_b32 s38, -1, 0
	s_cmp_ge_u32 s2, s36
	s_cselect_b32 s36, -1, 0
	s_cmp_eq_u32 s3, s37
	s_cselect_b32 s36, s36, s38
	s_cmp_lg_u32 s36, 0
	s_cselect_b32 s3, s28, s3
	s_cselect_b32 s2, s50, s2
	s_xor_b64 s[2:3], s[2:3], s[10:11]
	s_sub_u32 s2, s2, s10
	s_subb_u32 s3, s3, s10
	s_cbranch_execnz .LBB44_193
.LBB44_192:                             ;   in Loop: Header=BB44_7 Depth=1
	v_cvt_f32_u32_e32 v2, s33
	s_sub_i32 s2, 0, s33
	v_rcp_iflag_f32_e32 v2, v2
	v_mul_f32_e32 v2, 0x4f7ffffe, v2
	v_cvt_u32_f32_e32 v2, v2
	v_readfirstlane_b32 s3, v2
	s_mul_i32 s2, s2, s3
	s_mul_hi_u32 s2, s3, s2
	s_add_i32 s3, s3, s2
	s_mul_hi_u32 s2, s9, s3
	s_mul_i32 s2, s2, s33
	s_sub_i32 s2, s9, s2
	s_sub_i32 s3, s2, s33
	s_cmp_ge_u32 s2, s33
	s_cselect_b32 s2, s3, s2
	s_sub_i32 s3, s2, s33
	s_cmp_ge_u32 s2, s33
	s_cselect_b32 s44, s3, s2
	s_mov_b64 s[2:3], s[44:45]
.LBB44_193:                             ;   in Loop: Header=BB44_7 Depth=1
	s_sub_u32 s28, s9, s2
	s_subb_u32 s29, s29, s3
	v_cmp_gt_i64_e32 vcc, s[28:29], v[0:1]
                                        ; implicit-def: $vgpr6_vgpr7
	s_and_saveexec_b64 s[10:11], vcc
	s_cbranch_execz .LBB44_203
; %bb.194:                              ;   in Loop: Header=BB44_7 Depth=1
	v_mov_b32_e32 v11, v1
	s_mov_b64 s[36:37], 0
	v_mov_b32_e32 v12, v51
	v_mov_b32_e32 v10, v0
                                        ; implicit-def: $sgpr38_sgpr39
	s_branch .LBB44_198
.LBB44_195:                             ;   in Loop: Header=BB44_198 Depth=2
	s_or_b64 exec, exec, s[54:55]
	s_waitcnt lgkmcnt(0)
	s_barrier
	ds_read_b128 v[4:7], v19 offset:3072
	s_waitcnt lgkmcnt(0)
	s_barrier
	v_cmp_eq_f64_e32 vcc, 0, v[4:5]
	s_cbranch_vccz .LBB44_201
; %bb.196:                              ;   in Loop: Header=BB44_198 Depth=2
	v_add_co_u32_e32 v10, vcc, s33, v10
	v_addc_co_u32_e32 v11, vcc, 0, v11, vcc
	v_cmp_le_i64_e32 vcc, s[28:29], v[10:11]
	v_add_u32_e32 v12, s0, v12
	s_mov_b64 s[2:3], 0
	s_orn2_b64 s[54:55], vcc, exec
.LBB44_197:                             ;   in Loop: Header=BB44_198 Depth=2
	s_and_b64 s[54:55], exec, s[54:55]
	s_or_b64 s[36:37], s[54:55], s[36:37]
	s_andn2_b64 s[38:39], s[38:39], exec
	s_and_b64 s[2:3], s[2:3], exec
	s_or_b64 s[38:39], s[38:39], s[2:3]
	s_andn2_b64 exec, exec, s[36:37]
	s_cbranch_execz .LBB44_202
.LBB44_198:                             ;   Parent Loop BB44_7 Depth=1
                                        ; =>  This Inner Loop Header: Depth=2
	v_cmp_gt_u64_e32 vcc, s[94:95], v[10:11]
	s_and_saveexec_b64 s[54:55], vcc
	s_cbranch_execz .LBB44_195
; %bb.199:                              ;   in Loop: Header=BB44_198 Depth=2
	ds_read_b64 v[4:5], v12
	s_waitcnt lgkmcnt(0)
	v_cmp_o_f64_e32 vcc, v[4:5], v[4:5]
	v_ashrrev_i32_e32 v2, 31, v5
	v_or_b32_e32 v6, 0x80000000, v2
	v_xor_b32_e32 v6, v6, v5
	v_xor_b32_e32 v2, v2, v4
	v_cndmask_b32_e32 v6, -1, v6, vcc
	v_cndmask_b32_e32 v2, -1, v2, vcc
	v_and_b32_e32 v7, v6, v31
	v_and_b32_e32 v6, v2, v30
	v_cmp_eq_u64_e32 vcc, v[6:7], v[28:29]
	s_and_b64 exec, exec, vcc
	s_cbranch_execz .LBB44_195
; %bb.200:                              ;   in Loop: Header=BB44_198 Depth=2
	v_mov_b32_e32 v2, v19
	ds_write_b128 v19, v[2:5] offset:3072
	s_branch .LBB44_195
.LBB44_201:                             ;   in Loop: Header=BB44_198 Depth=2
	s_mov_b64 s[54:55], -1
                                        ; implicit-def: $vgpr10_vgpr11
                                        ; implicit-def: $vgpr12
	s_mov_b64 s[2:3], -1
	s_branch .LBB44_197
.LBB44_202:                             ;   in Loop: Header=BB44_7 Depth=1
	s_or_b64 exec, exec, s[36:37]
	s_andn2_b64 s[2:3], s[22:23], exec
	s_and_b64 s[22:23], s[38:39], exec
	s_or_b64 s[22:23], s[2:3], s[22:23]
.LBB44_203:                             ;   in Loop: Header=BB44_7 Depth=1
	s_or_b64 exec, exec, s[10:11]
	s_mov_b64 s[86:87], 0
	s_mov_b64 s[88:89], -1
.LBB44_204:                             ;   in Loop: Header=BB44_7 Depth=1
	s_mov_b64 s[94:95], s[48:49]
	v_readlane_b32 s48, v57, 23
	s_orn2_b64 s[2:3], s[22:23], exec
	v_readlane_b32 s49, v57, 24
.LBB44_205:                             ;   in Loop: Header=BB44_7 Depth=1
	s_or_b64 exec, exec, s[90:91]
	s_mov_b64 s[10:11], 0
	s_and_saveexec_b64 s[90:91], s[2:3]
	s_cbranch_execz .LBB44_265
; %bb.206:                              ;   in Loop: Header=BB44_7 Depth=1
	v_mov_b32_e32 v10, 1
	s_xor_b64 s[10:11], s[92:93], -1
	v_mov_b32_e32 v34, 1
	v_mov_b32_e32 v11, 0
	s_mov_b64 s[2:3], 0
	s_and_saveexec_b64 s[22:23], s[10:11]
	s_cbranch_execz .LBB44_215
; %bb.207:                              ;   in Loop: Header=BB44_7 Depth=1
	v_cmp_ge_i64_e32 vcc, s[76:77], v[8:9]
	s_and_saveexec_b64 s[2:3], vcc
	s_xor_b64 s[10:11], exec, s[2:3]
	s_cbranch_execz .LBB44_212
; %bb.208:                              ;   in Loop: Header=BB44_7 Depth=1
	s_lshl_b64 s[2:3], 2, s1
	v_and_b32_e32 v4, s80, v28
	v_or_b32_e32 v28, s2, v4
	ds_read_b64 v[4:5], v19 offset:5120
	v_and_b32_e32 v2, s81, v29
	v_or_b32_e32 v29, s3, v2
	v_or_b32_e32 v31, s15, v31
	;; [unrolled: 1-line block ×3, first 2 shown]
	s_waitcnt lgkmcnt(0)
	v_cmp_ne_u64_e32 vcc, 0, v[4:5]
	s_cbranch_vccnz .LBB44_212
; %bb.209:                              ;   in Loop: Header=BB44_7 Depth=1
	s_and_saveexec_b64 s[2:3], s[94:95]
; %bb.210:                              ;   in Loop: Header=BB44_7 Depth=1
	v_mov_b32_e32 v4, s76
	v_mov_b32_e32 v5, s77
	ds_write_b64 v19, v[4:5] offset:5128
; %bb.211:                              ;   in Loop: Header=BB44_7 Depth=1
	s_or_b64 exec, exec, s[2:3]
	s_waitcnt lgkmcnt(0)
	s_barrier
.LBB44_212:                             ;   in Loop: Header=BB44_7 Depth=1
	s_or_saveexec_b64 s[10:11], s[10:11]
	s_mov_b64 s[28:29], 0
	v_mov_b32_e32 v34, 8
	s_xor_b64 exec, exec, s[10:11]
; %bb.213:                              ;   in Loop: Header=BB44_7 Depth=1
	v_subrev_co_u32_e32 v8, vcc, s76, v8
	v_mov_b32_e32 v2, s77
	v_subb_co_u32_e32 v9, vcc, v9, v2, vcc
	v_mov_b32_e32 v34, 0
	s_mov_b64 s[28:29], exec
; %bb.214:                              ;   in Loop: Header=BB44_7 Depth=1
	s_or_b64 exec, exec, s[10:11]
	v_mov_b32_e32 v11, v9
	s_and_b64 s[2:3], s[28:29], exec
	v_mov_b32_e32 v10, v8
.LBB44_215:                             ;   in Loop: Header=BB44_7 Depth=1
	s_or_b64 exec, exec, s[22:23]
	s_mov_b64 s[10:11], -1
                                        ; implicit-def: $sgpr28_sgpr29
                                        ; implicit-def: $sgpr22_sgpr23
	s_and_saveexec_b64 s[76:77], s[2:3]
	s_cbranch_execz .LBB44_264
; %bb.216:                              ;   in Loop: Header=BB44_7 Depth=1
	s_cmp_eq_u64 s[12:13], 1
	v_cmp_eq_u64_e32 vcc, 1, v[10:11]
	s_cselect_b64 s[2:3], -1, 0
	s_and_b64 s[80:81], s[2:3], vcc
	s_mov_b64 s[2:3], -1
                                        ; implicit-def: $sgpr28_sgpr29
                                        ; implicit-def: $sgpr22_sgpr23
	s_and_saveexec_b64 s[92:93], s[80:81]
	s_cbranch_execz .LBB44_252
; %bb.217:                              ;   in Loop: Header=BB44_7 Depth=1
	ds_read_b64 v[4:5], v19 offset:5120
	s_mov_b64 s[48:49], s[94:95]
	s_waitcnt lgkmcnt(0)
	s_barrier
	v_readfirstlane_b32 s94, v4
	v_readfirstlane_b32 s95, v5
	s_and_saveexec_b64 s[2:3], s[18:19]
; %bb.218:                              ;   in Loop: Header=BB44_7 Depth=1
	v_mov_b32_e32 v18, v19
	ds_write_b64 v52, v[18:19]
; %bb.219:                              ;   in Loop: Header=BB44_7 Depth=1
	s_or_b64 exec, exec, s[2:3]
	v_cmp_gt_i64_e64 s[2:3], s[94:95], 0
	v_or_b32_e32 v29, s15, v29
	v_or_b32_e32 v28, s14, v28
	;; [unrolled: 1-line block ×4, first 2 shown]
	s_mov_b64 s[22:23], -1
	s_mov_b64 s[28:29], 0
	s_and_b64 vcc, exec, s[2:3]
	s_mov_b64 s[36:37], 0
	s_mov_b64 s[38:39], -1
	s_waitcnt lgkmcnt(0)
	s_barrier
                                        ; implicit-def: $vgpr6_vgpr7
	s_cbranch_vccnz .LBB44_236
; %bb.220:                              ;   in Loop: Header=BB44_7 Depth=1
	s_mov_b32 s50, s45
	s_cmp_lg_u64 s[50:51], 0
	s_cbranch_scc0 .LBB44_271
; %bb.221:                              ;   in Loop: Header=BB44_7 Depth=1
	s_add_u32 s2, s33, 0
	s_addc_u32 s3, 0, 0
	s_xor_b64 s[36:37], s[2:3], 0
	v_cvt_f32_u32_e32 v2, s36
	v_cvt_f32_u32_e32 v4, s37
	s_sub_u32 s9, 0, s36
	s_subb_u32 s10, 0, s37
	v_mac_f32_e32 v2, 0x4f800000, v4
	v_rcp_f32_e32 v2, v2
	v_mul_f32_e32 v2, 0x5f7ffffc, v2
	v_mul_f32_e32 v4, 0x2f800000, v2
	v_trunc_f32_e32 v4, v4
	v_mac_f32_e32 v2, 0xcf800000, v4
	v_cvt_u32_f32_e32 v4, v4
	v_cvt_u32_f32_e32 v2, v2
	v_readfirstlane_b32 s11, v4
	v_readfirstlane_b32 s2, v2
	s_mul_i32 s3, s9, s11
	s_mul_hi_u32 s39, s9, s2
	s_mul_i32 s38, s10, s2
	s_add_i32 s3, s39, s3
	s_mul_i32 s44, s9, s2
	s_add_i32 s3, s3, s38
	s_mul_i32 s39, s2, s3
	s_mul_hi_u32 s50, s2, s44
	s_mul_hi_u32 s38, s2, s3
	s_add_u32 s39, s50, s39
	s_addc_u32 s38, 0, s38
	s_mul_hi_u32 s54, s11, s44
	s_mul_i32 s44, s11, s44
	s_add_u32 s39, s39, s44
	s_mul_hi_u32 s50, s11, s3
	s_addc_u32 s38, s38, s54
	s_addc_u32 s39, s50, 0
	s_mul_i32 s3, s11, s3
	s_add_u32 s3, s38, s3
	s_addc_u32 s38, 0, s39
	s_add_u32 s39, s2, s3
	s_cselect_b64 s[2:3], -1, 0
	s_cmp_lg_u64 s[2:3], 0
	s_addc_u32 s11, s11, s38
	s_mul_i32 s2, s9, s11
	s_mul_hi_u32 s3, s9, s39
	s_add_i32 s2, s3, s2
	s_mul_i32 s10, s10, s39
	s_add_i32 s2, s2, s10
	s_mul_i32 s9, s9, s39
	s_mul_hi_u32 s10, s11, s9
	s_mul_i32 s38, s11, s9
	s_mul_i32 s50, s39, s2
	s_mul_hi_u32 s9, s39, s9
	s_mul_hi_u32 s44, s39, s2
	s_add_u32 s9, s9, s50
	s_addc_u32 s44, 0, s44
	s_add_u32 s9, s9, s38
	s_mul_hi_u32 s3, s11, s2
	s_addc_u32 s9, s44, s10
	s_addc_u32 s3, s3, 0
	s_mul_i32 s2, s11, s2
	s_add_u32 s2, s9, s2
	s_addc_u32 s9, 0, s3
	s_add_u32 s38, s39, s2
	s_cselect_b64 s[2:3], -1, 0
	s_cmp_lg_u64 s[2:3], 0
	s_addc_u32 s9, s11, s9
	s_ashr_i32 s10, s51, 31
	s_add_u32 s2, s35, s10
	s_mov_b32 s11, s10
	s_addc_u32 s3, s51, s10
	s_xor_b64 s[2:3], s[2:3], s[10:11]
	s_mul_i32 s44, s2, s9
	s_mul_hi_u32 s50, s2, s38
	s_mul_hi_u32 s39, s2, s9
	s_add_u32 s44, s50, s44
	s_addc_u32 s39, 0, s39
	s_mul_hi_u32 s54, s3, s38
	s_mul_i32 s38, s3, s38
	s_add_u32 s38, s44, s38
	s_mul_hi_u32 s50, s3, s9
	s_addc_u32 s38, s39, s54
	s_addc_u32 s39, s50, 0
	s_mul_i32 s9, s3, s9
	s_add_u32 s9, s38, s9
	s_addc_u32 s38, 0, s39
	s_mul_i32 s38, s36, s38
	s_mul_hi_u32 s39, s36, s9
	s_add_i32 s38, s39, s38
	s_mul_i32 s39, s37, s9
	s_add_i32 s44, s38, s39
	s_sub_i32 s50, s3, s44
	s_mul_i32 s9, s36, s9
	s_sub_u32 s2, s2, s9
	s_cselect_b64 s[38:39], -1, 0
	s_cmp_lg_u64 s[38:39], 0
	s_subb_u32 s9, s50, s37
	s_sub_u32 s50, s2, s36
	s_cselect_b64 s[54:55], -1, 0
	s_cmp_lg_u64 s[54:55], 0
	s_subb_u32 s56, s9, 0
	s_cmp_ge_u32 s56, s37
	s_cselect_b32 s57, -1, 0
	s_cmp_ge_u32 s50, s36
	s_cselect_b32 vcc_lo, -1, 0
	s_cmp_eq_u32 s56, s37
	s_cselect_b32 s57, vcc_lo, s57
	s_cmp_lg_u64 s[54:55], 0
	s_subb_u32 s9, s9, s37
	s_sub_u32 vcc_lo, s50, s36
	s_cselect_b64 s[54:55], -1, 0
	s_cmp_lg_u64 s[54:55], 0
	s_subb_u32 s9, s9, 0
	s_cmp_lg_u32 s57, 0
	s_cselect_b32 s50, vcc_lo, s50
	s_cselect_b32 s9, s9, s56
	s_cmp_lg_u64 s[38:39], 0
	s_subb_u32 s3, s3, s44
	s_cmp_ge_u32 s3, s37
	s_cselect_b32 s38, -1, 0
	s_cmp_ge_u32 s2, s36
	s_cselect_b32 s36, -1, 0
	s_cmp_eq_u32 s3, s37
	s_cselect_b32 s36, s36, s38
	s_cmp_lg_u32 s36, 0
	s_cselect_b32 s3, s9, s3
	s_cselect_b32 s2, s50, s2
	s_xor_b64 s[2:3], s[2:3], s[10:11]
	s_sub_u32 s2, s2, s10
	s_subb_u32 s3, s3, s10
	s_cbranch_execnz .LBB44_223
.LBB44_222:                             ;   in Loop: Header=BB44_7 Depth=1
	v_cvt_f32_u32_e32 v2, s33
	s_sub_i32 s2, 0, s33
	v_rcp_iflag_f32_e32 v2, v2
	v_mul_f32_e32 v2, 0x4f7ffffe, v2
	v_cvt_u32_f32_e32 v2, v2
	v_readfirstlane_b32 s3, v2
	s_mul_i32 s2, s2, s3
	s_mul_hi_u32 s2, s3, s2
	s_add_i32 s3, s3, s2
	s_mul_hi_u32 s2, s35, s3
	s_mul_i32 s2, s2, s33
	s_sub_i32 s2, s35, s2
	s_sub_i32 s3, s2, s33
	s_cmp_ge_u32 s2, s33
	s_cselect_b32 s2, s3, s2
	s_sub_i32 s3, s2, s33
	s_cmp_ge_u32 s2, s33
	s_cselect_b32 s44, s3, s2
	s_mov_b64 s[2:3], s[44:45]
.LBB44_223:                             ;   in Loop: Header=BB44_7 Depth=1
	s_sub_u32 s54, s35, s2
	s_subb_u32 s55, s51, s3
	v_cmp_gt_i64_e32 vcc, s[54:55], v[0:1]
	s_mov_b64 s[38:39], 0
	s_mov_b64 s[36:37], 0
                                        ; implicit-def: $vgpr6_vgpr7
	s_and_saveexec_b64 s[10:11], vcc
	s_cbranch_execz .LBB44_235
; %bb.224:                              ;   in Loop: Header=BB44_7 Depth=1
	v_mov_b32_e32 v8, v16
	v_mov_b32_e32 v13, v1
	;; [unrolled: 1-line block ×4, first 2 shown]
                                        ; implicit-def: $sgpr56_sgpr57
	s_branch .LBB44_228
.LBB44_225:                             ;   in Loop: Header=BB44_228 Depth=2
	s_or_b64 exec, exec, s[2:3]
	s_waitcnt lgkmcnt(0)
	s_barrier
	ds_read_b128 v[4:7], v19 offset:3072
	s_waitcnt lgkmcnt(0)
	s_barrier
	v_cmp_neq_f64_e32 vcc, 0, v[4:5]
	s_cbranch_vccnz .LBB44_231
; %bb.226:                              ;   in Loop: Header=BB44_228 Depth=2
	v_add_co_u32_e32 v12, vcc, s33, v12
	v_addc_co_u32_e32 v13, vcc, 0, v13, vcc
	v_mov_b32_e32 v2, s41
	v_add_co_u32_e32 v8, vcc, s40, v8
	v_addc_co_u32_e32 v9, vcc, v9, v2, vcc
	v_cmp_le_i64_e32 vcc, s[54:55], v[12:13]
	s_mov_b64 s[2:3], 0
	s_orn2_b64 vcc, vcc, exec
.LBB44_227:                             ;   in Loop: Header=BB44_228 Depth=2
	s_and_b64 vcc, exec, vcc
	s_or_b64 s[36:37], vcc, s[36:37]
	s_andn2_b64 s[56:57], s[56:57], exec
	s_and_b64 s[2:3], s[2:3], exec
	s_or_b64 s[56:57], s[56:57], s[2:3]
	s_andn2_b64 exec, exec, s[36:37]
	s_cbranch_execz .LBB44_234
.LBB44_228:                             ;   Parent Loop BB44_7 Depth=1
                                        ; =>  This Inner Loop Header: Depth=2
	v_cmp_gt_i64_e32 vcc, s[24:25], v[12:13]
	s_and_saveexec_b64 s[2:3], vcc
	s_cbranch_execz .LBB44_225
; %bb.229:                              ;   in Loop: Header=BB44_228 Depth=2
	global_load_dwordx2 v[4:5], v[8:9], off
	s_waitcnt vmcnt(0)
	v_cmp_o_f64_e32 vcc, v[4:5], v[4:5]
	v_ashrrev_i32_e32 v2, 31, v5
	v_or_b32_e32 v6, 0x80000000, v2
	v_xor_b32_e32 v6, v6, v5
	v_xor_b32_e32 v2, v2, v4
	v_cndmask_b32_e32 v6, -1, v6, vcc
	v_cndmask_b32_e32 v2, -1, v2, vcc
	v_and_b32_e32 v7, v6, v31
	v_and_b32_e32 v6, v2, v30
	v_cmp_eq_u64_e32 vcc, v[6:7], v[28:29]
	s_and_b64 exec, exec, vcc
	s_cbranch_execz .LBB44_225
; %bb.230:                              ;   in Loop: Header=BB44_228 Depth=2
	v_mov_b32_e32 v2, v19
	ds_write_b128 v19, v[2:5] offset:3072
	s_branch .LBB44_225
.LBB44_231:                             ;   in Loop: Header=BB44_228 Depth=2
	s_mov_b64 vcc, -1
                                        ; implicit-def: $vgpr12_vgpr13
                                        ; implicit-def: $vgpr8_vgpr9
	s_mov_b64 s[2:3], -1
	s_branch .LBB44_227
.LBB44_232:                             ;   in Loop: Header=BB44_7 Depth=1
                                        ; implicit-def: $sgpr2_sgpr3
	s_andn2_b64 vcc, exec, s[10:11]
	s_cbranch_vccz .LBB44_175
	s_branch .LBB44_176
.LBB44_233:                             ;   in Loop: Header=BB44_7 Depth=1
                                        ; implicit-def: $sgpr2_sgpr3
	s_branch .LBB44_192
.LBB44_234:                             ;   in Loop: Header=BB44_7 Depth=1
	s_or_b64 exec, exec, s[36:37]
	s_and_b64 s[36:37], s[56:57], exec
.LBB44_235:                             ;   in Loop: Header=BB44_7 Depth=1
	s_or_b64 exec, exec, s[10:11]
.LBB44_236:                             ;   in Loop: Header=BB44_7 Depth=1
	s_and_b64 vcc, exec, s[38:39]
	s_cbranch_vccz .LBB44_251
; %bb.237:                              ;   in Loop: Header=BB44_7 Depth=1
	v_readlane_b32 s2, v57, 16
	s_add_u32 s9, s94, s2
	v_readlane_b32 s2, v57, 17
	s_addc_u32 s23, s95, s2
	s_mov_b32 s22, s45
	s_cmp_lg_u64 s[22:23], 0
	s_cbranch_scc0 .LBB44_272
; %bb.238:                              ;   in Loop: Header=BB44_7 Depth=1
	s_add_u32 s2, s33, 0
	s_addc_u32 s3, 0, 0
	s_xor_b64 s[28:29], s[2:3], 0
	v_cvt_f32_u32_e32 v2, s28
	v_cvt_f32_u32_e32 v4, s29
	s_sub_u32 s10, 0, s28
	s_subb_u32 s11, 0, s29
	v_mac_f32_e32 v2, 0x4f800000, v4
	v_rcp_f32_e32 v2, v2
	v_mul_f32_e32 v2, 0x5f7ffffc, v2
	v_mul_f32_e32 v4, 0x2f800000, v2
	v_trunc_f32_e32 v4, v4
	v_mac_f32_e32 v2, 0xcf800000, v4
	v_cvt_u32_f32_e32 v4, v4
	v_cvt_u32_f32_e32 v2, v2
	v_readfirstlane_b32 s22, v4
	v_readfirstlane_b32 s2, v2
	s_mul_i32 s3, s10, s22
	s_mul_hi_u32 s39, s10, s2
	s_mul_i32 s38, s11, s2
	s_add_i32 s3, s39, s3
	s_mul_i32 s44, s10, s2
	s_add_i32 s3, s3, s38
	s_mul_i32 s39, s2, s3
	s_mul_hi_u32 s50, s2, s44
	s_mul_hi_u32 s38, s2, s3
	s_add_u32 s39, s50, s39
	s_addc_u32 s38, 0, s38
	s_mul_hi_u32 s54, s22, s44
	s_mul_i32 s44, s22, s44
	s_add_u32 s39, s39, s44
	s_mul_hi_u32 s50, s22, s3
	s_addc_u32 s38, s38, s54
	s_addc_u32 s39, s50, 0
	s_mul_i32 s3, s22, s3
	s_add_u32 s3, s38, s3
	s_addc_u32 s38, 0, s39
	s_add_u32 s39, s2, s3
	s_cselect_b64 s[2:3], -1, 0
	s_cmp_lg_u64 s[2:3], 0
	s_addc_u32 s22, s22, s38
	s_mul_i32 s2, s10, s22
	s_mul_hi_u32 s3, s10, s39
	s_add_i32 s2, s3, s2
	s_mul_i32 s11, s11, s39
	s_add_i32 s2, s2, s11
	s_mul_i32 s10, s10, s39
	s_mul_hi_u32 s11, s22, s10
	s_mul_i32 s38, s22, s10
	s_mul_i32 s50, s39, s2
	s_mul_hi_u32 s10, s39, s10
	s_mul_hi_u32 s44, s39, s2
	s_add_u32 s10, s10, s50
	s_addc_u32 s44, 0, s44
	s_add_u32 s10, s10, s38
	s_mul_hi_u32 s3, s22, s2
	s_addc_u32 s10, s44, s11
	s_addc_u32 s3, s3, 0
	s_mul_i32 s2, s22, s2
	s_add_u32 s2, s10, s2
	s_addc_u32 s10, 0, s3
	s_add_u32 s38, s39, s2
	s_cselect_b64 s[2:3], -1, 0
	s_cmp_lg_u64 s[2:3], 0
	s_addc_u32 s22, s22, s10
	s_ashr_i32 s10, s23, 31
	s_add_u32 s2, s9, s10
	s_mov_b32 s11, s10
	s_addc_u32 s3, s23, s10
	s_xor_b64 s[2:3], s[2:3], s[10:11]
	s_mul_i32 s44, s2, s22
	s_mul_hi_u32 s50, s2, s38
	s_mul_hi_u32 s39, s2, s22
	s_add_u32 s44, s50, s44
	s_addc_u32 s39, 0, s39
	s_mul_hi_u32 s54, s3, s38
	s_mul_i32 s38, s3, s38
	s_add_u32 s38, s44, s38
	s_mul_hi_u32 s50, s3, s22
	s_addc_u32 s38, s39, s54
	s_addc_u32 s39, s50, 0
	s_mul_i32 s22, s3, s22
	s_add_u32 s22, s38, s22
	s_addc_u32 s38, 0, s39
	s_mul_i32 s38, s28, s38
	s_mul_hi_u32 s39, s28, s22
	s_add_i32 s38, s39, s38
	s_mul_i32 s39, s29, s22
	s_add_i32 s44, s38, s39
	s_sub_i32 s50, s3, s44
	s_mul_i32 s22, s28, s22
	s_sub_u32 s2, s2, s22
	s_cselect_b64 s[38:39], -1, 0
	s_cmp_lg_u64 s[38:39], 0
	s_subb_u32 s22, s50, s29
	s_sub_u32 s50, s2, s28
	s_cselect_b64 s[54:55], -1, 0
	s_cmp_lg_u64 s[54:55], 0
	s_subb_u32 s56, s22, 0
	s_cmp_ge_u32 s56, s29
	s_cselect_b32 s57, -1, 0
	s_cmp_ge_u32 s50, s28
	s_cselect_b32 vcc_lo, -1, 0
	s_cmp_eq_u32 s56, s29
	s_cselect_b32 s57, vcc_lo, s57
	s_cmp_lg_u64 s[54:55], 0
	s_subb_u32 s22, s22, s29
	s_sub_u32 vcc_lo, s50, s28
	s_cselect_b64 s[54:55], -1, 0
	s_cmp_lg_u64 s[54:55], 0
	s_subb_u32 s22, s22, 0
	s_cmp_lg_u32 s57, 0
	s_cselect_b32 s50, vcc_lo, s50
	s_cselect_b32 s22, s22, s56
	s_cmp_lg_u64 s[38:39], 0
	s_subb_u32 s3, s3, s44
	s_cmp_ge_u32 s3, s29
	s_cselect_b32 s38, -1, 0
	s_cmp_ge_u32 s2, s28
	s_cselect_b32 s28, -1, 0
	s_cmp_eq_u32 s3, s29
	s_cselect_b32 s28, s28, s38
	s_cmp_lg_u32 s28, 0
	s_cselect_b32 s3, s22, s3
	s_cselect_b32 s2, s50, s2
	s_xor_b64 s[2:3], s[2:3], s[10:11]
	s_sub_u32 s2, s2, s10
	s_subb_u32 s3, s3, s10
	s_cbranch_execnz .LBB44_240
.LBB44_239:                             ;   in Loop: Header=BB44_7 Depth=1
	v_cvt_f32_u32_e32 v2, s33
	s_sub_i32 s2, 0, s33
	v_rcp_iflag_f32_e32 v2, v2
	v_mul_f32_e32 v2, 0x4f7ffffe, v2
	v_cvt_u32_f32_e32 v2, v2
	v_readfirstlane_b32 s3, v2
	s_mul_i32 s2, s2, s3
	s_mul_hi_u32 s2, s3, s2
	s_add_i32 s3, s3, s2
	s_mul_hi_u32 s2, s9, s3
	s_mul_i32 s2, s2, s33
	s_sub_i32 s2, s9, s2
	s_sub_i32 s3, s2, s33
	s_cmp_ge_u32 s2, s33
	s_cselect_b32 s2, s3, s2
	s_sub_i32 s3, s2, s33
	s_cmp_ge_u32 s2, s33
	s_cselect_b32 s44, s3, s2
	s_mov_b64 s[2:3], s[44:45]
.LBB44_240:                             ;   in Loop: Header=BB44_7 Depth=1
	s_sub_u32 s22, s9, s2
	s_subb_u32 s23, s23, s3
	v_cmp_gt_i64_e32 vcc, s[22:23], v[0:1]
                                        ; implicit-def: $vgpr6_vgpr7
	s_and_saveexec_b64 s[10:11], vcc
	s_cbranch_execz .LBB44_250
; %bb.241:                              ;   in Loop: Header=BB44_7 Depth=1
	v_mov_b32_e32 v9, v1
	s_mov_b64 s[28:29], 0
	v_mov_b32_e32 v12, v51
	v_mov_b32_e32 v8, v0
                                        ; implicit-def: $sgpr38_sgpr39
	s_branch .LBB44_245
.LBB44_242:                             ;   in Loop: Header=BB44_245 Depth=2
	s_or_b64 exec, exec, s[2:3]
	s_waitcnt lgkmcnt(0)
	s_barrier
	ds_read_b128 v[4:7], v19 offset:3072
	s_waitcnt lgkmcnt(0)
	s_barrier
	v_cmp_eq_f64_e32 vcc, 0, v[4:5]
	s_cbranch_vccz .LBB44_248
; %bb.243:                              ;   in Loop: Header=BB44_245 Depth=2
	v_add_co_u32_e32 v8, vcc, s33, v8
	v_addc_co_u32_e32 v9, vcc, 0, v9, vcc
	v_cmp_le_i64_e32 vcc, s[22:23], v[8:9]
	v_add_u32_e32 v12, s0, v12
	s_mov_b64 s[2:3], 0
	s_orn2_b64 s[54:55], vcc, exec
.LBB44_244:                             ;   in Loop: Header=BB44_245 Depth=2
	s_and_b64 s[54:55], exec, s[54:55]
	s_or_b64 s[28:29], s[54:55], s[28:29]
	s_andn2_b64 s[38:39], s[38:39], exec
	s_and_b64 s[2:3], s[2:3], exec
	s_or_b64 s[38:39], s[38:39], s[2:3]
	s_andn2_b64 exec, exec, s[28:29]
	s_cbranch_execz .LBB44_249
.LBB44_245:                             ;   Parent Loop BB44_7 Depth=1
                                        ; =>  This Inner Loop Header: Depth=2
	v_cmp_gt_u64_e32 vcc, s[94:95], v[8:9]
	s_and_saveexec_b64 s[2:3], vcc
	s_cbranch_execz .LBB44_242
; %bb.246:                              ;   in Loop: Header=BB44_245 Depth=2
	ds_read_b64 v[4:5], v12
	s_waitcnt lgkmcnt(0)
	v_cmp_o_f64_e32 vcc, v[4:5], v[4:5]
	v_ashrrev_i32_e32 v2, 31, v5
	v_or_b32_e32 v6, 0x80000000, v2
	v_xor_b32_e32 v6, v6, v5
	v_xor_b32_e32 v2, v2, v4
	v_cndmask_b32_e32 v6, -1, v6, vcc
	v_cndmask_b32_e32 v2, -1, v2, vcc
	v_and_b32_e32 v7, v6, v31
	v_and_b32_e32 v6, v2, v30
	v_cmp_eq_u64_e32 vcc, v[6:7], v[28:29]
	s_and_b64 exec, exec, vcc
	s_cbranch_execz .LBB44_242
; %bb.247:                              ;   in Loop: Header=BB44_245 Depth=2
	v_mov_b32_e32 v2, v19
	ds_write_b128 v19, v[2:5] offset:3072
	s_branch .LBB44_242
.LBB44_248:                             ;   in Loop: Header=BB44_245 Depth=2
	s_mov_b64 s[54:55], -1
                                        ; implicit-def: $vgpr8_vgpr9
                                        ; implicit-def: $vgpr12
	s_mov_b64 s[2:3], -1
	s_branch .LBB44_244
.LBB44_249:                             ;   in Loop: Header=BB44_7 Depth=1
	s_or_b64 exec, exec, s[28:29]
	s_andn2_b64 s[2:3], s[36:37], exec
	s_and_b64 s[22:23], s[38:39], exec
	s_or_b64 s[36:37], s[2:3], s[22:23]
.LBB44_250:                             ;   in Loop: Header=BB44_7 Depth=1
	s_or_b64 exec, exec, s[10:11]
	s_mov_b64 s[22:23], 0
	s_mov_b64 s[28:29], -1
.LBB44_251:                             ;   in Loop: Header=BB44_7 Depth=1
	s_mov_b64 s[94:95], s[48:49]
	v_readlane_b32 s48, v57, 23
	s_orn2_b64 s[2:3], s[36:37], exec
	v_readlane_b32 s49, v57, 24
.LBB44_252:                             ;   in Loop: Header=BB44_7 Depth=1
	s_or_b64 exec, exec, s[92:93]
	s_mov_b64 s[10:11], 0
	s_and_saveexec_b64 s[36:37], s[2:3]
	s_cbranch_execz .LBB44_263
; %bb.253:                              ;   in Loop: Header=BB44_7 Depth=1
	v_mov_b32_e32 v4, 1
	s_xor_b64 s[2:3], s[80:81], -1
	v_mov_b32_e32 v5, 0
	v_mov_b32_e32 v34, 1
	s_and_saveexec_b64 s[10:11], s[2:3]
	s_cbranch_execz .LBB44_262
; %bb.254:                              ;   in Loop: Header=BB44_7 Depth=1
	v_cmp_ge_i64_e32 vcc, s[12:13], v[10:11]
	s_and_saveexec_b64 s[2:3], vcc
	s_xor_b64 s[38:39], exec, s[2:3]
	s_cbranch_execz .LBB44_259
; %bb.255:                              ;   in Loop: Header=BB44_7 Depth=1
	ds_read_b64 v[4:5], v19 offset:5120
	v_or_b32_e32 v29, s15, v29
	v_or_b32_e32 v28, s14, v28
	v_or_b32_e32 v31, s15, v31
	v_or_b32_e32 v30, s14, v30
	s_waitcnt lgkmcnt(0)
	v_cmp_ne_u64_e32 vcc, 0, v[4:5]
	s_cbranch_vccnz .LBB44_259
; %bb.256:                              ;   in Loop: Header=BB44_7 Depth=1
	s_and_saveexec_b64 s[2:3], s[94:95]
; %bb.257:                              ;   in Loop: Header=BB44_7 Depth=1
	v_mov_b32_e32 v4, s12
	v_mov_b32_e32 v5, s13
	ds_write_b64 v19, v[4:5] offset:5128
; %bb.258:                              ;   in Loop: Header=BB44_7 Depth=1
	s_or_b64 exec, exec, s[2:3]
	s_waitcnt lgkmcnt(0)
	s_barrier
.LBB44_259:                             ;   in Loop: Header=BB44_7 Depth=1
	s_andn2_saveexec_b64 s[2:3], s[38:39]
; %bb.260:                              ;   in Loop: Header=BB44_7 Depth=1
	v_mov_b32_e32 v2, s13
	v_subrev_co_u32_e32 v10, vcc, s12, v10
	v_subb_co_u32_e32 v11, vcc, v11, v2, vcc
; %bb.261:                              ;   in Loop: Header=BB44_7 Depth=1
	s_or_b64 exec, exec, s[2:3]
	v_mov_b32_e32 v4, v10
	v_mov_b32_e32 v34, 8
	v_mov_b32_e32 v5, v11
.LBB44_262:                             ;   in Loop: Header=BB44_7 Depth=1
	s_or_b64 exec, exec, s[10:11]
	v_mov_b32_e32 v11, v5
	s_mov_b64 s[10:11], exec
	v_mov_b32_e32 v10, v4
.LBB44_263:                             ;   in Loop: Header=BB44_7 Depth=1
	s_or_b64 exec, exec, s[36:37]
	s_orn2_b64 s[10:11], s[10:11], exec
.LBB44_264:                             ;   in Loop: Header=BB44_7 Depth=1
	s_or_b64 exec, exec, s[76:77]
	s_andn2_b64 s[2:3], s[88:89], exec
	s_and_b64 s[12:13], s[28:29], exec
	s_or_b64 s[88:89], s[2:3], s[12:13]
	s_andn2_b64 s[2:3], s[86:87], exec
	s_and_b64 s[12:13], s[22:23], exec
	v_mov_b32_e32 v8, v10
	s_or_b64 s[86:87], s[2:3], s[12:13]
	s_and_b64 s[10:11], s[10:11], exec
	v_mov_b32_e32 v9, v11
.LBB44_265:                             ;   in Loop: Header=BB44_7 Depth=1
	s_or_b64 exec, exec, s[90:91]
	s_orn2_b64 s[10:11], s[10:11], exec
.LBB44_266:                             ;   in Loop: Header=BB44_7 Depth=1
	s_or_b64 exec, exec, s[84:85]
	s_andn2_b64 s[2:3], s[78:79], exec
	s_and_b64 s[12:13], s[88:89], exec
	s_or_b64 s[78:79], s[2:3], s[12:13]
	s_andn2_b64 s[2:3], s[6:7], exec
	s_and_b64 s[6:7], s[86:87], exec
	v_mov_b32_e32 v13, v9
	s_or_b64 s[6:7], s[2:3], s[6:7]
	s_and_b64 s[10:11], s[10:11], exec
	v_mov_b32_e32 v12, v8
.LBB44_267:                             ;   in Loop: Header=BB44_7 Depth=1
	s_or_b64 exec, exec, s[82:83]
	s_orn2_b64 s[10:11], s[10:11], exec
.LBB44_268:                             ;   in Loop: Header=BB44_7 Depth=1
	s_or_b64 exec, exec, s[26:27]
	s_mov_b64 s[2:3], 0
	s_and_saveexec_b64 s[12:13], s[10:11]
	s_xor_b64 s[10:11], exec, s[12:13]
	s_cbranch_execz .LBB44_5
; %bb.269:                              ;   in Loop: Header=BB44_7 Depth=1
	v_and_b32_e32 v2, 7, v34
	v_cmp_eq_u32_e32 vcc, 0, v2
	s_mov_b64 s[12:13], -1
	s_mov_b64 s[2:3], -1
	s_and_saveexec_b64 s[14:15], vcc
	s_cbranch_execz .LBB44_4
; %bb.270:                              ;   in Loop: Header=BB44_7 Depth=1
	s_xor_b32 s8, s8, 1
	s_add_i32 s9, s1, -2
	s_cmp_eq_u32 s1, 0
	s_cselect_b64 s[12:13], -1, 0
	s_xor_b64 s[2:3], exec, -1
	s_orn2_b64 s[12:13], s[12:13], exec
	s_mov_b32 s1, s9
	s_branch .LBB44_4
.LBB44_271:                             ;   in Loop: Header=BB44_7 Depth=1
                                        ; implicit-def: $sgpr2_sgpr3
	s_andn2_b64 vcc, exec, s[10:11]
	s_cbranch_vccz .LBB44_222
	s_branch .LBB44_223
.LBB44_272:                             ;   in Loop: Header=BB44_7 Depth=1
                                        ; implicit-def: $sgpr2_sgpr3
	s_branch .LBB44_239
.LBB44_273:
	s_or_b64 exec, exec, s[62:63]
	s_xor_b64 s[6:7], s[68:69], -1
	s_xor_b64 s[0:1], s[64:65], -1
	;; [unrolled: 1-line block ×3, first 2 shown]
	s_mov_b64 s[2:3], 0
	s_and_saveexec_b64 s[4:5], s[0:1]
	s_xor_b64 s[4:5], exec, s[4:5]
	s_cbranch_execnz .LBB44_278
; %bb.274:
	s_andn2_saveexec_b64 s[0:1], s[4:5]
	s_cbranch_execnz .LBB44_300
.LBB44_275:
	s_or_b64 exec, exec, s[0:1]
	s_and_saveexec_b64 s[0:1], s[2:3]
.LBB44_276:
	; divergent unreachable
.LBB44_277:
	s_endpgm
.LBB44_278:
	s_and_saveexec_b64 s[0:1], s[6:7]
	s_xor_b64 s[6:7], exec, s[0:1]
	s_cbranch_execz .LBB44_298
; %bb.279:
	s_and_saveexec_b64 s[0:1], s[8:9]
	s_xor_b64 s[2:3], exec, s[0:1]
; %bb.280:
	v_lshrrev_b32_e32 v2, 31, v29
	v_add_co_u32_e32 v2, vcc, -1, v2
	v_addc_co_u32_e64 v3, s[0:1], 0, -1, vcc
	v_or_b32_e32 v3, 0x80000000, v3
	v_xor_b32_e32 v7, v3, v29
	v_xor_b32_e32 v6, v2, v28
; %bb.281:
	s_or_b64 exec, exec, s[2:3]
	s_and_saveexec_b64 s[2:3], s[94:95]
	v_readlane_b32 s30, v57, 8
	v_readlane_b32 s31, v57, 9
; %bb.282:
	v_mov_b32_e32 v2, 0
	v_mov_b32_e32 v3, s24
	ds_write_b32 v2, v3 offset:5140
; %bb.283:
	s_or_b64 exec, exec, s[2:3]
	s_waitcnt lgkmcnt(0)
	s_barrier
	s_and_saveexec_b64 s[8:9], s[48:49]
	s_cbranch_execz .LBB44_295
; %bb.284:
	v_cmp_u_f64_e32 vcc, v[6:7], v[6:7]
	v_mov_b32_e32 v2, 0
	ds_read_b32 v4, v2 offset:5140
	s_mov_b64 s[10:11], 0
                                        ; implicit-def: $sgpr14_sgpr15
                                        ; implicit-def: $sgpr16_sgpr17
                                        ; implicit-def: $sgpr18_sgpr19
	s_waitcnt lgkmcnt(0)
	v_ashrrev_i32_e32 v5, 31, v4
	s_xor_b64 s[12:13], vcc, -1
	s_branch .LBB44_287
.LBB44_285:                             ;   in Loop: Header=BB44_287 Depth=1
	s_or_b64 exec, exec, s[28:29]
	s_andn2_b64 s[0:1], s[18:19], exec
	s_and_b64 s[2:3], s[22:23], exec
	s_or_b64 s[18:19], s[0:1], s[2:3]
	s_andn2_b64 s[0:1], s[16:17], exec
	s_and_b64 s[2:3], s[26:27], exec
	s_or_b64 s[16:17], s[0:1], s[2:3]
.LBB44_286:                             ;   in Loop: Header=BB44_287 Depth=1
	s_or_b64 exec, exec, s[20:21]
	s_and_b64 s[0:1], exec, s[16:17]
	s_or_b64 s[10:11], s[0:1], s[10:11]
	s_andn2_b64 s[0:1], s[14:15], exec
	s_and_b64 s[2:3], s[18:19], exec
	s_or_b64 s[14:15], s[0:1], s[2:3]
	s_andn2_b64 exec, exec, s[10:11]
	s_cbranch_execz .LBB44_290
.LBB44_287:                             ; =>This Inner Loop Header: Depth=1
	v_mov_b32_e32 v3, v1
	v_mov_b32_e32 v2, v0
	v_cmp_lt_i64_e32 vcc, v[2:3], v[4:5]
	s_or_b64 s[18:19], s[18:19], exec
	s_or_b64 s[16:17], s[16:17], exec
                                        ; implicit-def: $vgpr0_vgpr1
	s_and_saveexec_b64 s[20:21], vcc
	s_cbranch_execz .LBB44_286
; %bb.288:                              ;   in Loop: Header=BB44_287 Depth=1
	global_load_dwordx2 v[0:1], v[16:17], off
	s_mov_b64 s[26:27], -1
	s_mov_b64 s[22:23], 0
	s_waitcnt vmcnt(0)
	v_cmp_o_f64_e32 vcc, v[0:1], v[0:1]
	v_cmp_neq_f64_e64 s[2:3], v[0:1], v[6:7]
                                        ; implicit-def: $vgpr0_vgpr1
	s_or_b64 s[0:1], vcc, s[12:13]
	s_and_b64 s[0:1], s[2:3], s[0:1]
	s_and_saveexec_b64 s[28:29], s[0:1]
	s_cbranch_execz .LBB44_285
; %bb.289:                              ;   in Loop: Header=BB44_287 Depth=1
	v_add_co_u32_e32 v0, vcc, s33, v2
	v_addc_co_u32_e32 v1, vcc, 0, v3, vcc
	v_cmp_le_i64_e32 vcc, s[24:25], v[0:1]
	v_mov_b32_e32 v3, s41
	v_add_co_u32_e64 v16, s[2:3], s40, v16
	s_mov_b64 s[22:23], exec
	v_addc_co_u32_e64 v17, s[2:3], v17, v3, s[2:3]
	s_orn2_b64 s[26:27], vcc, exec
	s_branch .LBB44_285
.LBB44_290:
	s_or_b64 exec, exec, s[10:11]
	s_xor_b64 s[0:1], s[14:15], -1
	s_and_saveexec_b64 s[2:3], s[0:1]
	s_xor_b64 s[2:3], exec, s[2:3]
	s_cbranch_execz .LBB44_295
; %bb.291:
	s_mov_b64 s[2:3], exec
	s_brev_b32 s0, -2
.LBB44_292:                             ; =>This Inner Loop Header: Depth=1
	s_ff1_i32_b64 s1, s[2:3]
	v_readlane_b32 s12, v2, s1
	s_lshl_b64 s[10:11], 1, s1
	s_min_i32 s0, s0, s12
	s_andn2_b64 s[2:3], s[2:3], s[10:11]
	s_cmp_lg_u64 s[2:3], 0
	s_cbranch_scc1 .LBB44_292
; %bb.293:
	v_mbcnt_lo_u32_b32 v0, exec_lo, 0
	v_mbcnt_hi_u32_b32 v0, exec_hi, v0
	v_cmp_eq_u32_e32 vcc, 0, v0
	s_and_saveexec_b64 s[2:3], vcc
	s_xor_b64 s[2:3], exec, s[2:3]
; %bb.294:
	v_mov_b32_e32 v0, 0
	v_mov_b32_e32 v1, s0
	ds_min_i32 v0, v1 offset:5140
.LBB44_295:
	s_or_b64 exec, exec, s[8:9]
	s_waitcnt lgkmcnt(0)
	s_barrier
	s_and_saveexec_b64 s[2:3], s[94:95]
	s_cbranch_execz .LBB44_297
; %bb.296:
	v_readlane_b32 s8, v57, 4
	v_readlane_b32 s9, v57, 5
	;; [unrolled: 1-line block ×3, first 2 shown]
	s_mul_i32 s0, s9, s30
	s_mul_hi_u32 s1, s8, s30
	v_readlane_b32 s11, v57, 1
	v_mov_b32_e32 v2, 0
	s_add_i32 s1, s1, s0
	s_mul_i32 s0, s8, s30
	s_mul_i32 s8, s11, s30
	s_mul_hi_u32 s9, s10, s30
	ds_read_b32 v0, v2 offset:5140
	s_add_i32 s9, s9, s8
	s_mul_i32 s8, s10, s30
	s_lshl_b64 s[0:1], s[0:1], 3
	v_readlane_b32 s10, v57, 6
	v_readlane_b32 s11, v57, 7
	s_add_u32 s0, s10, s0
	s_addc_u32 s1, s11, s1
	s_lshl_b64 s[8:9], s[8:9], 3
	v_readlane_b32 s10, v57, 2
	v_readlane_b32 s11, v57, 3
	s_add_u32 s8, s10, s8
	s_addc_u32 s9, s11, s9
	s_waitcnt lgkmcnt(0)
	v_ashrrev_i32_e32 v1, 31, v0
	global_store_dwordx2 v2, v[0:1], s[8:9]
	global_store_dwordx2 v2, v[6:7], s[0:1]
.LBB44_297:
	s_or_b64 exec, exec, s[2:3]
.LBB44_298:
	s_or_saveexec_b64 s[0:1], s[6:7]
	s_mov_b64 s[2:3], 0
	s_xor_b64 exec, exec, s[0:1]
	s_cbranch_execnz .LBB44_301
.LBB44_299:
	s_or_b64 exec, exec, s[0:1]
	s_and_b64 s[2:3], s[2:3], exec
	s_andn2_saveexec_b64 s[0:1], s[4:5]
	s_cbranch_execz .LBB44_275
.LBB44_300:
	s_or_b64 s[2:3], s[2:3], exec
	s_trap 2
	s_or_b64 exec, exec, s[0:1]
	s_and_saveexec_b64 s[0:1], s[2:3]
	s_cbranch_execnz .LBB44_276
	s_branch .LBB44_277
.LBB44_301:
	s_mov_b64 s[2:3], exec
	s_trap 2
	s_branch .LBB44_299
	.section	.rodata,"a",@progbits
	.p2align	6, 0x0
	.amdhsa_kernel _ZN2at6native12_GLOBAL__N_114gatherKthValueIdlLi1EEEvNS_4cuda6detail10TensorInfoIKT_T0_EES8_S8_S8_S8_NS5_IS6_S8_EENS5_IlS8_EE
		.amdhsa_group_segment_fixed_size 5144
		.amdhsa_private_segment_fixed_size 0
		.amdhsa_kernarg_size 1536
		.amdhsa_user_sgpr_count 6
		.amdhsa_user_sgpr_private_segment_buffer 1
		.amdhsa_user_sgpr_dispatch_ptr 0
		.amdhsa_user_sgpr_queue_ptr 0
		.amdhsa_user_sgpr_kernarg_segment_ptr 1
		.amdhsa_user_sgpr_dispatch_id 0
		.amdhsa_user_sgpr_flat_scratch_init 0
		.amdhsa_user_sgpr_private_segment_size 0
		.amdhsa_uses_dynamic_stack 0
		.amdhsa_system_sgpr_private_segment_wavefront_offset 0
		.amdhsa_system_sgpr_workgroup_id_x 1
		.amdhsa_system_sgpr_workgroup_id_y 1
		.amdhsa_system_sgpr_workgroup_id_z 1
		.amdhsa_system_sgpr_workgroup_info 0
		.amdhsa_system_vgpr_workitem_id 0
		.amdhsa_next_free_vgpr 58
		.amdhsa_next_free_sgpr 96
		.amdhsa_reserve_vcc 1
		.amdhsa_reserve_flat_scratch 0
		.amdhsa_float_round_mode_32 0
		.amdhsa_float_round_mode_16_64 0
		.amdhsa_float_denorm_mode_32 3
		.amdhsa_float_denorm_mode_16_64 3
		.amdhsa_dx10_clamp 1
		.amdhsa_ieee_mode 1
		.amdhsa_fp16_overflow 0
		.amdhsa_exception_fp_ieee_invalid_op 0
		.amdhsa_exception_fp_denorm_src 0
		.amdhsa_exception_fp_ieee_div_zero 0
		.amdhsa_exception_fp_ieee_overflow 0
		.amdhsa_exception_fp_ieee_underflow 0
		.amdhsa_exception_fp_ieee_inexact 0
		.amdhsa_exception_int_div_zero 0
	.end_amdhsa_kernel
	.section	.text._ZN2at6native12_GLOBAL__N_114gatherKthValueIdlLi1EEEvNS_4cuda6detail10TensorInfoIKT_T0_EES8_S8_S8_S8_NS5_IS6_S8_EENS5_IlS8_EE,"axG",@progbits,_ZN2at6native12_GLOBAL__N_114gatherKthValueIdlLi1EEEvNS_4cuda6detail10TensorInfoIKT_T0_EES8_S8_S8_S8_NS5_IS6_S8_EENS5_IlS8_EE,comdat
.Lfunc_end44:
	.size	_ZN2at6native12_GLOBAL__N_114gatherKthValueIdlLi1EEEvNS_4cuda6detail10TensorInfoIKT_T0_EES8_S8_S8_S8_NS5_IS6_S8_EENS5_IlS8_EE, .Lfunc_end44-_ZN2at6native12_GLOBAL__N_114gatherKthValueIdlLi1EEEvNS_4cuda6detail10TensorInfoIKT_T0_EES8_S8_S8_S8_NS5_IS6_S8_EENS5_IlS8_EE
                                        ; -- End function
	.set _ZN2at6native12_GLOBAL__N_114gatherKthValueIdlLi1EEEvNS_4cuda6detail10TensorInfoIKT_T0_EES8_S8_S8_S8_NS5_IS6_S8_EENS5_IlS8_EE.num_vgpr, 58
	.set _ZN2at6native12_GLOBAL__N_114gatherKthValueIdlLi1EEEvNS_4cuda6detail10TensorInfoIKT_T0_EES8_S8_S8_S8_NS5_IS6_S8_EENS5_IlS8_EE.num_agpr, 0
	.set _ZN2at6native12_GLOBAL__N_114gatherKthValueIdlLi1EEEvNS_4cuda6detail10TensorInfoIKT_T0_EES8_S8_S8_S8_NS5_IS6_S8_EENS5_IlS8_EE.numbered_sgpr, 96
	.set _ZN2at6native12_GLOBAL__N_114gatherKthValueIdlLi1EEEvNS_4cuda6detail10TensorInfoIKT_T0_EES8_S8_S8_S8_NS5_IS6_S8_EENS5_IlS8_EE.num_named_barrier, 0
	.set _ZN2at6native12_GLOBAL__N_114gatherKthValueIdlLi1EEEvNS_4cuda6detail10TensorInfoIKT_T0_EES8_S8_S8_S8_NS5_IS6_S8_EENS5_IlS8_EE.private_seg_size, 0
	.set _ZN2at6native12_GLOBAL__N_114gatherKthValueIdlLi1EEEvNS_4cuda6detail10TensorInfoIKT_T0_EES8_S8_S8_S8_NS5_IS6_S8_EENS5_IlS8_EE.uses_vcc, 1
	.set _ZN2at6native12_GLOBAL__N_114gatherKthValueIdlLi1EEEvNS_4cuda6detail10TensorInfoIKT_T0_EES8_S8_S8_S8_NS5_IS6_S8_EENS5_IlS8_EE.uses_flat_scratch, 0
	.set _ZN2at6native12_GLOBAL__N_114gatherKthValueIdlLi1EEEvNS_4cuda6detail10TensorInfoIKT_T0_EES8_S8_S8_S8_NS5_IS6_S8_EENS5_IlS8_EE.has_dyn_sized_stack, 0
	.set _ZN2at6native12_GLOBAL__N_114gatherKthValueIdlLi1EEEvNS_4cuda6detail10TensorInfoIKT_T0_EES8_S8_S8_S8_NS5_IS6_S8_EENS5_IlS8_EE.has_recursion, 0
	.set _ZN2at6native12_GLOBAL__N_114gatherKthValueIdlLi1EEEvNS_4cuda6detail10TensorInfoIKT_T0_EES8_S8_S8_S8_NS5_IS6_S8_EENS5_IlS8_EE.has_indirect_call, 0
	.section	.AMDGPU.csdata,"",@progbits
; Kernel info:
; codeLenInByte = 15920
; TotalNumSgprs: 100
; NumVgprs: 58
; ScratchSize: 0
; MemoryBound: 0
; FloatMode: 240
; IeeeMode: 1
; LDSByteSize: 5144 bytes/workgroup (compile time only)
; SGPRBlocks: 12
; VGPRBlocks: 14
; NumSGPRsForWavesPerEU: 100
; NumVGPRsForWavesPerEU: 58
; Occupancy: 4
; WaveLimiterHint : 1
; COMPUTE_PGM_RSRC2:SCRATCH_EN: 0
; COMPUTE_PGM_RSRC2:USER_SGPR: 6
; COMPUTE_PGM_RSRC2:TRAP_HANDLER: 0
; COMPUTE_PGM_RSRC2:TGID_X_EN: 1
; COMPUTE_PGM_RSRC2:TGID_Y_EN: 1
; COMPUTE_PGM_RSRC2:TGID_Z_EN: 1
; COMPUTE_PGM_RSRC2:TIDIG_COMP_CNT: 0
	.section	.text._ZN2at6native12_GLOBAL__N_114gatherKthValueIdlLi2EEEvNS_4cuda6detail10TensorInfoIKT_T0_EES8_S8_S8_S8_NS5_IS6_S8_EENS5_IlS8_EE,"axG",@progbits,_ZN2at6native12_GLOBAL__N_114gatherKthValueIdlLi2EEEvNS_4cuda6detail10TensorInfoIKT_T0_EES8_S8_S8_S8_NS5_IS6_S8_EENS5_IlS8_EE,comdat
	.globl	_ZN2at6native12_GLOBAL__N_114gatherKthValueIdlLi2EEEvNS_4cuda6detail10TensorInfoIKT_T0_EES8_S8_S8_S8_NS5_IS6_S8_EENS5_IlS8_EE ; -- Begin function _ZN2at6native12_GLOBAL__N_114gatherKthValueIdlLi2EEEvNS_4cuda6detail10TensorInfoIKT_T0_EES8_S8_S8_S8_NS5_IS6_S8_EENS5_IlS8_EE
	.p2align	8
	.type	_ZN2at6native12_GLOBAL__N_114gatherKthValueIdlLi2EEEvNS_4cuda6detail10TensorInfoIKT_T0_EES8_S8_S8_S8_NS5_IS6_S8_EENS5_IlS8_EE,@function
_ZN2at6native12_GLOBAL__N_114gatherKthValueIdlLi2EEEvNS_4cuda6detail10TensorInfoIKT_T0_EES8_S8_S8_S8_NS5_IS6_S8_EENS5_IlS8_EE: ; @_ZN2at6native12_GLOBAL__N_114gatherKthValueIdlLi2EEEvNS_4cuda6detail10TensorInfoIKT_T0_EES8_S8_S8_S8_NS5_IS6_S8_EENS5_IlS8_EE
; %bb.0:
	s_load_dwordx2 s[14:15], s[4:5], 0x500
	s_load_dwordx8 s[20:27], s[4:5], 0x1a0
	s_add_u32 s12, s4, 0x500
	s_addc_u32 s13, s5, 0
	s_mov_b32 s67, 0
	s_waitcnt lgkmcnt(0)
	s_mul_i32 s0, s15, s8
	s_add_i32 s0, s0, s7
	s_mul_i32 s0, s0, s14
	s_add_i32 s66, s0, s6
	v_mov_b32_e32 v1, s66
	v_mov_b32_e32 v2, s67
	v_cmp_le_i64_e32 vcc, s[24:25], v[1:2]
	s_cbranch_vccnz .LBB45_286
; %bb.1:
	s_load_dwordx2 s[2:3], s[4:5], 0x10
	s_load_dwordx2 s[0:1], s[4:5], 0x1d0
                                        ; implicit-def: $vgpr59 : SGPR spill to VGPR lane
	s_waitcnt lgkmcnt(0)
	v_writelane_b32 v59, s0, 0
	v_writelane_b32 v59, s1, 1
	s_mov_b32 s0, s67
	s_mov_b32 s1, s3
	s_cmp_lg_u64 s[0:1], 0
	s_cbranch_scc0 .LBB45_299
; %bb.2:
	s_ashr_i32 s0, s3, 31
	s_add_u32 s8, s2, s0
	s_mov_b32 s1, s0
	s_addc_u32 s9, s3, s0
	s_xor_b64 s[10:11], s[8:9], s[0:1]
	v_cvt_f32_u32_e32 v1, s10
	v_cvt_f32_u32_e32 v2, s11
	s_sub_u32 s7, 0, s10
	s_subb_u32 s15, 0, s11
	v_madmk_f32 v1, v2, 0x4f800000, v1
	v_rcp_f32_e32 v1, v1
	v_mul_f32_e32 v1, 0x5f7ffffc, v1
	v_mul_f32_e32 v2, 0x2f800000, v1
	v_trunc_f32_e32 v2, v2
	v_madmk_f32 v1, v2, 0xcf800000, v1
	v_cvt_u32_f32_e32 v2, v2
	v_cvt_u32_f32_e32 v1, v1
	v_readfirstlane_b32 s18, v2
	v_readfirstlane_b32 s16, v1
	s_mul_i32 s17, s7, s18
	s_mul_hi_u32 s24, s7, s16
	s_mul_i32 s19, s15, s16
	s_add_i32 s17, s24, s17
	s_add_i32 s17, s17, s19
	s_mul_i32 s25, s7, s16
	s_mul_i32 s24, s16, s17
	s_mul_hi_u32 s28, s16, s25
	s_mul_hi_u32 s19, s16, s17
	s_add_u32 s24, s28, s24
	s_addc_u32 s19, 0, s19
	s_mul_hi_u32 s29, s18, s25
	s_mul_i32 s25, s18, s25
	s_add_u32 s24, s24, s25
	s_mul_hi_u32 s28, s18, s17
	s_addc_u32 s19, s19, s29
	s_addc_u32 s24, s28, 0
	s_mul_i32 s17, s18, s17
	s_add_u32 s17, s19, s17
	s_addc_u32 s19, 0, s24
	s_add_u32 s24, s16, s17
	s_cselect_b64 s[16:17], -1, 0
	s_cmp_lg_u64 s[16:17], 0
	s_addc_u32 s18, s18, s19
	s_mul_i32 s16, s7, s18
	s_mul_hi_u32 s17, s7, s24
	s_add_i32 s16, s17, s16
	s_mul_i32 s15, s15, s24
	s_add_i32 s16, s16, s15
	s_mul_i32 s7, s7, s24
	s_mul_hi_u32 s17, s18, s7
	s_mul_i32 s19, s18, s7
	s_mul_i32 s28, s24, s16
	s_mul_hi_u32 s7, s24, s7
	s_mul_hi_u32 s25, s24, s16
	s_add_u32 s7, s7, s28
	s_addc_u32 s25, 0, s25
	s_add_u32 s7, s7, s19
	s_mul_hi_u32 s15, s18, s16
	s_addc_u32 s7, s25, s17
	s_addc_u32 s15, s15, 0
	s_mul_i32 s16, s18, s16
	s_add_u32 s7, s7, s16
	s_addc_u32 s15, 0, s15
	s_add_u32 s7, s24, s7
	s_cselect_b64 s[16:17], -1, 0
	s_cmp_lg_u64 s[16:17], 0
	s_addc_u32 s15, s18, s15
	s_add_u32 s16, s66, 0
	s_addc_u32 s17, 0, 0
	s_xor_b64 s[16:17], s[16:17], 0
	s_mul_i32 s19, s16, s15
	s_mul_hi_u32 s24, s16, s7
	s_mul_hi_u32 s18, s16, s15
	s_add_u32 s19, s24, s19
	s_addc_u32 s18, 0, s18
	s_mul_hi_u32 s25, s17, s7
	s_mul_i32 s7, s17, s7
	s_add_u32 s7, s19, s7
	s_mul_hi_u32 s24, s17, s15
	s_addc_u32 s7, s18, s25
	s_addc_u32 s18, s24, 0
	s_mul_i32 s15, s17, s15
	s_add_u32 s7, s7, s15
	s_addc_u32 s15, 0, s18
	s_mul_i32 s18, s10, s15
	s_mul_hi_u32 s19, s10, s7
	s_add_i32 s18, s19, s18
	s_mul_i32 s19, s11, s7
	s_add_i32 s28, s18, s19
	s_sub_i32 s24, s17, s28
	s_mul_i32 s18, s10, s7
	s_sub_u32 s16, s16, s18
	s_cselect_b64 s[18:19], -1, 0
	s_cmp_lg_u64 s[18:19], 0
	s_subb_u32 s29, s24, s11
	s_sub_u32 s30, s16, s10
	s_cselect_b64 s[24:25], -1, 0
	s_cmp_lg_u64 s[24:25], 0
	s_subb_u32 s24, s29, 0
	s_cmp_ge_u32 s24, s11
	s_cselect_b32 s25, -1, 0
	s_cmp_ge_u32 s30, s10
	s_cselect_b32 s29, -1, 0
	s_cmp_eq_u32 s24, s11
	s_cselect_b32 s24, s29, s25
	s_add_u32 s25, s7, 1
	s_addc_u32 s29, s15, 0
	s_add_u32 s30, s7, 2
	s_addc_u32 s31, s15, 0
	s_cmp_lg_u32 s24, 0
	s_cselect_b32 s24, s30, s25
	s_cselect_b32 s25, s31, s29
	s_cmp_lg_u64 s[18:19], 0
	s_subb_u32 s17, s17, s28
	s_cmp_ge_u32 s17, s11
	s_cselect_b32 s18, -1, 0
	s_cmp_ge_u32 s16, s10
	s_cselect_b32 s10, -1, 0
	s_cmp_eq_u32 s17, s11
	s_cselect_b32 s10, s10, s18
	s_cmp_lg_u32 s10, 0
	s_cselect_b32 s11, s25, s15
	s_cselect_b32 s10, s24, s7
	s_xor_b64 s[0:1], 0, s[0:1]
	s_xor_b64 s[10:11], s[10:11], s[0:1]
	s_sub_u32 s16, s10, s0
	s_subb_u32 s17, s11, s1
	s_cbranch_execnz .LBB45_4
.LBB45_3:
	v_cvt_f32_u32_e32 v1, s2
	s_sub_i32 s0, 0, s2
	s_mov_b32 s17, 0
	v_rcp_iflag_f32_e32 v1, v1
	v_mul_f32_e32 v1, 0x4f7ffffe, v1
	v_cvt_u32_f32_e32 v1, v1
	v_readfirstlane_b32 s1, v1
	s_mul_i32 s0, s0, s1
	s_mul_hi_u32 s0, s1, s0
	s_add_i32 s1, s1, s0
	s_mul_hi_u32 s0, s66, s1
	s_mul_i32 s7, s0, s2
	s_sub_i32 s7, s66, s7
	s_add_i32 s1, s0, 1
	s_sub_i32 s8, s7, s2
	s_cmp_ge_u32 s7, s2
	s_cselect_b32 s0, s1, s0
	s_cselect_b32 s7, s8, s7
	s_add_i32 s1, s0, 1
	s_cmp_ge_u32 s7, s2
	s_cselect_b32 s16, s1, s0
.LBB45_4:
	s_load_dwordx2 s[0:1], s[4:5], 0x370
	s_load_dwordx2 s[8:9], s[4:5], 0x1d0
	s_waitcnt lgkmcnt(0)
	v_writelane_b32 v59, s0, 2
	v_writelane_b32 v59, s1, 3
	s_mov_b32 s0, 0
	s_mov_b32 s1, s9
	s_cmp_lg_u64 s[0:1], 0
	s_cbranch_scc0 .LBB45_300
; %bb.5:
	s_ashr_i32 s0, s9, 31
	s_add_u32 s8, s8, s0
	s_mov_b32 s1, s0
	s_addc_u32 s9, s9, s0
	s_xor_b64 s[10:11], s[8:9], s[0:1]
	v_cvt_f32_u32_e32 v1, s10
	v_cvt_f32_u32_e32 v2, s11
	s_sub_u32 s7, 0, s10
	s_subb_u32 s15, 0, s11
	v_madmk_f32 v1, v2, 0x4f800000, v1
	v_rcp_f32_e32 v1, v1
	v_mul_f32_e32 v1, 0x5f7ffffc, v1
	v_mul_f32_e32 v2, 0x2f800000, v1
	v_trunc_f32_e32 v2, v2
	v_madmk_f32 v1, v2, 0xcf800000, v1
	v_cvt_u32_f32_e32 v2, v2
	v_cvt_u32_f32_e32 v1, v1
	v_readfirstlane_b32 s24, v2
	v_readfirstlane_b32 s18, v1
	s_mul_i32 s19, s7, s24
	s_mul_hi_u32 s28, s7, s18
	s_mul_i32 s25, s15, s18
	s_add_i32 s19, s28, s19
	s_add_i32 s19, s19, s25
	s_mul_i32 s29, s7, s18
	s_mul_i32 s28, s18, s19
	s_mul_hi_u32 s30, s18, s29
	s_mul_hi_u32 s25, s18, s19
	s_add_u32 s28, s30, s28
	s_addc_u32 s25, 0, s25
	s_mul_hi_u32 s31, s24, s29
	s_mul_i32 s29, s24, s29
	s_add_u32 s28, s28, s29
	s_mul_hi_u32 s30, s24, s19
	s_addc_u32 s25, s25, s31
	s_addc_u32 s28, s30, 0
	s_mul_i32 s19, s24, s19
	s_add_u32 s19, s25, s19
	s_addc_u32 s25, 0, s28
	s_add_u32 s28, s18, s19
	s_cselect_b64 s[18:19], -1, 0
	s_cmp_lg_u64 s[18:19], 0
	s_addc_u32 s24, s24, s25
	s_mul_i32 s18, s7, s24
	s_mul_hi_u32 s19, s7, s28
	s_add_i32 s18, s19, s18
	s_mul_i32 s15, s15, s28
	s_add_i32 s18, s18, s15
	s_mul_i32 s7, s7, s28
	s_mul_hi_u32 s19, s24, s7
	s_mul_i32 s25, s24, s7
	s_mul_i32 s30, s28, s18
	s_mul_hi_u32 s7, s28, s7
	s_mul_hi_u32 s29, s28, s18
	s_add_u32 s7, s7, s30
	s_addc_u32 s29, 0, s29
	s_add_u32 s7, s7, s25
	s_mul_hi_u32 s15, s24, s18
	s_addc_u32 s7, s29, s19
	s_addc_u32 s15, s15, 0
	s_mul_i32 s18, s24, s18
	s_add_u32 s7, s7, s18
	s_addc_u32 s15, 0, s15
	s_add_u32 s7, s28, s7
	s_cselect_b64 s[18:19], -1, 0
	s_cmp_lg_u64 s[18:19], 0
	s_addc_u32 s15, s24, s15
	s_add_u32 s18, s66, 0
	s_addc_u32 s19, 0, 0
	s_xor_b64 s[18:19], s[18:19], 0
	s_mul_i32 s25, s18, s15
	s_mul_hi_u32 s28, s18, s7
	s_mul_hi_u32 s24, s18, s15
	s_add_u32 s25, s28, s25
	s_addc_u32 s24, 0, s24
	s_mul_hi_u32 s29, s19, s7
	s_mul_i32 s7, s19, s7
	s_add_u32 s7, s25, s7
	s_mul_hi_u32 s28, s19, s15
	s_addc_u32 s7, s24, s29
	s_addc_u32 s24, s28, 0
	s_mul_i32 s15, s19, s15
	s_add_u32 s7, s7, s15
	s_addc_u32 s15, 0, s24
	s_mul_i32 s24, s10, s15
	s_mul_hi_u32 s25, s10, s7
	s_add_i32 s24, s25, s24
	s_mul_i32 s25, s11, s7
	s_add_i32 s30, s24, s25
	s_sub_i32 s28, s19, s30
	s_mul_i32 s24, s10, s7
	s_sub_u32 s18, s18, s24
	s_cselect_b64 s[24:25], -1, 0
	s_cmp_lg_u64 s[24:25], 0
	s_subb_u32 s31, s28, s11
	s_sub_u32 s33, s18, s10
	s_cselect_b64 s[28:29], -1, 0
	s_cmp_lg_u64 s[28:29], 0
	s_subb_u32 s28, s31, 0
	s_cmp_ge_u32 s28, s11
	s_cselect_b32 s29, -1, 0
	s_cmp_ge_u32 s33, s10
	s_cselect_b32 s31, -1, 0
	s_cmp_eq_u32 s28, s11
	s_cselect_b32 s28, s31, s29
	s_add_u32 s29, s7, 1
	s_addc_u32 s31, s15, 0
	s_add_u32 s33, s7, 2
	s_addc_u32 s34, s15, 0
	s_cmp_lg_u32 s28, 0
	s_cselect_b32 s28, s33, s29
	s_cselect_b32 s29, s34, s31
	s_cmp_lg_u64 s[24:25], 0
	s_subb_u32 s19, s19, s30
	s_cmp_ge_u32 s19, s11
	s_cselect_b32 s24, -1, 0
	s_cmp_ge_u32 s18, s10
	s_cselect_b32 s10, -1, 0
	s_cmp_eq_u32 s19, s11
	s_cselect_b32 s10, s10, s24
	s_cmp_lg_u32 s10, 0
	s_cselect_b32 s11, s29, s15
	s_cselect_b32 s10, s28, s7
	s_xor_b64 s[0:1], 0, s[0:1]
	s_xor_b64 s[10:11], s[10:11], s[0:1]
	s_sub_u32 s0, s10, s0
	s_subb_u32 s1, s11, s1
	v_writelane_b32 v59, s0, 4
	v_writelane_b32 v59, s1, 5
	s_cbranch_execnz .LBB45_7
.LBB45_6:
	s_load_dwordx2 s[10:11], s[4:5], 0x1d0
	s_mov_b32 s9, 0
	s_waitcnt lgkmcnt(0)
	v_cvt_f32_u32_e32 v1, s10
	s_sub_i32 s0, 0, s10
	v_rcp_iflag_f32_e32 v1, v1
	v_mul_f32_e32 v1, 0x4f7ffffe, v1
	v_cvt_u32_f32_e32 v1, v1
	v_readfirstlane_b32 s1, v1
	s_mul_i32 s0, s0, s1
	s_mul_hi_u32 s0, s1, s0
	s_add_i32 s1, s1, s0
	s_mul_hi_u32 s0, s66, s1
	s_mul_i32 s7, s0, s10
	s_sub_i32 s7, s66, s7
	s_add_i32 s1, s0, 1
	s_sub_i32 s8, s7, s10
	s_cmp_ge_u32 s7, s10
	s_cselect_b32 s0, s1, s0
	s_cselect_b32 s7, s8, s7
	s_add_i32 s1, s0, 1
	s_cmp_ge_u32 s7, s10
	s_cselect_b32 s8, s1, s0
	v_writelane_b32 v59, s8, 4
	v_writelane_b32 v59, s9, 5
.LBB45_7:
	s_load_dwordx2 s[8:9], s[4:5], 0x370
	s_mov_b32 s0, 0
	s_waitcnt lgkmcnt(0)
	s_mov_b32 s1, s9
	s_cmp_lg_u64 s[0:1], 0
	s_cbranch_scc0 .LBB45_301
; %bb.8:
	s_load_dwordx2 s[0:1], s[4:5], 0x370
	s_load_dwordx2 s[10:11], s[4:5], 0x370
	s_waitcnt lgkmcnt(0)
	s_ashr_i32 s8, s1, 31
	s_load_dwordx2 s[0:1], s[4:5], 0x370
	s_mov_b32 s9, s8
	s_waitcnt lgkmcnt(0)
	s_add_u32 s0, s0, s8
	s_addc_u32 s1, s11, s8
	s_xor_b64 s[10:11], s[0:1], s[8:9]
	v_cvt_f32_u32_e32 v1, s10
	v_cvt_f32_u32_e32 v2, s11
	s_sub_u32 s7, 0, s10
	s_subb_u32 s15, 0, s11
	v_madmk_f32 v1, v2, 0x4f800000, v1
	v_rcp_f32_e32 v1, v1
	v_mul_f32_e32 v1, 0x5f7ffffc, v1
	v_mul_f32_e32 v2, 0x2f800000, v1
	v_trunc_f32_e32 v2, v2
	v_madmk_f32 v1, v2, 0xcf800000, v1
	v_cvt_u32_f32_e32 v2, v2
	v_cvt_u32_f32_e32 v1, v1
	v_readfirstlane_b32 s24, v2
	v_readfirstlane_b32 s18, v1
	s_mul_i32 s19, s7, s24
	s_mul_hi_u32 s28, s7, s18
	s_mul_i32 s25, s15, s18
	s_add_i32 s19, s28, s19
	s_add_i32 s19, s19, s25
	s_mul_i32 s29, s7, s18
	s_mul_i32 s28, s18, s19
	s_mul_hi_u32 s30, s18, s29
	s_mul_hi_u32 s25, s18, s19
	s_add_u32 s28, s30, s28
	s_addc_u32 s25, 0, s25
	s_mul_hi_u32 s31, s24, s29
	s_mul_i32 s29, s24, s29
	s_add_u32 s28, s28, s29
	s_mul_hi_u32 s30, s24, s19
	s_addc_u32 s25, s25, s31
	s_addc_u32 s28, s30, 0
	s_mul_i32 s19, s24, s19
	s_add_u32 s19, s25, s19
	s_addc_u32 s25, 0, s28
	s_add_u32 s28, s18, s19
	s_cselect_b64 s[18:19], -1, 0
	s_cmp_lg_u64 s[18:19], 0
	s_addc_u32 s24, s24, s25
	s_mul_i32 s18, s7, s24
	s_mul_hi_u32 s19, s7, s28
	s_add_i32 s18, s19, s18
	s_mul_i32 s15, s15, s28
	s_add_i32 s18, s18, s15
	s_mul_i32 s7, s7, s28
	s_mul_hi_u32 s19, s24, s7
	s_mul_i32 s25, s24, s7
	s_mul_i32 s30, s28, s18
	s_mul_hi_u32 s7, s28, s7
	s_mul_hi_u32 s29, s28, s18
	s_add_u32 s7, s7, s30
	s_addc_u32 s29, 0, s29
	s_add_u32 s7, s7, s25
	s_mul_hi_u32 s15, s24, s18
	s_addc_u32 s7, s29, s19
	s_addc_u32 s15, s15, 0
	s_mul_i32 s18, s24, s18
	s_add_u32 s7, s7, s18
	s_addc_u32 s15, 0, s15
	s_add_u32 s7, s28, s7
	s_cselect_b64 s[18:19], -1, 0
	s_cmp_lg_u64 s[18:19], 0
	s_addc_u32 s15, s24, s15
	s_add_u32 s18, s66, 0
	s_addc_u32 s19, 0, 0
	s_xor_b64 s[18:19], s[18:19], 0
	s_mul_i32 s25, s18, s15
	s_mul_hi_u32 s28, s18, s7
	s_mul_hi_u32 s24, s18, s15
	s_add_u32 s25, s28, s25
	s_addc_u32 s24, 0, s24
	s_mul_hi_u32 s29, s19, s7
	s_mul_i32 s7, s19, s7
	s_add_u32 s7, s25, s7
	s_mul_hi_u32 s28, s19, s15
	s_addc_u32 s7, s24, s29
	s_addc_u32 s24, s28, 0
	s_mul_i32 s15, s19, s15
	s_add_u32 s7, s7, s15
	s_addc_u32 s15, 0, s24
	s_mul_i32 s24, s10, s15
	s_mul_hi_u32 s25, s10, s7
	s_add_i32 s24, s25, s24
	s_mul_i32 s25, s11, s7
	s_add_i32 s30, s24, s25
	s_sub_i32 s28, s19, s30
	s_mul_i32 s24, s10, s7
	s_sub_u32 s18, s18, s24
	s_cselect_b64 s[24:25], -1, 0
	s_cmp_lg_u64 s[24:25], 0
	s_subb_u32 s31, s28, s11
	s_sub_u32 s33, s18, s10
	s_cselect_b64 s[28:29], -1, 0
	s_cmp_lg_u64 s[28:29], 0
	s_subb_u32 s28, s31, 0
	s_cmp_ge_u32 s28, s11
	s_cselect_b32 s29, -1, 0
	s_cmp_ge_u32 s33, s10
	s_cselect_b32 s31, -1, 0
	s_cmp_eq_u32 s28, s11
	s_cselect_b32 s28, s31, s29
	s_add_u32 s29, s7, 1
	s_addc_u32 s31, s15, 0
	s_add_u32 s33, s7, 2
	s_addc_u32 s34, s15, 0
	s_cmp_lg_u32 s28, 0
	s_cselect_b32 s28, s33, s29
	s_cselect_b32 s29, s34, s31
	s_cmp_lg_u64 s[24:25], 0
	s_subb_u32 s19, s19, s30
	s_cmp_ge_u32 s19, s11
	s_cselect_b32 s24, -1, 0
	s_cmp_ge_u32 s18, s10
	s_cselect_b32 s10, -1, 0
	s_cmp_eq_u32 s19, s11
	s_cselect_b32 s10, s10, s24
	s_cmp_lg_u32 s10, 0
	s_cselect_b32 s11, s29, s15
	s_cselect_b32 s10, s28, s7
	s_xor_b64 s[8:9], 0, s[8:9]
	s_xor_b64 s[10:11], s[10:11], s[8:9]
	s_sub_u32 s8, s10, s8
	s_subb_u32 s9, s11, s9
	v_writelane_b32 v59, s8, 6
	v_writelane_b32 v59, s9, 7
	s_load_dwordx2 s[8:9], s[4:5], 0x370
	s_load_dwordx2 s[24:25], s[4:5], 0x0
	s_cbranch_execnz .LBB45_10
.LBB45_9:
	s_waitcnt lgkmcnt(0)
	v_cvt_f32_u32_e32 v1, s8
	s_sub_i32 s0, 0, s8
	s_mov_b32 s19, 0
	s_load_dwordx2 s[10:11], s[4:5], 0x370
	v_rcp_iflag_f32_e32 v1, v1
	v_mul_f32_e32 v1, 0x4f7ffffe, v1
	v_cvt_u32_f32_e32 v1, v1
	v_readfirstlane_b32 s1, v1
	s_mul_i32 s0, s0, s1
	s_mul_hi_u32 s0, s1, s0
	s_add_i32 s1, s1, s0
	s_mul_hi_u32 s0, s66, s1
	s_mul_i32 s7, s0, s8
	s_load_dwordx2 s[8:9], s[4:5], 0x370
	s_sub_i32 s7, s66, s7
	s_add_i32 s1, s0, 1
	s_waitcnt lgkmcnt(0)
	s_sub_i32 s8, s7, s8
	s_cmp_ge_u32 s7, s10
	s_cselect_b32 s7, s8, s7
	s_load_dwordx2 s[8:9], s[4:5], 0x370
	s_cselect_b32 s0, s1, s0
	s_add_i32 s1, s0, 1
	s_waitcnt lgkmcnt(0)
	s_cmp_ge_u32 s7, s8
	s_cselect_b32 s18, s1, s0
	v_writelane_b32 v59, s18, 6
	v_writelane_b32 v59, s19, 7
.LBB45_10:
	s_load_dwordx2 s[0:1], s[4:5], 0x360
	s_mov_b32 s51, 0
	s_waitcnt lgkmcnt(0)
	s_load_dwordx4 s[8:11], s[4:5], 0xd0
	v_writelane_b32 v59, s0, 8
	v_writelane_b32 v59, s1, 9
	s_load_dwordx2 s[0:1], s[4:5], 0x1c0
	s_waitcnt lgkmcnt(0)
	v_writelane_b32 v59, s0, 10
	v_writelane_b32 v59, s1, 11
	v_cmp_eq_u32_e64 s[0:1], 0, v0
	s_mov_b64 s[18:19], exec
	v_writelane_b32 v59, s0, 12
	v_writelane_b32 v59, s1, 13
	s_and_b64 s[0:1], s[18:19], s[0:1]
	s_mov_b64 exec, s[0:1]
	s_cbranch_execz .LBB45_12
; %bb.11:
	v_mov_b32_e32 v1, 0
	v_mov_b32_e32 v3, s20
	;; [unrolled: 1-line block ×4, first 2 shown]
	ds_write_b32 v1, v1 offset:5136
	ds_write_b128 v1, v[1:4] offset:5120
.LBB45_12:
	s_or_b64 exec, exec, s[18:19]
	s_mul_i32 s0, s16, s3
	s_mul_hi_u32 s1, s16, s2
	s_add_i32 s0, s1, s0
	s_mul_i32 s1, s17, s2
	s_load_dwordx4 s[28:31], s[4:5], 0x430
	s_add_i32 s0, s0, s1
	s_mul_i32 s1, s16, s2
	s_sub_u32 s2, s66, s1
	s_subb_u32 s0, 0, s0
	s_mul_i32 s1, s2, s11
	s_mul_hi_u32 s3, s2, s10
	s_add_i32 s1, s3, s1
	s_mul_i32 s0, s0, s10
	s_add_i32 s1, s1, s0
	s_mul_i32 s0, s2, s10
	s_mul_i32 s2, s16, s9
	s_mul_hi_u32 s3, s16, s8
	s_waitcnt lgkmcnt(0)
	v_writelane_b32 v59, s28, 14
	s_add_i32 s2, s3, s2
	s_mul_i32 s3, s17, s8
	v_writelane_b32 v59, s29, 15
	s_add_i32 s3, s2, s3
	s_mul_i32 s2, s16, s8
	v_writelane_b32 v59, s30, 16
	s_lshl_b64 s[8:9], s[2:3], 3
	v_writelane_b32 v59, s31, 17
	s_load_dwordx4 s[28:31], s[4:5], 0x290
	s_add_u32 s2, s24, s8
	s_addc_u32 s3, s25, s9
	s_lshl_b64 s[10:11], s[0:1], 3
	v_mad_u64_u32 v[2:3], s[0:1], s26, v0, 0
	v_mbcnt_lo_u32_b32 v1, -1, 0
	s_waitcnt lgkmcnt(0)
	v_writelane_b32 v59, s28, 18
	v_mbcnt_hi_u32_b32 v42, -1, v1
	v_mov_b32_e32 v4, 0x180
	v_mov_b32_e32 v1, v3
	v_writelane_b32 v59, s29, 19
	v_mov_b32_e32 v5, 0
	v_mad_u64_u32 v[6:7], s[0:1], s27, v0, v[1:2]
	v_writelane_b32 v59, s30, 20
	v_cmp_gt_i64_e64 s[0:1], s[20:21], v[4:5]
	v_writelane_b32 v59, s31, 21
	v_mov_b32_e32 v19, 0
	v_mov_b32_e32 v1, v19
	v_writelane_b32 v59, s0, 22
	v_writelane_b32 v59, s1, 23
	v_cmp_gt_u64_e64 s[0:1], s[20:21], v[0:1]
	v_writelane_b32 v59, s0, 24
	v_writelane_b32 v59, s1, 25
	v_cmp_gt_i64_e64 s[0:1], s[20:21], v[0:1]
	s_barrier
	v_writelane_b32 v59, s0, 26
	v_writelane_b32 v59, s1, 27
	s_load_dword s0, s[12:13], 0xc
	s_add_u32 s54, s2, s10
	s_addc_u32 s55, s3, s11
	v_cmp_gt_u32_e32 vcc, 64, v0
	v_cmp_gt_i32_e64 s[2:3], 4, v42
	s_and_b64 s[56:57], vcc, s[2:3]
	s_waitcnt lgkmcnt(0)
	s_and_b32 s33, s0, 0xffff
	s_bfe_u32 s1, s0, 0xa0006
	s_cmp_gt_u32 s33, 63
	s_cselect_b64 s[2:3], -1, 0
	v_writelane_b32 v59, s2, 28
	s_add_u32 s59, s33, -1
	v_writelane_b32 v59, s3, 29
	s_addc_u32 s2, 0, -1
	s_add_u32 s0, s59, s20
	s_addc_u32 s61, s2, s21
	s_cmp_lt_u32 s6, s14
	v_writelane_b32 v59, s2, 30
	s_cselect_b32 s2, 12, 18
	s_add_u32 s62, s12, s2
	s_addc_u32 s63, s13, 0
	s_add_i32 s2, s1, -1
	s_bfe_u32 s3, s33, 0x30006
	s_and_b32 s2, s2, 0xffff
	s_cmp_gt_u32 s2, 6
	s_cselect_b64 s[6:7], -1, 0
	v_mov_b32_e32 v3, v6
	v_writelane_b32 v59, s6, 31
	s_and_b32 s1, s1, 0x3f8
	v_lshlrev_b64 v[4:5], 3, v[2:3]
	v_writelane_b32 v59, s7, 32
	s_cmp_lg_u32 s3, 0
	v_writelane_b32 v59, s3, 33
	s_cselect_b64 s[2:3], -1, 0
	v_mov_b32_e32 v6, s55
	v_add_co_u32_e32 v20, vcc, s54, v4
	v_writelane_b32 v59, s2, 34
	v_addc_co_u32_e32 v21, vcc, v6, v5, vcc
	v_lshlrev_b64 v[6:7], v42, -1
	v_writelane_b32 v59, s3, 35
	s_add_u32 s2, s8, s10
	s_addc_u32 s3, s9, s11
	v_lshlrev_b32_e32 v45, 5, v0
	v_not_b32_e32 v43, v7
	s_add_u32 s68, s24, s2
	v_or_b32_e32 v7, 24, v45
	s_addc_u32 s69, s25, s3
	v_mad_u64_u32 v[24:25], s[2:3], s26, v7, 0
	v_or_b32_e32 v8, 16, v45
	v_mad_u64_u32 v[26:27], s[2:3], s26, v8, 0
	v_not_b32_e32 v44, v6
	v_mov_b32_e32 v6, v25
	v_mad_u64_u32 v[6:7], s[2:3], s27, v7, v[6:7]
	v_mov_b32_e32 v7, v27
	v_mad_u64_u32 v[7:8], s[2:3], s27, v8, v[7:8]
	v_mov_b32_e32 v8, s69
	v_add_co_u32_e32 v16, vcc, s68, v4
	v_addc_co_u32_e32 v17, vcc, v8, v5, vcc
	v_or_b32_e32 v5, 8, v45
	v_mad_u64_u32 v[27:28], s[2:3], s26, v5, 0
	v_add_co_u32_e32 v50, vcc, s20, v0
	v_mov_b32_e32 v4, v28
	v_mad_u64_u32 v[4:5], s[2:3], s27, v5, v[4:5]
	v_lshrrev_b32_e32 v5, 1, v0
	v_lshlrev_b64 v[28:29], 5, v[2:3]
	v_mov_b32_e32 v2, s21
	s_mul_i32 s2, s27, s33
	s_mul_hi_u32 s3, s26, s33
	v_lshlrev_b32_e32 v9, 2, v42
	v_mov_b32_e32 v46, v6
	v_mov_b32_e32 v47, v7
	v_and_b32_e32 v5, 0x1e0, v5
	v_addc_co_u32_e32 v51, vcc, 0, v2, vcc
	v_mov_b32_e32 v2, 0xc00
	s_add_i32 s3, s3, s2
	s_mul_i32 s2, s26, s33
	v_lshlrev_b32_e32 v53, 3, v0
	v_mov_b32_e32 v35, s23
	v_mov_b32_e32 v30, 0
	;; [unrolled: 1-line block ×4, first 2 shown]
                                        ; kill: killed $sgpr4 killed $sgpr5
	v_cmp_eq_u32_e64 s[4:5], 0, v42
	v_cmp_gt_u32_e64 s[18:19], 2, v0
	v_lshlrev_b32_e32 v22, 2, v0
	v_mov_b32_e32 v23, v19
	v_and_b32_e32 v25, 0x100, v9
	v_or_b32_e32 v48, 0xc00, v5
	s_lshl_b64 s[70:71], s[26:27], 3
	s_lshl_b64 s[72:73], s[26:27], 5
	v_mov_b32_e32 v49, v4
	v_lshl_or_b32 v52, v42, 3, v2
	s_lshl_b64 s[52:53], s[2:3], 3
	s_lshl_b32 s8, s33, 3
	s_mov_b32 s9, 62
	s_mov_b64 s[74:75], 0
	s_mov_b32 s58, 0
	v_add_u32_e32 v54, 0xc00, v53
	v_mov_b32_e32 v34, s22
	v_mov_b32_e32 v31, 0
	;; [unrolled: 1-line block ×5, first 2 shown]
                                        ; implicit-def: $sgpr76_sgpr77
                                        ; implicit-def: $sgpr80_sgpr81
                                        ; implicit-def: $sgpr78_sgpr79
                                        ; implicit-def: $sgpr84_sgpr85
                                        ; implicit-def: $sgpr86_sgpr87
                                        ; implicit-def: $sgpr82_sgpr83
	s_branch .LBB45_16
.LBB45_13:                              ;   in Loop: Header=BB45_16 Depth=1
	s_or_b64 exec, exec, s[14:15]
	s_and_b64 s[10:11], s[10:11], exec
	s_andn2_b64 s[94:95], s[94:95], exec
	s_andn2_b64 s[6:7], s[6:7], exec
	s_orn2_b64 s[22:23], s[12:13], exec
.LBB45_14:                              ;   in Loop: Header=BB45_16 Depth=1
	s_or_b64 exec, exec, s[2:3]
	s_andn2_b64 s[2:3], s[82:83], exec
	s_and_b64 s[10:11], s[10:11], exec
	s_or_b64 s[82:83], s[2:3], s[10:11]
	s_andn2_b64 s[2:3], s[86:87], exec
	s_and_b64 s[10:11], s[94:95], exec
	s_or_b64 s[86:87], s[2:3], s[10:11]
	;; [unrolled: 3-line block ×3, first 2 shown]
	s_orn2_b64 s[6:7], s[22:23], exec
.LBB45_15:                              ;   in Loop: Header=BB45_16 Depth=1
	s_or_b64 exec, exec, s[16:17]
	s_and_b64 s[2:3], exec, s[6:7]
	s_or_b64 s[74:75], s[2:3], s[74:75]
	s_andn2_b64 s[2:3], s[78:79], exec
	s_and_b64 s[6:7], s[82:83], exec
	s_or_b64 s[78:79], s[2:3], s[6:7]
	s_andn2_b64 s[2:3], s[80:81], exec
	s_and_b64 s[6:7], s[86:87], exec
	;; [unrolled: 3-line block ×3, first 2 shown]
	v_mov_b32_e32 v35, v13
	s_or_b64 s[76:77], s[2:3], s[6:7]
	v_mov_b32_e32 v34, v12
	s_andn2_b64 exec, exec, s[74:75]
	s_cbranch_execz .LBB45_282
.LBB45_16:                              ; =>This Loop Header: Depth=1
                                        ;     Child Loop BB45_22 Depth 2
                                        ;     Child Loop BB45_35 Depth 2
	;; [unrolled: 1-line block ×16, first 2 shown]
	ds_read_b128 v[8:11], v19 offset:5120
	s_waitcnt lgkmcnt(0)
	v_readfirstlane_b32 s23, v9
	v_readfirstlane_b32 s22, v8
	v_cmp_gt_i64_e64 s[2:3], s[22:23], 0
	s_and_b64 vcc, exec, s[2:3]
	s_cbranch_vccnz .LBB45_43
; %bb.17:                               ;   in Loop: Header=BB45_16 Depth=1
	v_readlane_b32 s2, v59, 22
	v_readlane_b32 s3, v59, 23
	s_and_b64 vcc, exec, s[2:3]
	s_cbranch_vccz .LBB45_30
; %bb.18:                               ;   in Loop: Header=BB45_16 Depth=1
	s_mov_b64 s[2:3], 0x181
	v_cmp_gt_i64_e32 vcc, s[2:3], v[10:11]
	s_mov_b64 s[10:11], 0
	s_mov_b64 s[2:3], 0
	s_cbranch_vccz .LBB45_31
; %bb.19:                               ;   in Loop: Header=BB45_16 Depth=1
	s_mov_b64 s[14:15], exec
	v_readlane_b32 s2, v59, 24
	v_readlane_b32 s3, v59, 25
	s_and_b64 s[2:3], s[14:15], s[2:3]
	s_mov_b64 exec, s[2:3]
	s_cbranch_execz .LBB45_77
; %bb.20:                               ;   in Loop: Header=BB45_16 Depth=1
	global_load_ushort v2, v19, s[62:63]
	global_load_dwordx2 v[8:9], v[20:21], off
	v_mov_b32_e32 v4, s68
	v_mov_b32_e32 v5, s69
	s_mov_b64 s[16:17], 0
	s_waitcnt vmcnt(1)
	v_readfirstlane_b32 s2, v2
	s_and_b32 s6, 0xffff, s2
	v_add_u32_e32 v10, s6, v0
	v_mad_u64_u32 v[4:5], s[2:3], s70, v10, v[4:5]
	s_mul_i32 s7, s71, s6
	s_mul_i32 s23, s70, s6
	v_mad_u64_u32 v[10:11], s[2:3], s71, v10, v[5:6]
	s_mul_hi_u32 s2, s70, s6
	s_add_i32 s30, s2, s7
	v_mov_b32_e32 v5, v10
	v_mov_b32_e32 v11, v1
	;; [unrolled: 1-line block ×3, first 2 shown]
	s_branch .LBB45_22
.LBB45_21:                              ;   in Loop: Header=BB45_22 Depth=2
	s_or_b64 exec, exec, s[2:3]
	v_mov_b32_e32 v8, s30
	v_add_co_u32_e32 v4, vcc, s23, v4
	v_addc_co_u32_e32 v5, vcc, v5, v8, vcc
	v_mov_b32_e32 v8, v12
	v_mov_b32_e32 v9, v13
	s_andn2_b64 exec, exec, s[16:17]
	s_cbranch_execz .LBB45_77
.LBB45_22:                              ;   Parent Loop BB45_16 Depth=1
                                        ; =>  This Inner Loop Header: Depth=2
	v_add_co_u32_sdwa v10, vcc, v10, v2 dst_sel:DWORD dst_unused:UNUSED_PAD src0_sel:DWORD src1_sel:WORD_0
	v_addc_co_u32_e32 v11, vcc, 0, v11, vcc
	v_cmp_gt_i64_e64 s[6:7], s[20:21], v[10:11]
	v_cmp_le_i64_e32 vcc, s[20:21], v[10:11]
	v_mov_b32_e32 v12, 0
	v_mov_b32_e32 v13, 0
	s_and_saveexec_b64 s[2:3], s[6:7]
	s_cbranch_execz .LBB45_24
; %bb.23:                               ;   in Loop: Header=BB45_22 Depth=2
	global_load_dwordx2 v[12:13], v[4:5], off
.LBB45_24:                              ;   in Loop: Header=BB45_22 Depth=2
	s_or_b64 exec, exec, s[2:3]
	s_waitcnt vmcnt(0)
	v_cmp_o_f64_e64 s[6:7], v[8:9], v[8:9]
	s_waitcnt lgkmcnt(0)
	v_ashrrev_i32_e32 v14, 31, v9
	v_or_b32_e32 v15, 0x80000000, v14
	v_xor_b32_e32 v15, v15, v9
	v_xor_b32_e32 v14, v14, v8
	v_cndmask_b32_e64 v15, -1, v15, s[6:7]
	v_cndmask_b32_e64 v14, -1, v14, s[6:7]
	v_and_b32_e32 v15, v15, v33
	v_and_b32_e32 v14, v14, v32
	v_cmp_eq_u64_e64 s[12:13], v[14:15], v[30:31]
	v_mov_b32_e32 v14, 0
	s_cmp_lg_u64 s[12:13], 0
	s_cselect_b64 s[2:3], -1, 0
	s_and_b64 s[6:7], s[4:5], s[2:3]
	s_and_saveexec_b64 s[2:3], s[6:7]
	s_cbranch_execz .LBB45_28
; %bb.25:                               ;   in Loop: Header=BB45_22 Depth=2
	s_mov_b64 s[28:29], exec
	v_mbcnt_lo_u32_b32 v14, s28, 0
	v_mbcnt_hi_u32_b32 v14, s29, v14
	s_bcnt1_i32_b64 s31, s[12:13]
	v_cmp_eq_u32_e64 s[6:7], 0, v14
                                        ; implicit-def: $vgpr15
	s_and_saveexec_b64 s[24:25], s[6:7]
; %bb.26:                               ;   in Loop: Header=BB45_22 Depth=2
	s_bcnt1_i32_b64 s6, s[28:29]
	s_mul_i32 s6, s31, s6
	v_mov_b32_e32 v15, s6
	ds_add_rtn_u32 v15, v19, v15 offset:5136
; %bb.27:                               ;   in Loop: Header=BB45_22 Depth=2
	s_or_b64 exec, exec, s[24:25]
	s_waitcnt lgkmcnt(0)
	v_readfirstlane_b32 s6, v15
	v_mov_b32_e32 v15, s6
	v_mad_u32_u24 v14, s31, v14, v15
.LBB45_28:                              ;   in Loop: Header=BB45_22 Depth=2
	s_or_b64 exec, exec, s[2:3]
	ds_bpermute_b32 v14, v25, v14
	s_and_b64 s[2:3], exec, vcc
	s_or_b64 s[16:17], s[2:3], s[16:17]
	s_and_saveexec_b64 s[2:3], s[12:13]
	s_cbranch_execz .LBB45_21
; %bb.29:                               ;   in Loop: Header=BB45_22 Depth=2
	v_and_b32_e32 v18, s12, v44
	v_and_b32_e32 v15, s13, v43
	v_bcnt_u32_b32 v18, v18, 0
	v_bcnt_u32_b32 v15, v15, v18
	v_lshlrev_b32_e32 v15, 3, v15
	s_waitcnt lgkmcnt(0)
	v_lshl_add_u32 v14, v14, 3, v15
	ds_write_b64 v14, v[8:9]
	s_branch .LBB45_21
.LBB45_30:                              ;   in Loop: Header=BB45_16 Depth=1
	s_mov_b64 s[10:11], -1
	s_mov_b64 s[2:3], 0
.LBB45_31:                              ;   in Loop: Header=BB45_16 Depth=1
	s_and_b64 vcc, exec, s[10:11]
	s_cbranch_vccz .LBB45_41
.LBB45_32:                              ;   in Loop: Header=BB45_16 Depth=1
	s_mov_b64 s[2:3], exec
	v_readlane_b32 s6, v59, 26
	v_readlane_b32 s7, v59, 27
	s_and_b64 s[6:7], s[2:3], s[6:7]
	s_mov_b64 exec, s[6:7]
	s_cbranch_execz .LBB45_38
; %bb.33:                               ;   in Loop: Header=BB45_16 Depth=1
	global_load_ushort v2, v19, s[62:63]
	global_load_dwordx2 v[4:5], v[20:21], off
	s_waitcnt vmcnt(1)
	v_add_u32_sdwa v18, v2, v0 dst_sel:DWORD dst_unused:UNUSED_PAD src0_sel:WORD_0 src1_sel:DWORD
	v_cmp_gt_i64_e32 vcc, s[20:21], v[18:19]
	v_readfirstlane_b32 s6, v2
	v_mov_b32_e32 v2, v0
	s_and_saveexec_b64 s[10:11], vcc
	s_cbranch_execz .LBB45_37
; %bb.34:                               ;   in Loop: Header=BB45_16 Depth=1
	v_mov_b32_e32 v8, s68
	v_mov_b32_e32 v9, s69
	v_mad_u64_u32 v[8:9], s[12:13], s70, v18, v[8:9]
	s_and_b32 s14, s6, 0xffff
	v_mov_b32_e32 v12, v18
	v_mov_b32_e32 v2, v9
	v_mad_u64_u32 v[9:10], s[6:7], s71, v18, v[2:3]
	s_mul_i32 s6, s71, s14
	s_mul_hi_u32 s7, s70, s14
	v_mov_b32_e32 v15, v1
	s_add_i32 s15, s7, s6
	s_mul_i32 s16, s70, s14
	s_mov_b64 s[12:13], 0
	v_mov_b32_e32 v13, v19
	v_mov_b32_e32 v14, v0
.LBB45_35:                              ;   Parent Loop BB45_16 Depth=1
                                        ; =>  This Inner Loop Header: Depth=2
	global_load_dwordx2 v[10:11], v[8:9], off
	v_mov_b32_e32 v37, v13
	v_mov_b32_e32 v36, v12
	v_lshlrev_b32_e32 v2, 3, v14
	v_mov_b32_e32 v14, s15
	v_add_co_u32_e32 v8, vcc, s16, v8
	v_add_co_u32_e64 v12, s[6:7], s14, v36
	v_addc_co_u32_e64 v13, s[6:7], 0, v37, s[6:7]
	v_addc_co_u32_e32 v9, vcc, v9, v14, vcc
	v_cmp_le_i64_e32 vcc, s[20:21], v[12:13]
	s_waitcnt vmcnt(1)
	ds_write_b64 v2, v[4:5]
	v_mov_b32_e32 v14, v36
	s_or_b64 s[12:13], vcc, s[12:13]
	v_mov_b32_e32 v15, v37
	s_waitcnt vmcnt(0)
	v_mov_b32_e32 v4, v10
	v_mov_b32_e32 v5, v11
	s_andn2_b64 exec, exec, s[12:13]
	s_cbranch_execnz .LBB45_35
; %bb.36:                               ;   in Loop: Header=BB45_16 Depth=1
	s_or_b64 exec, exec, s[12:13]
	v_mov_b32_e32 v4, v10
	v_subrev_u32_e32 v2, s14, v12
	v_mov_b32_e32 v5, v11
.LBB45_37:                              ;   in Loop: Header=BB45_16 Depth=1
	s_or_b64 exec, exec, s[10:11]
	v_lshlrev_b32_e32 v2, 3, v2
	s_waitcnt vmcnt(0)
	ds_write_b64 v2, v[4:5]
.LBB45_38:                              ;   in Loop: Header=BB45_16 Depth=1
	s_or_b64 exec, exec, s[2:3]
	s_waitcnt lgkmcnt(0)
	s_barrier
	s_mov_b64 s[2:3], exec
	v_readlane_b32 s6, v59, 12
	v_readlane_b32 s7, v59, 13
	s_and_b64 s[6:7], s[2:3], s[6:7]
	s_mov_b64 exec, s[6:7]
; %bb.39:                               ;   in Loop: Header=BB45_16 Depth=1
	v_mov_b32_e32 v4, s20
	v_mov_b32_e32 v5, s21
	ds_write_b64 v19, v[4:5] offset:5120
; %bb.40:                               ;   in Loop: Header=BB45_16 Depth=1
	s_or_b64 exec, exec, s[2:3]
	s_mov_b64 s[2:3], -1
	s_waitcnt lgkmcnt(0)
	s_barrier
.LBB45_41:                              ;   in Loop: Header=BB45_16 Depth=1
	s_and_b64 vcc, exec, s[2:3]
	s_cbranch_vccz .LBB45_43
; %bb.42:                               ;   in Loop: Header=BB45_16 Depth=1
	ds_read_b64 v[4:5], v19 offset:5120
	s_waitcnt lgkmcnt(0)
	v_readfirstlane_b32 s22, v4
.LBB45_43:                              ;   in Loop: Header=BB45_16 Depth=1
	s_cmp_lt_i32 s22, 1
	s_mov_b64 s[2:3], -1
                                        ; implicit-def: $vgpr8_vgpr9
                                        ; implicit-def: $vgpr12_vgpr13
	s_cbranch_scc1 .LBB45_53
; %bb.44:                               ;   in Loop: Header=BB45_16 Depth=1
	s_and_b64 vcc, exec, s[2:3]
	s_cbranch_vccnz .LBB45_67
.LBB45_45:                              ;   in Loop: Header=BB45_16 Depth=1
	s_lshl_b32 s10, s58, 6
	s_and_saveexec_b64 s[2:3], s[4:5]
	s_cbranch_execz .LBB45_47
.LBB45_46:                              ;   in Loop: Header=BB45_16 Depth=1
	v_lshl_add_u32 v2, s10, 3, v48
	ds_write_b128 v2, v[8:11]
	ds_write_b128 v2, v[12:15] offset:16
.LBB45_47:                              ;   in Loop: Header=BB45_16 Depth=1
	s_or_b64 exec, exec, s[2:3]
	s_waitcnt lgkmcnt(0)
	s_barrier
	s_and_saveexec_b64 s[6:7], s[56:57]
	s_cbranch_execz .LBB45_85
; %bb.48:                               ;   in Loop: Header=BB45_16 Depth=1
	v_readlane_b32 s2, v59, 28
	v_mov_b32_e32 v4, 0
	v_readlane_b32 s3, v59, 29
	v_mov_b32_e32 v5, 0
	s_andn2_b64 vcc, exec, s[2:3]
	s_cbranch_vccnz .LBB45_84
; %bb.49:                               ;   in Loop: Header=BB45_16 Depth=1
	v_readlane_b32 s2, v59, 31
	v_readlane_b32 s3, v59, 32
	s_andn2_b64 vcc, exec, s[2:3]
	s_cbranch_vccnz .LBB45_80
; %bb.50:                               ;   in Loop: Header=BB45_16 Depth=1
	v_mov_b32_e32 v4, 0
	v_lshl_add_u32 v2, s58, 9, v52
	v_mov_b32_e32 v5, 0
	s_mov_b32 s2, 0
.LBB45_51:                              ;   Parent Loop BB45_16 Depth=1
                                        ; =>  This Inner Loop Header: Depth=2
	ds_read2_b64 v[8:11], v2 offset1:4
	ds_read2_b64 v[12:15], v2 offset0:8 offset1:12
	ds_read2_b64 v[36:39], v2 offset0:16 offset1:20
	;; [unrolled: 1-line block ×3, first 2 shown]
	s_add_i32 s2, s2, 8
	s_waitcnt lgkmcnt(3)
	v_add_co_u32_e32 v4, vcc, v8, v4
	v_addc_co_u32_e32 v5, vcc, v9, v5, vcc
	v_add_co_u32_e32 v4, vcc, v10, v4
	v_addc_co_u32_e32 v5, vcc, v11, v5, vcc
	s_waitcnt lgkmcnt(2)
	v_add_co_u32_e32 v4, vcc, v12, v4
	v_addc_co_u32_e32 v5, vcc, v13, v5, vcc
	v_add_co_u32_e32 v4, vcc, v14, v4
	v_addc_co_u32_e32 v5, vcc, v15, v5, vcc
	;; [unrolled: 5-line block ×3, first 2 shown]
	s_waitcnt lgkmcnt(0)
	v_add_co_u32_e32 v4, vcc, v55, v4
	v_addc_co_u32_e32 v5, vcc, v56, v5, vcc
	v_add_co_u32_e32 v4, vcc, v57, v4
	v_add_u32_e32 v2, 0x100, v2
	s_cmp_eq_u32 s1, s2
	v_addc_co_u32_e32 v5, vcc, v58, v5, vcc
	s_cbranch_scc0 .LBB45_51
; %bb.52:                               ;   in Loop: Header=BB45_16 Depth=1
	s_mov_b32 s2, s1
	s_branch .LBB45_81
.LBB45_53:                              ;   in Loop: Header=BB45_16 Depth=1
	global_load_ushort v2, v19, s[62:63]
	s_mov_b32 s2, s51
	s_waitcnt vmcnt(0)
	v_readfirstlane_b32 s3, v2
	s_and_b32 s23, s3, 0xffff
	s_lshl_b32 s10, s23, 2
	s_mov_b32 s3, s21
	s_cmp_lg_u64 s[2:3], 0
	s_cbranch_scc0 .LBB45_76
; %bb.54:                               ;   in Loop: Header=BB45_16 Depth=1
	s_add_u32 s2, s10, 0
	s_addc_u32 s3, 0, 0
	s_xor_b64 s[6:7], s[2:3], 0
	v_cvt_f32_u32_e32 v2, s6
	v_cvt_f32_u32_e32 v4, s7
	s_sub_u32 s11, 0, s6
	s_subb_u32 s12, 0, s7
	v_mac_f32_e32 v2, 0x4f800000, v4
	v_rcp_f32_e32 v2, v2
	v_mul_f32_e32 v2, 0x5f7ffffc, v2
	v_mul_f32_e32 v4, 0x2f800000, v2
	v_trunc_f32_e32 v4, v4
	v_mac_f32_e32 v2, 0xcf800000, v4
	v_cvt_u32_f32_e32 v4, v4
	v_cvt_u32_f32_e32 v2, v2
	v_readfirstlane_b32 s13, v4
	v_readfirstlane_b32 s2, v2
	s_mul_i32 s3, s11, s13
	s_mul_hi_u32 s15, s11, s2
	s_mul_i32 s14, s12, s2
	s_add_i32 s3, s15, s3
	s_mul_i32 s16, s11, s2
	s_add_i32 s3, s3, s14
	s_mul_i32 s15, s2, s3
	s_mul_hi_u32 s17, s2, s16
	s_mul_hi_u32 s14, s2, s3
	s_add_u32 s15, s17, s15
	s_addc_u32 s14, 0, s14
	s_mul_hi_u32 s24, s13, s16
	s_mul_i32 s16, s13, s16
	s_add_u32 s15, s15, s16
	s_mul_hi_u32 s17, s13, s3
	s_addc_u32 s14, s14, s24
	s_addc_u32 s15, s17, 0
	s_mul_i32 s3, s13, s3
	s_add_u32 s3, s14, s3
	s_addc_u32 s14, 0, s15
	s_add_u32 s15, s2, s3
	s_cselect_b64 s[2:3], -1, 0
	s_cmp_lg_u64 s[2:3], 0
	s_addc_u32 s13, s13, s14
	s_mul_i32 s2, s11, s13
	s_mul_hi_u32 s3, s11, s15
	s_add_i32 s2, s3, s2
	s_mul_i32 s12, s12, s15
	s_add_i32 s2, s2, s12
	s_mul_i32 s11, s11, s15
	s_mul_hi_u32 s12, s13, s11
	s_mul_i32 s14, s13, s11
	s_mul_i32 s17, s15, s2
	s_mul_hi_u32 s11, s15, s11
	s_mul_hi_u32 s16, s15, s2
	s_add_u32 s11, s11, s17
	s_addc_u32 s16, 0, s16
	s_add_u32 s11, s11, s14
	s_mul_hi_u32 s3, s13, s2
	s_addc_u32 s11, s16, s12
	s_addc_u32 s3, s3, 0
	s_mul_i32 s2, s13, s2
	s_add_u32 s2, s11, s2
	s_addc_u32 s11, 0, s3
	s_add_u32 s14, s15, s2
	s_cselect_b64 s[2:3], -1, 0
	s_cmp_lg_u64 s[2:3], 0
	s_addc_u32 s11, s13, s11
	s_ashr_i32 s2, s21, 31
	s_add_u32 s12, s20, s2
	s_mov_b32 s3, s2
	s_addc_u32 s13, s21, s2
	s_xor_b64 s[12:13], s[12:13], s[2:3]
	s_mul_i32 s16, s12, s11
	s_mul_hi_u32 s17, s12, s14
	s_mul_hi_u32 s15, s12, s11
	s_add_u32 s16, s17, s16
	s_addc_u32 s15, 0, s15
	s_mul_hi_u32 s24, s13, s14
	s_mul_i32 s14, s13, s14
	s_add_u32 s14, s16, s14
	s_mul_hi_u32 s17, s13, s11
	s_addc_u32 s14, s15, s24
	s_addc_u32 s15, s17, 0
	s_mul_i32 s11, s13, s11
	s_add_u32 s11, s14, s11
	s_addc_u32 s14, 0, s15
	s_mul_i32 s14, s6, s14
	s_mul_hi_u32 s15, s6, s11
	s_add_i32 s14, s15, s14
	s_mul_i32 s15, s7, s11
	s_add_i32 s24, s14, s15
	s_sub_i32 s16, s13, s24
	s_mul_i32 s11, s6, s11
	s_sub_u32 s11, s12, s11
	s_cselect_b64 s[14:15], -1, 0
	s_cmp_lg_u64 s[14:15], 0
	s_subb_u32 s12, s16, s7
	s_sub_u32 s25, s11, s6
	s_cselect_b64 s[16:17], -1, 0
	s_cmp_lg_u64 s[16:17], 0
	s_subb_u32 s28, s12, 0
	s_cmp_ge_u32 s28, s7
	s_cselect_b32 s29, -1, 0
	s_cmp_ge_u32 s25, s6
	s_cselect_b32 s30, -1, 0
	s_cmp_eq_u32 s28, s7
	s_cselect_b32 s29, s30, s29
	s_cmp_lg_u64 s[16:17], 0
	s_subb_u32 s12, s12, s7
	s_sub_u32 s30, s25, s6
	s_cselect_b64 s[16:17], -1, 0
	s_cmp_lg_u64 s[16:17], 0
	s_subb_u32 s12, s12, 0
	s_cmp_lg_u32 s29, 0
	s_cselect_b32 s16, s30, s25
	s_cselect_b32 s12, s12, s28
	s_cmp_lg_u64 s[14:15], 0
	s_subb_u32 s13, s13, s24
	s_cmp_ge_u32 s13, s7
	s_cselect_b32 s14, -1, 0
	s_cmp_ge_u32 s11, s6
	s_cselect_b32 s6, -1, 0
	s_cmp_eq_u32 s13, s7
	s_cselect_b32 s6, s6, s14
	s_cmp_lg_u32 s6, 0
	s_cselect_b32 s7, s12, s13
	s_cselect_b32 s6, s16, s11
	s_xor_b64 s[6:7], s[6:7], s[2:3]
	s_sub_u32 s46, s6, s2
	s_subb_u32 s47, s7, s2
	s_cbranch_execnz .LBB45_56
.LBB45_55:                              ;   in Loop: Header=BB45_16 Depth=1
	v_cvt_f32_u32_e32 v2, s10
	s_sub_i32 s2, 0, s10
	v_rcp_iflag_f32_e32 v2, v2
	v_mul_f32_e32 v2, 0x4f7ffffe, v2
	v_cvt_u32_f32_e32 v2, v2
	v_readfirstlane_b32 s3, v2
	s_mul_i32 s2, s2, s3
	s_mul_hi_u32 s2, s3, s2
	s_add_i32 s3, s3, s2
	s_mul_hi_u32 s2, s20, s3
	s_mul_i32 s2, s2, s10
	s_sub_i32 s2, s20, s2
	s_sub_i32 s3, s2, s10
	s_cmp_ge_u32 s2, s10
	s_cselect_b32 s2, s3, s2
	s_sub_i32 s3, s2, s10
	s_cmp_ge_u32 s2, s10
	s_cselect_b32 s50, s3, s2
	s_mov_b64 s[46:47], s[50:51]
.LBB45_56:                              ;   in Loop: Header=BB45_16 Depth=1
	s_sub_u32 s48, s20, s46
	s_subb_u32 s49, s21, s47
	v_cmp_gt_i64_e32 vcc, s[48:49], v[22:23]
	v_mov_b32_e32 v8, 0
	v_mov_b32_e32 v10, 0
	;; [unrolled: 1-line block ×8, first 2 shown]
	s_and_saveexec_b64 s[28:29], vcc
	s_cbranch_execz .LBB45_60
; %bb.57:                               ;   in Loop: Header=BB45_16 Depth=1
	s_mul_i32 s2, s73, s23
	s_mul_hi_u32 s3, s72, s23
	v_mov_b32_e32 v4, v22
	s_add_i32 s2, s3, s2
	s_mov_b64 s[30:31], 0
	s_mov_b64 s[88:89], s[54:55]
	;; [unrolled: 1-line block ×6, first 2 shown]
	v_mov_b32_e32 v5, v23
.LBB45_58:                              ;   Parent Loop BB45_16 Depth=1
                                        ; =>  This Inner Loop Header: Depth=2
	v_add_co_u32_e32 v8, vcc, s88, v28
	v_mov_b32_e32 v2, s89
	v_addc_co_u32_e32 v9, vcc, v2, v29, vcc
	global_load_dwordx2 v[8:9], v[8:9], off
	v_add_co_u32_e32 v10, vcc, s88, v27
	v_addc_co_u32_e32 v11, vcc, v2, v49, vcc
	global_load_dwordx2 v[10:11], v[10:11], off
	v_add_co_u32_e32 v12, vcc, s88, v26
	;; [unrolled: 3-line block ×3, first 2 shown]
	v_addc_co_u32_e32 v15, vcc, v2, v46, vcc
	global_load_dwordx2 v[14:15], v[14:15], off
	s_waitcnt vmcnt(3)
	v_cmp_o_f64_e32 vcc, v[8:9], v[8:9]
	v_ashrrev_i32_e32 v2, 31, v9
	v_or_b32_e32 v18, 0x80000000, v2
	v_xor_b32_e32 v9, v18, v9
	v_xor_b32_e32 v2, v2, v8
	v_cndmask_b32_e32 v9, -1, v9, vcc
	v_cndmask_b32_e32 v8, -1, v2, vcc
	s_waitcnt vmcnt(2)
	v_cmp_o_f64_e32 vcc, v[10:11], v[10:11]
	v_ashrrev_i32_e32 v2, 31, v11
	v_or_b32_e32 v18, 0x80000000, v2
	v_xor_b32_e32 v11, v18, v11
	v_xor_b32_e32 v2, v2, v10
	v_cndmask_b32_e32 v37, -1, v11, vcc
	v_cndmask_b32_e32 v36, -1, v2, vcc
	;; [unrolled: 8-line block ×3, first 2 shown]
	s_waitcnt vmcnt(0)
	v_cmp_o_f64_e32 vcc, v[14:15], v[14:15]
	v_ashrrev_i32_e32 v2, 31, v15
	v_or_b32_e32 v10, 0x80000000, v2
	v_xor_b32_e32 v10, v10, v15
	v_xor_b32_e32 v2, v2, v14
	v_and_b32_e32 v15, v9, v33
	v_and_b32_e32 v14, v8, v32
	v_lshrrev_b64 v[8:9], s9, v[8:9]
	v_cndmask_b32_e32 v11, -1, v10, vcc
	v_and_b32_e32 v18, 3, v8
	v_lshrrev_b64 v[8:9], s9, v[36:37]
	v_cndmask_b32_e32 v10, -1, v2, vcc
	v_cmp_eq_u64_e32 vcc, v[14:15], v[30:31]
	v_and_b32_e32 v15, v37, v33
	v_and_b32_e32 v14, v36, v32
	v_cmp_eq_u64_e64 s[6:7], 0, v[18:19]
	v_cmp_eq_u64_e64 s[12:13], v[14:15], v[30:31]
	v_and_b32_e32 v15, v13, v33
	v_and_b32_e32 v14, v12, v32
	;; [unrolled: 1-line block ×3, first 2 shown]
	v_mov_b32_e32 v9, v19
	v_lshrrev_b64 v[12:13], s9, v[12:13]
	s_and_b64 s[24:25], vcc, s[6:7]
	v_cmp_eq_u64_e64 s[6:7], 0, v[8:9]
	v_cmp_eq_u64_e64 s[14:15], v[14:15], v[30:31]
	v_and_b32_e32 v15, v11, v33
	v_and_b32_e32 v14, v10, v32
	;; [unrolled: 1-line block ×3, first 2 shown]
	v_mov_b32_e32 v13, v19
	v_lshrrev_b64 v[10:11], s9, v[10:11]
	s_and_b64 s[34:35], s[12:13], s[6:7]
	v_cmp_eq_u64_e64 s[6:7], 0, v[12:13]
	v_and_b32_e32 v10, 3, v10
	v_mov_b32_e32 v11, v19
	v_cmp_eq_u64_e64 s[16:17], v[14:15], v[30:31]
	s_and_b64 s[38:39], s[14:15], s[6:7]
	v_cmp_eq_u64_e64 s[6:7], 0, v[10:11]
	v_cndmask_b32_e64 v2, 0, 1, s[24:25]
	s_and_b64 s[40:41], s[16:17], s[6:7]
	v_cmp_ne_u32_e64 s[6:7], 0, v2
	v_cndmask_b32_e64 v2, 0, 1, s[34:35]
	s_bcnt1_i32_b64 s3, s[6:7]
	v_cmp_ne_u32_e64 s[6:7], 0, v2
	v_cndmask_b32_e64 v2, 0, 1, s[38:39]
	s_bcnt1_i32_b64 s11, s[6:7]
	;; [unrolled: 3-line block ×3, first 2 shown]
	v_cmp_ne_u32_e64 s[6:7], 0, v2
	s_bcnt1_i32_b64 s6, s[6:7]
	s_add_u32 s3, s3, s36
	s_addc_u32 s7, 0, s37
	s_add_u32 s3, s3, s11
	s_addc_u32 s7, s7, 0
	;; [unrolled: 2-line block ×4, first 2 shown]
	v_cmp_eq_u64_e64 s[6:7], 1, v[18:19]
	s_and_b64 s[24:25], vcc, s[6:7]
	v_cmp_eq_u64_e64 s[6:7], 1, v[8:9]
	v_cndmask_b32_e64 v2, 0, 1, s[24:25]
	s_and_b64 s[34:35], s[12:13], s[6:7]
	v_cmp_eq_u64_e64 s[6:7], 1, v[12:13]
	s_and_b64 s[38:39], s[14:15], s[6:7]
	v_cmp_eq_u64_e64 s[6:7], 1, v[10:11]
	s_and_b64 s[40:41], s[16:17], s[6:7]
	v_cmp_ne_u32_e64 s[6:7], 0, v2
	v_cndmask_b32_e64 v2, 0, 1, s[34:35]
	s_bcnt1_i32_b64 s3, s[6:7]
	v_cmp_ne_u32_e64 s[6:7], 0, v2
	v_cndmask_b32_e64 v2, 0, 1, s[38:39]
	s_bcnt1_i32_b64 s11, s[6:7]
	v_cmp_ne_u32_e64 s[6:7], 0, v2
	v_cndmask_b32_e64 v2, 0, 1, s[40:41]
	s_bcnt1_i32_b64 s24, s[6:7]
	v_cmp_ne_u32_e64 s[6:7], 0, v2
	s_bcnt1_i32_b64 s6, s[6:7]
	s_add_u32 s3, s3, s94
	s_addc_u32 s7, 0, s95
	s_add_u32 s3, s3, s11
	s_addc_u32 s7, s7, 0
	;; [unrolled: 2-line block ×4, first 2 shown]
	v_cmp_eq_u64_e64 s[6:7], 2, v[18:19]
	s_and_b64 s[24:25], vcc, s[6:7]
	v_cmp_eq_u64_e64 s[6:7], 2, v[8:9]
	v_cndmask_b32_e64 v2, 0, 1, s[24:25]
	s_and_b64 s[34:35], s[12:13], s[6:7]
	v_cmp_eq_u64_e64 s[6:7], 2, v[12:13]
	s_and_b64 s[38:39], s[14:15], s[6:7]
	v_cmp_eq_u64_e64 s[6:7], 2, v[10:11]
	s_and_b64 s[40:41], s[16:17], s[6:7]
	v_cmp_ne_u32_e64 s[6:7], 0, v2
	v_cndmask_b32_e64 v2, 0, 1, s[34:35]
	s_bcnt1_i32_b64 s3, s[6:7]
	v_cmp_ne_u32_e64 s[6:7], 0, v2
	v_cndmask_b32_e64 v2, 0, 1, s[38:39]
	s_bcnt1_i32_b64 s11, s[6:7]
	;; [unrolled: 3-line block ×3, first 2 shown]
	v_cmp_ne_u32_e64 s[6:7], 0, v2
	s_bcnt1_i32_b64 s6, s[6:7]
	s_add_u32 s3, s3, s92
	s_addc_u32 s7, 0, s93
	s_add_u32 s3, s3, s11
	s_addc_u32 s7, s7, 0
	;; [unrolled: 2-line block ×4, first 2 shown]
	v_cmp_eq_u64_e64 s[6:7], 3, v[18:19]
	s_and_b64 s[6:7], vcc, s[6:7]
	v_cmp_eq_u64_e32 vcc, 3, v[8:9]
	v_cndmask_b32_e64 v2, 0, 1, s[6:7]
	s_and_b64 s[12:13], s[12:13], vcc
	v_cmp_eq_u64_e32 vcc, 3, v[12:13]
	v_mov_b32_e32 v8, s36
	s_and_b64 s[14:15], s[14:15], vcc
	v_cmp_eq_u64_e32 vcc, 3, v[10:11]
	v_mov_b32_e32 v10, s94
	s_and_b64 s[16:17], s[16:17], vcc
	v_cmp_ne_u32_e32 vcc, 0, v2
	v_cndmask_b32_e64 v2, 0, 1, s[12:13]
	s_bcnt1_i32_b64 s3, vcc
	v_cmp_ne_u32_e32 vcc, 0, v2
	v_cndmask_b32_e64 v2, 0, 1, s[14:15]
	s_bcnt1_i32_b64 s6, vcc
	v_cmp_ne_u32_e32 vcc, 0, v2
	v_cndmask_b32_e64 v2, 0, 1, s[16:17]
	s_bcnt1_i32_b64 s7, vcc
	v_cmp_ne_u32_e32 vcc, 0, v2
	s_bcnt1_i32_b64 s11, vcc
	s_add_u32 s3, s3, s90
	s_addc_u32 s12, 0, s91
	s_add_u32 s3, s3, s6
	s_addc_u32 s6, s12, 0
	;; [unrolled: 2-line block ×3, first 2 shown]
	s_add_u32 s90, s3, s11
	v_add_co_u32_e32 v4, vcc, s10, v4
	s_addc_u32 s91, s6, 0
	v_addc_co_u32_e32 v5, vcc, 0, v5, vcc
	s_mul_i32 s3, s72, s23
	s_add_u32 s88, s88, s3
	v_cmp_le_i64_e32 vcc, s[48:49], v[4:5]
	s_addc_u32 s89, s89, s2
	v_mov_b32_e32 v12, s92
	v_mov_b32_e32 v14, s90
	s_or_b64 s[30:31], vcc, s[30:31]
	v_mov_b32_e32 v9, s37
	v_mov_b32_e32 v11, s95
	;; [unrolled: 1-line block ×4, first 2 shown]
	s_andn2_b64 exec, exec, s[30:31]
	s_cbranch_execnz .LBB45_58
; %bb.59:                               ;   in Loop: Header=BB45_16 Depth=1
	s_or_b64 exec, exec, s[30:31]
.LBB45_60:                              ;   in Loop: Header=BB45_16 Depth=1
	s_or_b64 exec, exec, s[28:29]
	v_mov_b32_e32 v2, s49
	v_add_co_u32_e32 v4, vcc, s48, v0
	v_addc_co_u32_e32 v5, vcc, 0, v2, vcc
	v_cmp_gt_i64_e32 vcc, s[20:21], v[4:5]
	s_and_saveexec_b64 s[10:11], vcc
	s_cbranch_execz .LBB45_66
; %bb.61:                               ;   in Loop: Header=BB45_16 Depth=1
	v_mul_lo_u32 v2, v5, s26
	v_mul_lo_u32 v18, v4, s27
	v_mad_u64_u32 v[36:37], s[2:3], v4, s26, 0
	s_mul_i32 s17, s70, s23
	s_mov_b64 s[14:15], 0
	v_add3_u32 v37, v37, v18, v2
	v_lshlrev_b64 v[36:37], 3, v[36:37]
	v_mov_b32_e32 v2, s55
	v_add_co_u32_e32 v36, vcc, s54, v36
	v_addc_co_u32_e32 v37, vcc, v2, v37, vcc
	global_load_dwordx2 v[40:41], v[36:37], off
	v_add_co_u32_e32 v2, vcc, s23, v50
	v_addc_co_u32_e32 v18, vcc, 0, v51, vcc
	v_mov_b32_e32 v36, s47
	v_subrev_co_u32_e32 v2, vcc, s46, v2
	v_subb_co_u32_e32 v18, vcc, v18, v36, vcc
	v_mov_b32_e32 v36, s68
	v_mov_b32_e32 v37, s69
	v_mul_lo_u32 v18, s70, v18
	v_mul_lo_u32 v38, s71, v2
	v_mad_u64_u32 v[36:37], s[2:3], s70, v2, v[36:37]
	s_mul_i32 s2, s71, s23
	s_mul_hi_u32 s3, s70, s23
	v_add3_u32 v37, v38, v37, v18
	s_add_i32 s16, s3, s2
	s_branch .LBB45_63
.LBB45_62:                              ;   in Loop: Header=BB45_63 Depth=2
	s_or_b64 exec, exec, s[2:3]
	s_waitcnt vmcnt(0)
	v_cmp_o_f64_e64 s[6:7], v[40:41], v[40:41]
	v_ashrrev_i32_e32 v2, 31, v41
	v_or_b32_e32 v18, 0x80000000, v2
	v_xor_b32_e32 v18, v18, v41
	v_xor_b32_e32 v2, v2, v40
	s_and_b64 s[2:3], exec, vcc
	s_or_b64 s[14:15], s[2:3], s[14:15]
	v_cndmask_b32_e64 v41, -1, v18, s[6:7]
	v_cndmask_b32_e64 v40, -1, v2, s[6:7]
	v_and_b32_e32 v56, v41, v33
	v_and_b32_e32 v55, v40, v32
	v_lshrrev_b64 v[40:41], s9, v[40:41]
	v_cmp_eq_u64_e32 vcc, v[55:56], v[30:31]
	v_and_b32_e32 v18, 3, v40
	v_cmp_eq_u64_e64 s[6:7], 0, v[18:19]
	v_mov_b32_e32 v41, v39
	s_and_b64 s[2:3], vcc, s[6:7]
	v_cndmask_b32_e64 v2, 0, 1, s[2:3]
	v_cmp_ne_u32_e64 s[6:7], 0, v2
	s_bcnt1_i32_b64 s2, s[6:7]
	v_cmp_eq_u64_e64 s[6:7], 1, v[18:19]
	v_add_co_u32_e64 v8, s[12:13], s2, v8
	s_and_b64 s[2:3], vcc, s[6:7]
	v_cndmask_b32_e64 v2, 0, 1, s[2:3]
	v_cmp_ne_u32_e64 s[6:7], 0, v2
	s_bcnt1_i32_b64 s2, s[6:7]
	v_cmp_eq_u64_e64 s[6:7], 2, v[18:19]
	v_addc_co_u32_e64 v9, s[12:13], 0, v9, s[12:13]
	v_add_co_u32_e64 v10, s[12:13], s2, v10
	s_and_b64 s[2:3], vcc, s[6:7]
	v_cndmask_b32_e64 v2, 0, 1, s[2:3]
	v_cmp_ne_u32_e64 s[6:7], 0, v2
	s_bcnt1_i32_b64 s2, s[6:7]
	v_cmp_eq_u64_e64 s[6:7], 3, v[18:19]
	v_addc_co_u32_e64 v11, s[12:13], 0, v11, s[12:13]
	v_add_co_u32_e64 v12, s[12:13], s2, v12
	s_and_b64 s[2:3], vcc, s[6:7]
	v_cndmask_b32_e64 v2, 0, 1, s[2:3]
	v_cmp_ne_u32_e32 vcc, 0, v2
	s_bcnt1_i32_b64 s2, vcc
	v_add_co_u32_e32 v14, vcc, s2, v14
	v_addc_co_u32_e32 v15, vcc, 0, v15, vcc
	v_mov_b32_e32 v2, s16
	v_add_co_u32_e32 v36, vcc, s17, v36
	v_addc_co_u32_e64 v13, s[12:13], 0, v13, s[12:13]
	v_addc_co_u32_e32 v37, vcc, v37, v2, vcc
	v_mov_b32_e32 v40, v38
	s_andn2_b64 exec, exec, s[14:15]
	s_cbranch_execz .LBB45_65
.LBB45_63:                              ;   Parent Loop BB45_16 Depth=1
                                        ; =>  This Inner Loop Header: Depth=2
	v_add_co_u32_e32 v4, vcc, s23, v4
	v_addc_co_u32_e32 v5, vcc, 0, v5, vcc
	v_cmp_gt_i64_e64 s[6:7], s[20:21], v[4:5]
	v_cmp_le_i64_e32 vcc, s[20:21], v[4:5]
	v_mov_b32_e32 v38, 0
	v_mov_b32_e32 v39, 0
	s_and_saveexec_b64 s[2:3], s[6:7]
	s_cbranch_execz .LBB45_62
; %bb.64:                               ;   in Loop: Header=BB45_63 Depth=2
	global_load_dwordx2 v[38:39], v[36:37], off
	s_branch .LBB45_62
.LBB45_65:                              ;   in Loop: Header=BB45_16 Depth=1
	s_or_b64 exec, exec, s[14:15]
.LBB45_66:                              ;   in Loop: Header=BB45_16 Depth=1
	s_or_b64 exec, exec, s[10:11]
	s_branch .LBB45_45
.LBB45_67:                              ;   in Loop: Header=BB45_16 Depth=1
	global_load_ushort v2, v19, s[62:63]
	v_mov_b32_e32 v8, 0
	v_mov_b32_e32 v10, 0
	;; [unrolled: 1-line block ×8, first 2 shown]
	s_waitcnt vmcnt(0)
	v_readfirstlane_b32 s2, v2
	s_and_b32 s2, 0xffff, s2
	s_lshl_b32 s3, s2, 2
	v_cvt_f32_u32_e32 v4, s3
	s_sub_i32 s6, 0, s3
	v_rcp_iflag_f32_e32 v4, v4
	v_mul_f32_e32 v4, 0x4f7ffffe, v4
	v_cvt_u32_f32_e32 v4, v4
	v_readfirstlane_b32 s7, v4
	s_mul_i32 s6, s6, s7
	s_mul_hi_u32 s6, s7, s6
	s_add_i32 s7, s7, s6
	s_mul_hi_u32 s6, s22, s7
	s_mul_i32 s7, s6, s3
	s_sub_i32 s7, s22, s7
	s_add_i32 s10, s6, 1
	s_sub_i32 s11, s7, s3
	s_cmp_ge_u32 s7, s3
	s_cselect_b32 s6, s10, s6
	s_cselect_b32 s7, s11, s7
	s_add_i32 s10, s6, 1
	s_cmp_ge_u32 s7, s3
	s_cselect_b32 s6, s10, s6
	s_mul_hi_u32 s29, s2, s6
	s_mul_i32 s28, s2, s6
	s_lshl_b64 s[30:31], s[28:29], 2
	v_cmp_gt_u64_e32 vcc, s[30:31], v[22:23]
	s_and_saveexec_b64 s[36:37], vcc
	s_cbranch_execz .LBB45_71
; %bb.68:                               ;   in Loop: Header=BB45_16 Depth=1
	v_mov_b32_e32 v4, v22
	s_lshl_b32 s10, s2, 5
	s_mov_b64 s[38:39], 0
	v_mov_b32_e32 v36, v45
	s_mov_b64 s[46:47], 0
	s_mov_b64 s[48:49], 0
	;; [unrolled: 1-line block ×4, first 2 shown]
	v_mov_b32_e32 v5, v23
.LBB45_69:                              ;   Parent Loop BB45_16 Depth=1
                                        ; =>  This Inner Loop Header: Depth=2
	ds_read_b128 v[8:11], v36
	ds_read_b128 v[12:15], v36 offset:16
	v_add_u32_e32 v36, s10, v36
	s_waitcnt lgkmcnt(1)
	v_cmp_o_f64_e32 vcc, v[8:9], v[8:9]
	v_ashrrev_i32_e32 v18, 31, v9
	v_or_b32_e32 v37, 0x80000000, v18
	v_xor_b32_e32 v9, v37, v9
	v_xor_b32_e32 v8, v18, v8
	v_ashrrev_i32_e32 v18, 31, v11
	v_or_b32_e32 v37, 0x80000000, v18
	v_cndmask_b32_e32 v9, -1, v9, vcc
	v_cndmask_b32_e32 v8, -1, v8, vcc
	v_cmp_o_f64_e32 vcc, v[10:11], v[10:11]
	v_xor_b32_e32 v11, v37, v11
	v_xor_b32_e32 v10, v18, v10
	v_cndmask_b32_e32 v38, -1, v11, vcc
	v_cndmask_b32_e32 v37, -1, v10, vcc
	s_waitcnt lgkmcnt(0)
	v_cmp_o_f64_e32 vcc, v[12:13], v[12:13]
	v_ashrrev_i32_e32 v10, 31, v13
	v_or_b32_e32 v11, 0x80000000, v10
	v_xor_b32_e32 v11, v11, v13
	v_xor_b32_e32 v10, v10, v12
	v_cndmask_b32_e32 v13, -1, v11, vcc
	v_cndmask_b32_e32 v12, -1, v10, vcc
	v_cmp_o_f64_e32 vcc, v[14:15], v[14:15]
	v_ashrrev_i32_e32 v10, 31, v15
	v_or_b32_e32 v11, 0x80000000, v10
	v_xor_b32_e32 v11, v11, v15
	v_xor_b32_e32 v10, v10, v14
	v_and_b32_e32 v15, v9, v33
	v_and_b32_e32 v14, v8, v32
	v_lshrrev_b64 v[8:9], s9, v[8:9]
	v_cndmask_b32_e32 v11, -1, v11, vcc
	v_and_b32_e32 v18, 3, v8
	v_lshrrev_b64 v[8:9], s9, v[37:38]
	v_cndmask_b32_e32 v10, -1, v10, vcc
	v_cmp_eq_u64_e32 vcc, v[14:15], v[30:31]
	v_and_b32_e32 v15, v38, v33
	v_and_b32_e32 v14, v37, v32
	v_cmp_eq_u64_e64 s[6:7], 0, v[18:19]
	v_cmp_eq_u64_e64 s[12:13], v[14:15], v[30:31]
	v_and_b32_e32 v15, v13, v33
	v_and_b32_e32 v14, v12, v32
	;; [unrolled: 1-line block ×3, first 2 shown]
	v_mov_b32_e32 v9, v19
	v_lshrrev_b64 v[12:13], s9, v[12:13]
	s_and_b64 s[24:25], vcc, s[6:7]
	v_cmp_eq_u64_e64 s[6:7], 0, v[8:9]
	v_cmp_eq_u64_e64 s[14:15], v[14:15], v[30:31]
	v_and_b32_e32 v15, v11, v33
	v_and_b32_e32 v14, v10, v32
	;; [unrolled: 1-line block ×3, first 2 shown]
	v_mov_b32_e32 v13, v19
	v_lshrrev_b64 v[10:11], s9, v[10:11]
	s_and_b64 s[34:35], s[12:13], s[6:7]
	v_cmp_eq_u64_e64 s[6:7], 0, v[12:13]
	v_and_b32_e32 v10, 3, v10
	v_mov_b32_e32 v11, v19
	v_cmp_eq_u64_e64 s[16:17], v[14:15], v[30:31]
	s_and_b64 s[40:41], s[14:15], s[6:7]
	v_cmp_eq_u64_e64 s[6:7], 0, v[10:11]
	v_cndmask_b32_e64 v14, 0, 1, s[24:25]
	s_and_b64 s[42:43], s[16:17], s[6:7]
	v_cmp_ne_u32_e64 s[6:7], 0, v14
	v_cndmask_b32_e64 v14, 0, 1, s[34:35]
	s_bcnt1_i32_b64 s11, s[6:7]
	v_cmp_ne_u32_e64 s[6:7], 0, v14
	v_cndmask_b32_e64 v14, 0, 1, s[40:41]
	s_bcnt1_i32_b64 s23, s[6:7]
	;; [unrolled: 3-line block ×3, first 2 shown]
	v_cmp_ne_u32_e64 s[6:7], 0, v14
	s_bcnt1_i32_b64 s6, s[6:7]
	s_add_u32 s7, s11, s90
	s_addc_u32 s11, 0, s91
	s_add_u32 s7, s7, s23
	s_addc_u32 s11, s11, 0
	;; [unrolled: 2-line block ×3, first 2 shown]
	s_add_u32 s90, s7, s6
	v_cmp_eq_u64_e64 s[6:7], 1, v[18:19]
	s_addc_u32 s91, s11, 0
	s_and_b64 s[24:25], vcc, s[6:7]
	v_cmp_eq_u64_e64 s[6:7], 1, v[8:9]
	v_cndmask_b32_e64 v14, 0, 1, s[24:25]
	s_and_b64 s[34:35], s[12:13], s[6:7]
	v_cmp_eq_u64_e64 s[6:7], 1, v[12:13]
	s_and_b64 s[40:41], s[14:15], s[6:7]
	v_cmp_eq_u64_e64 s[6:7], 1, v[10:11]
	s_and_b64 s[42:43], s[16:17], s[6:7]
	v_cmp_ne_u32_e64 s[6:7], 0, v14
	v_cndmask_b32_e64 v14, 0, 1, s[34:35]
	s_bcnt1_i32_b64 s11, s[6:7]
	v_cmp_ne_u32_e64 s[6:7], 0, v14
	v_cndmask_b32_e64 v14, 0, 1, s[40:41]
	s_bcnt1_i32_b64 s23, s[6:7]
	;; [unrolled: 3-line block ×3, first 2 shown]
	v_cmp_ne_u32_e64 s[6:7], 0, v14
	s_bcnt1_i32_b64 s6, s[6:7]
	s_add_u32 s7, s11, s88
	s_addc_u32 s11, 0, s89
	s_add_u32 s7, s7, s23
	s_addc_u32 s11, s11, 0
	;; [unrolled: 2-line block ×3, first 2 shown]
	s_add_u32 s88, s7, s6
	v_cmp_eq_u64_e64 s[6:7], 2, v[18:19]
	s_addc_u32 s89, s11, 0
	s_and_b64 s[24:25], vcc, s[6:7]
	v_cmp_eq_u64_e64 s[6:7], 2, v[8:9]
	v_cndmask_b32_e64 v14, 0, 1, s[24:25]
	s_and_b64 s[34:35], s[12:13], s[6:7]
	v_cmp_eq_u64_e64 s[6:7], 2, v[12:13]
	s_and_b64 s[40:41], s[14:15], s[6:7]
	v_cmp_eq_u64_e64 s[6:7], 2, v[10:11]
	s_and_b64 s[42:43], s[16:17], s[6:7]
	v_cmp_ne_u32_e64 s[6:7], 0, v14
	v_cndmask_b32_e64 v14, 0, 1, s[34:35]
	s_bcnt1_i32_b64 s11, s[6:7]
	v_cmp_ne_u32_e64 s[6:7], 0, v14
	v_cndmask_b32_e64 v14, 0, 1, s[40:41]
	s_bcnt1_i32_b64 s23, s[6:7]
	;; [unrolled: 3-line block ×3, first 2 shown]
	v_cmp_ne_u32_e64 s[6:7], 0, v14
	s_bcnt1_i32_b64 s6, s[6:7]
	s_add_u32 s7, s11, s48
	s_addc_u32 s11, 0, s49
	s_add_u32 s7, s7, s23
	s_addc_u32 s11, s11, 0
	;; [unrolled: 2-line block ×3, first 2 shown]
	s_add_u32 s48, s7, s6
	v_cmp_eq_u64_e64 s[6:7], 3, v[18:19]
	s_addc_u32 s49, s11, 0
	s_and_b64 s[6:7], vcc, s[6:7]
	v_cmp_eq_u64_e32 vcc, 3, v[8:9]
	v_cndmask_b32_e64 v8, 0, 1, s[6:7]
	s_and_b64 s[12:13], s[12:13], vcc
	v_cmp_eq_u64_e32 vcc, 3, v[12:13]
	v_mov_b32_e32 v12, s48
	s_and_b64 s[14:15], s[14:15], vcc
	v_cmp_eq_u64_e32 vcc, 3, v[10:11]
	v_mov_b32_e32 v10, s88
	s_and_b64 s[16:17], s[16:17], vcc
	v_cmp_ne_u32_e32 vcc, 0, v8
	v_cndmask_b32_e64 v8, 0, 1, s[12:13]
	s_bcnt1_i32_b64 s6, vcc
	v_cmp_ne_u32_e32 vcc, 0, v8
	v_cndmask_b32_e64 v8, 0, 1, s[14:15]
	s_bcnt1_i32_b64 s7, vcc
	;; [unrolled: 3-line block ×3, first 2 shown]
	v_cmp_ne_u32_e32 vcc, 0, v8
	s_bcnt1_i32_b64 s12, vcc
	s_add_u32 s6, s6, s46
	s_addc_u32 s13, 0, s47
	s_add_u32 s6, s6, s7
	s_addc_u32 s7, s13, 0
	s_add_u32 s6, s6, s11
	v_add_co_u32_e32 v4, vcc, s3, v4
	s_addc_u32 s7, s7, 0
	v_addc_co_u32_e32 v5, vcc, 0, v5, vcc
	s_add_u32 s46, s6, s12
	v_cmp_le_u64_e32 vcc, s[30:31], v[4:5]
	s_addc_u32 s47, s7, 0
	v_mov_b32_e32 v8, s90
	v_mov_b32_e32 v14, s46
	s_or_b64 s[38:39], vcc, s[38:39]
	v_mov_b32_e32 v9, s91
	v_mov_b32_e32 v11, s89
	;; [unrolled: 1-line block ×4, first 2 shown]
	s_andn2_b64 exec, exec, s[38:39]
	s_cbranch_execnz .LBB45_69
; %bb.70:                               ;   in Loop: Header=BB45_16 Depth=1
	s_or_b64 exec, exec, s[38:39]
.LBB45_71:                              ;   in Loop: Header=BB45_16 Depth=1
	s_or_b64 exec, exec, s[36:37]
	v_mov_b32_e32 v5, s31
	v_add_co_u32_e32 v4, vcc, s30, v0
	s_and_b32 s50, s22, 0x7fffffff
	v_addc_co_u32_e32 v5, vcc, 0, v5, vcc
	v_cmp_gt_u64_e32 vcc, s[50:51], v[4:5]
	s_and_saveexec_b64 s[10:11], vcc
	s_cbranch_execz .LBB45_75
; %bb.72:                               ;   in Loop: Header=BB45_16 Depth=1
	v_lshl_add_u32 v36, s28, 5, v53
	s_lshl_b32 s2, s2, 3
	s_mov_b64 s[12:13], 0
.LBB45_73:                              ;   Parent Loop BB45_16 Depth=1
                                        ; =>  This Inner Loop Header: Depth=2
	ds_read_b64 v[37:38], v36
	v_add_u32_e32 v36, s2, v36
	s_waitcnt lgkmcnt(0)
	v_cmp_o_f64_e32 vcc, v[37:38], v[37:38]
	v_ashrrev_i32_e32 v18, 31, v38
	v_or_b32_e32 v39, 0x80000000, v18
	v_xor_b32_e32 v38, v39, v38
	v_xor_b32_e32 v18, v18, v37
	v_cndmask_b32_e32 v38, -1, v38, vcc
	v_cndmask_b32_e32 v37, -1, v18, vcc
	v_and_b32_e32 v40, v38, v33
	v_and_b32_e32 v39, v37, v32
	v_lshrrev_b64 v[37:38], s9, v[37:38]
	v_cmp_eq_u64_e32 vcc, v[39:40], v[30:31]
	v_and_b32_e32 v18, 3, v37
	v_cmp_eq_u64_e64 s[6:7], 0, v[18:19]
	s_and_b64 s[6:7], vcc, s[6:7]
	v_cndmask_b32_e64 v37, 0, 1, s[6:7]
	v_cmp_ne_u32_e64 s[6:7], 0, v37
	s_bcnt1_i32_b64 s3, s[6:7]
	v_add_co_u32_e64 v8, s[6:7], s3, v8
	v_addc_co_u32_e64 v9, s[6:7], 0, v9, s[6:7]
	v_cmp_eq_u64_e64 s[6:7], 1, v[18:19]
	s_and_b64 s[6:7], vcc, s[6:7]
	v_cndmask_b32_e64 v37, 0, 1, s[6:7]
	v_cmp_ne_u32_e64 s[6:7], 0, v37
	s_bcnt1_i32_b64 s3, s[6:7]
	v_add_co_u32_e64 v10, s[6:7], s3, v10
	v_addc_co_u32_e64 v11, s[6:7], 0, v11, s[6:7]
	;; [unrolled: 7-line block ×3, first 2 shown]
	v_cmp_eq_u64_e64 s[6:7], 3, v[18:19]
	s_and_b64 s[6:7], vcc, s[6:7]
	v_cndmask_b32_e64 v18, 0, 1, s[6:7]
	v_cmp_ne_u32_e32 vcc, 0, v18
	s_bcnt1_i32_b64 s3, vcc
	v_add_co_u32_e32 v14, vcc, s3, v14
	v_addc_co_u32_e32 v15, vcc, 0, v15, vcc
	v_add_co_u32_sdwa v4, vcc, v4, v2 dst_sel:DWORD dst_unused:UNUSED_PAD src0_sel:DWORD src1_sel:WORD_0
	v_addc_co_u32_e32 v5, vcc, 0, v5, vcc
	v_cmp_le_u64_e32 vcc, s[50:51], v[4:5]
	s_or_b64 s[12:13], vcc, s[12:13]
	s_andn2_b64 exec, exec, s[12:13]
	s_cbranch_execnz .LBB45_73
; %bb.74:                               ;   in Loop: Header=BB45_16 Depth=1
	s_or_b64 exec, exec, s[12:13]
.LBB45_75:                              ;   in Loop: Header=BB45_16 Depth=1
	s_or_b64 exec, exec, s[10:11]
	s_lshl_b32 s10, s58, 6
	s_and_saveexec_b64 s[2:3], s[4:5]
	s_cbranch_execnz .LBB45_46
	s_branch .LBB45_47
.LBB45_76:                              ;   in Loop: Header=BB45_16 Depth=1
                                        ; implicit-def: $sgpr46_sgpr47
	s_branch .LBB45_55
.LBB45_77:                              ;   in Loop: Header=BB45_16 Depth=1
	s_or_b64 exec, exec, s[14:15]
	s_waitcnt lgkmcnt(0)
	s_barrier
	s_mov_b64 s[2:3], exec
	v_readlane_b32 s6, v59, 12
	v_readlane_b32 s7, v59, 13
	s_and_b64 s[6:7], s[2:3], s[6:7]
	s_mov_b64 exec, s[6:7]
	s_cbranch_execz .LBB45_79
; %bb.78:                               ;   in Loop: Header=BB45_16 Depth=1
	ds_read_b32 v4, v19 offset:5136
	s_waitcnt lgkmcnt(0)
	v_ashrrev_i32_e32 v5, 31, v4
	ds_write_b64 v19, v[4:5] offset:5120
.LBB45_79:                              ;   in Loop: Header=BB45_16 Depth=1
	s_or_b64 exec, exec, s[2:3]
	s_waitcnt lgkmcnt(0)
	s_barrier
	s_mov_b64 s[2:3], -1
	s_and_b64 vcc, exec, s[10:11]
	s_cbranch_vccnz .LBB45_32
	s_branch .LBB45_41
.LBB45_80:                              ;   in Loop: Header=BB45_16 Depth=1
	v_mov_b32_e32 v4, 0
	v_mov_b32_e32 v5, 0
	s_mov_b32 s2, 0
.LBB45_81:                              ;   in Loop: Header=BB45_16 Depth=1
	v_readlane_b32 s12, v59, 34
	v_readlane_b32 s13, v59, 35
	s_andn2_b64 vcc, exec, s[12:13]
	s_cbranch_vccnz .LBB45_84
; %bb.82:                               ;   in Loop: Header=BB45_16 Depth=1
	s_lshl_b32 s3, s58, 9
	s_lshl_b32 s2, s2, 5
	s_add_i32 s3, s3, s2
	v_add_u32_e32 v2, s3, v52
	v_readlane_b32 s2, v59, 33
.LBB45_83:                              ;   Parent Loop BB45_16 Depth=1
                                        ; =>  This Inner Loop Header: Depth=2
	ds_read_b64 v[8:9], v2
	s_add_i32 s2, s2, -1
	v_add_u32_e32 v2, 32, v2
	s_cmp_lg_u32 s2, 0
	s_waitcnt lgkmcnt(0)
	v_add_co_u32_e32 v4, vcc, v8, v4
	v_addc_co_u32_e32 v5, vcc, v9, v5, vcc
	s_cbranch_scc1 .LBB45_83
.LBB45_84:                              ;   in Loop: Header=BB45_16 Depth=1
	v_add_lshl_u32 v2, s10, v42, 3
	ds_write_b64 v2, v[4:5] offset:3072
.LBB45_85:                              ;   in Loop: Header=BB45_16 Depth=1
	s_or_b64 exec, exec, s[6:7]
	s_lshl_b32 s2, s10, 3
	v_mov_b32_e32 v2, s2
	s_waitcnt lgkmcnt(0)
	s_barrier
	ds_read_b128 v[12:15], v2 offset:3088
	ds_read_b128 v[8:11], v2 offset:3072
	v_cmp_eq_u64_e64 s[6:7], 1, v[34:35]
	s_lshl_b64 s[14:15], 3, s9
	s_not_b64 s[92:93], s[14:15]
	s_waitcnt lgkmcnt(1)
	v_readfirstlane_b32 s90, v12
	s_waitcnt lgkmcnt(0)
	v_cmp_eq_u64_e32 vcc, 1, v[8:9]
	v_readfirstlane_b32 s91, v13
	v_readfirstlane_b32 s12, v14
	;; [unrolled: 1-line block ×3, first 2 shown]
	s_and_b64 s[22:23], vcc, s[6:7]
	s_mov_b64 s[6:7], -1
	s_mov_b64 s[2:3], -1
                                        ; implicit-def: $sgpr30_sgpr31
                                        ; implicit-def: $sgpr10_sgpr11
	s_and_saveexec_b64 s[16:17], s[22:23]
	s_cbranch_execz .LBB45_119
; %bb.86:                               ;   in Loop: Header=BB45_16 Depth=1
	ds_read_b64 v[4:5], v19 offset:5120
	s_waitcnt lgkmcnt(0)
	s_barrier
	v_readfirstlane_b32 s28, v4
	v_readfirstlane_b32 s29, v5
	s_and_saveexec_b64 s[2:3], s[18:19]
; %bb.87:                               ;   in Loop: Header=BB45_16 Depth=1
	v_mov_b32_e32 v18, v19
	ds_write_b64 v54, v[18:19]
; %bb.88:                               ;   in Loop: Header=BB45_16 Depth=1
	s_or_b64 exec, exec, s[2:3]
	v_cmp_lt_i64_e64 s[2:3], s[28:29], 1
	v_and_b32_e32 v31, s93, v31
	v_and_b32_e32 v30, s92, v30
	v_or_b32_e32 v33, s15, v33
	v_or_b32_e32 v32, s14, v32
	s_mov_b64 s[10:11], -1
	s_mov_b64 s[30:31], 0
	s_and_b64 vcc, exec, s[2:3]
	s_mov_b64 s[24:25], 0
	s_mov_b64 s[36:37], -1
	s_waitcnt lgkmcnt(0)
	s_barrier
                                        ; implicit-def: $vgpr6_vgpr7
	s_cbranch_vccz .LBB45_103
; %bb.89:                               ;   in Loop: Header=BB45_16 Depth=1
	s_mov_b32 s60, s51
	s_cmp_lg_u64 s[60:61], 0
	s_cbranch_scc0 .LBB45_146
; %bb.90:                               ;   in Loop: Header=BB45_16 Depth=1
	s_add_u32 s2, s33, 0
	s_addc_u32 s3, 0, 0
	s_xor_b64 s[24:25], s[2:3], 0
	v_cvt_f32_u32_e32 v2, s24
	v_cvt_f32_u32_e32 v4, s25
	s_sub_u32 s34, 0, s24
	s_subb_u32 s35, 0, s25
	v_mac_f32_e32 v2, 0x4f800000, v4
	v_rcp_f32_e32 v2, v2
	v_mul_f32_e32 v2, 0x5f7ffffc, v2
	v_mul_f32_e32 v4, 0x2f800000, v2
	v_trunc_f32_e32 v4, v4
	v_mac_f32_e32 v2, 0xcf800000, v4
	v_cvt_u32_f32_e32 v4, v4
	v_cvt_u32_f32_e32 v2, v2
	v_readfirstlane_b32 s36, v4
	v_readfirstlane_b32 s2, v2
	s_mul_i32 s3, s34, s36
	s_mul_hi_u32 s38, s34, s2
	s_mul_i32 s37, s35, s2
	s_add_i32 s3, s38, s3
	s_mul_i32 s39, s34, s2
	s_add_i32 s3, s3, s37
	s_mul_i32 s38, s2, s3
	s_mul_hi_u32 s40, s2, s39
	s_mul_hi_u32 s37, s2, s3
	s_add_u32 s38, s40, s38
	s_addc_u32 s37, 0, s37
	s_mul_hi_u32 s41, s36, s39
	s_mul_i32 s39, s36, s39
	s_add_u32 s38, s38, s39
	s_mul_hi_u32 s40, s36, s3
	s_addc_u32 s37, s37, s41
	s_addc_u32 s38, s40, 0
	s_mul_i32 s3, s36, s3
	s_add_u32 s3, s37, s3
	s_addc_u32 s37, 0, s38
	s_add_u32 s38, s2, s3
	s_cselect_b64 s[2:3], -1, 0
	s_cmp_lg_u64 s[2:3], 0
	s_addc_u32 s36, s36, s37
	s_mul_i32 s2, s34, s36
	s_mul_hi_u32 s3, s34, s38
	s_add_i32 s2, s3, s2
	s_mul_i32 s35, s35, s38
	s_add_i32 s2, s2, s35
	s_mul_i32 s34, s34, s38
	s_mul_hi_u32 s35, s36, s34
	s_mul_i32 s37, s36, s34
	s_mul_i32 s40, s38, s2
	s_mul_hi_u32 s34, s38, s34
	s_mul_hi_u32 s39, s38, s2
	s_add_u32 s34, s34, s40
	s_addc_u32 s39, 0, s39
	s_add_u32 s34, s34, s37
	s_mul_hi_u32 s3, s36, s2
	s_addc_u32 s34, s39, s35
	s_addc_u32 s3, s3, 0
	s_mul_i32 s2, s36, s2
	s_add_u32 s2, s34, s2
	s_addc_u32 s34, 0, s3
	s_add_u32 s37, s38, s2
	s_cselect_b64 s[2:3], -1, 0
	s_cmp_lg_u64 s[2:3], 0
	s_addc_u32 s36, s36, s34
	s_ashr_i32 s34, s61, 31
	s_add_u32 s2, s0, s34
	s_mov_b32 s35, s34
	s_addc_u32 s3, s61, s34
	s_xor_b64 s[2:3], s[2:3], s[34:35]
	s_mul_i32 s39, s2, s36
	s_mul_hi_u32 s40, s2, s37
	s_mul_hi_u32 s38, s2, s36
	s_add_u32 s39, s40, s39
	s_addc_u32 s38, 0, s38
	s_mul_hi_u32 s41, s3, s37
	s_mul_i32 s37, s3, s37
	s_add_u32 s37, s39, s37
	s_mul_hi_u32 s40, s3, s36
	s_addc_u32 s37, s38, s41
	s_addc_u32 s38, s40, 0
	s_mul_i32 s36, s3, s36
	s_add_u32 s36, s37, s36
	s_addc_u32 s37, 0, s38
	s_mul_i32 s37, s24, s37
	s_mul_hi_u32 s38, s24, s36
	s_add_i32 s37, s38, s37
	s_mul_i32 s38, s25, s36
	s_add_i32 s40, s37, s38
	s_sub_i32 s38, s3, s40
	s_mul_i32 s36, s24, s36
	s_sub_u32 s2, s2, s36
	s_cselect_b64 s[36:37], -1, 0
	s_cmp_lg_u64 s[36:37], 0
	s_subb_u32 s41, s38, s25
	s_sub_u32 s42, s2, s24
	s_cselect_b64 s[38:39], -1, 0
	s_cmp_lg_u64 s[38:39], 0
	s_subb_u32 s43, s41, 0
	s_cmp_ge_u32 s43, s25
	s_cselect_b32 s44, -1, 0
	s_cmp_ge_u32 s42, s24
	s_cselect_b32 s45, -1, 0
	s_cmp_eq_u32 s43, s25
	s_cselect_b32 s44, s45, s44
	s_cmp_lg_u64 s[38:39], 0
	s_subb_u32 s41, s41, s25
	s_sub_u32 s45, s42, s24
	s_cselect_b64 s[38:39], -1, 0
	s_cmp_lg_u64 s[38:39], 0
	s_subb_u32 s38, s41, 0
	s_cmp_lg_u32 s44, 0
	s_cselect_b32 s39, s45, s42
	s_cselect_b32 s38, s38, s43
	s_cmp_lg_u64 s[36:37], 0
	s_subb_u32 s3, s3, s40
	s_cmp_ge_u32 s3, s25
	s_cselect_b32 s36, -1, 0
	s_cmp_ge_u32 s2, s24
	s_cselect_b32 s24, -1, 0
	s_cmp_eq_u32 s3, s25
	s_cselect_b32 s24, s24, s36
	s_cmp_lg_u32 s24, 0
	s_cselect_b32 s3, s38, s3
	s_cselect_b32 s2, s39, s2
	s_xor_b64 s[2:3], s[2:3], s[34:35]
	s_sub_u32 s2, s2, s34
	s_subb_u32 s3, s3, s34
	s_cbranch_execnz .LBB45_92
.LBB45_91:                              ;   in Loop: Header=BB45_16 Depth=1
	v_cvt_f32_u32_e32 v2, s33
	s_sub_i32 s2, 0, s33
	v_rcp_iflag_f32_e32 v2, v2
	v_mul_f32_e32 v2, 0x4f7ffffe, v2
	v_cvt_u32_f32_e32 v2, v2
	v_readfirstlane_b32 s3, v2
	s_mul_i32 s2, s2, s3
	s_mul_hi_u32 s2, s3, s2
	s_add_i32 s3, s3, s2
	s_mul_hi_u32 s2, s0, s3
	s_mul_i32 s2, s2, s33
	s_sub_i32 s2, s0, s2
	s_sub_i32 s3, s2, s33
	s_cmp_ge_u32 s2, s33
	s_cselect_b32 s2, s3, s2
	s_sub_i32 s3, s2, s33
	s_cmp_ge_u32 s2, s33
	s_cselect_b32 s50, s3, s2
	s_mov_b64 s[2:3], s[50:51]
.LBB45_92:                              ;   in Loop: Header=BB45_16 Depth=1
	s_sub_u32 s40, s0, s2
	s_subb_u32 s41, s61, s3
	v_cmp_gt_i64_e32 vcc, s[40:41], v[0:1]
	s_mov_b64 s[36:37], 0
	s_mov_b64 s[24:25], 0
                                        ; implicit-def: $vgpr6_vgpr7
	s_and_saveexec_b64 s[38:39], vcc
	s_cbranch_execz .LBB45_102
; %bb.93:                               ;   in Loop: Header=BB45_16 Depth=1
	v_mov_b32_e32 v12, v16
	v_mov_b32_e32 v15, v1
	;; [unrolled: 1-line block ×4, first 2 shown]
                                        ; implicit-def: $sgpr2_sgpr3
	s_branch .LBB45_97
.LBB45_94:                              ;   in Loop: Header=BB45_97 Depth=2
	s_or_b64 exec, exec, s[34:35]
	s_waitcnt lgkmcnt(0)
	s_barrier
	ds_read_b128 v[4:7], v19 offset:3072
	s_waitcnt lgkmcnt(0)
	s_barrier
	v_cmp_neq_f64_e32 vcc, 0, v[4:5]
	s_cbranch_vccnz .LBB45_100
; %bb.95:                               ;   in Loop: Header=BB45_97 Depth=2
	v_add_co_u32_e32 v14, vcc, s33, v14
	v_addc_co_u32_e32 v15, vcc, 0, v15, vcc
	v_mov_b32_e32 v2, s53
	v_add_co_u32_e32 v12, vcc, s52, v12
	v_addc_co_u32_e32 v13, vcc, v13, v2, vcc
	v_cmp_le_i64_e32 vcc, s[40:41], v[14:15]
	s_mov_b64 s[34:35], 0
	s_orn2_b64 s[42:43], vcc, exec
.LBB45_96:                              ;   in Loop: Header=BB45_97 Depth=2
	s_and_b64 s[42:43], exec, s[42:43]
	s_or_b64 s[24:25], s[42:43], s[24:25]
	s_andn2_b64 s[2:3], s[2:3], exec
	s_and_b64 s[34:35], s[34:35], exec
	s_or_b64 s[2:3], s[2:3], s[34:35]
	s_andn2_b64 exec, exec, s[24:25]
	s_cbranch_execz .LBB45_101
.LBB45_97:                              ;   Parent Loop BB45_16 Depth=1
                                        ; =>  This Inner Loop Header: Depth=2
	v_cmp_gt_i64_e32 vcc, s[20:21], v[14:15]
	s_and_saveexec_b64 s[34:35], vcc
	s_cbranch_execz .LBB45_94
; %bb.98:                               ;   in Loop: Header=BB45_97 Depth=2
	global_load_dwordx2 v[4:5], v[12:13], off
	s_waitcnt vmcnt(0)
	v_cmp_o_f64_e32 vcc, v[4:5], v[4:5]
	v_ashrrev_i32_e32 v2, 31, v5
	v_or_b32_e32 v6, 0x80000000, v2
	v_xor_b32_e32 v6, v6, v5
	v_xor_b32_e32 v2, v2, v4
	v_cndmask_b32_e32 v6, -1, v6, vcc
	v_cndmask_b32_e32 v2, -1, v2, vcc
	v_and_b32_e32 v7, v6, v33
	v_and_b32_e32 v6, v2, v32
	v_cmp_eq_u64_e32 vcc, v[6:7], v[30:31]
	s_and_b64 exec, exec, vcc
	s_cbranch_execz .LBB45_94
; %bb.99:                               ;   in Loop: Header=BB45_97 Depth=2
	v_mov_b32_e32 v2, v19
	ds_write_b128 v19, v[2:5] offset:3072
	s_branch .LBB45_94
.LBB45_100:                             ;   in Loop: Header=BB45_97 Depth=2
	s_mov_b64 s[42:43], -1
                                        ; implicit-def: $vgpr14_vgpr15
                                        ; implicit-def: $vgpr12_vgpr13
	s_mov_b64 s[34:35], -1
	s_branch .LBB45_96
.LBB45_101:                             ;   in Loop: Header=BB45_16 Depth=1
	s_or_b64 exec, exec, s[24:25]
	s_and_b64 s[24:25], s[2:3], exec
.LBB45_102:                             ;   in Loop: Header=BB45_16 Depth=1
	s_or_b64 exec, exec, s[38:39]
.LBB45_103:                             ;   in Loop: Header=BB45_16 Depth=1
	s_and_b64 vcc, exec, s[36:37]
	s_cbranch_vccz .LBB45_118
; %bb.104:                              ;   in Loop: Header=BB45_16 Depth=1
	s_add_u32 s34, s28, s59
	v_readlane_b32 s2, v59, 30
	s_addc_u32 s11, s29, s2
	s_mov_b32 s10, s51
	s_cmp_lg_u64 s[10:11], 0
	s_cbranch_scc0 .LBB45_147
; %bb.105:                              ;   in Loop: Header=BB45_16 Depth=1
	s_add_u32 s2, s33, 0
	s_addc_u32 s3, 0, 0
	s_xor_b64 s[30:31], s[2:3], 0
	v_cvt_f32_u32_e32 v2, s30
	v_cvt_f32_u32_e32 v4, s31
	s_sub_u32 s10, 0, s30
	s_subb_u32 s35, 0, s31
	v_mac_f32_e32 v2, 0x4f800000, v4
	v_rcp_f32_e32 v2, v2
	v_mul_f32_e32 v2, 0x5f7ffffc, v2
	v_mul_f32_e32 v4, 0x2f800000, v2
	v_trunc_f32_e32 v4, v4
	v_mac_f32_e32 v2, 0xcf800000, v4
	v_cvt_u32_f32_e32 v4, v4
	v_cvt_u32_f32_e32 v2, v2
	v_readfirstlane_b32 s36, v4
	v_readfirstlane_b32 s2, v2
	s_mul_i32 s3, s10, s36
	s_mul_hi_u32 s38, s10, s2
	s_mul_i32 s37, s35, s2
	s_add_i32 s3, s38, s3
	s_mul_i32 s39, s10, s2
	s_add_i32 s3, s3, s37
	s_mul_i32 s38, s2, s3
	s_mul_hi_u32 s40, s2, s39
	s_mul_hi_u32 s37, s2, s3
	s_add_u32 s38, s40, s38
	s_addc_u32 s37, 0, s37
	s_mul_hi_u32 s41, s36, s39
	s_mul_i32 s39, s36, s39
	s_add_u32 s38, s38, s39
	s_mul_hi_u32 s40, s36, s3
	s_addc_u32 s37, s37, s41
	s_addc_u32 s38, s40, 0
	s_mul_i32 s3, s36, s3
	s_add_u32 s3, s37, s3
	s_addc_u32 s37, 0, s38
	s_add_u32 s38, s2, s3
	s_cselect_b64 s[2:3], -1, 0
	s_cmp_lg_u64 s[2:3], 0
	s_addc_u32 s36, s36, s37
	s_mul_i32 s2, s10, s36
	s_mul_hi_u32 s3, s10, s38
	s_add_i32 s2, s3, s2
	s_mul_i32 s35, s35, s38
	s_add_i32 s2, s2, s35
	s_mul_i32 s10, s10, s38
	s_mul_hi_u32 s35, s36, s10
	s_mul_i32 s37, s36, s10
	s_mul_i32 s40, s38, s2
	s_mul_hi_u32 s10, s38, s10
	s_mul_hi_u32 s39, s38, s2
	s_add_u32 s10, s10, s40
	s_addc_u32 s39, 0, s39
	s_add_u32 s10, s10, s37
	s_mul_hi_u32 s3, s36, s2
	s_addc_u32 s10, s39, s35
	s_addc_u32 s3, s3, 0
	s_mul_i32 s2, s36, s2
	s_add_u32 s2, s10, s2
	s_addc_u32 s10, 0, s3
	s_add_u32 s35, s38, s2
	s_cselect_b64 s[2:3], -1, 0
	s_cmp_lg_u64 s[2:3], 0
	s_addc_u32 s10, s36, s10
	s_ashr_i32 s36, s11, 31
	s_add_u32 s2, s34, s36
	s_mov_b32 s37, s36
	s_addc_u32 s3, s11, s36
	s_xor_b64 s[2:3], s[2:3], s[36:37]
	s_mul_i32 s39, s2, s10
	s_mul_hi_u32 s40, s2, s35
	s_mul_hi_u32 s38, s2, s10
	s_add_u32 s39, s40, s39
	s_addc_u32 s38, 0, s38
	s_mul_hi_u32 s41, s3, s35
	s_mul_i32 s35, s3, s35
	s_add_u32 s35, s39, s35
	s_mul_hi_u32 s40, s3, s10
	s_addc_u32 s35, s38, s41
	s_addc_u32 s38, s40, 0
	s_mul_i32 s10, s3, s10
	s_add_u32 s10, s35, s10
	s_addc_u32 s35, 0, s38
	s_mul_i32 s35, s30, s35
	s_mul_hi_u32 s38, s30, s10
	s_add_i32 s35, s38, s35
	s_mul_i32 s38, s31, s10
	s_add_i32 s35, s35, s38
	s_sub_i32 s40, s3, s35
	s_mul_i32 s10, s30, s10
	s_sub_u32 s2, s2, s10
	s_cselect_b64 s[38:39], -1, 0
	s_cmp_lg_u64 s[38:39], 0
	s_subb_u32 s10, s40, s31
	s_sub_u32 s42, s2, s30
	s_cselect_b64 s[40:41], -1, 0
	s_cmp_lg_u64 s[40:41], 0
	s_subb_u32 s43, s10, 0
	s_cmp_ge_u32 s43, s31
	s_cselect_b32 s44, -1, 0
	s_cmp_ge_u32 s42, s30
	s_cselect_b32 s45, -1, 0
	s_cmp_eq_u32 s43, s31
	s_cselect_b32 s44, s45, s44
	s_cmp_lg_u64 s[40:41], 0
	s_subb_u32 s10, s10, s31
	s_sub_u32 s45, s42, s30
	s_cselect_b64 s[40:41], -1, 0
	s_cmp_lg_u64 s[40:41], 0
	s_subb_u32 s10, s10, 0
	s_cmp_lg_u32 s44, 0
	s_cselect_b32 s40, s45, s42
	s_cselect_b32 s10, s10, s43
	s_cmp_lg_u64 s[38:39], 0
	s_subb_u32 s3, s3, s35
	s_cmp_ge_u32 s3, s31
	s_cselect_b32 s35, -1, 0
	s_cmp_ge_u32 s2, s30
	s_cselect_b32 s30, -1, 0
	s_cmp_eq_u32 s3, s31
	s_cselect_b32 s30, s30, s35
	s_cmp_lg_u32 s30, 0
	s_cselect_b32 s3, s10, s3
	s_cselect_b32 s2, s40, s2
	s_xor_b64 s[2:3], s[2:3], s[36:37]
	s_sub_u32 s2, s2, s36
	s_subb_u32 s3, s3, s36
	s_cbranch_execnz .LBB45_107
.LBB45_106:                             ;   in Loop: Header=BB45_16 Depth=1
	v_cvt_f32_u32_e32 v2, s33
	s_sub_i32 s2, 0, s33
	v_rcp_iflag_f32_e32 v2, v2
	v_mul_f32_e32 v2, 0x4f7ffffe, v2
	v_cvt_u32_f32_e32 v2, v2
	v_readfirstlane_b32 s3, v2
	s_mul_i32 s2, s2, s3
	s_mul_hi_u32 s2, s3, s2
	s_add_i32 s3, s3, s2
	s_mul_hi_u32 s2, s34, s3
	s_mul_i32 s2, s2, s33
	s_sub_i32 s2, s34, s2
	s_sub_i32 s3, s2, s33
	s_cmp_ge_u32 s2, s33
	s_cselect_b32 s2, s3, s2
	s_sub_i32 s3, s2, s33
	s_cmp_ge_u32 s2, s33
	s_cselect_b32 s50, s3, s2
	s_mov_b64 s[2:3], s[50:51]
.LBB45_107:                             ;   in Loop: Header=BB45_16 Depth=1
	s_sub_u32 s30, s34, s2
	s_subb_u32 s31, s11, s3
	v_cmp_gt_i64_e32 vcc, s[30:31], v[0:1]
                                        ; implicit-def: $vgpr6_vgpr7
	s_and_saveexec_b64 s[10:11], vcc
	s_cbranch_execz .LBB45_117
; %bb.108:                              ;   in Loop: Header=BB45_16 Depth=1
	v_mov_b32_e32 v13, v1
	s_mov_b64 s[36:37], 0
	v_mov_b32_e32 v14, v53
	v_mov_b32_e32 v12, v0
                                        ; implicit-def: $sgpr2_sgpr3
	s_branch .LBB45_112
.LBB45_109:                             ;   in Loop: Header=BB45_112 Depth=2
	s_or_b64 exec, exec, s[34:35]
	s_waitcnt lgkmcnt(0)
	s_barrier
	ds_read_b128 v[4:7], v19 offset:3072
	s_waitcnt lgkmcnt(0)
	s_barrier
	v_cmp_neq_f64_e32 vcc, 0, v[4:5]
	s_cbranch_vccnz .LBB45_115
; %bb.110:                              ;   in Loop: Header=BB45_112 Depth=2
	v_add_co_u32_e32 v12, vcc, s33, v12
	v_addc_co_u32_e32 v13, vcc, 0, v13, vcc
	v_cmp_le_i64_e32 vcc, s[30:31], v[12:13]
	v_add_u32_e32 v14, s8, v14
	s_mov_b64 s[34:35], 0
	s_orn2_b64 s[38:39], vcc, exec
.LBB45_111:                             ;   in Loop: Header=BB45_112 Depth=2
	s_and_b64 s[38:39], exec, s[38:39]
	s_or_b64 s[36:37], s[38:39], s[36:37]
	s_andn2_b64 s[2:3], s[2:3], exec
	s_and_b64 s[34:35], s[34:35], exec
	s_or_b64 s[2:3], s[2:3], s[34:35]
	s_andn2_b64 exec, exec, s[36:37]
	s_cbranch_execz .LBB45_116
.LBB45_112:                             ;   Parent Loop BB45_16 Depth=1
                                        ; =>  This Inner Loop Header: Depth=2
	v_cmp_gt_u64_e32 vcc, s[28:29], v[12:13]
	s_and_saveexec_b64 s[34:35], vcc
	s_cbranch_execz .LBB45_109
; %bb.113:                              ;   in Loop: Header=BB45_112 Depth=2
	ds_read_b64 v[4:5], v14
	s_waitcnt lgkmcnt(0)
	v_cmp_o_f64_e32 vcc, v[4:5], v[4:5]
	v_ashrrev_i32_e32 v2, 31, v5
	v_or_b32_e32 v6, 0x80000000, v2
	v_xor_b32_e32 v6, v6, v5
	v_xor_b32_e32 v2, v2, v4
	v_cndmask_b32_e32 v6, -1, v6, vcc
	v_cndmask_b32_e32 v2, -1, v2, vcc
	v_and_b32_e32 v7, v6, v33
	v_and_b32_e32 v6, v2, v32
	v_cmp_eq_u64_e32 vcc, v[6:7], v[30:31]
	s_and_b64 exec, exec, vcc
	s_cbranch_execz .LBB45_109
; %bb.114:                              ;   in Loop: Header=BB45_112 Depth=2
	v_mov_b32_e32 v2, v19
	ds_write_b128 v19, v[2:5] offset:3072
	s_branch .LBB45_109
.LBB45_115:                             ;   in Loop: Header=BB45_112 Depth=2
	s_mov_b64 s[38:39], -1
                                        ; implicit-def: $vgpr12_vgpr13
                                        ; implicit-def: $vgpr14
	s_mov_b64 s[34:35], -1
	s_branch .LBB45_111
.LBB45_116:                             ;   in Loop: Header=BB45_16 Depth=1
	s_or_b64 exec, exec, s[36:37]
	s_andn2_b64 s[24:25], s[24:25], exec
	s_and_b64 s[2:3], s[2:3], exec
	s_or_b64 s[24:25], s[24:25], s[2:3]
.LBB45_117:                             ;   in Loop: Header=BB45_16 Depth=1
	s_or_b64 exec, exec, s[10:11]
	s_mov_b64 s[10:11], 0
	s_mov_b64 s[30:31], -1
.LBB45_118:                             ;   in Loop: Header=BB45_16 Depth=1
	s_orn2_b64 s[2:3], s[24:25], exec
.LBB45_119:                             ;   in Loop: Header=BB45_16 Depth=1
	s_or_b64 exec, exec, s[16:17]
	s_andn2_b64 s[16:17], s[86:87], exec
	s_and_b64 s[24:25], s[30:31], exec
	s_or_b64 s[86:87], s[16:17], s[24:25]
	s_andn2_b64 s[16:17], s[84:85], exec
	s_and_b64 s[10:11], s[10:11], exec
	s_andn2_b64 s[82:83], s[82:83], exec
	s_or_b64 s[84:85], s[16:17], s[10:11]
                                        ; implicit-def: $vgpr12_vgpr13
	s_and_saveexec_b64 s[16:17], s[2:3]
	s_cbranch_execz .LBB45_15
; %bb.120:                              ;   in Loop: Header=BB45_16 Depth=1
	v_mov_b32_e32 v12, 1
	s_xor_b64 s[2:3], s[22:23], -1
	v_mov_b32_e32 v36, 1
	v_mov_b32_e32 v13, 0
	s_mov_b64 s[10:11], 0
	s_and_saveexec_b64 s[6:7], s[2:3]
	s_cbranch_execz .LBB45_129
; %bb.121:                              ;   in Loop: Header=BB45_16 Depth=1
	v_cmp_le_i64_e32 vcc, v[34:35], v[8:9]
	s_and_saveexec_b64 s[2:3], vcc
	s_xor_b64 s[2:3], exec, s[2:3]
	s_cbranch_execz .LBB45_126
; %bb.122:                              ;   in Loop: Header=BB45_16 Depth=1
	ds_read_b64 v[4:5], v19 offset:5120
	v_and_b32_e32 v31, s93, v31
	v_and_b32_e32 v30, s92, v30
	v_or_b32_e32 v33, s15, v33
	v_or_b32_e32 v32, s14, v32
	s_waitcnt lgkmcnt(0)
	v_cmp_ne_u64_e32 vcc, 0, v[4:5]
	s_cbranch_vccnz .LBB45_126
; %bb.123:                              ;   in Loop: Header=BB45_16 Depth=1
	s_mov_b64 s[10:11], exec
	v_readlane_b32 s22, v59, 12
	v_readlane_b32 s23, v59, 13
	s_and_b64 s[22:23], s[10:11], s[22:23]
	s_mov_b64 exec, s[22:23]
; %bb.124:                              ;   in Loop: Header=BB45_16 Depth=1
	ds_write_b64 v19, v[8:9] offset:5128
; %bb.125:                              ;   in Loop: Header=BB45_16 Depth=1
	s_or_b64 exec, exec, s[10:11]
	s_waitcnt lgkmcnt(0)
	s_barrier
.LBB45_126:                             ;   in Loop: Header=BB45_16 Depth=1
	s_or_saveexec_b64 s[2:3], s[2:3]
	s_mov_b64 s[10:11], 0
	v_mov_b32_e32 v36, 8
	s_xor_b64 exec, exec, s[2:3]
; %bb.127:                              ;   in Loop: Header=BB45_16 Depth=1
	v_sub_co_u32_e32 v34, vcc, v34, v8
	v_subb_co_u32_e32 v35, vcc, v35, v9, vcc
	v_mov_b32_e32 v36, 0
	s_mov_b64 s[10:11], exec
; %bb.128:                              ;   in Loop: Header=BB45_16 Depth=1
	s_or_b64 exec, exec, s[2:3]
	v_mov_b32_e32 v12, v34
	s_and_b64 s[10:11], s[10:11], exec
	v_mov_b32_e32 v13, v35
.LBB45_129:                             ;   in Loop: Header=BB45_16 Depth=1
	s_or_b64 exec, exec, s[6:7]
	s_mov_b64 s[22:23], -1
	s_mov_b64 s[2:3], -1
                                        ; implicit-def: $sgpr6_sgpr7
                                        ; implicit-def: $sgpr94_sgpr95
	s_and_saveexec_b64 s[24:25], s[10:11]
	s_xor_b64 s[88:89], exec, s[24:25]
	s_cbranch_execz .LBB45_277
; %bb.130:                              ;   in Loop: Header=BB45_16 Depth=1
	v_cmp_eq_u64_e32 vcc, 1, v[10:11]
	v_cmp_eq_u64_e64 s[6:7], 1, v[12:13]
                                        ; implicit-def: $sgpr94_sgpr95
	s_and_b64 s[28:29], vcc, s[6:7]
                                        ; implicit-def: $sgpr6_sgpr7
	s_and_saveexec_b64 s[30:31], s[28:29]
	s_cbranch_execz .LBB45_166
; %bb.131:                              ;   in Loop: Header=BB45_16 Depth=1
	ds_read_b64 v[4:5], v19 offset:5120
	s_waitcnt lgkmcnt(0)
	s_barrier
	v_readfirstlane_b32 s36, v4
	v_readfirstlane_b32 s37, v5
	s_and_saveexec_b64 s[2:3], s[18:19]
; %bb.132:                              ;   in Loop: Header=BB45_16 Depth=1
	v_mov_b32_e32 v18, v19
	ds_write_b64 v54, v[18:19]
; %bb.133:                              ;   in Loop: Header=BB45_16 Depth=1
	s_or_b64 exec, exec, s[2:3]
	s_lshl_b64 s[2:3], 1, s9
	v_and_b32_e32 v2, s93, v31
	v_and_b32_e32 v4, s92, v30
	v_or_b32_e32 v31, s3, v2
	v_or_b32_e32 v30, s2, v4
	v_cmp_gt_i64_e64 s[2:3], s[36:37], 0
	v_or_b32_e32 v33, s15, v33
	v_or_b32_e32 v32, s14, v32
	s_mov_b64 s[6:7], -1
	s_mov_b64 s[94:95], 0
	s_and_b64 vcc, exec, s[2:3]
	s_mov_b64 s[10:11], 0
	s_mov_b64 s[24:25], -1
	s_waitcnt lgkmcnt(0)
	s_barrier
                                        ; implicit-def: $vgpr6_vgpr7
	s_cbranch_vccnz .LBB45_150
; %bb.134:                              ;   in Loop: Header=BB45_16 Depth=1
	s_mov_b32 s60, s51
	s_cmp_lg_u64 s[60:61], 0
	s_cbranch_scc0 .LBB45_194
; %bb.135:                              ;   in Loop: Header=BB45_16 Depth=1
	s_add_u32 s2, s33, 0
	s_addc_u32 s3, 0, 0
	s_xor_b64 s[10:11], s[2:3], 0
	v_cvt_f32_u32_e32 v2, s10
	v_cvt_f32_u32_e32 v4, s11
	s_sub_u32 s24, 0, s10
	s_subb_u32 s25, 0, s11
	v_mac_f32_e32 v2, 0x4f800000, v4
	v_rcp_f32_e32 v2, v2
	v_mul_f32_e32 v2, 0x5f7ffffc, v2
	v_mul_f32_e32 v4, 0x2f800000, v2
	v_trunc_f32_e32 v4, v4
	v_mac_f32_e32 v2, 0xcf800000, v4
	v_cvt_u32_f32_e32 v4, v4
	v_cvt_u32_f32_e32 v2, v2
	v_readfirstlane_b32 s34, v4
	v_readfirstlane_b32 s2, v2
	s_mul_i32 s3, s24, s34
	s_mul_hi_u32 s38, s24, s2
	s_mul_i32 s35, s25, s2
	s_add_i32 s3, s38, s3
	s_mul_i32 s39, s24, s2
	s_add_i32 s3, s3, s35
	s_mul_i32 s38, s2, s3
	s_mul_hi_u32 s40, s2, s39
	s_mul_hi_u32 s35, s2, s3
	s_add_u32 s38, s40, s38
	s_addc_u32 s35, 0, s35
	s_mul_hi_u32 s41, s34, s39
	s_mul_i32 s39, s34, s39
	s_add_u32 s38, s38, s39
	s_mul_hi_u32 s40, s34, s3
	s_addc_u32 s35, s35, s41
	s_addc_u32 s38, s40, 0
	s_mul_i32 s3, s34, s3
	s_add_u32 s3, s35, s3
	s_addc_u32 s35, 0, s38
	s_add_u32 s38, s2, s3
	s_cselect_b64 s[2:3], -1, 0
	s_cmp_lg_u64 s[2:3], 0
	s_addc_u32 s34, s34, s35
	s_mul_i32 s2, s24, s34
	s_mul_hi_u32 s3, s24, s38
	s_add_i32 s2, s3, s2
	s_mul_i32 s25, s25, s38
	s_add_i32 s2, s2, s25
	s_mul_i32 s24, s24, s38
	s_mul_hi_u32 s25, s34, s24
	s_mul_i32 s35, s34, s24
	s_mul_i32 s40, s38, s2
	s_mul_hi_u32 s24, s38, s24
	s_mul_hi_u32 s39, s38, s2
	s_add_u32 s24, s24, s40
	s_addc_u32 s39, 0, s39
	s_add_u32 s24, s24, s35
	s_mul_hi_u32 s3, s34, s2
	s_addc_u32 s24, s39, s25
	s_addc_u32 s3, s3, 0
	s_mul_i32 s2, s34, s2
	s_add_u32 s2, s24, s2
	s_addc_u32 s24, 0, s3
	s_add_u32 s35, s38, s2
	s_cselect_b64 s[2:3], -1, 0
	s_cmp_lg_u64 s[2:3], 0
	s_addc_u32 s34, s34, s24
	s_ashr_i32 s24, s61, 31
	s_add_u32 s2, s0, s24
	s_mov_b32 s25, s24
	s_addc_u32 s3, s61, s24
	s_xor_b64 s[2:3], s[2:3], s[24:25]
	s_mul_i32 s39, s2, s34
	s_mul_hi_u32 s40, s2, s35
	s_mul_hi_u32 s38, s2, s34
	s_add_u32 s39, s40, s39
	s_addc_u32 s38, 0, s38
	s_mul_hi_u32 s41, s3, s35
	s_mul_i32 s35, s3, s35
	s_add_u32 s35, s39, s35
	s_mul_hi_u32 s40, s3, s34
	s_addc_u32 s35, s38, s41
	s_addc_u32 s38, s40, 0
	s_mul_i32 s34, s3, s34
	s_add_u32 s34, s35, s34
	s_addc_u32 s35, 0, s38
	s_mul_i32 s35, s10, s35
	s_mul_hi_u32 s38, s10, s34
	s_add_i32 s35, s38, s35
	s_mul_i32 s38, s11, s34
	s_add_i32 s40, s35, s38
	s_sub_i32 s38, s3, s40
	s_mul_i32 s34, s10, s34
	s_sub_u32 s2, s2, s34
	s_cselect_b64 s[34:35], -1, 0
	s_cmp_lg_u64 s[34:35], 0
	s_subb_u32 s41, s38, s11
	s_sub_u32 s42, s2, s10
	s_cselect_b64 s[38:39], -1, 0
	s_cmp_lg_u64 s[38:39], 0
	s_subb_u32 s43, s41, 0
	s_cmp_ge_u32 s43, s11
	s_cselect_b32 s44, -1, 0
	s_cmp_ge_u32 s42, s10
	s_cselect_b32 s45, -1, 0
	s_cmp_eq_u32 s43, s11
	s_cselect_b32 s44, s45, s44
	s_cmp_lg_u64 s[38:39], 0
	s_subb_u32 s41, s41, s11
	s_sub_u32 s45, s42, s10
	s_cselect_b64 s[38:39], -1, 0
	s_cmp_lg_u64 s[38:39], 0
	s_subb_u32 s38, s41, 0
	s_cmp_lg_u32 s44, 0
	s_cselect_b32 s39, s45, s42
	s_cselect_b32 s38, s38, s43
	s_cmp_lg_u64 s[34:35], 0
	s_subb_u32 s3, s3, s40
	s_cmp_ge_u32 s3, s11
	s_cselect_b32 s34, -1, 0
	s_cmp_ge_u32 s2, s10
	s_cselect_b32 s10, -1, 0
	s_cmp_eq_u32 s3, s11
	s_cselect_b32 s10, s10, s34
	s_cmp_lg_u32 s10, 0
	s_cselect_b32 s3, s38, s3
	s_cselect_b32 s2, s39, s2
	s_xor_b64 s[2:3], s[2:3], s[24:25]
	s_sub_u32 s2, s2, s24
	s_subb_u32 s3, s3, s24
	s_cbranch_execnz .LBB45_137
.LBB45_136:                             ;   in Loop: Header=BB45_16 Depth=1
	v_cvt_f32_u32_e32 v2, s33
	s_sub_i32 s2, 0, s33
	v_rcp_iflag_f32_e32 v2, v2
	v_mul_f32_e32 v2, 0x4f7ffffe, v2
	v_cvt_u32_f32_e32 v2, v2
	v_readfirstlane_b32 s3, v2
	s_mul_i32 s2, s2, s3
	s_mul_hi_u32 s2, s3, s2
	s_add_i32 s3, s3, s2
	s_mul_hi_u32 s2, s0, s3
	s_mul_i32 s2, s2, s33
	s_sub_i32 s2, s0, s2
	s_sub_i32 s3, s2, s33
	s_cmp_ge_u32 s2, s33
	s_cselect_b32 s2, s3, s2
	s_sub_i32 s3, s2, s33
	s_cmp_ge_u32 s2, s33
	s_cselect_b32 s50, s3, s2
	s_mov_b64 s[2:3], s[50:51]
.LBB45_137:                             ;   in Loop: Header=BB45_16 Depth=1
	s_sub_u32 s40, s0, s2
	s_subb_u32 s41, s61, s3
	v_cmp_gt_i64_e32 vcc, s[40:41], v[0:1]
	s_mov_b64 s[24:25], 0
	s_mov_b64 s[10:11], 0
                                        ; implicit-def: $vgpr6_vgpr7
	s_and_saveexec_b64 s[38:39], vcc
	s_cbranch_execz .LBB45_149
; %bb.138:                              ;   in Loop: Header=BB45_16 Depth=1
	v_mov_b32_e32 v8, v16
	v_mov_b32_e32 v15, v1
	;; [unrolled: 1-line block ×4, first 2 shown]
                                        ; implicit-def: $sgpr42_sgpr43
	s_branch .LBB45_142
.LBB45_139:                             ;   in Loop: Header=BB45_142 Depth=2
	s_or_b64 exec, exec, s[2:3]
	s_waitcnt lgkmcnt(0)
	s_barrier
	ds_read_b128 v[4:7], v19 offset:3072
	s_waitcnt lgkmcnt(0)
	s_barrier
	v_cmp_neq_f64_e32 vcc, 0, v[4:5]
	s_cbranch_vccnz .LBB45_145
; %bb.140:                              ;   in Loop: Header=BB45_142 Depth=2
	v_add_co_u32_e32 v14, vcc, s33, v14
	v_addc_co_u32_e32 v15, vcc, 0, v15, vcc
	v_mov_b32_e32 v2, s53
	v_add_co_u32_e32 v8, vcc, s52, v8
	v_addc_co_u32_e32 v9, vcc, v9, v2, vcc
	v_cmp_le_i64_e32 vcc, s[40:41], v[14:15]
	s_mov_b64 s[2:3], 0
	s_orn2_b64 s[34:35], vcc, exec
.LBB45_141:                             ;   in Loop: Header=BB45_142 Depth=2
	s_and_b64 s[34:35], exec, s[34:35]
	s_or_b64 s[10:11], s[34:35], s[10:11]
	s_andn2_b64 s[34:35], s[42:43], exec
	s_and_b64 s[2:3], s[2:3], exec
	s_or_b64 s[42:43], s[34:35], s[2:3]
	s_andn2_b64 exec, exec, s[10:11]
	s_cbranch_execz .LBB45_148
.LBB45_142:                             ;   Parent Loop BB45_16 Depth=1
                                        ; =>  This Inner Loop Header: Depth=2
	v_cmp_gt_i64_e32 vcc, s[20:21], v[14:15]
	s_and_saveexec_b64 s[2:3], vcc
	s_cbranch_execz .LBB45_139
; %bb.143:                              ;   in Loop: Header=BB45_142 Depth=2
	global_load_dwordx2 v[4:5], v[8:9], off
	s_waitcnt vmcnt(0)
	v_cmp_o_f64_e32 vcc, v[4:5], v[4:5]
	v_ashrrev_i32_e32 v2, 31, v5
	v_or_b32_e32 v6, 0x80000000, v2
	v_xor_b32_e32 v6, v6, v5
	v_xor_b32_e32 v2, v2, v4
	v_cndmask_b32_e32 v6, -1, v6, vcc
	v_cndmask_b32_e32 v2, -1, v2, vcc
	v_and_b32_e32 v7, v6, v33
	v_and_b32_e32 v6, v2, v32
	v_cmp_eq_u64_e32 vcc, v[6:7], v[30:31]
	s_and_b64 exec, exec, vcc
	s_cbranch_execz .LBB45_139
; %bb.144:                              ;   in Loop: Header=BB45_142 Depth=2
	v_mov_b32_e32 v2, v19
	ds_write_b128 v19, v[2:5] offset:3072
	s_branch .LBB45_139
.LBB45_145:                             ;   in Loop: Header=BB45_142 Depth=2
	s_mov_b64 s[34:35], -1
                                        ; implicit-def: $vgpr14_vgpr15
                                        ; implicit-def: $vgpr8_vgpr9
	s_mov_b64 s[2:3], -1
	s_branch .LBB45_141
.LBB45_146:                             ;   in Loop: Header=BB45_16 Depth=1
                                        ; implicit-def: $sgpr2_sgpr3
	s_branch .LBB45_91
.LBB45_147:                             ;   in Loop: Header=BB45_16 Depth=1
                                        ; implicit-def: $sgpr2_sgpr3
	s_branch .LBB45_106
.LBB45_148:                             ;   in Loop: Header=BB45_16 Depth=1
	s_or_b64 exec, exec, s[10:11]
	s_and_b64 s[10:11], s[42:43], exec
.LBB45_149:                             ;   in Loop: Header=BB45_16 Depth=1
	s_or_b64 exec, exec, s[38:39]
.LBB45_150:                             ;   in Loop: Header=BB45_16 Depth=1
	s_and_b64 vcc, exec, s[24:25]
	s_cbranch_vccz .LBB45_165
; %bb.151:                              ;   in Loop: Header=BB45_16 Depth=1
	s_add_u32 s34, s36, s59
	v_readlane_b32 s2, v59, 30
	s_addc_u32 s7, s37, s2
	s_mov_b32 s6, s51
	s_cmp_lg_u64 s[6:7], 0
	s_cbranch_scc0 .LBB45_195
; %bb.152:                              ;   in Loop: Header=BB45_16 Depth=1
	s_add_u32 s2, s33, 0
	s_addc_u32 s3, 0, 0
	s_xor_b64 s[24:25], s[2:3], 0
	v_cvt_f32_u32_e32 v2, s24
	v_cvt_f32_u32_e32 v4, s25
	s_sub_u32 s6, 0, s24
	s_subb_u32 s35, 0, s25
	v_mac_f32_e32 v2, 0x4f800000, v4
	v_rcp_f32_e32 v2, v2
	v_mul_f32_e32 v2, 0x5f7ffffc, v2
	v_mul_f32_e32 v4, 0x2f800000, v2
	v_trunc_f32_e32 v4, v4
	v_mac_f32_e32 v2, 0xcf800000, v4
	v_cvt_u32_f32_e32 v4, v4
	v_cvt_u32_f32_e32 v2, v2
	v_readfirstlane_b32 s38, v4
	v_readfirstlane_b32 s2, v2
	s_mul_i32 s3, s6, s38
	s_mul_hi_u32 s40, s6, s2
	s_mul_i32 s39, s35, s2
	s_add_i32 s3, s40, s3
	s_mul_i32 s41, s6, s2
	s_add_i32 s3, s3, s39
	s_mul_i32 s40, s2, s3
	s_mul_hi_u32 s42, s2, s41
	s_mul_hi_u32 s39, s2, s3
	s_add_u32 s40, s42, s40
	s_addc_u32 s39, 0, s39
	s_mul_hi_u32 s43, s38, s41
	s_mul_i32 s41, s38, s41
	s_add_u32 s40, s40, s41
	s_mul_hi_u32 s42, s38, s3
	s_addc_u32 s39, s39, s43
	s_addc_u32 s40, s42, 0
	s_mul_i32 s3, s38, s3
	s_add_u32 s3, s39, s3
	s_addc_u32 s39, 0, s40
	s_add_u32 s40, s2, s3
	s_cselect_b64 s[2:3], -1, 0
	s_cmp_lg_u64 s[2:3], 0
	s_addc_u32 s38, s38, s39
	s_mul_i32 s2, s6, s38
	s_mul_hi_u32 s3, s6, s40
	s_add_i32 s2, s3, s2
	s_mul_i32 s35, s35, s40
	s_add_i32 s2, s2, s35
	s_mul_i32 s6, s6, s40
	s_mul_hi_u32 s35, s38, s6
	s_mul_i32 s39, s38, s6
	s_mul_i32 s42, s40, s2
	s_mul_hi_u32 s6, s40, s6
	s_mul_hi_u32 s41, s40, s2
	s_add_u32 s6, s6, s42
	s_addc_u32 s41, 0, s41
	s_add_u32 s6, s6, s39
	s_mul_hi_u32 s3, s38, s2
	s_addc_u32 s6, s41, s35
	s_addc_u32 s3, s3, 0
	s_mul_i32 s2, s38, s2
	s_add_u32 s2, s6, s2
	s_addc_u32 s6, 0, s3
	s_add_u32 s35, s40, s2
	s_cselect_b64 s[2:3], -1, 0
	s_cmp_lg_u64 s[2:3], 0
	s_addc_u32 s6, s38, s6
	s_ashr_i32 s38, s7, 31
	s_add_u32 s2, s34, s38
	s_mov_b32 s39, s38
	s_addc_u32 s3, s7, s38
	s_xor_b64 s[2:3], s[2:3], s[38:39]
	s_mul_i32 s41, s2, s6
	s_mul_hi_u32 s42, s2, s35
	s_mul_hi_u32 s40, s2, s6
	s_add_u32 s41, s42, s41
	s_addc_u32 s40, 0, s40
	s_mul_hi_u32 s43, s3, s35
	s_mul_i32 s35, s3, s35
	s_add_u32 s35, s41, s35
	s_mul_hi_u32 s42, s3, s6
	s_addc_u32 s35, s40, s43
	s_addc_u32 s40, s42, 0
	s_mul_i32 s6, s3, s6
	s_add_u32 s6, s35, s6
	s_addc_u32 s35, 0, s40
	s_mul_i32 s35, s24, s35
	s_mul_hi_u32 s40, s24, s6
	s_add_i32 s35, s40, s35
	s_mul_i32 s40, s25, s6
	s_add_i32 s35, s35, s40
	s_sub_i32 s42, s3, s35
	s_mul_i32 s6, s24, s6
	s_sub_u32 s2, s2, s6
	s_cselect_b64 s[40:41], -1, 0
	s_cmp_lg_u64 s[40:41], 0
	s_subb_u32 s6, s42, s25
	s_sub_u32 s44, s2, s24
	s_cselect_b64 s[42:43], -1, 0
	s_cmp_lg_u64 s[42:43], 0
	s_subb_u32 s45, s6, 0
	s_cmp_ge_u32 s45, s25
	s_cselect_b32 s46, -1, 0
	s_cmp_ge_u32 s44, s24
	s_cselect_b32 s47, -1, 0
	s_cmp_eq_u32 s45, s25
	s_cselect_b32 s46, s47, s46
	s_cmp_lg_u64 s[42:43], 0
	s_subb_u32 s6, s6, s25
	s_sub_u32 s47, s44, s24
	s_cselect_b64 s[42:43], -1, 0
	s_cmp_lg_u64 s[42:43], 0
	s_subb_u32 s6, s6, 0
	s_cmp_lg_u32 s46, 0
	s_cselect_b32 s42, s47, s44
	s_cselect_b32 s6, s6, s45
	s_cmp_lg_u64 s[40:41], 0
	s_subb_u32 s3, s3, s35
	s_cmp_ge_u32 s3, s25
	s_cselect_b32 s35, -1, 0
	s_cmp_ge_u32 s2, s24
	s_cselect_b32 s24, -1, 0
	s_cmp_eq_u32 s3, s25
	s_cselect_b32 s24, s24, s35
	s_cmp_lg_u32 s24, 0
	s_cselect_b32 s3, s6, s3
	s_cselect_b32 s2, s42, s2
	s_xor_b64 s[2:3], s[2:3], s[38:39]
	s_sub_u32 s2, s2, s38
	s_subb_u32 s3, s3, s38
	s_cbranch_execnz .LBB45_154
.LBB45_153:                             ;   in Loop: Header=BB45_16 Depth=1
	v_cvt_f32_u32_e32 v2, s33
	s_sub_i32 s2, 0, s33
	v_rcp_iflag_f32_e32 v2, v2
	v_mul_f32_e32 v2, 0x4f7ffffe, v2
	v_cvt_u32_f32_e32 v2, v2
	v_readfirstlane_b32 s3, v2
	s_mul_i32 s2, s2, s3
	s_mul_hi_u32 s2, s3, s2
	s_add_i32 s3, s3, s2
	s_mul_hi_u32 s2, s34, s3
	s_mul_i32 s2, s2, s33
	s_sub_i32 s2, s34, s2
	s_sub_i32 s3, s2, s33
	s_cmp_ge_u32 s2, s33
	s_cselect_b32 s2, s3, s2
	s_sub_i32 s3, s2, s33
	s_cmp_ge_u32 s2, s33
	s_cselect_b32 s50, s3, s2
	s_mov_b64 s[2:3], s[50:51]
.LBB45_154:                             ;   in Loop: Header=BB45_16 Depth=1
	s_sub_u32 s24, s34, s2
	s_subb_u32 s25, s7, s3
	v_cmp_gt_i64_e32 vcc, s[24:25], v[0:1]
                                        ; implicit-def: $vgpr6_vgpr7
	s_and_saveexec_b64 s[6:7], vcc
	s_cbranch_execz .LBB45_164
; %bb.155:                              ;   in Loop: Header=BB45_16 Depth=1
	v_mov_b32_e32 v9, v1
	s_mov_b64 s[2:3], 0
	v_mov_b32_e32 v14, v53
	v_mov_b32_e32 v8, v0
                                        ; implicit-def: $sgpr38_sgpr39
	s_branch .LBB45_159
.LBB45_156:                             ;   in Loop: Header=BB45_159 Depth=2
	s_or_b64 exec, exec, s[40:41]
	s_waitcnt lgkmcnt(0)
	s_barrier
	ds_read_b128 v[4:7], v19 offset:3072
	s_waitcnt lgkmcnt(0)
	s_barrier
	v_cmp_eq_f64_e32 vcc, 0, v[4:5]
	s_cbranch_vccz .LBB45_162
; %bb.157:                              ;   in Loop: Header=BB45_159 Depth=2
	v_add_co_u32_e32 v8, vcc, s33, v8
	v_addc_co_u32_e32 v9, vcc, 0, v9, vcc
	v_cmp_le_i64_e32 vcc, s[24:25], v[8:9]
	v_add_u32_e32 v14, s8, v14
	s_mov_b64 s[34:35], 0
	s_orn2_b64 s[40:41], vcc, exec
.LBB45_158:                             ;   in Loop: Header=BB45_159 Depth=2
	s_and_b64 s[40:41], exec, s[40:41]
	s_or_b64 s[2:3], s[40:41], s[2:3]
	s_andn2_b64 s[38:39], s[38:39], exec
	s_and_b64 s[34:35], s[34:35], exec
	s_or_b64 s[38:39], s[38:39], s[34:35]
	s_andn2_b64 exec, exec, s[2:3]
	s_cbranch_execz .LBB45_163
.LBB45_159:                             ;   Parent Loop BB45_16 Depth=1
                                        ; =>  This Inner Loop Header: Depth=2
	v_cmp_gt_u64_e32 vcc, s[36:37], v[8:9]
	s_and_saveexec_b64 s[40:41], vcc
	s_cbranch_execz .LBB45_156
; %bb.160:                              ;   in Loop: Header=BB45_159 Depth=2
	ds_read_b64 v[4:5], v14
	s_waitcnt lgkmcnt(0)
	v_cmp_o_f64_e32 vcc, v[4:5], v[4:5]
	v_ashrrev_i32_e32 v2, 31, v5
	v_or_b32_e32 v6, 0x80000000, v2
	v_xor_b32_e32 v6, v6, v5
	v_xor_b32_e32 v2, v2, v4
	v_cndmask_b32_e32 v6, -1, v6, vcc
	v_cndmask_b32_e32 v2, -1, v2, vcc
	v_and_b32_e32 v7, v6, v33
	v_and_b32_e32 v6, v2, v32
	v_cmp_eq_u64_e32 vcc, v[6:7], v[30:31]
	s_and_b64 exec, exec, vcc
	s_cbranch_execz .LBB45_156
; %bb.161:                              ;   in Loop: Header=BB45_159 Depth=2
	v_mov_b32_e32 v2, v19
	ds_write_b128 v19, v[2:5] offset:3072
	s_branch .LBB45_156
.LBB45_162:                             ;   in Loop: Header=BB45_159 Depth=2
	s_mov_b64 s[40:41], -1
                                        ; implicit-def: $vgpr8_vgpr9
                                        ; implicit-def: $vgpr14
	s_mov_b64 s[34:35], -1
	s_branch .LBB45_158
.LBB45_163:                             ;   in Loop: Header=BB45_16 Depth=1
	s_or_b64 exec, exec, s[2:3]
	s_andn2_b64 s[2:3], s[10:11], exec
	s_and_b64 s[10:11], s[38:39], exec
	s_or_b64 s[10:11], s[2:3], s[10:11]
.LBB45_164:                             ;   in Loop: Header=BB45_16 Depth=1
	s_or_b64 exec, exec, s[6:7]
	s_mov_b64 s[6:7], 0
	s_mov_b64 s[94:95], -1
.LBB45_165:                             ;   in Loop: Header=BB45_16 Depth=1
	s_orn2_b64 s[2:3], s[10:11], exec
.LBB45_166:                             ;   in Loop: Header=BB45_16 Depth=1
	s_or_b64 exec, exec, s[30:31]
	s_mov_b64 s[10:11], 0
	s_and_saveexec_b64 s[46:47], s[2:3]
	s_cbranch_execz .LBB45_276
; %bb.167:                              ;   in Loop: Header=BB45_16 Depth=1
	v_mov_b32_e32 v8, 1
	s_xor_b64 s[2:3], s[28:29], -1
	v_mov_b32_e32 v36, 1
	v_mov_b32_e32 v9, 0
	s_mov_b64 s[24:25], 0
	s_and_saveexec_b64 s[10:11], s[2:3]
	s_cbranch_execz .LBB45_177
; %bb.168:                              ;   in Loop: Header=BB45_16 Depth=1
	v_cmp_le_i64_e32 vcc, v[12:13], v[10:11]
	s_and_saveexec_b64 s[2:3], vcc
	s_xor_b64 s[2:3], exec, s[2:3]
	s_cbranch_execz .LBB45_174
; %bb.169:                              ;   in Loop: Header=BB45_16 Depth=1
	s_lshl_b64 s[24:25], 1, s9
	v_and_b32_e32 v4, s92, v30
	v_or_b32_e32 v30, s24, v4
	ds_read_b64 v[4:5], v19 offset:5120
	v_and_b32_e32 v2, s93, v31
	v_or_b32_e32 v31, s25, v2
	v_or_b32_e32 v33, s15, v33
	;; [unrolled: 1-line block ×3, first 2 shown]
	s_waitcnt lgkmcnt(0)
	v_cmp_ne_u64_e32 vcc, 0, v[4:5]
	s_cbranch_vccnz .LBB45_173
; %bb.170:                              ;   in Loop: Header=BB45_16 Depth=1
	s_mov_b64 s[24:25], exec
	v_readlane_b32 s28, v59, 12
	v_readlane_b32 s29, v59, 13
	s_and_b64 s[28:29], s[24:25], s[28:29]
	s_mov_b64 exec, s[28:29]
; %bb.171:                              ;   in Loop: Header=BB45_16 Depth=1
	ds_write_b64 v19, v[10:11] offset:5128
; %bb.172:                              ;   in Loop: Header=BB45_16 Depth=1
	s_or_b64 exec, exec, s[24:25]
	s_waitcnt lgkmcnt(0)
	s_barrier
.LBB45_173:                             ;   in Loop: Header=BB45_16 Depth=1
                                        ; implicit-def: $vgpr8_vgpr9_vgpr10_vgpr11
.LBB45_174:                             ;   in Loop: Header=BB45_16 Depth=1
	s_or_saveexec_b64 s[2:3], s[2:3]
	s_mov_b64 s[24:25], 0
	v_mov_b32_e32 v36, 8
	s_xor_b64 exec, exec, s[2:3]
; %bb.175:                              ;   in Loop: Header=BB45_16 Depth=1
	v_sub_co_u32_e32 v12, vcc, v12, v10
	v_subb_co_u32_e32 v13, vcc, v13, v11, vcc
	v_mov_b32_e32 v36, 0
	s_mov_b64 s[24:25], exec
; %bb.176:                              ;   in Loop: Header=BB45_16 Depth=1
	s_or_b64 exec, exec, s[2:3]
	v_mov_b32_e32 v8, v12
	s_and_b64 s[24:25], s[24:25], exec
	v_mov_b32_e32 v9, v13
.LBB45_177:                             ;   in Loop: Header=BB45_16 Depth=1
	s_or_b64 exec, exec, s[10:11]
	s_mov_b64 s[2:3], -1
                                        ; implicit-def: $sgpr28_sgpr29
                                        ; implicit-def: $sgpr30_sgpr31
	s_and_saveexec_b64 s[48:49], s[24:25]
	s_cbranch_execz .LBB45_275
; %bb.178:                              ;   in Loop: Header=BB45_16 Depth=1
	s_cmp_eq_u64 s[90:91], 1
	v_cmp_eq_u64_e32 vcc, 1, v[8:9]
	s_cselect_b64 s[2:3], -1, 0
	s_and_b64 s[38:39], s[2:3], vcc
	s_mov_b64 s[2:3], -1
                                        ; implicit-def: $sgpr30_sgpr31
                                        ; implicit-def: $sgpr28_sgpr29
	s_and_saveexec_b64 s[36:37], s[38:39]
	s_cbranch_execz .LBB45_214
; %bb.179:                              ;   in Loop: Header=BB45_16 Depth=1
	ds_read_b64 v[4:5], v19 offset:5120
	s_waitcnt lgkmcnt(0)
	s_barrier
	v_readfirstlane_b32 s42, v4
	v_readfirstlane_b32 s43, v5
	s_and_saveexec_b64 s[2:3], s[18:19]
; %bb.180:                              ;   in Loop: Header=BB45_16 Depth=1
	v_mov_b32_e32 v18, v19
	ds_write_b64 v54, v[18:19]
; %bb.181:                              ;   in Loop: Header=BB45_16 Depth=1
	s_or_b64 exec, exec, s[2:3]
	s_lshl_b64 s[2:3], 2, s9
	v_and_b32_e32 v2, s93, v31
	v_and_b32_e32 v4, s92, v30
	v_or_b32_e32 v31, s3, v2
	v_or_b32_e32 v30, s2, v4
	v_cmp_gt_i64_e64 s[2:3], s[42:43], 0
	v_or_b32_e32 v33, s15, v33
	v_or_b32_e32 v32, s14, v32
	s_mov_b64 s[28:29], -1
	s_mov_b64 s[30:31], 0
	s_and_b64 vcc, exec, s[2:3]
	s_mov_b64 s[10:11], 0
	s_mov_b64 s[24:25], -1
	s_waitcnt lgkmcnt(0)
	s_barrier
                                        ; implicit-def: $vgpr6_vgpr7
	s_cbranch_vccnz .LBB45_198
; %bb.182:                              ;   in Loop: Header=BB45_16 Depth=1
	s_mov_b32 s60, s51
	s_mov_b32 s65, s59
	s_cmp_lg_u64 s[60:61], 0
	s_cbranch_scc0 .LBB45_241
; %bb.183:                              ;   in Loop: Header=BB45_16 Depth=1
	s_add_u32 s2, s33, 0
	s_addc_u32 s3, 0, 0
	s_xor_b64 s[10:11], s[2:3], 0
	v_cvt_f32_u32_e32 v2, s10
	v_cvt_f32_u32_e32 v4, s11
	s_sub_u32 s24, 0, s10
	s_subb_u32 s25, 0, s11
	v_mac_f32_e32 v2, 0x4f800000, v4
	v_rcp_f32_e32 v2, v2
	v_mul_f32_e32 v2, 0x5f7ffffc, v2
	v_mul_f32_e32 v4, 0x2f800000, v2
	v_trunc_f32_e32 v4, v4
	v_mac_f32_e32 v2, 0xcf800000, v4
	v_cvt_u32_f32_e32 v4, v4
	v_cvt_u32_f32_e32 v2, v2
	v_readfirstlane_b32 s34, v4
	v_readfirstlane_b32 s2, v2
	s_mul_i32 s3, s24, s34
	s_mul_hi_u32 s40, s24, s2
	s_mul_i32 s35, s25, s2
	s_add_i32 s3, s40, s3
	s_mul_i32 s41, s24, s2
	s_add_i32 s3, s3, s35
	s_mul_i32 s40, s2, s3
	s_mul_hi_u32 s44, s2, s41
	s_mul_hi_u32 s35, s2, s3
	s_add_u32 s40, s44, s40
	s_addc_u32 s35, 0, s35
	s_mul_hi_u32 s45, s34, s41
	s_mul_i32 s41, s34, s41
	s_add_u32 s40, s40, s41
	s_mul_hi_u32 s44, s34, s3
	s_addc_u32 s35, s35, s45
	s_addc_u32 s40, s44, 0
	s_mul_i32 s3, s34, s3
	s_add_u32 s3, s35, s3
	s_addc_u32 s35, 0, s40
	s_add_u32 s40, s2, s3
	s_cselect_b64 s[2:3], -1, 0
	s_cmp_lg_u64 s[2:3], 0
	s_addc_u32 s34, s34, s35
	s_mul_i32 s2, s24, s34
	s_mul_hi_u32 s3, s24, s40
	s_add_i32 s2, s3, s2
	s_mul_i32 s25, s25, s40
	s_add_i32 s2, s2, s25
	s_mul_i32 s24, s24, s40
	s_mul_hi_u32 s25, s34, s24
	s_mul_i32 s35, s34, s24
	s_mul_i32 s44, s40, s2
	s_mul_hi_u32 s24, s40, s24
	s_mul_hi_u32 s41, s40, s2
	s_add_u32 s24, s24, s44
	s_addc_u32 s41, 0, s41
	s_add_u32 s24, s24, s35
	s_mul_hi_u32 s3, s34, s2
	s_addc_u32 s24, s41, s25
	s_addc_u32 s3, s3, 0
	s_mul_i32 s2, s34, s2
	s_add_u32 s2, s24, s2
	s_addc_u32 s24, 0, s3
	s_add_u32 s35, s40, s2
	s_cselect_b64 s[2:3], -1, 0
	s_cmp_lg_u64 s[2:3], 0
	s_addc_u32 s34, s34, s24
	s_ashr_i32 s24, s61, 31
	s_add_u32 s2, s0, s24
	s_mov_b32 s25, s24
	s_addc_u32 s3, s61, s24
	s_xor_b64 s[2:3], s[2:3], s[24:25]
	s_mul_i32 s41, s2, s34
	s_mul_hi_u32 s44, s2, s35
	s_mul_hi_u32 s40, s2, s34
	s_add_u32 s41, s44, s41
	s_addc_u32 s40, 0, s40
	s_mul_hi_u32 s45, s3, s35
	s_mul_i32 s35, s3, s35
	s_add_u32 s35, s41, s35
	s_mul_hi_u32 s44, s3, s34
	s_addc_u32 s35, s40, s45
	s_addc_u32 s40, s44, 0
	s_mul_i32 s34, s3, s34
	s_add_u32 s34, s35, s34
	s_addc_u32 s35, 0, s40
	s_mul_i32 s35, s10, s35
	s_mul_hi_u32 s40, s10, s34
	s_add_i32 s35, s40, s35
	s_mul_i32 s40, s11, s34
	s_add_i32 s44, s35, s40
	s_sub_i32 s40, s3, s44
	s_mul_i32 s34, s10, s34
	s_sub_u32 s2, s2, s34
	s_cselect_b64 s[34:35], -1, 0
	s_cmp_lg_u64 s[34:35], 0
	s_subb_u32 s45, s40, s11
	s_sub_u32 s50, s2, s10
	s_cselect_b64 s[40:41], -1, 0
	s_cmp_lg_u64 s[40:41], 0
	s_subb_u32 s59, s45, 0
	s_cmp_ge_u32 s59, s11
	s_cselect_b32 s60, -1, 0
	s_cmp_ge_u32 s50, s10
	s_cselect_b32 s64, -1, 0
	s_cmp_eq_u32 s59, s11
	s_cselect_b32 s60, s64, s60
	s_cmp_lg_u64 s[40:41], 0
	s_subb_u32 s45, s45, s11
	s_sub_u32 s64, s50, s10
	s_cselect_b64 s[40:41], -1, 0
	s_cmp_lg_u64 s[40:41], 0
	s_subb_u32 s40, s45, 0
	s_cmp_lg_u32 s60, 0
	s_cselect_b32 s41, s64, s50
	s_cselect_b32 s40, s40, s59
	s_cmp_lg_u64 s[34:35], 0
	s_subb_u32 s3, s3, s44
	s_cmp_ge_u32 s3, s11
	s_cselect_b32 s34, -1, 0
	s_cmp_ge_u32 s2, s10
	s_cselect_b32 s10, -1, 0
	s_cmp_eq_u32 s3, s11
	s_cselect_b32 s10, s10, s34
	s_cmp_lg_u32 s10, 0
	s_cselect_b32 s3, s40, s3
	s_cselect_b32 s2, s41, s2
	s_xor_b64 s[2:3], s[2:3], s[24:25]
	s_sub_u32 s2, s2, s24
	s_subb_u32 s3, s3, s24
	s_cbranch_execnz .LBB45_185
.LBB45_184:                             ;   in Loop: Header=BB45_16 Depth=1
	v_cvt_f32_u32_e32 v2, s33
	s_sub_i32 s2, 0, s33
	v_rcp_iflag_f32_e32 v2, v2
	v_mul_f32_e32 v2, 0x4f7ffffe, v2
	v_cvt_u32_f32_e32 v2, v2
	v_readfirstlane_b32 s3, v2
	s_mul_i32 s2, s2, s3
	s_mul_hi_u32 s2, s3, s2
	s_add_i32 s3, s3, s2
	s_mul_hi_u32 s2, s0, s3
	s_mul_i32 s2, s2, s33
	s_sub_i32 s2, s0, s2
	s_sub_i32 s3, s2, s33
	s_cmp_ge_u32 s2, s33
	s_cselect_b32 s2, s3, s2
	s_sub_i32 s3, s2, s33
	s_cmp_ge_u32 s2, s33
	s_cselect_b32 s50, s3, s2
	s_mov_b64 s[2:3], s[50:51]
.LBB45_185:                             ;   in Loop: Header=BB45_16 Depth=1
	s_sub_u32 s44, s0, s2
	s_subb_u32 s45, s61, s3
	v_cmp_gt_i64_e32 vcc, s[44:45], v[0:1]
	s_mov_b64 s[24:25], 0
	s_mov_b64 s[10:11], 0
                                        ; implicit-def: $vgpr6_vgpr7
	s_and_saveexec_b64 s[40:41], vcc
	s_mov_b32 s59, s65
	s_cbranch_execz .LBB45_197
; %bb.186:                              ;   in Loop: Header=BB45_16 Depth=1
	v_mov_b32_e32 v10, v16
	v_mov_b32_e32 v13, v1
	;; [unrolled: 1-line block ×4, first 2 shown]
                                        ; implicit-def: $sgpr64_sgpr65
	s_branch .LBB45_190
.LBB45_187:                             ;   in Loop: Header=BB45_190 Depth=2
	s_or_b64 exec, exec, s[2:3]
	s_waitcnt lgkmcnt(0)
	s_barrier
	ds_read_b128 v[4:7], v19 offset:3072
	s_waitcnt lgkmcnt(0)
	s_barrier
	v_cmp_neq_f64_e32 vcc, 0, v[4:5]
	s_cbranch_vccnz .LBB45_193
; %bb.188:                              ;   in Loop: Header=BB45_190 Depth=2
	v_add_co_u32_e32 v12, vcc, s33, v12
	v_addc_co_u32_e32 v13, vcc, 0, v13, vcc
	v_mov_b32_e32 v2, s53
	v_add_co_u32_e32 v10, vcc, s52, v10
	v_addc_co_u32_e32 v11, vcc, v11, v2, vcc
	v_cmp_le_i64_e32 vcc, s[44:45], v[12:13]
	s_mov_b64 s[2:3], 0
	s_orn2_b64 s[34:35], vcc, exec
.LBB45_189:                             ;   in Loop: Header=BB45_190 Depth=2
	s_and_b64 s[34:35], exec, s[34:35]
	s_or_b64 s[10:11], s[34:35], s[10:11]
	s_andn2_b64 s[34:35], s[64:65], exec
	s_and_b64 s[2:3], s[2:3], exec
	s_or_b64 s[64:65], s[34:35], s[2:3]
	s_andn2_b64 exec, exec, s[10:11]
	s_cbranch_execz .LBB45_196
.LBB45_190:                             ;   Parent Loop BB45_16 Depth=1
                                        ; =>  This Inner Loop Header: Depth=2
	v_cmp_gt_i64_e32 vcc, s[20:21], v[12:13]
	s_and_saveexec_b64 s[2:3], vcc
	s_cbranch_execz .LBB45_187
; %bb.191:                              ;   in Loop: Header=BB45_190 Depth=2
	global_load_dwordx2 v[4:5], v[10:11], off
	s_waitcnt vmcnt(0)
	v_cmp_o_f64_e32 vcc, v[4:5], v[4:5]
	v_ashrrev_i32_e32 v2, 31, v5
	v_or_b32_e32 v6, 0x80000000, v2
	v_xor_b32_e32 v6, v6, v5
	v_xor_b32_e32 v2, v2, v4
	v_cndmask_b32_e32 v6, -1, v6, vcc
	v_cndmask_b32_e32 v2, -1, v2, vcc
	v_and_b32_e32 v7, v6, v33
	v_and_b32_e32 v6, v2, v32
	v_cmp_eq_u64_e32 vcc, v[6:7], v[30:31]
	s_and_b64 exec, exec, vcc
	s_cbranch_execz .LBB45_187
; %bb.192:                              ;   in Loop: Header=BB45_190 Depth=2
	v_mov_b32_e32 v2, v19
	ds_write_b128 v19, v[2:5] offset:3072
	s_branch .LBB45_187
.LBB45_193:                             ;   in Loop: Header=BB45_190 Depth=2
	s_mov_b64 s[34:35], -1
                                        ; implicit-def: $vgpr12_vgpr13
                                        ; implicit-def: $vgpr10_vgpr11
	s_mov_b64 s[2:3], -1
	s_branch .LBB45_189
.LBB45_194:                             ;   in Loop: Header=BB45_16 Depth=1
                                        ; implicit-def: $sgpr2_sgpr3
	s_branch .LBB45_136
.LBB45_195:                             ;   in Loop: Header=BB45_16 Depth=1
                                        ; implicit-def: $sgpr2_sgpr3
	s_branch .LBB45_153
.LBB45_196:                             ;   in Loop: Header=BB45_16 Depth=1
	s_or_b64 exec, exec, s[10:11]
	s_and_b64 s[10:11], s[64:65], exec
.LBB45_197:                             ;   in Loop: Header=BB45_16 Depth=1
	s_or_b64 exec, exec, s[40:41]
.LBB45_198:                             ;   in Loop: Header=BB45_16 Depth=1
	s_and_b64 vcc, exec, s[24:25]
	s_cbranch_vccz .LBB45_213
; %bb.199:                              ;   in Loop: Header=BB45_16 Depth=1
	s_add_u32 s30, s42, s59
	v_readlane_b32 s2, v59, 30
	s_addc_u32 s25, s43, s2
	s_mov_b32 s24, s51
	s_mov_b32 s65, s59
	s_cmp_lg_u64 s[24:25], 0
	s_cbranch_scc0 .LBB45_242
; %bb.200:                              ;   in Loop: Header=BB45_16 Depth=1
	s_add_u32 s2, s33, 0
	s_addc_u32 s3, 0, 0
	s_xor_b64 s[28:29], s[2:3], 0
	v_cvt_f32_u32_e32 v2, s28
	v_cvt_f32_u32_e32 v4, s29
	s_sub_u32 s24, 0, s28
	s_subb_u32 s31, 0, s29
	v_mac_f32_e32 v2, 0x4f800000, v4
	v_rcp_f32_e32 v2, v2
	v_mul_f32_e32 v2, 0x5f7ffffc, v2
	v_mul_f32_e32 v4, 0x2f800000, v2
	v_trunc_f32_e32 v4, v4
	v_mac_f32_e32 v2, 0xcf800000, v4
	v_cvt_u32_f32_e32 v4, v4
	v_cvt_u32_f32_e32 v2, v2
	v_readfirstlane_b32 s34, v4
	v_readfirstlane_b32 s2, v2
	s_mul_i32 s3, s24, s34
	s_mul_hi_u32 s40, s24, s2
	s_mul_i32 s35, s31, s2
	s_add_i32 s3, s40, s3
	s_mul_i32 s41, s24, s2
	s_add_i32 s3, s3, s35
	s_mul_i32 s40, s2, s3
	s_mul_hi_u32 s44, s2, s41
	s_mul_hi_u32 s35, s2, s3
	s_add_u32 s40, s44, s40
	s_addc_u32 s35, 0, s35
	s_mul_hi_u32 s45, s34, s41
	s_mul_i32 s41, s34, s41
	s_add_u32 s40, s40, s41
	s_mul_hi_u32 s44, s34, s3
	s_addc_u32 s35, s35, s45
	s_addc_u32 s40, s44, 0
	s_mul_i32 s3, s34, s3
	s_add_u32 s3, s35, s3
	s_addc_u32 s35, 0, s40
	s_add_u32 s40, s2, s3
	s_cselect_b64 s[2:3], -1, 0
	s_cmp_lg_u64 s[2:3], 0
	s_addc_u32 s34, s34, s35
	s_mul_i32 s2, s24, s34
	s_mul_hi_u32 s3, s24, s40
	s_add_i32 s2, s3, s2
	s_mul_i32 s31, s31, s40
	s_add_i32 s2, s2, s31
	s_mul_i32 s24, s24, s40
	s_mul_hi_u32 s31, s34, s24
	s_mul_i32 s35, s34, s24
	s_mul_i32 s44, s40, s2
	s_mul_hi_u32 s24, s40, s24
	s_mul_hi_u32 s41, s40, s2
	s_add_u32 s24, s24, s44
	s_addc_u32 s41, 0, s41
	s_add_u32 s24, s24, s35
	s_mul_hi_u32 s3, s34, s2
	s_addc_u32 s24, s41, s31
	s_addc_u32 s3, s3, 0
	s_mul_i32 s2, s34, s2
	s_add_u32 s2, s24, s2
	s_addc_u32 s24, 0, s3
	s_add_u32 s31, s40, s2
	s_cselect_b64 s[2:3], -1, 0
	s_cmp_lg_u64 s[2:3], 0
	s_addc_u32 s24, s34, s24
	s_ashr_i32 s34, s25, 31
	s_add_u32 s2, s30, s34
	s_mov_b32 s35, s34
	s_addc_u32 s3, s25, s34
	s_xor_b64 s[2:3], s[2:3], s[34:35]
	s_mul_i32 s41, s2, s24
	s_mul_hi_u32 s44, s2, s31
	s_mul_hi_u32 s40, s2, s24
	s_add_u32 s41, s44, s41
	s_addc_u32 s40, 0, s40
	s_mul_hi_u32 s45, s3, s31
	s_mul_i32 s31, s3, s31
	s_add_u32 s31, s41, s31
	s_mul_hi_u32 s44, s3, s24
	s_addc_u32 s31, s40, s45
	s_addc_u32 s40, s44, 0
	s_mul_i32 s24, s3, s24
	s_add_u32 s24, s31, s24
	s_addc_u32 s31, 0, s40
	s_mul_i32 s31, s28, s31
	s_mul_hi_u32 s40, s28, s24
	s_add_i32 s31, s40, s31
	s_mul_i32 s40, s29, s24
	s_add_i32 s31, s31, s40
	s_sub_i32 s44, s3, s31
	s_mul_i32 s24, s28, s24
	s_sub_u32 s2, s2, s24
	s_cselect_b64 s[40:41], -1, 0
	s_cmp_lg_u64 s[40:41], 0
	s_subb_u32 s24, s44, s29
	s_sub_u32 s50, s2, s28
	s_cselect_b64 s[44:45], -1, 0
	s_cmp_lg_u64 s[44:45], 0
	s_subb_u32 s59, s24, 0
	s_cmp_ge_u32 s59, s29
	s_cselect_b32 s60, -1, 0
	s_cmp_ge_u32 s50, s28
	s_cselect_b32 s64, -1, 0
	s_cmp_eq_u32 s59, s29
	s_cselect_b32 s60, s64, s60
	s_cmp_lg_u64 s[44:45], 0
	s_subb_u32 s24, s24, s29
	s_sub_u32 s64, s50, s28
	s_cselect_b64 s[44:45], -1, 0
	s_cmp_lg_u64 s[44:45], 0
	s_subb_u32 s24, s24, 0
	s_cmp_lg_u32 s60, 0
	s_cselect_b32 s44, s64, s50
	s_cselect_b32 s24, s24, s59
	s_cmp_lg_u64 s[40:41], 0
	s_subb_u32 s3, s3, s31
	s_cmp_ge_u32 s3, s29
	s_cselect_b32 s31, -1, 0
	s_cmp_ge_u32 s2, s28
	s_cselect_b32 s28, -1, 0
	s_cmp_eq_u32 s3, s29
	s_cselect_b32 s28, s28, s31
	s_cmp_lg_u32 s28, 0
	s_cselect_b32 s3, s24, s3
	s_cselect_b32 s2, s44, s2
	s_xor_b64 s[2:3], s[2:3], s[34:35]
	s_sub_u32 s2, s2, s34
	s_subb_u32 s3, s3, s34
	s_cbranch_execnz .LBB45_202
.LBB45_201:                             ;   in Loop: Header=BB45_16 Depth=1
	v_cvt_f32_u32_e32 v2, s33
	s_sub_i32 s2, 0, s33
	v_rcp_iflag_f32_e32 v2, v2
	v_mul_f32_e32 v2, 0x4f7ffffe, v2
	v_cvt_u32_f32_e32 v2, v2
	v_readfirstlane_b32 s3, v2
	s_mul_i32 s2, s2, s3
	s_mul_hi_u32 s2, s3, s2
	s_add_i32 s3, s3, s2
	s_mul_hi_u32 s2, s30, s3
	s_mul_i32 s2, s2, s33
	s_sub_i32 s2, s30, s2
	s_sub_i32 s3, s2, s33
	s_cmp_ge_u32 s2, s33
	s_cselect_b32 s2, s3, s2
	s_sub_i32 s3, s2, s33
	s_cmp_ge_u32 s2, s33
	s_cselect_b32 s50, s3, s2
	s_mov_b64 s[2:3], s[50:51]
.LBB45_202:                             ;   in Loop: Header=BB45_16 Depth=1
	s_sub_u32 s28, s30, s2
	s_subb_u32 s29, s25, s3
	v_cmp_gt_i64_e32 vcc, s[28:29], v[0:1]
                                        ; implicit-def: $vgpr6_vgpr7
	s_and_saveexec_b64 s[24:25], vcc
	s_mov_b32 s59, s65
	s_cbranch_execz .LBB45_212
; %bb.203:                              ;   in Loop: Header=BB45_16 Depth=1
	v_mov_b32_e32 v11, v1
	s_mov_b64 s[2:3], 0
	v_mov_b32_e32 v12, v53
	v_mov_b32_e32 v10, v0
                                        ; implicit-def: $sgpr30_sgpr31
	s_branch .LBB45_207
.LBB45_204:                             ;   in Loop: Header=BB45_207 Depth=2
	s_or_b64 exec, exec, s[40:41]
	s_waitcnt lgkmcnt(0)
	s_barrier
	ds_read_b128 v[4:7], v19 offset:3072
	s_waitcnt lgkmcnt(0)
	s_barrier
	v_cmp_eq_f64_e32 vcc, 0, v[4:5]
	s_cbranch_vccz .LBB45_210
; %bb.205:                              ;   in Loop: Header=BB45_207 Depth=2
	v_add_co_u32_e32 v10, vcc, s33, v10
	v_addc_co_u32_e32 v11, vcc, 0, v11, vcc
	v_cmp_le_i64_e32 vcc, s[28:29], v[10:11]
	v_add_u32_e32 v12, s8, v12
	s_mov_b64 s[34:35], 0
	s_orn2_b64 s[40:41], vcc, exec
.LBB45_206:                             ;   in Loop: Header=BB45_207 Depth=2
	s_and_b64 s[40:41], exec, s[40:41]
	s_or_b64 s[2:3], s[40:41], s[2:3]
	s_andn2_b64 s[30:31], s[30:31], exec
	s_and_b64 s[34:35], s[34:35], exec
	s_or_b64 s[30:31], s[30:31], s[34:35]
	s_andn2_b64 exec, exec, s[2:3]
	s_cbranch_execz .LBB45_211
.LBB45_207:                             ;   Parent Loop BB45_16 Depth=1
                                        ; =>  This Inner Loop Header: Depth=2
	v_cmp_gt_u64_e32 vcc, s[42:43], v[10:11]
	s_and_saveexec_b64 s[40:41], vcc
	s_cbranch_execz .LBB45_204
; %bb.208:                              ;   in Loop: Header=BB45_207 Depth=2
	ds_read_b64 v[4:5], v12
	s_waitcnt lgkmcnt(0)
	v_cmp_o_f64_e32 vcc, v[4:5], v[4:5]
	v_ashrrev_i32_e32 v2, 31, v5
	v_or_b32_e32 v6, 0x80000000, v2
	v_xor_b32_e32 v6, v6, v5
	v_xor_b32_e32 v2, v2, v4
	v_cndmask_b32_e32 v6, -1, v6, vcc
	v_cndmask_b32_e32 v2, -1, v2, vcc
	v_and_b32_e32 v7, v6, v33
	v_and_b32_e32 v6, v2, v32
	v_cmp_eq_u64_e32 vcc, v[6:7], v[30:31]
	s_and_b64 exec, exec, vcc
	s_cbranch_execz .LBB45_204
; %bb.209:                              ;   in Loop: Header=BB45_207 Depth=2
	v_mov_b32_e32 v2, v19
	ds_write_b128 v19, v[2:5] offset:3072
	s_branch .LBB45_204
.LBB45_210:                             ;   in Loop: Header=BB45_207 Depth=2
	s_mov_b64 s[40:41], -1
                                        ; implicit-def: $vgpr10_vgpr11
                                        ; implicit-def: $vgpr12
	s_mov_b64 s[34:35], -1
	s_branch .LBB45_206
.LBB45_211:                             ;   in Loop: Header=BB45_16 Depth=1
	s_or_b64 exec, exec, s[2:3]
	s_andn2_b64 s[2:3], s[10:11], exec
	s_and_b64 s[10:11], s[30:31], exec
	s_or_b64 s[10:11], s[2:3], s[10:11]
.LBB45_212:                             ;   in Loop: Header=BB45_16 Depth=1
	s_or_b64 exec, exec, s[24:25]
	s_mov_b64 s[28:29], 0
	s_mov_b64 s[30:31], -1
.LBB45_213:                             ;   in Loop: Header=BB45_16 Depth=1
	s_orn2_b64 s[2:3], s[10:11], exec
.LBB45_214:                             ;   in Loop: Header=BB45_16 Depth=1
	s_or_b64 exec, exec, s[36:37]
	s_mov_b64 s[10:11], 0
	s_and_saveexec_b64 s[36:37], s[2:3]
	s_cbranch_execz .LBB45_274
; %bb.215:                              ;   in Loop: Header=BB45_16 Depth=1
	v_mov_b32_e32 v10, 1
	s_xor_b64 s[2:3], s[38:39], -1
	v_mov_b32_e32 v36, 1
	v_mov_b32_e32 v11, 0
	s_mov_b64 s[24:25], 0
	s_and_saveexec_b64 s[10:11], s[2:3]
	s_cbranch_execz .LBB45_224
; %bb.216:                              ;   in Loop: Header=BB45_16 Depth=1
	v_cmp_ge_i64_e32 vcc, s[90:91], v[8:9]
	s_and_saveexec_b64 s[2:3], vcc
	s_xor_b64 s[2:3], exec, s[2:3]
	s_cbranch_execz .LBB45_221
; %bb.217:                              ;   in Loop: Header=BB45_16 Depth=1
	s_lshl_b64 s[24:25], 2, s9
	v_and_b32_e32 v4, s92, v30
	v_or_b32_e32 v30, s24, v4
	ds_read_b64 v[4:5], v19 offset:5120
	v_and_b32_e32 v2, s93, v31
	v_or_b32_e32 v31, s25, v2
	v_or_b32_e32 v33, s15, v33
	;; [unrolled: 1-line block ×3, first 2 shown]
	s_waitcnt lgkmcnt(0)
	v_cmp_ne_u64_e32 vcc, 0, v[4:5]
	s_cbranch_vccnz .LBB45_221
; %bb.218:                              ;   in Loop: Header=BB45_16 Depth=1
	s_mov_b64 s[24:25], exec
	v_readlane_b32 s34, v59, 12
	v_readlane_b32 s35, v59, 13
	s_and_b64 s[34:35], s[24:25], s[34:35]
	s_mov_b64 exec, s[34:35]
; %bb.219:                              ;   in Loop: Header=BB45_16 Depth=1
	v_mov_b32_e32 v4, s90
	v_mov_b32_e32 v5, s91
	ds_write_b64 v19, v[4:5] offset:5128
; %bb.220:                              ;   in Loop: Header=BB45_16 Depth=1
	s_or_b64 exec, exec, s[24:25]
	s_waitcnt lgkmcnt(0)
	s_barrier
.LBB45_221:                             ;   in Loop: Header=BB45_16 Depth=1
	s_or_saveexec_b64 s[2:3], s[2:3]
	s_mov_b64 s[24:25], 0
	v_mov_b32_e32 v36, 8
	s_xor_b64 exec, exec, s[2:3]
; %bb.222:                              ;   in Loop: Header=BB45_16 Depth=1
	v_subrev_co_u32_e32 v8, vcc, s90, v8
	v_mov_b32_e32 v2, s91
	v_subb_co_u32_e32 v9, vcc, v9, v2, vcc
	v_mov_b32_e32 v36, 0
	s_mov_b64 s[24:25], exec
; %bb.223:                              ;   in Loop: Header=BB45_16 Depth=1
	s_or_b64 exec, exec, s[2:3]
	v_mov_b32_e32 v11, v9
	s_and_b64 s[24:25], s[24:25], exec
	v_mov_b32_e32 v10, v8
.LBB45_224:                             ;   in Loop: Header=BB45_16 Depth=1
	s_or_b64 exec, exec, s[10:11]
	s_mov_b64 s[2:3], -1
                                        ; implicit-def: $sgpr10_sgpr11
                                        ; implicit-def: $sgpr44_sgpr45
	s_and_saveexec_b64 s[38:39], s[24:25]
	s_cbranch_execz .LBB45_273
; %bb.225:                              ;   in Loop: Header=BB45_16 Depth=1
	s_cmp_eq_u64 s[12:13], 1
	v_cmp_eq_u64_e32 vcc, 1, v[10:11]
	s_cselect_b64 s[2:3], -1, 0
	s_and_b64 s[40:41], s[2:3], vcc
	s_mov_b64 s[2:3], -1
                                        ; implicit-def: $sgpr10_sgpr11
                                        ; implicit-def: $sgpr44_sgpr45
	s_and_saveexec_b64 s[92:93], s[40:41]
	s_cbranch_execz .LBB45_261
; %bb.226:                              ;   in Loop: Header=BB45_16 Depth=1
	ds_read_b64 v[4:5], v19 offset:5120
	v_writelane_b32 v59, s40, 36
	v_writelane_b32 v59, s41, 37
	s_waitcnt lgkmcnt(0)
	s_barrier
	v_readfirstlane_b32 s42, v4
	v_readfirstlane_b32 s43, v5
	s_and_saveexec_b64 s[2:3], s[18:19]
; %bb.227:                              ;   in Loop: Header=BB45_16 Depth=1
	v_mov_b32_e32 v18, v19
	ds_write_b64 v54, v[18:19]
; %bb.228:                              ;   in Loop: Header=BB45_16 Depth=1
	s_or_b64 exec, exec, s[2:3]
	v_cmp_gt_i64_e64 s[2:3], s[42:43], 0
	v_or_b32_e32 v31, s15, v31
	v_or_b32_e32 v30, s14, v30
	;; [unrolled: 1-line block ×4, first 2 shown]
	s_mov_b64 s[44:45], -1
	s_mov_b64 s[10:11], 0
	s_and_b64 vcc, exec, s[2:3]
	s_mov_b64 s[24:25], 0
	s_mov_b64 s[40:41], -1
	s_waitcnt lgkmcnt(0)
	s_barrier
                                        ; implicit-def: $vgpr6_vgpr7
	s_cbranch_vccnz .LBB45_245
; %bb.229:                              ;   in Loop: Header=BB45_16 Depth=1
	s_mov_b32 s60, s51
	s_mov_b32 s90, s59
	v_writelane_b32 v59, s66, 38
	s_cmp_lg_u64 s[60:61], 0
	v_writelane_b32 v59, s67, 39
	s_cbranch_scc0 .LBB45_280
; %bb.230:                              ;   in Loop: Header=BB45_16 Depth=1
	s_add_u32 s2, s33, 0
	s_addc_u32 s3, 0, 0
	s_xor_b64 s[24:25], s[2:3], 0
	v_cvt_f32_u32_e32 v2, s24
	v_cvt_f32_u32_e32 v4, s25
	s_sub_u32 s34, 0, s24
	s_subb_u32 s35, 0, s25
	v_mac_f32_e32 v2, 0x4f800000, v4
	v_rcp_f32_e32 v2, v2
	v_mul_f32_e32 v2, 0x5f7ffffc, v2
	v_mul_f32_e32 v4, 0x2f800000, v2
	v_trunc_f32_e32 v4, v4
	v_mac_f32_e32 v2, 0xcf800000, v4
	v_cvt_u32_f32_e32 v4, v4
	v_cvt_u32_f32_e32 v2, v2
	v_readfirstlane_b32 s40, v4
	v_readfirstlane_b32 s2, v2
	s_mul_i32 s3, s34, s40
	s_mul_hi_u32 s50, s34, s2
	s_mul_i32 s41, s35, s2
	s_add_i32 s3, s50, s3
	s_mul_i32 s59, s34, s2
	s_add_i32 s3, s3, s41
	s_mul_i32 s50, s2, s3
	s_mul_hi_u32 s60, s2, s59
	s_mul_hi_u32 s41, s2, s3
	s_add_u32 s50, s60, s50
	s_addc_u32 s41, 0, s41
	s_mul_hi_u32 s64, s40, s59
	s_mul_i32 s59, s40, s59
	s_add_u32 s50, s50, s59
	s_mul_hi_u32 s60, s40, s3
	s_addc_u32 s41, s41, s64
	s_addc_u32 s50, s60, 0
	s_mul_i32 s3, s40, s3
	s_add_u32 s3, s41, s3
	s_addc_u32 s41, 0, s50
	s_add_u32 s50, s2, s3
	s_cselect_b64 s[2:3], -1, 0
	s_cmp_lg_u64 s[2:3], 0
	s_addc_u32 s40, s40, s41
	s_mul_i32 s2, s34, s40
	s_mul_hi_u32 s3, s34, s50
	s_add_i32 s2, s3, s2
	s_mul_i32 s35, s35, s50
	s_add_i32 s2, s2, s35
	s_mul_i32 s34, s34, s50
	s_mul_hi_u32 s35, s40, s34
	s_mul_i32 s41, s40, s34
	s_mul_i32 s60, s50, s2
	s_mul_hi_u32 s34, s50, s34
	s_mul_hi_u32 s59, s50, s2
	s_add_u32 s34, s34, s60
	s_addc_u32 s59, 0, s59
	s_add_u32 s34, s34, s41
	s_mul_hi_u32 s3, s40, s2
	s_addc_u32 s34, s59, s35
	s_addc_u32 s3, s3, 0
	s_mul_i32 s2, s40, s2
	s_add_u32 s2, s34, s2
	s_addc_u32 s34, 0, s3
	s_add_u32 s41, s50, s2
	s_cselect_b64 s[2:3], -1, 0
	s_cmp_lg_u64 s[2:3], 0
	s_addc_u32 s40, s40, s34
	s_ashr_i32 s34, s61, 31
	s_add_u32 s2, s0, s34
	s_mov_b32 s35, s34
	s_addc_u32 s3, s61, s34
	s_xor_b64 s[2:3], s[2:3], s[34:35]
	s_mul_i32 s59, s2, s40
	s_mul_hi_u32 s60, s2, s41
	s_mul_hi_u32 s50, s2, s40
	s_add_u32 s59, s60, s59
	s_addc_u32 s50, 0, s50
	s_mul_hi_u32 s64, s3, s41
	s_mul_i32 s41, s3, s41
	s_add_u32 s41, s59, s41
	s_mul_hi_u32 s60, s3, s40
	s_addc_u32 s41, s50, s64
	s_addc_u32 s50, s60, 0
	s_mul_i32 s40, s3, s40
	s_add_u32 s40, s41, s40
	s_addc_u32 s41, 0, s50
	s_mul_i32 s41, s24, s41
	s_mul_hi_u32 s50, s24, s40
	s_add_i32 s41, s50, s41
	s_mul_i32 s50, s25, s40
	s_add_i32 s50, s41, s50
	s_sub_i32 s59, s3, s50
	s_mul_i32 s40, s24, s40
	s_sub_u32 s2, s2, s40
	s_cselect_b64 s[40:41], -1, 0
	s_cmp_lg_u64 s[40:41], 0
	s_subb_u32 s59, s59, s25
	s_sub_u32 s60, s2, s24
	s_cselect_b64 s[64:65], -1, 0
	s_cmp_lg_u64 s[64:65], 0
	s_subb_u32 s66, s59, 0
	s_cmp_ge_u32 s66, s25
	s_cselect_b32 s67, -1, 0
	s_cmp_ge_u32 s60, s24
	s_cselect_b32 vcc_lo, -1, 0
	s_cmp_eq_u32 s66, s25
	s_cselect_b32 s67, vcc_lo, s67
	s_cmp_lg_u64 s[64:65], 0
	s_subb_u32 s59, s59, s25
	s_sub_u32 vcc_lo, s60, s24
	s_cselect_b64 s[64:65], -1, 0
	s_cmp_lg_u64 s[64:65], 0
	s_subb_u32 s59, s59, 0
	s_cmp_lg_u32 s67, 0
	s_cselect_b32 s60, vcc_lo, s60
	s_cselect_b32 s59, s59, s66
	s_cmp_lg_u64 s[40:41], 0
	s_subb_u32 s3, s3, s50
	s_cmp_ge_u32 s3, s25
	s_cselect_b32 s40, -1, 0
	s_cmp_ge_u32 s2, s24
	s_cselect_b32 s24, -1, 0
	s_cmp_eq_u32 s3, s25
	s_cselect_b32 s24, s24, s40
	s_cmp_lg_u32 s24, 0
	s_cselect_b32 s3, s59, s3
	s_cselect_b32 s2, s60, s2
	s_xor_b64 s[2:3], s[2:3], s[34:35]
	s_sub_u32 s2, s2, s34
	s_subb_u32 s3, s3, s34
	s_cbranch_execnz .LBB45_232
.LBB45_231:                             ;   in Loop: Header=BB45_16 Depth=1
	v_cvt_f32_u32_e32 v2, s33
	s_sub_i32 s2, 0, s33
	v_rcp_iflag_f32_e32 v2, v2
	v_mul_f32_e32 v2, 0x4f7ffffe, v2
	v_cvt_u32_f32_e32 v2, v2
	v_readfirstlane_b32 s3, v2
	s_mul_i32 s2, s2, s3
	s_mul_hi_u32 s2, s3, s2
	s_add_i32 s3, s3, s2
	s_mul_hi_u32 s2, s0, s3
	s_mul_i32 s2, s2, s33
	s_sub_i32 s2, s0, s2
	s_sub_i32 s3, s2, s33
	s_cmp_ge_u32 s2, s33
	s_cselect_b32 s2, s3, s2
	s_sub_i32 s3, s2, s33
	s_cmp_ge_u32 s2, s33
	s_cselect_b32 s50, s3, s2
	s_mov_b64 s[2:3], s[50:51]
.LBB45_232:                             ;   in Loop: Header=BB45_16 Depth=1
	s_sub_u32 s66, s0, s2
	s_subb_u32 s67, s61, s3
	v_cmp_gt_i64_e32 vcc, s[66:67], v[0:1]
	s_mov_b64 s[40:41], 0
	s_mov_b64 s[24:25], 0
                                        ; implicit-def: $vgpr6_vgpr7
	s_and_saveexec_b64 s[64:65], vcc
	s_mov_b32 s59, s90
	s_cbranch_execz .LBB45_244
; %bb.233:                              ;   in Loop: Header=BB45_16 Depth=1
	v_mov_b32_e32 v8, v16
	v_mov_b32_e32 v13, v1
	;; [unrolled: 1-line block ×4, first 2 shown]
                                        ; implicit-def: $sgpr2_sgpr3
	s_branch .LBB45_237
.LBB45_234:                             ;   in Loop: Header=BB45_237 Depth=2
	s_or_b64 exec, exec, s[34:35]
	s_waitcnt lgkmcnt(0)
	s_barrier
	ds_read_b128 v[4:7], v19 offset:3072
	s_waitcnt lgkmcnt(0)
	s_barrier
	v_cmp_neq_f64_e32 vcc, 0, v[4:5]
	s_cbranch_vccnz .LBB45_240
; %bb.235:                              ;   in Loop: Header=BB45_237 Depth=2
	v_add_co_u32_e32 v12, vcc, s33, v12
	v_addc_co_u32_e32 v13, vcc, 0, v13, vcc
	v_mov_b32_e32 v2, s53
	v_add_co_u32_e32 v8, vcc, s52, v8
	v_addc_co_u32_e32 v9, vcc, v9, v2, vcc
	v_cmp_le_i64_e32 vcc, s[66:67], v[12:13]
	s_mov_b64 s[34:35], 0
	s_orn2_b64 vcc, vcc, exec
.LBB45_236:                             ;   in Loop: Header=BB45_237 Depth=2
	s_and_b64 vcc, exec, vcc
	s_or_b64 s[24:25], vcc, s[24:25]
	s_andn2_b64 s[2:3], s[2:3], exec
	s_and_b64 s[34:35], s[34:35], exec
	s_or_b64 s[2:3], s[2:3], s[34:35]
	s_andn2_b64 exec, exec, s[24:25]
	s_cbranch_execz .LBB45_243
.LBB45_237:                             ;   Parent Loop BB45_16 Depth=1
                                        ; =>  This Inner Loop Header: Depth=2
	v_cmp_gt_i64_e32 vcc, s[20:21], v[12:13]
	s_and_saveexec_b64 s[34:35], vcc
	s_cbranch_execz .LBB45_234
; %bb.238:                              ;   in Loop: Header=BB45_237 Depth=2
	global_load_dwordx2 v[4:5], v[8:9], off
	s_waitcnt vmcnt(0)
	v_cmp_o_f64_e32 vcc, v[4:5], v[4:5]
	v_ashrrev_i32_e32 v2, 31, v5
	v_or_b32_e32 v6, 0x80000000, v2
	v_xor_b32_e32 v6, v6, v5
	v_xor_b32_e32 v2, v2, v4
	v_cndmask_b32_e32 v6, -1, v6, vcc
	v_cndmask_b32_e32 v2, -1, v2, vcc
	v_and_b32_e32 v7, v6, v33
	v_and_b32_e32 v6, v2, v32
	v_cmp_eq_u64_e32 vcc, v[6:7], v[30:31]
	s_and_b64 exec, exec, vcc
	s_cbranch_execz .LBB45_234
; %bb.239:                              ;   in Loop: Header=BB45_237 Depth=2
	v_mov_b32_e32 v2, v19
	ds_write_b128 v19, v[2:5] offset:3072
	s_branch .LBB45_234
.LBB45_240:                             ;   in Loop: Header=BB45_237 Depth=2
	s_mov_b64 vcc, -1
                                        ; implicit-def: $vgpr12_vgpr13
                                        ; implicit-def: $vgpr8_vgpr9
	s_mov_b64 s[34:35], -1
	s_branch .LBB45_236
.LBB45_241:                             ;   in Loop: Header=BB45_16 Depth=1
                                        ; implicit-def: $sgpr2_sgpr3
	s_branch .LBB45_184
.LBB45_242:                             ;   in Loop: Header=BB45_16 Depth=1
                                        ; implicit-def: $sgpr2_sgpr3
	s_branch .LBB45_201
.LBB45_243:                             ;   in Loop: Header=BB45_16 Depth=1
	s_or_b64 exec, exec, s[24:25]
	s_and_b64 s[24:25], s[2:3], exec
.LBB45_244:                             ;   in Loop: Header=BB45_16 Depth=1
	s_or_b64 exec, exec, s[64:65]
	v_readlane_b32 s66, v59, 38
	v_readlane_b32 s67, v59, 39
.LBB45_245:                             ;   in Loop: Header=BB45_16 Depth=1
	s_and_b64 vcc, exec, s[40:41]
	s_cbranch_vccz .LBB45_260
; %bb.246:                              ;   in Loop: Header=BB45_16 Depth=1
	s_add_u32 s44, s42, s59
	v_readlane_b32 s2, v59, 30
	s_addc_u32 s11, s43, s2
	s_mov_b32 s10, s51
	s_mov_b32 s91, s59
	s_cmp_lg_u64 s[10:11], 0
	s_cbranch_scc0 .LBB45_281
; %bb.247:                              ;   in Loop: Header=BB45_16 Depth=1
	s_add_u32 s2, s33, 0
	s_addc_u32 s3, 0, 0
	s_xor_b64 s[40:41], s[2:3], 0
	v_cvt_f32_u32_e32 v2, s40
	v_cvt_f32_u32_e32 v4, s41
	s_sub_u32 s10, 0, s40
	s_subb_u32 s34, 0, s41
	s_mov_b32 s90, s66
	v_mac_f32_e32 v2, 0x4f800000, v4
	v_rcp_f32_e32 v2, v2
	v_mul_f32_e32 v2, 0x5f7ffffc, v2
	v_mul_f32_e32 v4, 0x2f800000, v2
	v_trunc_f32_e32 v4, v4
	v_mac_f32_e32 v2, 0xcf800000, v4
	v_cvt_u32_f32_e32 v4, v4
	v_cvt_u32_f32_e32 v2, v2
	v_readfirstlane_b32 s35, v4
	v_readfirstlane_b32 s2, v2
	s_mul_i32 s3, s10, s35
	s_mul_hi_u32 s50, s10, s2
	s_mul_i32 s45, s34, s2
	s_add_i32 s3, s50, s3
	s_mul_i32 s59, s10, s2
	s_add_i32 s3, s3, s45
	s_mul_i32 s50, s2, s3
	s_mul_hi_u32 s60, s2, s59
	s_mul_hi_u32 s45, s2, s3
	s_add_u32 s50, s60, s50
	s_addc_u32 s45, 0, s45
	s_mul_hi_u32 s64, s35, s59
	s_mul_i32 s59, s35, s59
	s_add_u32 s50, s50, s59
	s_mul_hi_u32 s60, s35, s3
	s_addc_u32 s45, s45, s64
	s_addc_u32 s50, s60, 0
	s_mul_i32 s3, s35, s3
	s_add_u32 s3, s45, s3
	s_addc_u32 s45, 0, s50
	s_add_u32 s50, s2, s3
	s_cselect_b64 s[2:3], -1, 0
	s_cmp_lg_u64 s[2:3], 0
	s_addc_u32 s35, s35, s45
	s_mul_i32 s2, s10, s35
	s_mul_hi_u32 s3, s10, s50
	s_add_i32 s2, s3, s2
	s_mul_i32 s34, s34, s50
	s_add_i32 s2, s2, s34
	s_mul_i32 s10, s10, s50
	s_mul_hi_u32 s34, s35, s10
	s_mul_i32 s45, s35, s10
	s_mul_i32 s60, s50, s2
	s_mul_hi_u32 s10, s50, s10
	s_mul_hi_u32 s59, s50, s2
	s_add_u32 s10, s10, s60
	s_addc_u32 s59, 0, s59
	s_add_u32 s10, s10, s45
	s_mul_hi_u32 s3, s35, s2
	s_addc_u32 s10, s59, s34
	s_addc_u32 s3, s3, 0
	s_mul_i32 s2, s35, s2
	s_add_u32 s2, s10, s2
	s_addc_u32 s10, 0, s3
	s_add_u32 s45, s50, s2
	s_cselect_b64 s[2:3], -1, 0
	s_cmp_lg_u64 s[2:3], 0
	s_addc_u32 s10, s35, s10
	s_ashr_i32 s34, s11, 31
	s_add_u32 s2, s44, s34
	s_mov_b32 s35, s34
	s_addc_u32 s3, s11, s34
	s_xor_b64 s[2:3], s[2:3], s[34:35]
	s_mul_i32 s59, s2, s10
	s_mul_hi_u32 s60, s2, s45
	s_mul_hi_u32 s50, s2, s10
	s_add_u32 s59, s60, s59
	s_addc_u32 s50, 0, s50
	s_mul_hi_u32 s64, s3, s45
	s_mul_i32 s45, s3, s45
	s_add_u32 s45, s59, s45
	s_mul_hi_u32 s60, s3, s10
	s_addc_u32 s45, s50, s64
	s_addc_u32 s50, s60, 0
	s_mul_i32 s10, s3, s10
	s_add_u32 s10, s45, s10
	s_addc_u32 s45, 0, s50
	s_mul_i32 s45, s40, s45
	s_mul_hi_u32 s50, s40, s10
	s_add_i32 s45, s50, s45
	s_mul_i32 s50, s41, s10
	s_add_i32 s45, s45, s50
	s_sub_i32 s50, s3, s45
	s_mul_i32 s10, s40, s10
	s_sub_u32 s2, s2, s10
	s_cselect_b64 s[64:65], -1, 0
	s_cmp_lg_u64 s[64:65], 0
	s_subb_u32 s10, s50, s41
	s_sub_u32 s50, s2, s40
	s_cselect_b64 s[66:67], -1, 0
	s_cmp_lg_u64 s[66:67], 0
	s_subb_u32 s59, s10, 0
	s_cmp_ge_u32 s59, s41
	s_cselect_b32 s60, -1, 0
	s_cmp_ge_u32 s50, s40
	s_cselect_b32 vcc_lo, -1, 0
	s_cmp_eq_u32 s59, s41
	s_cselect_b32 s60, vcc_lo, s60
	s_cmp_lg_u64 s[66:67], 0
	s_subb_u32 s10, s10, s41
	s_sub_u32 vcc_lo, s50, s40
	s_cselect_b64 s[66:67], -1, 0
	s_cmp_lg_u64 s[66:67], 0
	s_subb_u32 s10, s10, 0
	s_cmp_lg_u32 s60, 0
	s_cselect_b32 s50, vcc_lo, s50
	s_cselect_b32 s10, s10, s59
	s_cmp_lg_u64 s[64:65], 0
	s_subb_u32 s3, s3, s45
	s_cmp_ge_u32 s3, s41
	s_cselect_b32 s45, -1, 0
	s_cmp_ge_u32 s2, s40
	s_cselect_b32 s40, -1, 0
	s_cmp_eq_u32 s3, s41
	s_cselect_b32 s40, s40, s45
	s_cmp_lg_u32 s40, 0
	s_cselect_b32 s3, s10, s3
	s_cselect_b32 s2, s50, s2
	s_xor_b64 s[2:3], s[2:3], s[34:35]
	s_sub_u32 s2, s2, s34
	s_mov_b32 s66, s90
	s_subb_u32 s3, s3, s34
	s_cbranch_execnz .LBB45_249
.LBB45_248:                             ;   in Loop: Header=BB45_16 Depth=1
	v_cvt_f32_u32_e32 v2, s33
	s_sub_i32 s2, 0, s33
	v_rcp_iflag_f32_e32 v2, v2
	v_mul_f32_e32 v2, 0x4f7ffffe, v2
	v_cvt_u32_f32_e32 v2, v2
	v_readfirstlane_b32 s3, v2
	s_mul_i32 s2, s2, s3
	s_mul_hi_u32 s2, s3, s2
	s_add_i32 s3, s3, s2
	s_mul_hi_u32 s2, s44, s3
	s_mul_i32 s2, s2, s33
	s_sub_i32 s2, s44, s2
	s_sub_i32 s3, s2, s33
	s_cmp_ge_u32 s2, s33
	s_cselect_b32 s2, s3, s2
	s_sub_i32 s3, s2, s33
	s_cmp_ge_u32 s2, s33
	s_cselect_b32 s50, s3, s2
	s_mov_b64 s[2:3], s[50:51]
.LBB45_249:                             ;   in Loop: Header=BB45_16 Depth=1
	s_sub_u32 s40, s44, s2
	s_subb_u32 s41, s11, s3
	v_cmp_gt_i64_e32 vcc, s[40:41], v[0:1]
                                        ; implicit-def: $vgpr6_vgpr7
	s_and_saveexec_b64 s[10:11], vcc
	s_mov_b32 s59, s91
	s_cbranch_execz .LBB45_259
; %bb.250:                              ;   in Loop: Header=BB45_16 Depth=1
	v_mov_b32_e32 v9, v1
	s_mov_b64 s[2:3], 0
	v_mov_b32_e32 v12, v53
	v_mov_b32_e32 v8, v0
                                        ; implicit-def: $sgpr44_sgpr45
	s_branch .LBB45_254
.LBB45_251:                             ;   in Loop: Header=BB45_254 Depth=2
	s_or_b64 exec, exec, s[34:35]
	s_waitcnt lgkmcnt(0)
	s_barrier
	ds_read_b128 v[4:7], v19 offset:3072
	s_waitcnt lgkmcnt(0)
	s_barrier
	v_cmp_eq_f64_e32 vcc, 0, v[4:5]
	s_cbranch_vccz .LBB45_257
; %bb.252:                              ;   in Loop: Header=BB45_254 Depth=2
	v_add_co_u32_e32 v8, vcc, s33, v8
	v_addc_co_u32_e32 v9, vcc, 0, v9, vcc
	v_cmp_le_i64_e32 vcc, s[40:41], v[8:9]
	v_add_u32_e32 v12, s8, v12
	s_mov_b64 s[34:35], 0
	s_orn2_b64 s[64:65], vcc, exec
.LBB45_253:                             ;   in Loop: Header=BB45_254 Depth=2
	s_and_b64 s[64:65], exec, s[64:65]
	s_or_b64 s[2:3], s[64:65], s[2:3]
	s_andn2_b64 s[44:45], s[44:45], exec
	s_and_b64 s[34:35], s[34:35], exec
	s_or_b64 s[44:45], s[44:45], s[34:35]
	s_andn2_b64 exec, exec, s[2:3]
	s_cbranch_execz .LBB45_258
.LBB45_254:                             ;   Parent Loop BB45_16 Depth=1
                                        ; =>  This Inner Loop Header: Depth=2
	v_cmp_gt_u64_e32 vcc, s[42:43], v[8:9]
	s_and_saveexec_b64 s[34:35], vcc
	s_cbranch_execz .LBB45_251
; %bb.255:                              ;   in Loop: Header=BB45_254 Depth=2
	ds_read_b64 v[4:5], v12
	s_waitcnt lgkmcnt(0)
	v_cmp_o_f64_e32 vcc, v[4:5], v[4:5]
	v_ashrrev_i32_e32 v2, 31, v5
	v_or_b32_e32 v6, 0x80000000, v2
	v_xor_b32_e32 v6, v6, v5
	v_xor_b32_e32 v2, v2, v4
	v_cndmask_b32_e32 v6, -1, v6, vcc
	v_cndmask_b32_e32 v2, -1, v2, vcc
	v_and_b32_e32 v7, v6, v33
	v_and_b32_e32 v6, v2, v32
	v_cmp_eq_u64_e32 vcc, v[6:7], v[30:31]
	s_and_b64 exec, exec, vcc
	s_cbranch_execz .LBB45_251
; %bb.256:                              ;   in Loop: Header=BB45_254 Depth=2
	v_mov_b32_e32 v2, v19
	ds_write_b128 v19, v[2:5] offset:3072
	s_branch .LBB45_251
.LBB45_257:                             ;   in Loop: Header=BB45_254 Depth=2
	s_mov_b64 s[64:65], -1
                                        ; implicit-def: $vgpr8_vgpr9
                                        ; implicit-def: $vgpr12
	s_mov_b64 s[34:35], -1
	s_branch .LBB45_253
.LBB45_258:                             ;   in Loop: Header=BB45_16 Depth=1
	s_or_b64 exec, exec, s[2:3]
	s_andn2_b64 s[2:3], s[24:25], exec
	s_and_b64 s[24:25], s[44:45], exec
	s_or_b64 s[24:25], s[2:3], s[24:25]
.LBB45_259:                             ;   in Loop: Header=BB45_16 Depth=1
	s_or_b64 exec, exec, s[10:11]
	s_mov_b64 s[44:45], 0
	s_mov_b64 s[10:11], -1
.LBB45_260:                             ;   in Loop: Header=BB45_16 Depth=1
	v_readlane_b32 s40, v59, 36
	s_orn2_b64 s[2:3], s[24:25], exec
	v_readlane_b32 s41, v59, 37
.LBB45_261:                             ;   in Loop: Header=BB45_16 Depth=1
	s_or_b64 exec, exec, s[92:93]
	s_mov_b64 s[34:35], 0
	s_and_saveexec_b64 s[24:25], s[2:3]
	s_cbranch_execz .LBB45_272
; %bb.262:                              ;   in Loop: Header=BB45_16 Depth=1
	v_mov_b32_e32 v4, 1
	s_xor_b64 s[2:3], s[40:41], -1
	v_mov_b32_e32 v5, 0
	v_mov_b32_e32 v36, 1
	s_and_saveexec_b64 s[40:41], s[2:3]
	s_cbranch_execz .LBB45_271
; %bb.263:                              ;   in Loop: Header=BB45_16 Depth=1
	v_cmp_ge_i64_e32 vcc, s[12:13], v[10:11]
	s_and_saveexec_b64 s[2:3], vcc
	s_xor_b64 s[2:3], exec, s[2:3]
	s_cbranch_execz .LBB45_268
; %bb.264:                              ;   in Loop: Header=BB45_16 Depth=1
	ds_read_b64 v[4:5], v19 offset:5120
	v_or_b32_e32 v31, s15, v31
	v_or_b32_e32 v30, s14, v30
	;; [unrolled: 1-line block ×4, first 2 shown]
	s_waitcnt lgkmcnt(0)
	v_cmp_ne_u64_e32 vcc, 0, v[4:5]
	s_cbranch_vccnz .LBB45_268
; %bb.265:                              ;   in Loop: Header=BB45_16 Depth=1
	s_mov_b64 s[14:15], exec
	v_readlane_b32 s34, v59, 12
	v_readlane_b32 s35, v59, 13
	s_and_b64 s[34:35], s[14:15], s[34:35]
	s_mov_b64 exec, s[34:35]
; %bb.266:                              ;   in Loop: Header=BB45_16 Depth=1
	v_mov_b32_e32 v4, s12
	v_mov_b32_e32 v5, s13
	ds_write_b64 v19, v[4:5] offset:5128
; %bb.267:                              ;   in Loop: Header=BB45_16 Depth=1
	s_or_b64 exec, exec, s[14:15]
	s_waitcnt lgkmcnt(0)
	s_barrier
.LBB45_268:                             ;   in Loop: Header=BB45_16 Depth=1
	s_andn2_saveexec_b64 s[2:3], s[2:3]
; %bb.269:                              ;   in Loop: Header=BB45_16 Depth=1
	v_mov_b32_e32 v2, s13
	v_subrev_co_u32_e32 v10, vcc, s12, v10
	v_subb_co_u32_e32 v11, vcc, v11, v2, vcc
; %bb.270:                              ;   in Loop: Header=BB45_16 Depth=1
	s_or_b64 exec, exec, s[2:3]
	v_mov_b32_e32 v4, v10
	v_mov_b32_e32 v36, 8
	;; [unrolled: 1-line block ×3, first 2 shown]
.LBB45_271:                             ;   in Loop: Header=BB45_16 Depth=1
	s_or_b64 exec, exec, s[40:41]
	v_mov_b32_e32 v11, v5
	s_mov_b64 s[34:35], exec
	v_mov_b32_e32 v10, v4
.LBB45_272:                             ;   in Loop: Header=BB45_16 Depth=1
	s_or_b64 exec, exec, s[24:25]
	s_orn2_b64 s[2:3], s[34:35], exec
.LBB45_273:                             ;   in Loop: Header=BB45_16 Depth=1
	s_or_b64 exec, exec, s[38:39]
	s_andn2_b64 s[12:13], s[30:31], exec
	s_and_b64 s[10:11], s[10:11], exec
	s_or_b64 s[30:31], s[12:13], s[10:11]
	s_andn2_b64 s[10:11], s[28:29], exec
	s_and_b64 s[12:13], s[44:45], exec
	v_mov_b32_e32 v8, v10
	s_or_b64 s[28:29], s[10:11], s[12:13]
	s_and_b64 s[10:11], s[2:3], exec
	v_mov_b32_e32 v9, v11
.LBB45_274:                             ;   in Loop: Header=BB45_16 Depth=1
	s_or_b64 exec, exec, s[36:37]
	s_orn2_b64 s[2:3], s[10:11], exec
.LBB45_275:                             ;   in Loop: Header=BB45_16 Depth=1
	s_or_b64 exec, exec, s[48:49]
	s_andn2_b64 s[10:11], s[94:95], exec
	s_and_b64 s[12:13], s[30:31], exec
	s_or_b64 s[94:95], s[10:11], s[12:13]
	s_andn2_b64 s[6:7], s[6:7], exec
	s_and_b64 s[10:11], s[28:29], exec
	v_mov_b32_e32 v13, v9
	s_or_b64 s[6:7], s[6:7], s[10:11]
	s_and_b64 s[10:11], s[2:3], exec
	v_mov_b32_e32 v12, v8
.LBB45_276:                             ;   in Loop: Header=BB45_16 Depth=1
	s_or_b64 exec, exec, s[46:47]
	s_orn2_b64 s[2:3], s[10:11], exec
.LBB45_277:                             ;   in Loop: Header=BB45_16 Depth=1
	s_or_b64 exec, exec, s[88:89]
	s_mov_b64 s[10:11], 0
	s_and_saveexec_b64 s[12:13], s[2:3]
	s_xor_b64 s[2:3], exec, s[12:13]
	s_cbranch_execz .LBB45_14
; %bb.278:                              ;   in Loop: Header=BB45_16 Depth=1
	v_and_b32_e32 v2, 7, v36
	v_cmp_eq_u32_e32 vcc, 0, v2
	s_mov_b64 s[12:13], -1
	s_mov_b64 s[10:11], -1
	s_and_saveexec_b64 s[14:15], vcc
	s_cbranch_execz .LBB45_13
; %bb.279:                              ;   in Loop: Header=BB45_16 Depth=1
	s_xor_b32 s58, s58, 1
	s_add_i32 s22, s9, -2
	s_cmp_eq_u32 s9, 0
	s_cselect_b64 s[12:13], -1, 0
	s_xor_b64 s[10:11], exec, -1
	s_orn2_b64 s[12:13], s[12:13], exec
	s_mov_b32 s9, s22
	s_branch .LBB45_13
.LBB45_280:                             ;   in Loop: Header=BB45_16 Depth=1
                                        ; implicit-def: $sgpr2_sgpr3
	s_branch .LBB45_231
.LBB45_281:                             ;   in Loop: Header=BB45_16 Depth=1
                                        ; implicit-def: $sgpr2_sgpr3
	s_branch .LBB45_248
.LBB45_282:
	s_or_b64 exec, exec, s[74:75]
	s_xor_b64 s[6:7], s[80:81], -1
	s_xor_b64 s[0:1], s[76:77], -1
	;; [unrolled: 1-line block ×3, first 2 shown]
	s_mov_b64 s[2:3], 0
	s_and_saveexec_b64 s[4:5], s[0:1]
	s_xor_b64 s[4:5], exec, s[4:5]
	s_cbranch_execnz .LBB45_287
; %bb.283:
	s_andn2_saveexec_b64 s[0:1], s[4:5]
	s_cbranch_execnz .LBB45_312
.LBB45_284:
	s_or_b64 exec, exec, s[0:1]
	s_and_saveexec_b64 s[0:1], s[2:3]
.LBB45_285:
	; divergent unreachable
.LBB45_286:
	s_endpgm
.LBB45_287:
	s_and_saveexec_b64 s[0:1], s[6:7]
	s_xor_b64 s[6:7], exec, s[0:1]
	s_cbranch_execz .LBB45_310
; %bb.288:
	s_and_saveexec_b64 s[0:1], s[8:9]
	s_xor_b64 s[2:3], exec, s[0:1]
; %bb.289:
	v_lshrrev_b32_e32 v2, 31, v31
	v_add_co_u32_e32 v2, vcc, -1, v2
	v_addc_co_u32_e64 v3, s[0:1], 0, -1, vcc
	v_or_b32_e32 v3, 0x80000000, v3
	v_xor_b32_e32 v7, v3, v31
	v_xor_b32_e32 v6, v2, v30
; %bb.290:
	s_or_b64 exec, exec, s[2:3]
	s_mov_b64 s[2:3], exec
	v_readlane_b32 s0, v59, 12
	v_readlane_b32 s1, v59, 13
	s_and_b64 s[0:1], s[2:3], s[0:1]
	s_mov_b64 exec, s[0:1]
; %bb.291:
	v_mov_b32_e32 v2, 0
	v_mov_b32_e32 v3, s20
	ds_write_b32 v2, v3 offset:5140
; %bb.292:
	s_or_b64 exec, exec, s[2:3]
	s_waitcnt lgkmcnt(0)
	s_barrier
	s_mov_b64 s[8:9], exec
	v_readlane_b32 s0, v59, 26
	v_readlane_b32 s1, v59, 27
	s_and_b64 s[0:1], s[8:9], s[0:1]
	s_mov_b64 exec, s[0:1]
	s_cbranch_execz .LBB45_307
; %bb.293:
	v_cmp_u_f64_e32 vcc, v[6:7], v[6:7]
	v_mov_b32_e32 v2, 0
	ds_read_b32 v4, v2 offset:5140
	s_mov_b64 s[10:11], 0
                                        ; implicit-def: $sgpr14_sgpr15
                                        ; implicit-def: $sgpr16_sgpr17
                                        ; implicit-def: $sgpr18_sgpr19
	s_waitcnt lgkmcnt(0)
	v_ashrrev_i32_e32 v5, 31, v4
	s_xor_b64 s[12:13], vcc, -1
	s_branch .LBB45_296
.LBB45_294:                             ;   in Loop: Header=BB45_296 Depth=1
	s_or_b64 exec, exec, s[28:29]
	s_andn2_b64 s[0:1], s[18:19], exec
	s_and_b64 s[2:3], s[24:25], exec
	s_or_b64 s[18:19], s[0:1], s[2:3]
	s_andn2_b64 s[0:1], s[16:17], exec
	s_and_b64 s[2:3], s[26:27], exec
	s_or_b64 s[16:17], s[0:1], s[2:3]
.LBB45_295:                             ;   in Loop: Header=BB45_296 Depth=1
	s_or_b64 exec, exec, s[22:23]
	s_and_b64 s[0:1], exec, s[16:17]
	s_or_b64 s[10:11], s[0:1], s[10:11]
	s_andn2_b64 s[0:1], s[14:15], exec
	s_and_b64 s[2:3], s[18:19], exec
	s_or_b64 s[14:15], s[0:1], s[2:3]
	s_andn2_b64 exec, exec, s[10:11]
	s_cbranch_execz .LBB45_302
.LBB45_296:                             ; =>This Inner Loop Header: Depth=1
	v_mov_b32_e32 v3, v1
	v_mov_b32_e32 v2, v0
	v_cmp_lt_i64_e32 vcc, v[2:3], v[4:5]
	s_or_b64 s[18:19], s[18:19], exec
	s_or_b64 s[16:17], s[16:17], exec
                                        ; implicit-def: $vgpr0_vgpr1
	s_and_saveexec_b64 s[22:23], vcc
	s_cbranch_execz .LBB45_295
; %bb.297:                              ;   in Loop: Header=BB45_296 Depth=1
	global_load_dwordx2 v[0:1], v[16:17], off
	s_mov_b64 s[26:27], -1
	s_mov_b64 s[24:25], 0
	s_waitcnt vmcnt(0)
	v_cmp_o_f64_e32 vcc, v[0:1], v[0:1]
	v_cmp_neq_f64_e64 s[2:3], v[0:1], v[6:7]
                                        ; implicit-def: $vgpr0_vgpr1
	s_or_b64 s[0:1], vcc, s[12:13]
	s_and_b64 s[0:1], s[2:3], s[0:1]
	s_and_saveexec_b64 s[28:29], s[0:1]
	s_cbranch_execz .LBB45_294
; %bb.298:                              ;   in Loop: Header=BB45_296 Depth=1
	v_add_co_u32_e32 v0, vcc, s33, v2
	v_addc_co_u32_e32 v1, vcc, 0, v3, vcc
	v_cmp_le_i64_e32 vcc, s[20:21], v[0:1]
	v_mov_b32_e32 v3, s53
	v_add_co_u32_e64 v16, s[2:3], s52, v16
	s_mov_b64 s[24:25], exec
	v_addc_co_u32_e64 v17, s[2:3], v17, v3, s[2:3]
	s_orn2_b64 s[26:27], vcc, exec
	s_branch .LBB45_294
.LBB45_299:
                                        ; implicit-def: $sgpr16_sgpr17
	s_branch .LBB45_3
.LBB45_300:
                                        ; implicit-def: $sgpr0_sgpr1
                                        ; kill: killed $sgpr0_sgpr1
	s_branch .LBB45_6
.LBB45_301:
                                        ; implicit-def: $sgpr10_sgpr11
                                        ; kill: killed $sgpr10_sgpr11
	s_load_dwordx2 s[24:25], s[4:5], 0x0
	s_branch .LBB45_9
.LBB45_302:
	s_or_b64 exec, exec, s[10:11]
	s_xor_b64 s[0:1], s[14:15], -1
	s_and_saveexec_b64 s[2:3], s[0:1]
	s_xor_b64 s[2:3], exec, s[2:3]
	s_cbranch_execz .LBB45_307
; %bb.303:
	s_mov_b64 s[2:3], exec
	s_brev_b32 s0, -2
.LBB45_304:                             ; =>This Inner Loop Header: Depth=1
	s_ff1_i32_b64 s1, s[2:3]
	v_readlane_b32 s12, v2, s1
	s_lshl_b64 s[10:11], 1, s1
	s_min_i32 s0, s0, s12
	s_andn2_b64 s[2:3], s[2:3], s[10:11]
	s_cmp_lg_u64 s[2:3], 0
	s_cbranch_scc1 .LBB45_304
; %bb.305:
	v_mbcnt_lo_u32_b32 v0, exec_lo, 0
	v_mbcnt_hi_u32_b32 v0, exec_hi, v0
	v_cmp_eq_u32_e32 vcc, 0, v0
	s_and_saveexec_b64 s[2:3], vcc
	s_xor_b64 s[2:3], exec, s[2:3]
; %bb.306:
	v_mov_b32_e32 v0, 0
	v_mov_b32_e32 v1, s0
	ds_min_i32 v0, v1 offset:5140
.LBB45_307:
	s_or_b64 exec, exec, s[8:9]
	s_waitcnt lgkmcnt(0)
	s_barrier
	s_mov_b64 s[2:3], exec
	v_readlane_b32 s0, v59, 12
	v_readlane_b32 s1, v59, 13
	s_and_b64 s[0:1], s[2:3], s[0:1]
	s_mov_b64 exec, s[0:1]
	s_cbranch_execz .LBB45_309
; %bb.308:
	v_readlane_b32 s8, v59, 0
	v_readlane_b32 s9, v59, 1
	;; [unrolled: 1-line block ×4, first 2 shown]
	s_mul_i32 s0, s10, s9
	s_mul_hi_u32 s1, s10, s8
	s_add_i32 s0, s1, s0
	s_mul_i32 s1, s11, s8
	s_add_i32 s0, s0, s1
	s_mul_i32 s1, s10, s8
	v_readlane_b32 s12, v59, 18
	s_sub_u32 s8, s66, s1
	v_readlane_b32 s14, v59, 20
	v_readlane_b32 s15, v59, 21
	s_subb_u32 s0, 0, s0
	s_mul_i32 s1, s8, s15
	s_mul_hi_u32 s9, s8, s14
	v_readlane_b32 s13, v59, 19
	s_add_i32 s1, s9, s1
	s_mul_i32 s0, s0, s14
	s_add_i32 s1, s1, s0
	s_mul_i32 s0, s8, s14
	s_mul_i32 s8, s10, s13
	s_mul_hi_u32 s9, s10, s12
	s_add_i32 s8, s9, s8
	s_mul_i32 s9, s11, s12
	s_add_i32 s9, s8, s9
	s_mul_i32 s8, s10, s12
	v_readlane_b32 s12, v59, 2
	v_readlane_b32 s13, v59, 3
	;; [unrolled: 1-line block ×4, first 2 shown]
	s_mul_i32 s10, s14, s13
	s_mul_hi_u32 s11, s14, s12
	s_add_i32 s10, s11, s10
	s_mul_i32 s11, s15, s12
	s_add_i32 s10, s10, s11
	s_mul_i32 s11, s14, s12
	v_readlane_b32 s16, v59, 14
	s_sub_u32 s12, s66, s11
	v_readlane_b32 s18, v59, 16
	v_readlane_b32 s19, v59, 17
	s_subb_u32 s10, 0, s10
	s_mul_i32 s11, s12, s19
	s_mul_hi_u32 s13, s12, s18
	v_readlane_b32 s17, v59, 15
	s_add_i32 s11, s13, s11
	s_mul_i32 s10, s10, s18
	s_add_i32 s11, s11, s10
	s_mul_i32 s10, s12, s18
	s_mul_i32 s12, s14, s17
	s_mul_hi_u32 s13, s14, s16
	s_add_i32 s12, s13, s12
	s_mul_i32 s13, s15, s16
	s_add_i32 s13, s12, s13
	s_mul_i32 s12, s14, s16
	s_lshl_b64 s[8:9], s[8:9], 3
	v_readlane_b32 s14, v59, 10
	v_readlane_b32 s15, v59, 11
	s_add_u32 s8, s14, s8
	s_addc_u32 s9, s15, s9
	s_lshl_b64 s[0:1], s[0:1], 3
	v_mov_b32_e32 v2, 0
	s_add_u32 s0, s8, s0
	ds_read_b32 v0, v2 offset:5140
	s_addc_u32 s1, s9, s1
	s_lshl_b64 s[8:9], s[12:13], 3
	v_readlane_b32 s12, v59, 8
	v_readlane_b32 s13, v59, 9
	s_add_u32 s12, s12, s8
	s_addc_u32 s13, s13, s9
	s_lshl_b64 s[8:9], s[10:11], 3
	s_add_u32 s8, s12, s8
	s_addc_u32 s9, s13, s9
	s_waitcnt lgkmcnt(0)
	v_ashrrev_i32_e32 v1, 31, v0
	global_store_dwordx2 v2, v[0:1], s[8:9]
	global_store_dwordx2 v2, v[6:7], s[0:1]
.LBB45_309:
	s_or_b64 exec, exec, s[2:3]
.LBB45_310:
	s_or_saveexec_b64 s[0:1], s[6:7]
	s_mov_b64 s[2:3], 0
	s_xor_b64 exec, exec, s[0:1]
	s_cbranch_execnz .LBB45_313
.LBB45_311:
	s_or_b64 exec, exec, s[0:1]
	s_and_b64 s[2:3], s[2:3], exec
	s_andn2_saveexec_b64 s[0:1], s[4:5]
	s_cbranch_execz .LBB45_284
.LBB45_312:
	s_or_b64 s[2:3], s[2:3], exec
	s_trap 2
	s_or_b64 exec, exec, s[0:1]
	s_and_saveexec_b64 s[0:1], s[2:3]
	s_cbranch_execnz .LBB45_285
	s_branch .LBB45_286
.LBB45_313:
	s_mov_b64 s[2:3], exec
	s_trap 2
	s_branch .LBB45_311
	.section	.rodata,"a",@progbits
	.p2align	6, 0x0
	.amdhsa_kernel _ZN2at6native12_GLOBAL__N_114gatherKthValueIdlLi2EEEvNS_4cuda6detail10TensorInfoIKT_T0_EES8_S8_S8_S8_NS5_IS6_S8_EENS5_IlS8_EE
		.amdhsa_group_segment_fixed_size 5144
		.amdhsa_private_segment_fixed_size 0
		.amdhsa_kernarg_size 1536
		.amdhsa_user_sgpr_count 6
		.amdhsa_user_sgpr_private_segment_buffer 1
		.amdhsa_user_sgpr_dispatch_ptr 0
		.amdhsa_user_sgpr_queue_ptr 0
		.amdhsa_user_sgpr_kernarg_segment_ptr 1
		.amdhsa_user_sgpr_dispatch_id 0
		.amdhsa_user_sgpr_flat_scratch_init 0
		.amdhsa_user_sgpr_private_segment_size 0
		.amdhsa_uses_dynamic_stack 0
		.amdhsa_system_sgpr_private_segment_wavefront_offset 0
		.amdhsa_system_sgpr_workgroup_id_x 1
		.amdhsa_system_sgpr_workgroup_id_y 1
		.amdhsa_system_sgpr_workgroup_id_z 1
		.amdhsa_system_sgpr_workgroup_info 0
		.amdhsa_system_vgpr_workitem_id 0
		.amdhsa_next_free_vgpr 60
		.amdhsa_next_free_sgpr 96
		.amdhsa_reserve_vcc 1
		.amdhsa_reserve_flat_scratch 0
		.amdhsa_float_round_mode_32 0
		.amdhsa_float_round_mode_16_64 0
		.amdhsa_float_denorm_mode_32 3
		.amdhsa_float_denorm_mode_16_64 3
		.amdhsa_dx10_clamp 1
		.amdhsa_ieee_mode 1
		.amdhsa_fp16_overflow 0
		.amdhsa_exception_fp_ieee_invalid_op 0
		.amdhsa_exception_fp_denorm_src 0
		.amdhsa_exception_fp_ieee_div_zero 0
		.amdhsa_exception_fp_ieee_overflow 0
		.amdhsa_exception_fp_ieee_underflow 0
		.amdhsa_exception_fp_ieee_inexact 0
		.amdhsa_exception_int_div_zero 0
	.end_amdhsa_kernel
	.section	.text._ZN2at6native12_GLOBAL__N_114gatherKthValueIdlLi2EEEvNS_4cuda6detail10TensorInfoIKT_T0_EES8_S8_S8_S8_NS5_IS6_S8_EENS5_IlS8_EE,"axG",@progbits,_ZN2at6native12_GLOBAL__N_114gatherKthValueIdlLi2EEEvNS_4cuda6detail10TensorInfoIKT_T0_EES8_S8_S8_S8_NS5_IS6_S8_EENS5_IlS8_EE,comdat
.Lfunc_end45:
	.size	_ZN2at6native12_GLOBAL__N_114gatherKthValueIdlLi2EEEvNS_4cuda6detail10TensorInfoIKT_T0_EES8_S8_S8_S8_NS5_IS6_S8_EENS5_IlS8_EE, .Lfunc_end45-_ZN2at6native12_GLOBAL__N_114gatherKthValueIdlLi2EEEvNS_4cuda6detail10TensorInfoIKT_T0_EES8_S8_S8_S8_NS5_IS6_S8_EENS5_IlS8_EE
                                        ; -- End function
	.set _ZN2at6native12_GLOBAL__N_114gatherKthValueIdlLi2EEEvNS_4cuda6detail10TensorInfoIKT_T0_EES8_S8_S8_S8_NS5_IS6_S8_EENS5_IlS8_EE.num_vgpr, 60
	.set _ZN2at6native12_GLOBAL__N_114gatherKthValueIdlLi2EEEvNS_4cuda6detail10TensorInfoIKT_T0_EES8_S8_S8_S8_NS5_IS6_S8_EENS5_IlS8_EE.num_agpr, 0
	.set _ZN2at6native12_GLOBAL__N_114gatherKthValueIdlLi2EEEvNS_4cuda6detail10TensorInfoIKT_T0_EES8_S8_S8_S8_NS5_IS6_S8_EENS5_IlS8_EE.numbered_sgpr, 96
	.set _ZN2at6native12_GLOBAL__N_114gatherKthValueIdlLi2EEEvNS_4cuda6detail10TensorInfoIKT_T0_EES8_S8_S8_S8_NS5_IS6_S8_EENS5_IlS8_EE.num_named_barrier, 0
	.set _ZN2at6native12_GLOBAL__N_114gatherKthValueIdlLi2EEEvNS_4cuda6detail10TensorInfoIKT_T0_EES8_S8_S8_S8_NS5_IS6_S8_EENS5_IlS8_EE.private_seg_size, 0
	.set _ZN2at6native12_GLOBAL__N_114gatherKthValueIdlLi2EEEvNS_4cuda6detail10TensorInfoIKT_T0_EES8_S8_S8_S8_NS5_IS6_S8_EENS5_IlS8_EE.uses_vcc, 1
	.set _ZN2at6native12_GLOBAL__N_114gatherKthValueIdlLi2EEEvNS_4cuda6detail10TensorInfoIKT_T0_EES8_S8_S8_S8_NS5_IS6_S8_EENS5_IlS8_EE.uses_flat_scratch, 0
	.set _ZN2at6native12_GLOBAL__N_114gatherKthValueIdlLi2EEEvNS_4cuda6detail10TensorInfoIKT_T0_EES8_S8_S8_S8_NS5_IS6_S8_EENS5_IlS8_EE.has_dyn_sized_stack, 0
	.set _ZN2at6native12_GLOBAL__N_114gatherKthValueIdlLi2EEEvNS_4cuda6detail10TensorInfoIKT_T0_EES8_S8_S8_S8_NS5_IS6_S8_EENS5_IlS8_EE.has_recursion, 0
	.set _ZN2at6native12_GLOBAL__N_114gatherKthValueIdlLi2EEEvNS_4cuda6detail10TensorInfoIKT_T0_EES8_S8_S8_S8_NS5_IS6_S8_EENS5_IlS8_EE.has_indirect_call, 0
	.section	.AMDGPU.csdata,"",@progbits
; Kernel info:
; codeLenInByte = 18664
; TotalNumSgprs: 100
; NumVgprs: 60
; ScratchSize: 0
; MemoryBound: 0
; FloatMode: 240
; IeeeMode: 1
; LDSByteSize: 5144 bytes/workgroup (compile time only)
; SGPRBlocks: 12
; VGPRBlocks: 14
; NumSGPRsForWavesPerEU: 100
; NumVGPRsForWavesPerEU: 60
; Occupancy: 4
; WaveLimiterHint : 1
; COMPUTE_PGM_RSRC2:SCRATCH_EN: 0
; COMPUTE_PGM_RSRC2:USER_SGPR: 6
; COMPUTE_PGM_RSRC2:TRAP_HANDLER: 0
; COMPUTE_PGM_RSRC2:TGID_X_EN: 1
; COMPUTE_PGM_RSRC2:TGID_Y_EN: 1
; COMPUTE_PGM_RSRC2:TGID_Z_EN: 1
; COMPUTE_PGM_RSRC2:TIDIG_COMP_CNT: 0
	.section	.text._ZN2at6native12_GLOBAL__N_114gatherKthValueIdlLi3EEEvNS_4cuda6detail10TensorInfoIKT_T0_EES8_S8_S8_S8_NS5_IS6_S8_EENS5_IlS8_EE,"axG",@progbits,_ZN2at6native12_GLOBAL__N_114gatherKthValueIdlLi3EEEvNS_4cuda6detail10TensorInfoIKT_T0_EES8_S8_S8_S8_NS5_IS6_S8_EENS5_IlS8_EE,comdat
	.globl	_ZN2at6native12_GLOBAL__N_114gatherKthValueIdlLi3EEEvNS_4cuda6detail10TensorInfoIKT_T0_EES8_S8_S8_S8_NS5_IS6_S8_EENS5_IlS8_EE ; -- Begin function _ZN2at6native12_GLOBAL__N_114gatherKthValueIdlLi3EEEvNS_4cuda6detail10TensorInfoIKT_T0_EES8_S8_S8_S8_NS5_IS6_S8_EENS5_IlS8_EE
	.p2align	8
	.type	_ZN2at6native12_GLOBAL__N_114gatherKthValueIdlLi3EEEvNS_4cuda6detail10TensorInfoIKT_T0_EES8_S8_S8_S8_NS5_IS6_S8_EENS5_IlS8_EE,@function
_ZN2at6native12_GLOBAL__N_114gatherKthValueIdlLi3EEEvNS_4cuda6detail10TensorInfoIKT_T0_EES8_S8_S8_S8_NS5_IS6_S8_EENS5_IlS8_EE: ; @_ZN2at6native12_GLOBAL__N_114gatherKthValueIdlLi3EEEvNS_4cuda6detail10TensorInfoIKT_T0_EES8_S8_S8_S8_NS5_IS6_S8_EENS5_IlS8_EE
; %bb.0:
	s_load_dwordx2 s[40:41], s[4:5], 0x500
	s_load_dwordx8 s[20:27], s[4:5], 0x1a0
	s_add_u32 s16, s4, 0x500
	s_addc_u32 s17, s5, 0
	s_mov_b32 s49, 0
	s_waitcnt lgkmcnt(0)
	s_mul_i32 s0, s41, s8
	s_add_i32 s0, s0, s7
	s_mul_i32 s0, s0, s40
	s_add_i32 s48, s0, s6
	v_mov_b32_e32 v1, s48
	v_mov_b32_e32 v2, s49
	v_cmp_le_i64_e32 vcc, s[24:25], v[1:2]
	s_cbranch_vccnz .LBB46_303
; %bb.1:
	s_load_dwordx4 s[8:11], s[4:5], 0x10
	s_mov_b32 s0, s49
	s_waitcnt lgkmcnt(0)
	s_mov_b32 s1, s11
	s_cmp_lg_u64 s[0:1], 0
	s_cbranch_scc0 .LBB46_12
; %bb.2:
	s_ashr_i32 s0, s11, 31
	s_add_u32 s2, s10, s0
	s_mov_b32 s1, s0
	s_addc_u32 s3, s11, s0
	s_xor_b64 s[2:3], s[2:3], s[0:1]
	v_cvt_f32_u32_e32 v1, s2
	v_cvt_f32_u32_e32 v2, s3
	s_sub_u32 s7, 0, s2
	s_subb_u32 s18, 0, s3
	v_madmk_f32 v1, v2, 0x4f800000, v1
	v_rcp_f32_e32 v1, v1
	v_mul_f32_e32 v1, 0x5f7ffffc, v1
	v_mul_f32_e32 v2, 0x2f800000, v1
	v_trunc_f32_e32 v2, v2
	v_madmk_f32 v1, v2, 0xcf800000, v1
	v_cvt_u32_f32_e32 v2, v2
	v_cvt_u32_f32_e32 v1, v1
	v_readfirstlane_b32 s19, v2
	v_readfirstlane_b32 s14, v1
	s_mul_i32 s15, s7, s19
	s_mul_hi_u32 s25, s7, s14
	s_mul_i32 s24, s18, s14
	s_add_i32 s15, s25, s15
	s_add_i32 s15, s15, s24
	s_mul_i32 s28, s7, s14
	s_mul_i32 s25, s14, s15
	s_mul_hi_u32 s29, s14, s28
	s_mul_hi_u32 s24, s14, s15
	s_add_u32 s25, s29, s25
	s_addc_u32 s24, 0, s24
	s_mul_hi_u32 s30, s19, s28
	s_mul_i32 s28, s19, s28
	s_add_u32 s25, s25, s28
	s_mul_hi_u32 s29, s19, s15
	s_addc_u32 s24, s24, s30
	s_addc_u32 s25, s29, 0
	s_mul_i32 s15, s19, s15
	s_add_u32 s15, s24, s15
	s_addc_u32 s24, 0, s25
	s_add_u32 s25, s14, s15
	s_cselect_b64 s[14:15], -1, 0
	s_cmp_lg_u64 s[14:15], 0
	s_addc_u32 s19, s19, s24
	s_mul_i32 s14, s7, s19
	s_mul_hi_u32 s15, s7, s25
	s_add_i32 s14, s15, s14
	s_mul_i32 s18, s18, s25
	s_add_i32 s14, s14, s18
	s_mul_i32 s7, s7, s25
	s_mul_hi_u32 s18, s19, s7
	s_mul_i32 s24, s19, s7
	s_mul_i32 s29, s25, s14
	s_mul_hi_u32 s7, s25, s7
	s_mul_hi_u32 s28, s25, s14
	s_add_u32 s7, s7, s29
	s_addc_u32 s28, 0, s28
	s_add_u32 s7, s7, s24
	s_mul_hi_u32 s15, s19, s14
	s_addc_u32 s7, s28, s18
	s_addc_u32 s15, s15, 0
	s_mul_i32 s14, s19, s14
	s_add_u32 s7, s7, s14
	s_addc_u32 s18, 0, s15
	s_add_u32 s7, s25, s7
	s_cselect_b64 s[14:15], -1, 0
	s_cmp_lg_u64 s[14:15], 0
	s_addc_u32 s18, s19, s18
	s_add_u32 s14, s48, 0
	s_addc_u32 s15, 0, 0
	s_xor_b64 s[14:15], s[14:15], 0
	s_mul_i32 s24, s14, s18
	s_mul_hi_u32 s25, s14, s7
	s_mul_hi_u32 s19, s14, s18
	s_add_u32 s24, s25, s24
	s_addc_u32 s19, 0, s19
	s_mul_hi_u32 s28, s15, s7
	s_mul_i32 s7, s15, s7
	s_add_u32 s7, s24, s7
	s_mul_hi_u32 s25, s15, s18
	s_addc_u32 s7, s19, s28
	s_addc_u32 s19, s25, 0
	s_mul_i32 s18, s15, s18
	s_add_u32 s7, s7, s18
	s_addc_u32 s28, 0, s19
	s_mul_i32 s18, s2, s28
	s_mul_hi_u32 s19, s2, s7
	s_add_i32 s18, s19, s18
	s_mul_i32 s19, s3, s7
	s_add_i32 s29, s18, s19
	s_sub_i32 s24, s15, s29
	s_mul_i32 s18, s2, s7
	s_sub_u32 s14, s14, s18
	s_cselect_b64 s[18:19], -1, 0
	s_cmp_lg_u64 s[18:19], 0
	s_subb_u32 s30, s24, s3
	s_sub_u32 s31, s14, s2
	s_cselect_b64 s[24:25], -1, 0
	s_cmp_lg_u64 s[24:25], 0
	s_subb_u32 s24, s30, 0
	s_cmp_ge_u32 s24, s3
	s_cselect_b32 s25, -1, 0
	s_cmp_ge_u32 s31, s2
	s_cselect_b32 s30, -1, 0
	s_cmp_eq_u32 s24, s3
	s_cselect_b32 s24, s30, s25
	s_add_u32 s25, s7, 1
	s_addc_u32 s30, s28, 0
	s_add_u32 s31, s7, 2
	s_addc_u32 s33, s28, 0
	s_cmp_lg_u32 s24, 0
	s_cselect_b32 s24, s31, s25
	s_cselect_b32 s25, s33, s30
	s_cmp_lg_u64 s[18:19], 0
	s_subb_u32 s15, s15, s29
	s_cmp_ge_u32 s15, s3
	s_cselect_b32 s18, -1, 0
	s_cmp_ge_u32 s14, s2
	s_cselect_b32 s2, -1, 0
	s_cmp_eq_u32 s15, s3
	s_cselect_b32 s2, s2, s18
	s_cmp_lg_u32 s2, 0
	s_cselect_b32 s3, s25, s28
	s_cselect_b32 s2, s24, s7
	s_xor_b64 s[0:1], 0, s[0:1]
	s_xor_b64 s[2:3], s[2:3], s[0:1]
	s_sub_u32 s2, s2, s0
	s_subb_u32 s3, s3, s1
	s_cbranch_execnz .LBB46_4
.LBB46_3:
	v_cvt_f32_u32_e32 v1, s10
	s_sub_i32 s0, 0, s10
	s_mov_b32 s3, 0
	v_rcp_iflag_f32_e32 v1, v1
	v_mul_f32_e32 v1, 0x4f7ffffe, v1
	v_cvt_u32_f32_e32 v1, v1
	v_readfirstlane_b32 s1, v1
	s_mul_i32 s0, s0, s1
	s_mul_hi_u32 s0, s1, s0
	s_add_i32 s1, s1, s0
	s_mul_hi_u32 s0, s48, s1
	s_mul_i32 s2, s0, s10
	s_sub_i32 s2, s48, s2
	s_add_i32 s1, s0, 1
	s_sub_i32 s7, s2, s10
	s_cmp_ge_u32 s2, s10
	s_cselect_b32 s0, s1, s0
	s_cselect_b32 s2, s7, s2
	s_add_i32 s1, s0, 1
	s_cmp_ge_u32 s2, s10
	s_cselect_b32 s2, s1, s0
.LBB46_4:
	s_or_b64 s[0:1], s[2:3], s[8:9]
	s_mov_b32 s0, 0
	s_cmp_lg_u64 s[0:1], 0
	s_cbranch_scc0 .LBB46_13
; %bb.5:
	s_ashr_i32 s12, s9, 31
	s_add_u32 s0, s8, s12
	s_mov_b32 s13, s12
	s_addc_u32 s1, s9, s12
	s_xor_b64 s[14:15], s[0:1], s[12:13]
	v_cvt_f32_u32_e32 v1, s14
	v_cvt_f32_u32_e32 v2, s15
	s_sub_u32 s7, 0, s14
	s_subb_u32 s24, 0, s15
	v_madmk_f32 v1, v2, 0x4f800000, v1
	v_rcp_f32_e32 v1, v1
	v_mul_f32_e32 v1, 0x5f7ffffc, v1
	v_mul_f32_e32 v2, 0x2f800000, v1
	v_trunc_f32_e32 v2, v2
	v_madmk_f32 v1, v2, 0xcf800000, v1
	v_cvt_u32_f32_e32 v2, v2
	v_cvt_u32_f32_e32 v1, v1
	v_readfirstlane_b32 s25, v2
	v_readfirstlane_b32 s18, v1
	s_mul_i32 s19, s7, s25
	s_mul_hi_u32 s29, s7, s18
	s_mul_i32 s28, s24, s18
	s_add_i32 s19, s29, s19
	s_add_i32 s19, s19, s28
	s_mul_i32 s30, s7, s18
	s_mul_i32 s29, s18, s19
	s_mul_hi_u32 s31, s18, s30
	s_mul_hi_u32 s28, s18, s19
	s_add_u32 s29, s31, s29
	s_addc_u32 s28, 0, s28
	s_mul_hi_u32 s33, s25, s30
	s_mul_i32 s30, s25, s30
	s_add_u32 s29, s29, s30
	s_mul_hi_u32 s31, s25, s19
	s_addc_u32 s28, s28, s33
	s_addc_u32 s29, s31, 0
	s_mul_i32 s19, s25, s19
	s_add_u32 s19, s28, s19
	s_addc_u32 s28, 0, s29
	s_add_u32 s29, s18, s19
	s_cselect_b64 s[18:19], -1, 0
	s_cmp_lg_u64 s[18:19], 0
	s_addc_u32 s25, s25, s28
	s_mul_i32 s18, s7, s25
	s_mul_hi_u32 s19, s7, s29
	s_add_i32 s18, s19, s18
	s_mul_i32 s24, s24, s29
	s_add_i32 s18, s18, s24
	s_mul_i32 s7, s7, s29
	s_mul_hi_u32 s24, s25, s7
	s_mul_i32 s28, s25, s7
	s_mul_i32 s31, s29, s18
	s_mul_hi_u32 s7, s29, s7
	s_mul_hi_u32 s30, s29, s18
	s_add_u32 s7, s7, s31
	s_addc_u32 s30, 0, s30
	s_add_u32 s7, s7, s28
	s_mul_hi_u32 s19, s25, s18
	s_addc_u32 s7, s30, s24
	s_addc_u32 s19, s19, 0
	s_mul_i32 s18, s25, s18
	s_add_u32 s7, s7, s18
	s_addc_u32 s24, 0, s19
	s_add_u32 s7, s29, s7
	s_cselect_b64 s[18:19], -1, 0
	s_cmp_lg_u64 s[18:19], 0
	s_addc_u32 s28, s25, s24
	s_ashr_i32 s18, s3, 31
	s_add_u32 s24, s2, s18
	s_mov_b32 s19, s18
	s_addc_u32 s25, s3, s18
	s_xor_b64 s[24:25], s[24:25], s[18:19]
	s_mul_i32 s30, s24, s28
	s_mul_hi_u32 s31, s24, s7
	s_mul_hi_u32 s29, s24, s28
	s_add_u32 s30, s31, s30
	s_addc_u32 s29, 0, s29
	s_mul_hi_u32 s33, s25, s7
	s_mul_i32 s7, s25, s7
	s_add_u32 s7, s30, s7
	s_mul_hi_u32 s31, s25, s28
	s_addc_u32 s7, s29, s33
	s_addc_u32 s29, s31, 0
	s_mul_i32 s28, s25, s28
	s_add_u32 s7, s7, s28
	s_addc_u32 s33, 0, s29
	s_mul_i32 s28, s14, s33
	s_mul_hi_u32 s29, s14, s7
	s_add_i32 s28, s29, s28
	s_mul_i32 s29, s15, s7
	s_add_i32 s34, s28, s29
	s_sub_i32 s30, s25, s34
	s_mul_i32 s28, s14, s7
	s_sub_u32 s24, s24, s28
	s_cselect_b64 s[28:29], -1, 0
	s_cmp_lg_u64 s[28:29], 0
	s_subb_u32 s35, s30, s15
	s_sub_u32 s36, s24, s14
	s_cselect_b64 s[30:31], -1, 0
	s_cmp_lg_u64 s[30:31], 0
	s_subb_u32 s30, s35, 0
	s_cmp_ge_u32 s30, s15
	s_cselect_b32 s31, -1, 0
	s_cmp_ge_u32 s36, s14
	s_cselect_b32 s35, -1, 0
	s_cmp_eq_u32 s30, s15
	s_cselect_b32 s30, s35, s31
	s_add_u32 s31, s7, 1
	s_addc_u32 s35, s33, 0
	s_add_u32 s36, s7, 2
	s_addc_u32 s37, s33, 0
	s_cmp_lg_u32 s30, 0
	s_cselect_b32 s30, s36, s31
	s_cselect_b32 s31, s37, s35
	s_cmp_lg_u64 s[28:29], 0
	s_subb_u32 s25, s25, s34
	s_cmp_ge_u32 s25, s15
	s_cselect_b32 s28, -1, 0
	s_cmp_ge_u32 s24, s14
	s_cselect_b32 s14, -1, 0
	s_cmp_eq_u32 s25, s15
	s_cselect_b32 s14, s14, s28
	s_cmp_lg_u32 s14, 0
	s_cselect_b32 s15, s31, s33
	s_cselect_b32 s14, s30, s7
	s_xor_b64 s[12:13], s[18:19], s[12:13]
	s_xor_b64 s[14:15], s[14:15], s[12:13]
	s_sub_u32 s18, s14, s12
	s_subb_u32 s19, s15, s13
	s_load_dwordx4 s[28:31], s[4:5], 0x1d0
	s_cbranch_execnz .LBB46_7
.LBB46_6:
	v_cvt_f32_u32_e32 v1, s8
	s_sub_i32 s0, 0, s8
	s_mov_b32 s19, 0
	v_rcp_iflag_f32_e32 v1, v1
	v_mul_f32_e32 v1, 0x4f7ffffe, v1
	v_cvt_u32_f32_e32 v1, v1
	v_readfirstlane_b32 s1, v1
	s_mul_i32 s0, s0, s1
	s_mul_hi_u32 s0, s1, s0
	s_add_i32 s1, s1, s0
	s_mul_hi_u32 s0, s2, s1
	s_mul_i32 s7, s0, s8
	s_sub_i32 s7, s2, s7
	s_add_i32 s1, s0, 1
	s_sub_i32 s12, s7, s8
	s_cmp_ge_u32 s7, s8
	s_cselect_b32 s0, s1, s0
	s_cselect_b32 s7, s12, s7
	s_add_i32 s1, s0, 1
	s_cmp_ge_u32 s7, s8
	s_cselect_b32 s18, s1, s0
.LBB46_7:
                                        ; implicit-def: $vgpr57 : SGPR spill to VGPR lane
	s_waitcnt lgkmcnt(0)
	s_mov_b32 s1, s31
	v_writelane_b32 v57, s28, 0
	s_mov_b32 s0, 0
	v_writelane_b32 v57, s29, 1
	s_cmp_lg_u64 s[0:1], 0
	v_writelane_b32 v57, s30, 2
	v_writelane_b32 v57, s31, 3
	s_cbranch_scc0 .LBB46_14
; %bb.8:
	s_ashr_i32 s0, s31, 31
	s_add_u32 s12, s30, s0
	s_mov_b32 s1, s0
	s_addc_u32 s13, s31, s0
	s_xor_b64 s[14:15], s[12:13], s[0:1]
	v_cvt_f32_u32_e32 v1, s14
	v_cvt_f32_u32_e32 v2, s15
	s_sub_u32 s7, 0, s14
	s_subb_u32 s28, 0, s15
	v_madmk_f32 v1, v2, 0x4f800000, v1
	v_rcp_f32_e32 v1, v1
	v_mul_f32_e32 v1, 0x5f7ffffc, v1
	v_mul_f32_e32 v2, 0x2f800000, v1
	v_trunc_f32_e32 v2, v2
	v_madmk_f32 v1, v2, 0xcf800000, v1
	v_cvt_u32_f32_e32 v2, v2
	v_cvt_u32_f32_e32 v1, v1
	v_readfirstlane_b32 s29, v2
	v_readfirstlane_b32 s24, v1
	s_mul_i32 s25, s7, s29
	s_mul_hi_u32 s31, s7, s24
	s_mul_i32 s30, s28, s24
	s_add_i32 s25, s31, s25
	s_add_i32 s25, s25, s30
	s_mul_i32 s33, s7, s24
	s_mul_i32 s31, s24, s25
	s_mul_hi_u32 s34, s24, s33
	s_mul_hi_u32 s30, s24, s25
	s_add_u32 s31, s34, s31
	s_addc_u32 s30, 0, s30
	s_mul_hi_u32 s35, s29, s33
	s_mul_i32 s33, s29, s33
	s_add_u32 s31, s31, s33
	s_mul_hi_u32 s34, s29, s25
	s_addc_u32 s30, s30, s35
	s_addc_u32 s31, s34, 0
	s_mul_i32 s25, s29, s25
	s_add_u32 s25, s30, s25
	s_addc_u32 s30, 0, s31
	s_add_u32 s31, s24, s25
	s_cselect_b64 s[24:25], -1, 0
	s_cmp_lg_u64 s[24:25], 0
	s_addc_u32 s29, s29, s30
	s_mul_i32 s24, s7, s29
	s_mul_hi_u32 s25, s7, s31
	s_add_i32 s24, s25, s24
	s_mul_i32 s28, s28, s31
	s_add_i32 s24, s24, s28
	s_mul_i32 s7, s7, s31
	s_mul_hi_u32 s28, s29, s7
	s_mul_i32 s30, s29, s7
	s_mul_i32 s34, s31, s24
	s_mul_hi_u32 s7, s31, s7
	s_mul_hi_u32 s33, s31, s24
	s_add_u32 s7, s7, s34
	s_addc_u32 s33, 0, s33
	s_add_u32 s7, s7, s30
	s_mul_hi_u32 s25, s29, s24
	s_addc_u32 s7, s33, s28
	s_addc_u32 s25, s25, 0
	s_mul_i32 s24, s29, s24
	s_add_u32 s7, s7, s24
	s_addc_u32 s28, 0, s25
	s_add_u32 s7, s31, s7
	s_cselect_b64 s[24:25], -1, 0
	s_cmp_lg_u64 s[24:25], 0
	s_addc_u32 s28, s29, s28
	s_add_u32 s24, s48, 0
	s_addc_u32 s25, 0, 0
	s_xor_b64 s[24:25], s[24:25], 0
	s_mul_i32 s30, s24, s28
	s_mul_hi_u32 s31, s24, s7
	s_mul_hi_u32 s29, s24, s28
	s_add_u32 s30, s31, s30
	s_addc_u32 s29, 0, s29
	s_mul_hi_u32 s33, s25, s7
	s_mul_i32 s7, s25, s7
	s_add_u32 s7, s30, s7
	s_mul_hi_u32 s31, s25, s28
	s_addc_u32 s7, s29, s33
	s_addc_u32 s29, s31, 0
	s_mul_i32 s28, s25, s28
	s_add_u32 s7, s7, s28
	s_addc_u32 s33, 0, s29
	s_mul_i32 s28, s14, s33
	s_mul_hi_u32 s29, s14, s7
	s_add_i32 s28, s29, s28
	s_mul_i32 s29, s15, s7
	s_add_i32 s34, s28, s29
	s_sub_i32 s30, s25, s34
	s_mul_i32 s28, s14, s7
	s_sub_u32 s24, s24, s28
	s_cselect_b64 s[28:29], -1, 0
	s_cmp_lg_u64 s[28:29], 0
	s_subb_u32 s35, s30, s15
	s_sub_u32 s36, s24, s14
	s_cselect_b64 s[30:31], -1, 0
	s_cmp_lg_u64 s[30:31], 0
	s_subb_u32 s30, s35, 0
	s_cmp_ge_u32 s30, s15
	s_cselect_b32 s31, -1, 0
	s_cmp_ge_u32 s36, s14
	s_cselect_b32 s35, -1, 0
	s_cmp_eq_u32 s30, s15
	s_cselect_b32 s30, s35, s31
	s_add_u32 s31, s7, 1
	s_addc_u32 s35, s33, 0
	s_add_u32 s36, s7, 2
	s_addc_u32 s37, s33, 0
	s_cmp_lg_u32 s30, 0
	s_cselect_b32 s30, s36, s31
	s_cselect_b32 s31, s37, s35
	s_cmp_lg_u64 s[28:29], 0
	s_subb_u32 s25, s25, s34
	s_cmp_ge_u32 s25, s15
	s_cselect_b32 s28, -1, 0
	s_cmp_ge_u32 s24, s14
	s_cselect_b32 s14, -1, 0
	s_cmp_eq_u32 s25, s15
	s_cselect_b32 s14, s14, s28
	s_cmp_lg_u32 s14, 0
	s_cselect_b32 s15, s31, s33
	s_cselect_b32 s14, s30, s7
	s_load_dwordx4 s[28:31], s[4:5], 0x1d0
	s_xor_b64 s[0:1], 0, s[0:1]
	s_xor_b64 s[14:15], s[14:15], s[0:1]
	s_sub_u32 s50, s14, s0
	s_subb_u32 s51, s15, s1
	s_cbranch_execnz .LBB46_10
.LBB46_9:
	s_waitcnt lgkmcnt(0)
	v_cvt_f32_u32_e32 v1, s30
	s_sub_i32 s0, 0, s30
	s_mov_b32 s51, 0
	v_rcp_iflag_f32_e32 v1, v1
	v_mul_f32_e32 v1, 0x4f7ffffe, v1
	v_cvt_u32_f32_e32 v1, v1
	v_readfirstlane_b32 s1, v1
	s_mul_i32 s0, s0, s1
	s_mul_hi_u32 s0, s1, s0
	s_add_i32 s1, s1, s0
	s_mul_hi_u32 s0, s48, s1
	s_mul_i32 s7, s0, s30
	s_sub_i32 s7, s48, s7
	s_add_i32 s1, s0, 1
	s_sub_i32 s12, s7, s30
	s_cmp_ge_u32 s7, s30
	s_cselect_b32 s0, s1, s0
	s_cselect_b32 s7, s12, s7
	s_add_i32 s1, s0, 1
	s_cmp_ge_u32 s7, s30
	s_cselect_b32 s50, s1, s0
.LBB46_10:
	s_waitcnt lgkmcnt(0)
	s_or_b64 s[0:1], s[50:51], s[28:29]
	s_mov_b32 s0, 0
	s_cmp_lg_u64 s[0:1], 0
	s_cbranch_scc0 .LBB46_15
; %bb.11:
	s_ashr_i32 s12, s29, 31
	s_add_u32 s0, s28, s12
	s_mov_b32 s13, s12
	s_addc_u32 s1, s29, s12
	s_xor_b64 s[14:15], s[0:1], s[12:13]
	v_cvt_f32_u32_e32 v1, s14
	v_cvt_f32_u32_e32 v2, s15
	s_sub_u32 s7, 0, s14
	s_subb_u32 s28, 0, s15
	s_mov_b64 s[0:1], 0
	v_madmk_f32 v1, v2, 0x4f800000, v1
	v_rcp_f32_e32 v1, v1
	v_mul_f32_e32 v1, 0x5f7ffffc, v1
	v_mul_f32_e32 v2, 0x2f800000, v1
	v_trunc_f32_e32 v2, v2
	v_madmk_f32 v1, v2, 0xcf800000, v1
	v_cvt_u32_f32_e32 v2, v2
	v_cvt_u32_f32_e32 v1, v1
	v_readfirstlane_b32 s29, v2
	v_readfirstlane_b32 s24, v1
	s_mul_i32 s25, s7, s29
	s_mul_hi_u32 s31, s7, s24
	s_mul_i32 s30, s28, s24
	s_add_i32 s25, s31, s25
	s_add_i32 s25, s25, s30
	s_mul_i32 s33, s7, s24
	s_mul_i32 s31, s24, s25
	s_mul_hi_u32 s34, s24, s33
	s_mul_hi_u32 s30, s24, s25
	s_add_u32 s31, s34, s31
	s_addc_u32 s30, 0, s30
	s_mul_hi_u32 s35, s29, s33
	s_mul_i32 s33, s29, s33
	s_add_u32 s31, s31, s33
	s_mul_hi_u32 s34, s29, s25
	s_addc_u32 s30, s30, s35
	s_addc_u32 s31, s34, 0
	s_mul_i32 s25, s29, s25
	s_add_u32 s25, s30, s25
	s_addc_u32 s30, 0, s31
	s_add_u32 s31, s24, s25
	s_cselect_b64 s[24:25], -1, 0
	s_cmp_lg_u64 s[24:25], 0
	s_addc_u32 s29, s29, s30
	s_mul_i32 s24, s7, s29
	s_mul_hi_u32 s25, s7, s31
	s_add_i32 s24, s25, s24
	s_mul_i32 s28, s28, s31
	s_add_i32 s24, s24, s28
	s_mul_i32 s7, s7, s31
	s_mul_hi_u32 s28, s29, s7
	s_mul_i32 s30, s29, s7
	s_mul_i32 s34, s31, s24
	s_mul_hi_u32 s7, s31, s7
	s_mul_hi_u32 s33, s31, s24
	s_add_u32 s7, s7, s34
	s_addc_u32 s33, 0, s33
	s_add_u32 s7, s7, s30
	s_mul_hi_u32 s25, s29, s24
	s_addc_u32 s7, s33, s28
	s_addc_u32 s25, s25, 0
	s_mul_i32 s24, s29, s24
	s_add_u32 s7, s7, s24
	s_addc_u32 s28, 0, s25
	s_add_u32 s7, s31, s7
	s_cselect_b64 s[24:25], -1, 0
	s_cmp_lg_u64 s[24:25], 0
	s_addc_u32 s30, s29, s28
	s_ashr_i32 s24, s51, 31
	s_add_u32 s28, s50, s24
	s_mov_b32 s25, s24
	s_addc_u32 s29, s51, s24
	s_xor_b64 s[28:29], s[28:29], s[24:25]
	s_mul_i32 s33, s28, s30
	s_mul_hi_u32 s34, s28, s7
	s_mul_hi_u32 s31, s28, s30
	s_add_u32 s33, s34, s33
	s_addc_u32 s31, 0, s31
	s_mul_hi_u32 s35, s29, s7
	s_mul_i32 s7, s29, s7
	s_add_u32 s7, s33, s7
	s_mul_hi_u32 s34, s29, s30
	s_addc_u32 s7, s31, s35
	s_addc_u32 s31, s34, 0
	s_mul_i32 s30, s29, s30
	s_add_u32 s7, s7, s30
	s_addc_u32 s33, 0, s31
	s_mul_i32 s30, s14, s33
	s_mul_hi_u32 s31, s14, s7
	s_add_i32 s30, s31, s30
	s_mul_i32 s31, s15, s7
	s_add_i32 s36, s30, s31
	s_sub_i32 s34, s29, s36
	s_mul_i32 s30, s14, s7
	s_sub_u32 s28, s28, s30
	s_cselect_b64 s[30:31], -1, 0
	s_cmp_lg_u64 s[30:31], 0
	s_subb_u32 s37, s34, s15
	s_sub_u32 s38, s28, s14
	s_cselect_b64 s[34:35], -1, 0
	s_cmp_lg_u64 s[34:35], 0
	s_subb_u32 s34, s37, 0
	s_cmp_ge_u32 s34, s15
	s_cselect_b32 s35, -1, 0
	s_cmp_ge_u32 s38, s14
	s_cselect_b32 s37, -1, 0
	s_cmp_eq_u32 s34, s15
	s_cselect_b32 s34, s37, s35
	s_add_u32 s35, s7, 1
	s_addc_u32 s37, s33, 0
	s_add_u32 s38, s7, 2
	s_addc_u32 s39, s33, 0
	s_cmp_lg_u32 s34, 0
	s_cselect_b32 s34, s38, s35
	s_cselect_b32 s35, s39, s37
	s_cmp_lg_u64 s[30:31], 0
	s_subb_u32 s29, s29, s36
	s_cmp_ge_u32 s29, s15
	s_cselect_b32 s30, -1, 0
	s_cmp_ge_u32 s28, s14
	s_cselect_b32 s14, -1, 0
	s_cmp_eq_u32 s29, s15
	s_cselect_b32 s14, s14, s30
	s_load_dwordx4 s[28:31], s[4:5], 0x1d0
	s_cmp_lg_u32 s14, 0
	s_cselect_b32 s15, s35, s33
	s_cselect_b32 s14, s34, s7
	s_xor_b64 s[12:13], s[24:25], s[12:13]
	s_xor_b64 s[14:15], s[14:15], s[12:13]
	s_sub_u32 s24, s14, s12
	s_subb_u32 s25, s15, s13
	s_branch .LBB46_16
.LBB46_12:
                                        ; implicit-def: $sgpr2_sgpr3
	s_branch .LBB46_3
.LBB46_13:
                                        ; implicit-def: $sgpr18_sgpr19
	s_load_dwordx4 s[28:31], s[4:5], 0x1d0
	s_branch .LBB46_6
.LBB46_14:
                                        ; implicit-def: $sgpr50_sgpr51
	s_branch .LBB46_9
.LBB46_15:
	s_mov_b64 s[0:1], -1
                                        ; implicit-def: $sgpr24_sgpr25
.LBB46_16:
	s_load_dwordx4 s[12:15], s[4:5], 0x370
	s_andn2_b64 vcc, exec, s[0:1]
	s_waitcnt lgkmcnt(0)
	v_writelane_b32 v57, s12, 4
	v_writelane_b32 v57, s13, 5
	;; [unrolled: 1-line block ×4, first 2 shown]
	s_cbranch_vccnz .LBB46_18
; %bb.17:
	v_cvt_f32_u32_e32 v1, s28
	s_sub_i32 s0, 0, s28
	s_mov_b32 s25, 0
	v_rcp_iflag_f32_e32 v1, v1
	v_mul_f32_e32 v1, 0x4f7ffffe, v1
	v_cvt_u32_f32_e32 v1, v1
	v_readfirstlane_b32 s1, v1
	s_mul_i32 s0, s0, s1
	s_mul_hi_u32 s0, s1, s0
	s_add_i32 s1, s1, s0
	s_mul_hi_u32 s0, s50, s1
	s_mul_i32 s7, s0, s28
	s_sub_i32 s7, s50, s7
	s_add_i32 s1, s0, 1
	s_sub_i32 s12, s7, s28
	s_cmp_ge_u32 s7, s28
	s_cselect_b32 s0, s1, s0
	s_cselect_b32 s7, s12, s7
	s_add_i32 s1, s0, 1
	s_cmp_ge_u32 s7, s28
	s_cselect_b32 s24, s1, s0
.LBB46_18:
	s_load_dwordx4 s[12:15], s[4:5], 0x370
	s_mov_b32 s0, 0
	v_writelane_b32 v57, s24, 8
	v_writelane_b32 v57, s25, 9
	s_waitcnt lgkmcnt(0)
	s_mov_b32 s1, s15
	s_cmp_lg_u64 s[0:1], 0
	s_cbranch_scc0 .LBB46_23
; %bb.19:
	s_ashr_i32 s0, s15, 31
	s_add_u32 s12, s14, s0
	s_mov_b32 s1, s0
	s_addc_u32 s13, s15, s0
	s_xor_b64 s[14:15], s[12:13], s[0:1]
	v_cvt_f32_u32_e32 v1, s14
	v_cvt_f32_u32_e32 v2, s15
	s_sub_u32 s7, 0, s14
	s_subb_u32 s28, 0, s15
	v_madmk_f32 v1, v2, 0x4f800000, v1
	v_rcp_f32_e32 v1, v1
	v_mul_f32_e32 v1, 0x5f7ffffc, v1
	v_mul_f32_e32 v2, 0x2f800000, v1
	v_trunc_f32_e32 v2, v2
	v_madmk_f32 v1, v2, 0xcf800000, v1
	v_cvt_u32_f32_e32 v2, v2
	v_cvt_u32_f32_e32 v1, v1
	v_readfirstlane_b32 s29, v2
	v_readfirstlane_b32 s24, v1
	s_mul_i32 s25, s7, s29
	s_mul_hi_u32 s31, s7, s24
	s_mul_i32 s30, s28, s24
	s_add_i32 s25, s31, s25
	s_add_i32 s25, s25, s30
	s_mul_i32 s33, s7, s24
	s_mul_i32 s31, s24, s25
	s_mul_hi_u32 s34, s24, s33
	s_mul_hi_u32 s30, s24, s25
	s_add_u32 s31, s34, s31
	s_addc_u32 s30, 0, s30
	s_mul_hi_u32 s35, s29, s33
	s_mul_i32 s33, s29, s33
	s_add_u32 s31, s31, s33
	s_mul_hi_u32 s34, s29, s25
	s_addc_u32 s30, s30, s35
	s_addc_u32 s31, s34, 0
	s_mul_i32 s25, s29, s25
	s_add_u32 s25, s30, s25
	s_addc_u32 s30, 0, s31
	s_add_u32 s31, s24, s25
	s_cselect_b64 s[24:25], -1, 0
	s_cmp_lg_u64 s[24:25], 0
	s_addc_u32 s29, s29, s30
	s_mul_i32 s24, s7, s29
	s_mul_hi_u32 s25, s7, s31
	s_add_i32 s24, s25, s24
	s_mul_i32 s28, s28, s31
	s_add_i32 s24, s24, s28
	s_mul_i32 s7, s7, s31
	s_mul_hi_u32 s28, s29, s7
	s_mul_i32 s30, s29, s7
	s_mul_i32 s34, s31, s24
	s_mul_hi_u32 s7, s31, s7
	s_mul_hi_u32 s33, s31, s24
	s_add_u32 s7, s7, s34
	s_addc_u32 s33, 0, s33
	s_add_u32 s7, s7, s30
	s_mul_hi_u32 s25, s29, s24
	s_addc_u32 s7, s33, s28
	s_addc_u32 s25, s25, 0
	s_mul_i32 s24, s29, s24
	s_add_u32 s7, s7, s24
	s_addc_u32 s28, 0, s25
	s_add_u32 s7, s31, s7
	s_cselect_b64 s[24:25], -1, 0
	s_cmp_lg_u64 s[24:25], 0
	s_addc_u32 s28, s29, s28
	s_add_u32 s24, s48, 0
	s_addc_u32 s25, 0, 0
	s_xor_b64 s[24:25], s[24:25], 0
	s_mul_i32 s30, s24, s28
	s_mul_hi_u32 s31, s24, s7
	s_mul_hi_u32 s29, s24, s28
	s_add_u32 s30, s31, s30
	s_addc_u32 s29, 0, s29
	s_mul_hi_u32 s33, s25, s7
	s_mul_i32 s7, s25, s7
	s_add_u32 s7, s30, s7
	s_mul_hi_u32 s31, s25, s28
	s_addc_u32 s7, s29, s33
	s_addc_u32 s29, s31, 0
	s_mul_i32 s28, s25, s28
	s_add_u32 s7, s7, s28
	s_addc_u32 s33, 0, s29
	s_mul_i32 s28, s14, s33
	s_mul_hi_u32 s29, s14, s7
	s_add_i32 s28, s29, s28
	s_mul_i32 s29, s15, s7
	s_add_i32 s34, s28, s29
	s_sub_i32 s30, s25, s34
	s_mul_i32 s28, s14, s7
	s_sub_u32 s24, s24, s28
	s_cselect_b64 s[28:29], -1, 0
	s_cmp_lg_u64 s[28:29], 0
	s_subb_u32 s35, s30, s15
	s_sub_u32 s36, s24, s14
	s_cselect_b64 s[30:31], -1, 0
	s_cmp_lg_u64 s[30:31], 0
	s_subb_u32 s30, s35, 0
	s_cmp_ge_u32 s30, s15
	s_cselect_b32 s31, -1, 0
	s_cmp_ge_u32 s36, s14
	s_cselect_b32 s35, -1, 0
	s_cmp_eq_u32 s30, s15
	s_cselect_b32 s30, s35, s31
	s_add_u32 s31, s7, 1
	s_addc_u32 s35, s33, 0
	s_add_u32 s36, s7, 2
	s_addc_u32 s37, s33, 0
	s_cmp_lg_u32 s30, 0
	s_cselect_b32 s30, s36, s31
	s_cselect_b32 s31, s37, s35
	s_cmp_lg_u64 s[28:29], 0
	s_subb_u32 s25, s25, s34
	s_cmp_ge_u32 s25, s15
	s_cselect_b32 s28, -1, 0
	s_cmp_ge_u32 s24, s14
	s_cselect_b32 s14, -1, 0
	s_cmp_eq_u32 s25, s15
	s_cselect_b32 s14, s14, s28
	s_cmp_lg_u32 s14, 0
	s_cselect_b32 s15, s31, s33
	s_cselect_b32 s14, s30, s7
	s_xor_b64 s[0:1], 0, s[0:1]
	s_xor_b64 s[14:15], s[14:15], s[0:1]
	s_sub_u32 s44, s14, s0
	s_subb_u32 s45, s15, s1
	s_cbranch_execnz .LBB46_21
.LBB46_20:
	s_load_dwordx4 s[12:15], s[4:5], 0x370
	s_mov_b32 s45, 0
	s_waitcnt lgkmcnt(0)
	v_cvt_f32_u32_e32 v1, s14
	s_sub_i32 s0, 0, s14
	v_rcp_iflag_f32_e32 v1, v1
	v_mul_f32_e32 v1, 0x4f7ffffe, v1
	v_cvt_u32_f32_e32 v1, v1
	v_readfirstlane_b32 s1, v1
	s_mul_i32 s0, s0, s1
	s_mul_hi_u32 s0, s1, s0
	s_add_i32 s1, s1, s0
	s_mul_hi_u32 s0, s48, s1
	s_mul_i32 s7, s0, s14
	s_sub_i32 s7, s48, s7
	s_add_i32 s1, s0, 1
	s_sub_i32 s12, s7, s14
	s_cmp_ge_u32 s7, s14
	s_cselect_b32 s0, s1, s0
	s_cselect_b32 s7, s12, s7
	s_add_i32 s1, s0, 1
	s_cmp_ge_u32 s7, s14
	s_cselect_b32 s44, s1, s0
.LBB46_21:
	s_load_dwordx2 s[24:25], s[4:5], 0xe0
	s_load_dwordx4 s[12:15], s[4:5], 0xd0
	s_load_dwordx4 s[36:39], s[4:5], 0x370
	s_waitcnt lgkmcnt(0)
	s_or_b64 s[0:1], s[44:45], s[36:37]
	s_mov_b32 s0, 0
	s_cmp_lg_u64 s[0:1], 0
	v_writelane_b32 v57, s44, 10
	v_writelane_b32 v57, s45, 11
	s_cbranch_scc0 .LBB46_24
; %bb.22:
	s_ashr_i32 s28, s37, 31
	s_add_u32 s0, s36, s28
	s_mov_b32 s29, s28
	s_addc_u32 s1, s37, s28
	s_xor_b64 s[30:31], s[0:1], s[28:29]
	v_cvt_f32_u32_e32 v1, s30
	v_cvt_f32_u32_e32 v2, s31
	s_sub_u32 s7, 0, s30
	s_subb_u32 s33, 0, s31
	s_mov_b64 s[0:1], 0
	v_madmk_f32 v1, v2, 0x4f800000, v1
	v_rcp_f32_e32 v1, v1
	v_mul_f32_e32 v1, 0x5f7ffffc, v1
	v_mul_f32_e32 v2, 0x2f800000, v1
	v_trunc_f32_e32 v2, v2
	v_madmk_f32 v1, v2, 0xcf800000, v1
	v_cvt_u32_f32_e32 v2, v2
	v_cvt_u32_f32_e32 v1, v1
	v_readfirstlane_b32 s36, v2
	v_readfirstlane_b32 s34, v1
	s_mul_i32 s35, s7, s36
	s_mul_hi_u32 s38, s7, s34
	s_mul_i32 s37, s33, s34
	s_add_i32 s35, s38, s35
	s_add_i32 s35, s35, s37
	s_mul_i32 s39, s7, s34
	s_mul_i32 s38, s34, s35
	s_mul_hi_u32 s41, s34, s39
	s_mul_hi_u32 s37, s34, s35
	s_add_u32 s38, s41, s38
	s_addc_u32 s37, 0, s37
	s_mul_hi_u32 s42, s36, s39
	s_mul_i32 s39, s36, s39
	s_add_u32 s38, s38, s39
	s_mul_hi_u32 s41, s36, s35
	s_addc_u32 s37, s37, s42
	s_addc_u32 s38, s41, 0
	s_mul_i32 s35, s36, s35
	s_add_u32 s35, s37, s35
	s_addc_u32 s37, 0, s38
	s_add_u32 s38, s34, s35
	s_cselect_b64 s[34:35], -1, 0
	s_cmp_lg_u64 s[34:35], 0
	s_addc_u32 s36, s36, s37
	s_mul_i32 s34, s7, s36
	s_mul_hi_u32 s35, s7, s38
	s_add_i32 s34, s35, s34
	s_mul_i32 s33, s33, s38
	s_add_i32 s34, s34, s33
	s_mul_i32 s7, s7, s38
	s_mul_hi_u32 s35, s36, s7
	s_mul_i32 s37, s36, s7
	s_mul_i32 s41, s38, s34
	s_mul_hi_u32 s7, s38, s7
	s_mul_hi_u32 s39, s38, s34
	s_add_u32 s7, s7, s41
	s_addc_u32 s39, 0, s39
	s_add_u32 s7, s7, s37
	s_mul_hi_u32 s33, s36, s34
	s_addc_u32 s7, s39, s35
	s_addc_u32 s33, s33, 0
	s_mul_i32 s34, s36, s34
	s_add_u32 s7, s7, s34
	s_addc_u32 s33, 0, s33
	s_add_u32 s7, s38, s7
	s_cselect_b64 s[34:35], -1, 0
	s_cmp_lg_u64 s[34:35], 0
	s_addc_u32 s33, s36, s33
	s_ashr_i32 s34, s45, 31
	s_add_u32 s36, s44, s34
	s_mov_b32 s35, s34
	s_addc_u32 s37, s45, s34
	s_xor_b64 s[36:37], s[36:37], s[34:35]
	s_mul_i32 s39, s36, s33
	s_mul_hi_u32 s41, s36, s7
	s_mul_hi_u32 s38, s36, s33
	s_add_u32 s39, s41, s39
	s_addc_u32 s38, 0, s38
	s_mul_hi_u32 s42, s37, s7
	s_mul_i32 s7, s37, s7
	s_add_u32 s7, s39, s7
	s_mul_hi_u32 s41, s37, s33
	s_addc_u32 s7, s38, s42
	s_addc_u32 s38, s41, 0
	s_mul_i32 s33, s37, s33
	s_add_u32 s7, s7, s33
	s_addc_u32 s33, 0, s38
	s_mul_i32 s38, s30, s33
	s_mul_hi_u32 s39, s30, s7
	s_add_i32 s38, s39, s38
	s_mul_i32 s39, s31, s7
	s_add_i32 s41, s38, s39
	s_sub_i32 s42, s37, s41
	s_mul_i32 s38, s30, s7
	s_sub_u32 s36, s36, s38
	s_cselect_b64 s[38:39], -1, 0
	s_cmp_lg_u64 s[38:39], 0
	s_subb_u32 s44, s42, s31
	s_sub_u32 s45, s36, s30
	s_cselect_b64 s[42:43], -1, 0
	s_cmp_lg_u64 s[42:43], 0
	s_subb_u32 s42, s44, 0
	s_cmp_ge_u32 s42, s31
	s_cselect_b32 s43, -1, 0
	s_cmp_ge_u32 s45, s30
	s_cselect_b32 s44, -1, 0
	s_cmp_eq_u32 s42, s31
	s_cselect_b32 s42, s44, s43
	s_add_u32 s43, s7, 1
	s_addc_u32 s44, s33, 0
	s_add_u32 s45, s7, 2
	s_addc_u32 s46, s33, 0
	s_cmp_lg_u32 s42, 0
	s_cselect_b32 s42, s45, s43
	s_cselect_b32 s43, s46, s44
	s_cmp_lg_u64 s[38:39], 0
	s_subb_u32 s37, s37, s41
	s_cmp_ge_u32 s37, s31
	s_cselect_b32 s38, -1, 0
	s_cmp_ge_u32 s36, s30
	s_cselect_b32 s30, -1, 0
	s_cmp_eq_u32 s37, s31
	s_cselect_b32 s30, s30, s38
	s_cmp_lg_u32 s30, 0
	s_cselect_b32 s31, s43, s33
	s_cselect_b32 s30, s42, s7
	s_xor_b64 s[28:29], s[34:35], s[28:29]
	s_xor_b64 s[30:31], s[30:31], s[28:29]
	s_sub_u32 s28, s30, s28
	s_subb_u32 s29, s31, s29
	v_writelane_b32 v57, s28, 24
	v_writelane_b32 v57, s29, 25
	s_branch .LBB46_25
.LBB46_23:
                                        ; implicit-def: $sgpr44_sgpr45
	s_branch .LBB46_20
.LBB46_24:
	s_mov_b64 s[0:1], -1
                                        ; implicit-def: $sgpr28_sgpr29
                                        ; kill: killed $sgpr28_sgpr29
.LBB46_25:
	s_load_dwordx2 s[28:29], s[4:5], 0x440
	s_andn2_b64 vcc, exec, s[0:1]
	s_load_dwordx2 s[42:43], s[4:5], 0x0
	s_waitcnt lgkmcnt(0)
	v_writelane_b32 v57, s28, 12
	v_writelane_b32 v57, s29, 13
	s_load_dwordx4 s[28:31], s[4:5], 0x430
	s_waitcnt lgkmcnt(0)
	v_writelane_b32 v57, s28, 14
	v_writelane_b32 v57, s29, 15
	;; [unrolled: 1-line block ×4, first 2 shown]
	s_load_dwordx2 s[28:29], s[4:5], 0x2a0
	s_waitcnt lgkmcnt(0)
	v_writelane_b32 v57, s28, 18
	v_writelane_b32 v57, s29, 19
	s_load_dwordx4 s[28:31], s[4:5], 0x290
	s_waitcnt lgkmcnt(0)
	v_writelane_b32 v57, s28, 20
	v_writelane_b32 v57, s29, 21
	;; [unrolled: 1-line block ×4, first 2 shown]
	s_cbranch_vccnz .LBB46_27
; %bb.26:
	s_load_dwordx4 s[28:31], s[4:5], 0x370
	s_waitcnt lgkmcnt(0)
	s_mov_b64 s[38:39], s[30:31]
	s_mov_b64 s[36:37], s[28:29]
	v_cvt_f32_u32_e32 v1, s36
	s_sub_i32 s0, 0, s36
	v_readlane_b32 s28, v57, 10
	s_mov_b32 s31, 0
	v_rcp_iflag_f32_e32 v1, v1
	v_readlane_b32 s29, v57, 11
	v_mul_f32_e32 v1, 0x4f7ffffe, v1
	v_cvt_u32_f32_e32 v1, v1
	v_readfirstlane_b32 s1, v1
	s_mul_i32 s0, s0, s1
	s_mul_hi_u32 s0, s1, s0
	s_add_i32 s1, s1, s0
	s_mul_hi_u32 s0, s28, s1
	s_mul_i32 s7, s0, s36
	s_sub_i32 s7, s28, s7
	s_add_i32 s1, s0, 1
	s_sub_i32 s28, s7, s36
	s_cmp_ge_u32 s7, s36
	s_cselect_b32 s0, s1, s0
	s_cselect_b32 s7, s28, s7
	s_add_i32 s1, s0, 1
	s_cmp_ge_u32 s7, s36
	s_cselect_b32 s30, s1, s0
	v_writelane_b32 v57, s30, 24
	v_writelane_b32 v57, s31, 25
.LBB46_27:
	s_load_dwordx2 s[0:1], s[4:5], 0x360
	s_mov_b32 s63, 0
	s_waitcnt lgkmcnt(0)
	v_writelane_b32 v57, s0, 26
	v_writelane_b32 v57, s1, 27
	s_load_dwordx2 s[0:1], s[4:5], 0x1c0
	s_waitcnt lgkmcnt(0)
	v_writelane_b32 v57, s0, 28
	v_writelane_b32 v57, s1, 29
	v_cmp_eq_u32_e64 s[0:1], 0, v0
	s_mov_b64 s[4:5], exec
	v_writelane_b32 v57, s0, 30
	v_writelane_b32 v57, s1, 31
	s_and_b64 s[0:1], s[4:5], s[0:1]
	s_mov_b64 exec, s[0:1]
	s_cbranch_execz .LBB46_29
; %bb.28:
	v_mov_b32_e32 v1, 0
	v_mov_b32_e32 v3, s20
	v_mov_b32_e32 v4, s21
	v_mov_b32_e32 v2, v1
	ds_write_b32 v1, v1 offset:5136
	ds_write_b128 v1, v[1:4] offset:5120
.LBB46_29:
	s_or_b64 exec, exec, s[4:5]
	s_mul_i32 s0, s18, s9
	s_mul_hi_u32 s1, s18, s8
	s_add_i32 s0, s1, s0
	s_mul_i32 s1, s19, s8
	s_add_i32 s0, s0, s1
	s_mul_i32 s1, s18, s8
	s_sub_u32 s4, s2, s1
	s_subb_u32 s0, s3, s0
	s_mul_i32 s1, s4, s15
	s_mul_hi_u32 s5, s4, s14
	s_add_i32 s1, s5, s1
	s_mul_i32 s0, s0, s14
	s_add_i32 s1, s1, s0
	s_mul_i32 s0, s4, s14
	s_mul_i32 s4, s18, s13
	s_mul_hi_u32 s5, s18, s12
	s_mul_i32 s7, s2, s11
	s_mul_hi_u32 s8, s2, s10
	s_add_i32 s4, s5, s4
	s_mul_i32 s5, s19, s12
	s_add_i32 s7, s8, s7
	s_mul_i32 s3, s3, s10
	s_add_i32 s5, s4, s5
	s_add_i32 s7, s7, s3
	s_mul_i32 s2, s2, s10
	s_mov_b32 s8, s48
	v_writelane_b32 v57, s8, 32
	s_sub_u32 s2, s48, s2
	v_writelane_b32 v57, s9, 33
	s_subb_u32 s3, 0, s7
	s_mul_i32 s7, s2, s25
	s_mul_hi_u32 s8, s2, s24
	s_mul_i32 s4, s18, s12
	s_add_i32 s7, s8, s7
	s_mul_i32 s3, s3, s24
	s_add_i32 s3, s7, s3
	s_lshl_b64 s[8:9], s[4:5], 3
	s_add_u32 s4, s42, s8
	s_addc_u32 s5, s43, s9
	s_lshl_b64 s[10:11], s[0:1], 3
	s_mul_i32 s2, s2, s24
	s_add_u32 s0, s4, s10
	s_addc_u32 s1, s5, s11
	s_lshl_b64 s[12:13], s[2:3], 3
	s_add_u32 s66, s0, s12
	s_addc_u32 s67, s1, s13
	v_mad_u64_u32 v[2:3], s[0:1], s26, v0, 0
	v_mbcnt_lo_u32_b32 v1, -1, 0
	v_mbcnt_hi_u32_b32 v42, -1, v1
	v_mov_b32_e32 v4, 0x180
	v_mov_b32_e32 v1, v3
	;; [unrolled: 1-line block ×3, first 2 shown]
	v_mad_u64_u32 v[6:7], s[0:1], s27, v0, v[1:2]
	v_cmp_gt_i64_e64 s[0:1], s[20:21], v[4:5]
	v_mov_b32_e32 v19, 0
	v_mov_b32_e32 v1, v19
	v_writelane_b32 v57, s0, 34
	v_writelane_b32 v57, s1, 35
	v_cmp_gt_u64_e64 s[0:1], s[20:21], v[0:1]
	s_waitcnt lgkmcnt(0)
	v_writelane_b32 v57, s0, 36
	v_writelane_b32 v57, s1, 37
	v_cmp_gt_i64_e64 s[0:1], s[20:21], v[0:1]
	s_barrier
	v_writelane_b32 v57, s0, 38
	v_writelane_b32 v57, s1, 39
	s_load_dword s0, s[16:17], 0xc
	v_cmp_gt_u32_e32 vcc, 64, v0
	v_cmp_gt_i32_e64 s[2:3], 4, v42
	s_and_b64 s[68:69], vcc, s[2:3]
	v_mov_b32_e32 v3, v6
	s_waitcnt lgkmcnt(0)
	s_and_b32 s33, s0, 0xffff
	s_bfe_u32 s1, s0, 0xa0006
	s_cmp_gt_u32 s33, 63
	s_cselect_b64 s[2:3], -1, 0
	s_add_u32 s71, s33, -1
	s_addc_u32 s81, 0, -1
	s_add_u32 s0, s71, s20
	s_addc_u32 s73, s81, s21
	v_writelane_b32 v57, s2, 40
	s_cmp_lt_u32 s6, s40
	v_writelane_b32 v57, s3, 41
	s_cselect_b32 s2, 12, 18
	s_add_u32 s74, s16, s2
	s_addc_u32 s75, s17, 0
	s_add_i32 s2, s1, -1
	s_bfe_u32 s80, s33, 0x30006
	s_and_b32 s2, s2, 0xffff
	s_cmp_gt_u32 s2, 6
	s_cselect_b64 s[2:3], -1, 0
	s_and_b32 s1, s1, 0x3f8
	v_writelane_b32 v57, s2, 42
	s_cmp_lg_u32 s80, 0
	v_writelane_b32 v57, s3, 43
	s_cselect_b64 s[2:3], -1, 0
	v_lshlrev_b64 v[4:5], 3, v[2:3]
	v_writelane_b32 v57, s2, 44
	v_writelane_b32 v57, s3, 45
	s_add_u32 s2, s8, s12
	v_mov_b32_e32 v6, s67
	v_add_co_u32_e32 v20, vcc, s66, v4
	s_addc_u32 s3, s9, s13
	v_addc_co_u32_e32 v21, vcc, v6, v5, vcc
	v_lshlrev_b64 v[6:7], v42, -1
	s_add_u32 s2, s2, s10
	s_addc_u32 s3, s3, s11
	v_lshlrev_b32_e32 v45, 5, v0
	v_not_b32_e32 v43, v7
	s_add_u32 s6, s42, s2
	v_or_b32_e32 v7, 24, v45
	s_addc_u32 s7, s43, s3
	v_mad_u64_u32 v[24:25], s[2:3], s26, v7, 0
	v_or_b32_e32 v8, 16, v45
	v_mad_u64_u32 v[26:27], s[2:3], s26, v8, 0
	v_not_b32_e32 v44, v6
	v_mov_b32_e32 v6, v25
	v_mad_u64_u32 v[6:7], s[2:3], s27, v7, v[6:7]
	v_mov_b32_e32 v7, v27
	v_mad_u64_u32 v[7:8], s[2:3], s27, v8, v[7:8]
	v_mov_b32_e32 v8, s7
	v_writelane_b32 v57, s6, 46
	v_add_co_u32_e32 v16, vcc, s6, v4
	v_addc_co_u32_e32 v17, vcc, v8, v5, vcc
	v_or_b32_e32 v5, 8, v45
	v_mad_u64_u32 v[27:28], s[2:3], s26, v5, 0
	v_add_co_u32_e32 v50, vcc, s20, v0
	v_mov_b32_e32 v4, v28
	v_mad_u64_u32 v[4:5], s[2:3], s27, v5, v[4:5]
	v_lshrrev_b32_e32 v5, 1, v0
	v_lshlrev_b64 v[28:29], 5, v[2:3]
	v_mov_b32_e32 v2, s21
	s_mul_i32 s2, s27, s33
	s_mul_hi_u32 s3, s26, s33
	v_lshlrev_b32_e32 v9, 2, v42
	v_writelane_b32 v57, s7, 47
	v_mov_b32_e32 v46, v6
	v_mov_b32_e32 v47, v7
	v_and_b32_e32 v5, 0x1e0, v5
	v_addc_co_u32_e32 v51, vcc, 0, v2, vcc
	v_mov_b32_e32 v2, 0xc00
	s_add_i32 s3, s3, s2
	s_mul_i32 s2, s26, s33
	v_lshlrev_b32_e32 v53, 3, v0
	v_mov_b32_e32 v35, s23
	v_mov_b32_e32 v30, 0
	v_mov_b32_e32 v32, 0
	v_mov_b32_e32 v6, 0
	v_cmp_eq_u32_e64 s[4:5], 0, v42
	v_cmp_gt_u32_e64 s[18:19], 2, v0
	v_lshlrev_b32_e32 v22, 2, v0
	v_mov_b32_e32 v23, v19
	v_and_b32_e32 v25, 0x100, v9
	v_or_b32_e32 v48, 0xc00, v5
	s_lshl_b64 s[82:83], s[26:27], 3
	s_lshl_b64 s[84:85], s[26:27], 5
	v_mov_b32_e32 v49, v4
	v_lshl_or_b32 v52, v42, 3, v2
	s_lshl_b64 s[64:65], s[2:3], 3
	s_lshl_b32 s8, s33, 3
	s_mov_b32 s9, 62
	s_mov_b64 s[86:87], 0
	s_mov_b32 s70, 0
	v_add_u32_e32 v54, 0xc00, v53
	v_mov_b32_e32 v34, s22
	v_mov_b32_e32 v31, 0
	v_mov_b32_e32 v33, 0
	v_mov_b32_e32 v7, 0
	v_mov_b32_e32 v3, 0x3ff00000
	v_writelane_b32 v57, s50, 48
                                        ; implicit-def: $sgpr88_sgpr89
                                        ; implicit-def: $sgpr92_sgpr93
                                        ; implicit-def: $sgpr90_sgpr91
                                        ; implicit-def: $sgpr56_sgpr57
                                        ; implicit-def: $sgpr58_sgpr59
                                        ; implicit-def: $sgpr94_sgpr95
	v_writelane_b32 v57, s51, 49
	s_branch .LBB46_33
.LBB46_30:                              ;   in Loop: Header=BB46_33 Depth=1
	s_or_b64 exec, exec, s[14:15]
	s_and_b64 s[10:11], s[10:11], exec
	s_andn2_b64 s[42:43], s[42:43], exec
	s_andn2_b64 s[6:7], s[6:7], exec
	s_orn2_b64 s[22:23], s[12:13], exec
.LBB46_31:                              ;   in Loop: Header=BB46_33 Depth=1
	s_or_b64 exec, exec, s[2:3]
	s_andn2_b64 s[2:3], s[94:95], exec
	s_and_b64 s[10:11], s[10:11], exec
	s_or_b64 s[94:95], s[2:3], s[10:11]
	s_andn2_b64 s[2:3], s[58:59], exec
	s_and_b64 s[10:11], s[42:43], exec
	s_or_b64 s[58:59], s[2:3], s[10:11]
	;; [unrolled: 3-line block ×3, first 2 shown]
	s_orn2_b64 s[6:7], s[22:23], exec
.LBB46_32:                              ;   in Loop: Header=BB46_33 Depth=1
	s_or_b64 exec, exec, s[16:17]
	s_and_b64 s[2:3], exec, s[6:7]
	s_or_b64 s[86:87], s[2:3], s[86:87]
	s_andn2_b64 s[2:3], s[90:91], exec
	s_and_b64 s[6:7], s[94:95], exec
	s_or_b64 s[90:91], s[2:3], s[6:7]
	s_andn2_b64 s[2:3], s[92:93], exec
	s_and_b64 s[6:7], s[58:59], exec
	;; [unrolled: 3-line block ×3, first 2 shown]
	v_mov_b32_e32 v35, v13
	s_or_b64 s[88:89], s[2:3], s[6:7]
	v_mov_b32_e32 v34, v12
	s_andn2_b64 exec, exec, s[86:87]
	s_cbranch_execz .LBB46_299
.LBB46_33:                              ; =>This Loop Header: Depth=1
                                        ;     Child Loop BB46_39 Depth 2
                                        ;     Child Loop BB46_52 Depth 2
	;; [unrolled: 1-line block ×16, first 2 shown]
	ds_read_b128 v[8:11], v19 offset:5120
	s_waitcnt lgkmcnt(0)
	v_readfirstlane_b32 s23, v9
	v_readfirstlane_b32 s22, v8
	v_cmp_gt_i64_e64 s[2:3], s[22:23], 0
	s_and_b64 vcc, exec, s[2:3]
	s_cbranch_vccnz .LBB46_60
; %bb.34:                               ;   in Loop: Header=BB46_33 Depth=1
	v_readlane_b32 s2, v57, 34
	v_readlane_b32 s3, v57, 35
	s_and_b64 vcc, exec, s[2:3]
	s_cbranch_vccz .LBB46_47
; %bb.35:                               ;   in Loop: Header=BB46_33 Depth=1
	s_mov_b64 s[2:3], 0x181
	v_cmp_gt_i64_e32 vcc, s[2:3], v[10:11]
	s_mov_b64 s[2:3], 0
	s_mov_b64 s[6:7], 0
	s_cbranch_vccz .LBB46_48
; %bb.36:                               ;   in Loop: Header=BB46_33 Depth=1
	s_mov_b64 s[10:11], exec
	v_readlane_b32 s6, v57, 36
	v_readlane_b32 s7, v57, 37
	s_and_b64 s[6:7], s[10:11], s[6:7]
	s_mov_b64 exec, s[6:7]
	s_cbranch_execz .LBB46_94
; %bb.37:                               ;   in Loop: Header=BB46_33 Depth=1
	global_load_ushort v2, v19, s[74:75]
	global_load_dwordx2 v[8:9], v[20:21], off
	v_readlane_b32 s6, v57, 46
	v_readlane_b32 s7, v57, 47
	v_mov_b32_e32 v4, s6
	v_mov_b32_e32 v5, s7
	s_mov_b64 s[14:15], 0
	s_waitcnt vmcnt(1)
	v_readfirstlane_b32 s6, v2
	s_and_b32 s12, 0xffff, s6
	v_add_u32_e32 v10, s12, v0
	v_mad_u64_u32 v[4:5], s[6:7], s82, v10, v[4:5]
	s_mul_i32 s13, s83, s12
	s_mul_i32 s23, s82, s12
	v_mad_u64_u32 v[10:11], s[6:7], s83, v10, v[5:6]
	s_mul_hi_u32 s6, s82, s12
	s_add_i32 s30, s6, s13
	v_mov_b32_e32 v5, v10
	v_mov_b32_e32 v11, v1
	;; [unrolled: 1-line block ×3, first 2 shown]
	s_branch .LBB46_39
.LBB46_38:                              ;   in Loop: Header=BB46_39 Depth=2
	s_or_b64 exec, exec, s[6:7]
	v_mov_b32_e32 v8, s30
	v_add_co_u32_e32 v4, vcc, s23, v4
	v_addc_co_u32_e32 v5, vcc, v5, v8, vcc
	v_mov_b32_e32 v8, v12
	v_mov_b32_e32 v9, v13
	s_andn2_b64 exec, exec, s[14:15]
	s_cbranch_execz .LBB46_94
.LBB46_39:                              ;   Parent Loop BB46_33 Depth=1
                                        ; =>  This Inner Loop Header: Depth=2
	v_add_co_u32_sdwa v10, vcc, v10, v2 dst_sel:DWORD dst_unused:UNUSED_PAD src0_sel:DWORD src1_sel:WORD_0
	v_addc_co_u32_e32 v11, vcc, 0, v11, vcc
	v_cmp_gt_i64_e64 s[6:7], s[20:21], v[10:11]
	v_cmp_le_i64_e32 vcc, s[20:21], v[10:11]
	v_mov_b32_e32 v12, 0
	v_mov_b32_e32 v13, 0
	s_and_saveexec_b64 s[12:13], s[6:7]
	s_cbranch_execz .LBB46_41
; %bb.40:                               ;   in Loop: Header=BB46_39 Depth=2
	global_load_dwordx2 v[12:13], v[4:5], off
.LBB46_41:                              ;   in Loop: Header=BB46_39 Depth=2
	s_or_b64 exec, exec, s[12:13]
	s_waitcnt vmcnt(0)
	v_cmp_o_f64_e64 s[6:7], v[8:9], v[8:9]
	s_waitcnt lgkmcnt(0)
	v_ashrrev_i32_e32 v14, 31, v9
	v_or_b32_e32 v15, 0x80000000, v14
	v_xor_b32_e32 v15, v15, v9
	v_xor_b32_e32 v14, v14, v8
	v_cndmask_b32_e64 v15, -1, v15, s[6:7]
	v_cndmask_b32_e64 v14, -1, v14, s[6:7]
	v_and_b32_e32 v15, v15, v33
	v_and_b32_e32 v14, v14, v32
	v_cmp_eq_u64_e64 s[12:13], v[14:15], v[30:31]
	v_mov_b32_e32 v14, 0
	s_cmp_lg_u64 s[12:13], 0
	s_cselect_b64 s[6:7], -1, 0
	s_and_b64 s[6:7], s[4:5], s[6:7]
	s_and_saveexec_b64 s[16:17], s[6:7]
	s_cbranch_execz .LBB46_45
; %bb.42:                               ;   in Loop: Header=BB46_39 Depth=2
	s_mov_b64 s[28:29], exec
	v_mbcnt_lo_u32_b32 v14, s28, 0
	v_mbcnt_hi_u32_b32 v14, s29, v14
	s_bcnt1_i32_b64 s31, s[12:13]
	v_cmp_eq_u32_e64 s[6:7], 0, v14
                                        ; implicit-def: $vgpr15
	s_and_saveexec_b64 s[24:25], s[6:7]
; %bb.43:                               ;   in Loop: Header=BB46_39 Depth=2
	s_bcnt1_i32_b64 s6, s[28:29]
	s_mul_i32 s6, s31, s6
	v_mov_b32_e32 v15, s6
	ds_add_rtn_u32 v15, v19, v15 offset:5136
; %bb.44:                               ;   in Loop: Header=BB46_39 Depth=2
	s_or_b64 exec, exec, s[24:25]
	s_waitcnt lgkmcnt(0)
	v_readfirstlane_b32 s6, v15
	v_mov_b32_e32 v15, s6
	v_mad_u32_u24 v14, s31, v14, v15
.LBB46_45:                              ;   in Loop: Header=BB46_39 Depth=2
	s_or_b64 exec, exec, s[16:17]
	ds_bpermute_b32 v14, v25, v14
	s_and_b64 s[6:7], exec, vcc
	s_or_b64 s[14:15], s[6:7], s[14:15]
	s_and_saveexec_b64 s[6:7], s[12:13]
	s_cbranch_execz .LBB46_38
; %bb.46:                               ;   in Loop: Header=BB46_39 Depth=2
	v_and_b32_e32 v18, s12, v44
	v_and_b32_e32 v15, s13, v43
	v_bcnt_u32_b32 v18, v18, 0
	v_bcnt_u32_b32 v15, v15, v18
	v_lshlrev_b32_e32 v15, 3, v15
	s_waitcnt lgkmcnt(0)
	v_lshl_add_u32 v14, v14, 3, v15
	ds_write_b64 v14, v[8:9]
	s_branch .LBB46_38
.LBB46_47:                              ;   in Loop: Header=BB46_33 Depth=1
	s_mov_b64 s[2:3], -1
	s_mov_b64 s[6:7], 0
.LBB46_48:                              ;   in Loop: Header=BB46_33 Depth=1
	s_and_b64 vcc, exec, s[2:3]
	s_cbranch_vccz .LBB46_58
.LBB46_49:                              ;   in Loop: Header=BB46_33 Depth=1
	s_mov_b64 s[2:3], exec
	v_readlane_b32 s6, v57, 38
	v_readlane_b32 s7, v57, 39
	s_and_b64 s[6:7], s[2:3], s[6:7]
	s_mov_b64 exec, s[6:7]
	s_cbranch_execz .LBB46_55
; %bb.50:                               ;   in Loop: Header=BB46_33 Depth=1
	global_load_ushort v2, v19, s[74:75]
	global_load_dwordx2 v[4:5], v[20:21], off
	s_waitcnt vmcnt(1)
	v_add_u32_sdwa v18, v2, v0 dst_sel:DWORD dst_unused:UNUSED_PAD src0_sel:WORD_0 src1_sel:DWORD
	v_cmp_gt_i64_e32 vcc, s[20:21], v[18:19]
	v_readfirstlane_b32 s10, v2
	v_mov_b32_e32 v2, v0
	s_and_saveexec_b64 s[6:7], vcc
	s_cbranch_execz .LBB46_54
; %bb.51:                               ;   in Loop: Header=BB46_33 Depth=1
	v_readlane_b32 s12, v57, 46
	v_readlane_b32 s13, v57, 47
	v_mov_b32_e32 v8, s12
	v_mov_b32_e32 v9, s13
	v_mad_u64_u32 v[8:9], s[12:13], s82, v18, v[8:9]
	s_and_b32 s12, s10, 0xffff
	v_mov_b32_e32 v12, v18
	v_mov_b32_e32 v2, v9
	v_mad_u64_u32 v[9:10], s[10:11], s83, v18, v[2:3]
	s_mul_i32 s10, s83, s12
	s_mul_hi_u32 s11, s82, s12
	v_mov_b32_e32 v15, v1
	s_add_i32 s13, s11, s10
	s_mov_b64 s[10:11], 0
	v_mov_b32_e32 v13, v19
	v_mov_b32_e32 v14, v0
.LBB46_52:                              ;   Parent Loop BB46_33 Depth=1
                                        ; =>  This Inner Loop Header: Depth=2
	global_load_dwordx2 v[10:11], v[8:9], off
	v_mov_b32_e32 v37, v13
	s_mul_i32 s14, s82, s12
	v_mov_b32_e32 v36, v12
	v_mov_b32_e32 v12, s13
	v_add_co_u32_e32 v8, vcc, s14, v8
	v_addc_co_u32_e32 v9, vcc, v9, v12, vcc
	v_add_co_u32_e32 v12, vcc, s12, v36
	v_addc_co_u32_e32 v13, vcc, 0, v37, vcc
	v_lshlrev_b32_e32 v2, 3, v14
	v_cmp_le_i64_e32 vcc, s[20:21], v[12:13]
	s_waitcnt vmcnt(1)
	ds_write_b64 v2, v[4:5]
	v_mov_b32_e32 v14, v36
	s_or_b64 s[10:11], vcc, s[10:11]
	v_mov_b32_e32 v15, v37
	s_waitcnt vmcnt(0)
	v_mov_b32_e32 v4, v10
	v_mov_b32_e32 v5, v11
	s_andn2_b64 exec, exec, s[10:11]
	s_cbranch_execnz .LBB46_52
; %bb.53:                               ;   in Loop: Header=BB46_33 Depth=1
	s_or_b64 exec, exec, s[10:11]
	v_mov_b32_e32 v4, v10
	v_subrev_u32_e32 v2, s12, v12
	v_mov_b32_e32 v5, v11
.LBB46_54:                              ;   in Loop: Header=BB46_33 Depth=1
	s_or_b64 exec, exec, s[6:7]
	v_lshlrev_b32_e32 v2, 3, v2
	s_waitcnt vmcnt(0)
	ds_write_b64 v2, v[4:5]
.LBB46_55:                              ;   in Loop: Header=BB46_33 Depth=1
	s_or_b64 exec, exec, s[2:3]
	s_waitcnt lgkmcnt(0)
	s_barrier
	s_mov_b64 s[2:3], exec
	v_readlane_b32 s6, v57, 30
	v_readlane_b32 s7, v57, 31
	s_and_b64 s[6:7], s[2:3], s[6:7]
	s_mov_b64 exec, s[6:7]
; %bb.56:                               ;   in Loop: Header=BB46_33 Depth=1
	v_mov_b32_e32 v4, s20
	v_mov_b32_e32 v5, s21
	ds_write_b64 v19, v[4:5] offset:5120
; %bb.57:                               ;   in Loop: Header=BB46_33 Depth=1
	s_or_b64 exec, exec, s[2:3]
	s_mov_b64 s[6:7], -1
	s_waitcnt lgkmcnt(0)
	s_barrier
.LBB46_58:                              ;   in Loop: Header=BB46_33 Depth=1
	s_and_b64 vcc, exec, s[6:7]
	s_cbranch_vccz .LBB46_60
; %bb.59:                               ;   in Loop: Header=BB46_33 Depth=1
	ds_read_b64 v[4:5], v19 offset:5120
	s_waitcnt lgkmcnt(0)
	v_readfirstlane_b32 s22, v4
.LBB46_60:                              ;   in Loop: Header=BB46_33 Depth=1
	s_cmp_lt_i32 s22, 1
	s_mov_b64 s[2:3], -1
                                        ; implicit-def: $vgpr8_vgpr9
                                        ; implicit-def: $vgpr12_vgpr13
	s_cbranch_scc1 .LBB46_70
; %bb.61:                               ;   in Loop: Header=BB46_33 Depth=1
	s_and_b64 vcc, exec, s[2:3]
	s_cbranch_vccnz .LBB46_84
.LBB46_62:                              ;   in Loop: Header=BB46_33 Depth=1
	s_lshl_b32 s6, s70, 6
	s_and_saveexec_b64 s[2:3], s[4:5]
	s_cbranch_execz .LBB46_64
.LBB46_63:                              ;   in Loop: Header=BB46_33 Depth=1
	v_lshl_add_u32 v2, s6, 3, v48
	ds_write_b128 v2, v[8:11]
	ds_write_b128 v2, v[12:15] offset:16
.LBB46_64:                              ;   in Loop: Header=BB46_33 Depth=1
	s_or_b64 exec, exec, s[2:3]
	s_waitcnt lgkmcnt(0)
	s_barrier
	s_and_saveexec_b64 s[2:3], s[68:69]
	s_cbranch_execz .LBB46_102
; %bb.65:                               ;   in Loop: Header=BB46_33 Depth=1
	v_readlane_b32 s10, v57, 40
	v_mov_b32_e32 v4, 0
	v_readlane_b32 s11, v57, 41
	v_mov_b32_e32 v5, 0
	s_andn2_b64 vcc, exec, s[10:11]
	s_cbranch_vccnz .LBB46_101
; %bb.66:                               ;   in Loop: Header=BB46_33 Depth=1
	v_readlane_b32 s10, v57, 42
	v_readlane_b32 s11, v57, 43
	s_andn2_b64 vcc, exec, s[10:11]
	s_cbranch_vccnz .LBB46_97
; %bb.67:                               ;   in Loop: Header=BB46_33 Depth=1
	v_mov_b32_e32 v4, 0
	v_lshl_add_u32 v2, s70, 9, v52
	v_mov_b32_e32 v5, 0
	s_mov_b32 s7, 0
.LBB46_68:                              ;   Parent Loop BB46_33 Depth=1
                                        ; =>  This Inner Loop Header: Depth=2
	ds_read2_b64 v[8:11], v2 offset1:4
	s_add_i32 s7, s7, 8
	s_cmp_eq_u32 s1, s7
	s_waitcnt lgkmcnt(0)
	v_add_co_u32_e32 v4, vcc, v8, v4
	v_addc_co_u32_e32 v5, vcc, v9, v5, vcc
	v_add_co_u32_e32 v4, vcc, v10, v4
	v_addc_co_u32_e32 v5, vcc, v11, v5, vcc
	ds_read2_b64 v[8:11], v2 offset0:8 offset1:12
	s_waitcnt lgkmcnt(0)
	v_add_co_u32_e32 v4, vcc, v8, v4
	v_addc_co_u32_e32 v5, vcc, v9, v5, vcc
	v_add_co_u32_e32 v4, vcc, v10, v4
	v_addc_co_u32_e32 v5, vcc, v11, v5, vcc
	ds_read2_b64 v[8:11], v2 offset0:16 offset1:20
	;; [unrolled: 6-line block ×3, first 2 shown]
	v_add_u32_e32 v2, 0x100, v2
	s_waitcnt lgkmcnt(0)
	v_add_co_u32_e32 v4, vcc, v8, v4
	v_addc_co_u32_e32 v5, vcc, v9, v5, vcc
	v_add_co_u32_e32 v4, vcc, v10, v4
	v_addc_co_u32_e32 v5, vcc, v11, v5, vcc
	s_cbranch_scc0 .LBB46_68
; %bb.69:                               ;   in Loop: Header=BB46_33 Depth=1
	s_mov_b32 s7, s1
	s_branch .LBB46_98
.LBB46_70:                              ;   in Loop: Header=BB46_33 Depth=1
	global_load_ushort v2, v19, s[74:75]
	s_mov_b32 s2, s63
	s_waitcnt vmcnt(0)
	v_readfirstlane_b32 s3, v2
	s_and_b32 s23, s3, 0xffff
	s_lshl_b32 s24, s23, 2
	s_mov_b32 s3, s21
	s_cmp_lg_u64 s[2:3], 0
	s_cbranch_scc0 .LBB46_93
; %bb.71:                               ;   in Loop: Header=BB46_33 Depth=1
	s_add_u32 s2, s24, 0
	s_addc_u32 s3, 0, 0
	s_xor_b64 s[2:3], s[2:3], 0
	v_cvt_f32_u32_e32 v2, s2
	v_cvt_f32_u32_e32 v4, s3
	s_sub_u32 s10, 0, s2
	s_subb_u32 s11, 0, s3
	v_mac_f32_e32 v2, 0x4f800000, v4
	v_rcp_f32_e32 v2, v2
	v_mul_f32_e32 v2, 0x5f7ffffc, v2
	v_mul_f32_e32 v4, 0x2f800000, v2
	v_trunc_f32_e32 v4, v4
	v_mac_f32_e32 v2, 0xcf800000, v4
	v_cvt_u32_f32_e32 v4, v4
	v_cvt_u32_f32_e32 v2, v2
	v_readfirstlane_b32 s12, v4
	v_readfirstlane_b32 s6, v2
	s_mul_i32 s7, s10, s12
	s_mul_hi_u32 s14, s10, s6
	s_mul_i32 s13, s11, s6
	s_add_i32 s7, s14, s7
	s_mul_i32 s15, s10, s6
	s_add_i32 s7, s7, s13
	s_mul_i32 s14, s6, s7
	s_mul_hi_u32 s16, s6, s15
	s_mul_hi_u32 s13, s6, s7
	s_add_u32 s14, s16, s14
	s_addc_u32 s13, 0, s13
	s_mul_hi_u32 s17, s12, s15
	s_mul_i32 s15, s12, s15
	s_add_u32 s14, s14, s15
	s_mul_hi_u32 s16, s12, s7
	s_addc_u32 s13, s13, s17
	s_addc_u32 s14, s16, 0
	s_mul_i32 s7, s12, s7
	s_add_u32 s7, s13, s7
	s_addc_u32 s13, 0, s14
	s_add_u32 s14, s6, s7
	s_cselect_b64 s[6:7], -1, 0
	s_cmp_lg_u64 s[6:7], 0
	s_addc_u32 s12, s12, s13
	s_mul_i32 s6, s10, s12
	s_mul_hi_u32 s7, s10, s14
	s_add_i32 s6, s7, s6
	s_mul_i32 s11, s11, s14
	s_add_i32 s6, s6, s11
	s_mul_i32 s10, s10, s14
	s_mul_hi_u32 s11, s12, s10
	s_mul_i32 s13, s12, s10
	s_mul_i32 s16, s14, s6
	s_mul_hi_u32 s10, s14, s10
	s_mul_hi_u32 s15, s14, s6
	s_add_u32 s10, s10, s16
	s_addc_u32 s15, 0, s15
	s_add_u32 s10, s10, s13
	s_mul_hi_u32 s7, s12, s6
	s_addc_u32 s10, s15, s11
	s_addc_u32 s7, s7, 0
	s_mul_i32 s6, s12, s6
	s_add_u32 s6, s10, s6
	s_addc_u32 s10, 0, s7
	s_add_u32 s13, s14, s6
	s_cselect_b64 s[6:7], -1, 0
	s_cmp_lg_u64 s[6:7], 0
	s_addc_u32 s12, s12, s10
	s_ashr_i32 s6, s21, 31
	s_add_u32 s10, s20, s6
	s_mov_b32 s7, s6
	s_addc_u32 s11, s21, s6
	s_xor_b64 s[10:11], s[10:11], s[6:7]
	s_mul_i32 s15, s10, s12
	s_mul_hi_u32 s16, s10, s13
	s_mul_hi_u32 s14, s10, s12
	s_add_u32 s15, s16, s15
	s_addc_u32 s14, 0, s14
	s_mul_hi_u32 s17, s11, s13
	s_mul_i32 s13, s11, s13
	s_add_u32 s13, s15, s13
	s_mul_hi_u32 s16, s11, s12
	s_addc_u32 s13, s14, s17
	s_addc_u32 s14, s16, 0
	s_mul_i32 s12, s11, s12
	s_add_u32 s12, s13, s12
	s_addc_u32 s13, 0, s14
	s_mul_i32 s13, s2, s13
	s_mul_hi_u32 s14, s2, s12
	s_add_i32 s13, s14, s13
	s_mul_i32 s14, s3, s12
	s_add_i32 s16, s13, s14
	s_sub_i32 s14, s11, s16
	s_mul_i32 s12, s2, s12
	s_sub_u32 s10, s10, s12
	s_cselect_b64 s[12:13], -1, 0
	s_cmp_lg_u64 s[12:13], 0
	s_subb_u32 s17, s14, s3
	s_sub_u32 s25, s10, s2
	s_cselect_b64 s[14:15], -1, 0
	s_cmp_lg_u64 s[14:15], 0
	s_subb_u32 s28, s17, 0
	s_cmp_ge_u32 s28, s3
	s_cselect_b32 s29, -1, 0
	s_cmp_ge_u32 s25, s2
	s_cselect_b32 s30, -1, 0
	s_cmp_eq_u32 s28, s3
	s_cselect_b32 s29, s30, s29
	s_cmp_lg_u64 s[14:15], 0
	s_subb_u32 s17, s17, s3
	s_sub_u32 s30, s25, s2
	s_cselect_b64 s[14:15], -1, 0
	s_cmp_lg_u64 s[14:15], 0
	s_subb_u32 s14, s17, 0
	s_cmp_lg_u32 s29, 0
	s_cselect_b32 s15, s30, s25
	s_cselect_b32 s14, s14, s28
	s_cmp_lg_u64 s[12:13], 0
	s_subb_u32 s11, s11, s16
	s_cmp_ge_u32 s11, s3
	s_cselect_b32 s12, -1, 0
	s_cmp_ge_u32 s10, s2
	s_cselect_b32 s2, -1, 0
	s_cmp_eq_u32 s11, s3
	s_cselect_b32 s2, s2, s12
	s_cmp_lg_u32 s2, 0
	s_cselect_b32 s3, s14, s11
	s_cselect_b32 s2, s15, s10
	s_xor_b64 s[2:3], s[2:3], s[6:7]
	s_sub_u32 s40, s2, s6
	s_subb_u32 s41, s3, s6
	s_cbranch_execnz .LBB46_73
.LBB46_72:                              ;   in Loop: Header=BB46_33 Depth=1
	v_cvt_f32_u32_e32 v2, s24
	s_sub_i32 s2, 0, s24
	v_rcp_iflag_f32_e32 v2, v2
	v_mul_f32_e32 v2, 0x4f7ffffe, v2
	v_cvt_u32_f32_e32 v2, v2
	v_readfirstlane_b32 s3, v2
	s_mul_i32 s2, s2, s3
	s_mul_hi_u32 s2, s3, s2
	s_add_i32 s3, s3, s2
	s_mul_hi_u32 s2, s20, s3
	s_mul_i32 s2, s2, s24
	s_sub_i32 s2, s20, s2
	s_sub_i32 s3, s2, s24
	s_cmp_ge_u32 s2, s24
	s_cselect_b32 s2, s3, s2
	s_sub_i32 s3, s2, s24
	s_cmp_ge_u32 s2, s24
	s_cselect_b32 s62, s3, s2
	s_mov_b64 s[40:41], s[62:63]
.LBB46_73:                              ;   in Loop: Header=BB46_33 Depth=1
	s_sub_u32 s42, s20, s40
	s_subb_u32 s43, s21, s41
	v_cmp_gt_i64_e32 vcc, s[42:43], v[22:23]
	v_mov_b32_e32 v8, 0
	v_mov_b32_e32 v10, 0
	;; [unrolled: 1-line block ×8, first 2 shown]
	s_and_saveexec_b64 s[44:45], vcc
	s_cbranch_execz .LBB46_77
; %bb.74:                               ;   in Loop: Header=BB46_33 Depth=1
	s_mul_i32 s2, s85, s23
	s_mul_hi_u32 s3, s84, s23
	v_mov_b32_e32 v4, v22
	s_add_i32 s2, s3, s2
	s_mov_b64 s[46:47], 0
	s_mov_b64 s[48:49], s[66:67]
	;; [unrolled: 1-line block ×6, first 2 shown]
	v_mov_b32_e32 v5, v23
.LBB46_75:                              ;   Parent Loop BB46_33 Depth=1
                                        ; =>  This Inner Loop Header: Depth=2
	v_add_co_u32_e32 v8, vcc, s48, v28
	v_mov_b32_e32 v2, s49
	v_addc_co_u32_e32 v9, vcc, v2, v29, vcc
	global_load_dwordx2 v[8:9], v[8:9], off
	v_add_co_u32_e32 v10, vcc, s48, v27
	v_addc_co_u32_e32 v11, vcc, v2, v49, vcc
	global_load_dwordx2 v[10:11], v[10:11], off
	v_add_co_u32_e32 v12, vcc, s48, v26
	v_addc_co_u32_e32 v13, vcc, v2, v47, vcc
	global_load_dwordx2 v[12:13], v[12:13], off
	v_add_co_u32_e32 v14, vcc, s48, v24
	v_addc_co_u32_e32 v15, vcc, v2, v46, vcc
	global_load_dwordx2 v[14:15], v[14:15], off
	s_waitcnt vmcnt(3)
	v_cmp_o_f64_e32 vcc, v[8:9], v[8:9]
	v_ashrrev_i32_e32 v2, 31, v9
	v_or_b32_e32 v18, 0x80000000, v2
	v_xor_b32_e32 v9, v18, v9
	v_xor_b32_e32 v2, v2, v8
	v_cndmask_b32_e32 v9, -1, v9, vcc
	v_cndmask_b32_e32 v8, -1, v2, vcc
	s_waitcnt vmcnt(2)
	v_cmp_o_f64_e32 vcc, v[10:11], v[10:11]
	v_ashrrev_i32_e32 v2, 31, v11
	v_or_b32_e32 v18, 0x80000000, v2
	v_xor_b32_e32 v11, v18, v11
	v_xor_b32_e32 v2, v2, v10
	v_cndmask_b32_e32 v37, -1, v11, vcc
	v_cndmask_b32_e32 v36, -1, v2, vcc
	;; [unrolled: 8-line block ×3, first 2 shown]
	s_waitcnt vmcnt(0)
	v_cmp_o_f64_e32 vcc, v[14:15], v[14:15]
	v_ashrrev_i32_e32 v2, 31, v15
	v_or_b32_e32 v10, 0x80000000, v2
	v_xor_b32_e32 v10, v10, v15
	v_xor_b32_e32 v2, v2, v14
	v_and_b32_e32 v15, v9, v33
	v_and_b32_e32 v14, v8, v32
	v_lshrrev_b64 v[8:9], s9, v[8:9]
	v_cndmask_b32_e32 v11, -1, v10, vcc
	v_and_b32_e32 v18, 3, v8
	v_lshrrev_b64 v[8:9], s9, v[36:37]
	v_cndmask_b32_e32 v10, -1, v2, vcc
	v_cmp_eq_u64_e32 vcc, v[14:15], v[30:31]
	v_and_b32_e32 v15, v37, v33
	v_and_b32_e32 v14, v36, v32
	v_cmp_eq_u64_e64 s[6:7], 0, v[18:19]
	v_cmp_eq_u64_e64 s[12:13], v[14:15], v[30:31]
	v_and_b32_e32 v15, v13, v33
	v_and_b32_e32 v14, v12, v32
	;; [unrolled: 1-line block ×3, first 2 shown]
	v_mov_b32_e32 v9, v19
	v_lshrrev_b64 v[12:13], s9, v[12:13]
	s_and_b64 s[28:29], vcc, s[6:7]
	v_cmp_eq_u64_e64 s[6:7], 0, v[8:9]
	v_cmp_eq_u64_e64 s[14:15], v[14:15], v[30:31]
	v_and_b32_e32 v15, v11, v33
	v_and_b32_e32 v14, v10, v32
	;; [unrolled: 1-line block ×3, first 2 shown]
	v_mov_b32_e32 v13, v19
	v_lshrrev_b64 v[10:11], s9, v[10:11]
	s_and_b64 s[30:31], s[12:13], s[6:7]
	v_cmp_eq_u64_e64 s[6:7], 0, v[12:13]
	v_and_b32_e32 v10, 3, v10
	v_mov_b32_e32 v11, v19
	v_cmp_eq_u64_e64 s[16:17], v[14:15], v[30:31]
	s_and_b64 s[34:35], s[14:15], s[6:7]
	v_cmp_eq_u64_e64 s[6:7], 0, v[10:11]
	v_cndmask_b32_e64 v2, 0, 1, s[28:29]
	s_and_b64 s[36:37], s[16:17], s[6:7]
	v_cmp_ne_u32_e64 s[6:7], 0, v2
	v_cndmask_b32_e64 v2, 0, 1, s[30:31]
	s_bcnt1_i32_b64 s3, s[6:7]
	v_cmp_ne_u32_e64 s[6:7], 0, v2
	v_cndmask_b32_e64 v2, 0, 1, s[34:35]
	s_bcnt1_i32_b64 s25, s[6:7]
	;; [unrolled: 3-line block ×3, first 2 shown]
	v_cmp_ne_u32_e64 s[6:7], 0, v2
	s_bcnt1_i32_b64 s6, s[6:7]
	s_add_u32 s3, s3, s10
	s_addc_u32 s7, 0, s11
	s_add_u32 s3, s3, s25
	s_addc_u32 s7, s7, 0
	;; [unrolled: 2-line block ×4, first 2 shown]
	v_cmp_eq_u64_e64 s[6:7], 1, v[18:19]
	s_and_b64 s[28:29], vcc, s[6:7]
	v_cmp_eq_u64_e64 s[6:7], 1, v[8:9]
	v_cndmask_b32_e64 v2, 0, 1, s[28:29]
	s_and_b64 s[30:31], s[12:13], s[6:7]
	v_cmp_eq_u64_e64 s[6:7], 1, v[12:13]
	s_and_b64 s[34:35], s[14:15], s[6:7]
	v_cmp_eq_u64_e64 s[6:7], 1, v[10:11]
	s_and_b64 s[36:37], s[16:17], s[6:7]
	v_cmp_ne_u32_e64 s[6:7], 0, v2
	v_cndmask_b32_e64 v2, 0, 1, s[30:31]
	s_bcnt1_i32_b64 s3, s[6:7]
	v_cmp_ne_u32_e64 s[6:7], 0, v2
	v_cndmask_b32_e64 v2, 0, 1, s[34:35]
	s_bcnt1_i32_b64 s25, s[6:7]
	;; [unrolled: 3-line block ×3, first 2 shown]
	v_cmp_ne_u32_e64 s[6:7], 0, v2
	s_bcnt1_i32_b64 s6, s[6:7]
	s_add_u32 s3, s3, s60
	s_addc_u32 s7, 0, s61
	s_add_u32 s3, s3, s25
	s_addc_u32 s7, s7, 0
	;; [unrolled: 2-line block ×4, first 2 shown]
	v_cmp_eq_u64_e64 s[6:7], 2, v[18:19]
	s_and_b64 s[28:29], vcc, s[6:7]
	v_cmp_eq_u64_e64 s[6:7], 2, v[8:9]
	v_cndmask_b32_e64 v2, 0, 1, s[28:29]
	s_and_b64 s[30:31], s[12:13], s[6:7]
	v_cmp_eq_u64_e64 s[6:7], 2, v[12:13]
	s_and_b64 s[34:35], s[14:15], s[6:7]
	v_cmp_eq_u64_e64 s[6:7], 2, v[10:11]
	s_and_b64 s[36:37], s[16:17], s[6:7]
	v_cmp_ne_u32_e64 s[6:7], 0, v2
	v_cndmask_b32_e64 v2, 0, 1, s[30:31]
	s_bcnt1_i32_b64 s3, s[6:7]
	v_cmp_ne_u32_e64 s[6:7], 0, v2
	v_cndmask_b32_e64 v2, 0, 1, s[34:35]
	s_bcnt1_i32_b64 s25, s[6:7]
	;; [unrolled: 3-line block ×3, first 2 shown]
	v_cmp_ne_u32_e64 s[6:7], 0, v2
	s_bcnt1_i32_b64 s6, s[6:7]
	s_add_u32 s3, s3, s54
	s_addc_u32 s7, 0, s55
	s_add_u32 s3, s3, s25
	s_addc_u32 s7, s7, 0
	;; [unrolled: 2-line block ×4, first 2 shown]
	v_cmp_eq_u64_e64 s[6:7], 3, v[18:19]
	s_and_b64 s[6:7], vcc, s[6:7]
	v_cmp_eq_u64_e32 vcc, 3, v[8:9]
	v_cndmask_b32_e64 v2, 0, 1, s[6:7]
	s_and_b64 s[12:13], s[12:13], vcc
	v_cmp_eq_u64_e32 vcc, 3, v[12:13]
	v_mov_b32_e32 v8, s10
	s_and_b64 s[14:15], s[14:15], vcc
	v_cmp_eq_u64_e32 vcc, 3, v[10:11]
	v_mov_b32_e32 v10, s60
	s_and_b64 s[16:17], s[16:17], vcc
	v_cmp_ne_u32_e32 vcc, 0, v2
	v_cndmask_b32_e64 v2, 0, 1, s[12:13]
	s_bcnt1_i32_b64 s3, vcc
	v_cmp_ne_u32_e32 vcc, 0, v2
	v_cndmask_b32_e64 v2, 0, 1, s[14:15]
	s_bcnt1_i32_b64 s6, vcc
	;; [unrolled: 3-line block ×3, first 2 shown]
	v_cmp_ne_u32_e32 vcc, 0, v2
	s_bcnt1_i32_b64 s12, vcc
	s_add_u32 s3, s3, s52
	s_addc_u32 s13, 0, s53
	s_add_u32 s3, s3, s6
	s_addc_u32 s6, s13, 0
	;; [unrolled: 2-line block ×3, first 2 shown]
	s_add_u32 s52, s3, s12
	v_add_co_u32_e32 v4, vcc, s24, v4
	s_addc_u32 s53, s6, 0
	v_addc_co_u32_e32 v5, vcc, 0, v5, vcc
	s_mul_i32 s3, s84, s23
	s_add_u32 s48, s48, s3
	v_cmp_le_i64_e32 vcc, s[42:43], v[4:5]
	s_addc_u32 s49, s49, s2
	v_mov_b32_e32 v12, s54
	v_mov_b32_e32 v14, s52
	s_or_b64 s[46:47], vcc, s[46:47]
	v_mov_b32_e32 v9, s11
	v_mov_b32_e32 v11, s61
	;; [unrolled: 1-line block ×4, first 2 shown]
	s_andn2_b64 exec, exec, s[46:47]
	s_cbranch_execnz .LBB46_75
; %bb.76:                               ;   in Loop: Header=BB46_33 Depth=1
	s_or_b64 exec, exec, s[46:47]
.LBB46_77:                              ;   in Loop: Header=BB46_33 Depth=1
	s_or_b64 exec, exec, s[44:45]
	v_mov_b32_e32 v2, s43
	v_add_co_u32_e32 v4, vcc, s42, v0
	v_addc_co_u32_e32 v5, vcc, 0, v2, vcc
	v_cmp_gt_i64_e32 vcc, s[20:21], v[4:5]
	s_and_saveexec_b64 s[2:3], vcc
	s_cbranch_execz .LBB46_83
; %bb.78:                               ;   in Loop: Header=BB46_33 Depth=1
	v_mul_lo_u32 v2, v5, s26
	v_mul_lo_u32 v18, v4, s27
	v_mad_u64_u32 v[36:37], s[6:7], v4, s26, 0
	v_readlane_b32 s6, v57, 46
	v_readlane_b32 s7, v57, 47
	v_add3_u32 v37, v37, v18, v2
	v_lshlrev_b64 v[36:37], 3, v[36:37]
	v_mov_b32_e32 v2, s67
	v_add_co_u32_e32 v36, vcc, s66, v36
	v_addc_co_u32_e32 v37, vcc, v2, v37, vcc
	global_load_dwordx2 v[40:41], v[36:37], off
	v_add_co_u32_e32 v2, vcc, s23, v50
	v_addc_co_u32_e32 v18, vcc, 0, v51, vcc
	v_mov_b32_e32 v36, s41
	v_subrev_co_u32_e32 v2, vcc, s40, v2
	v_subb_co_u32_e32 v18, vcc, v18, v36, vcc
	v_mov_b32_e32 v37, s7
	v_mov_b32_e32 v36, s6
	v_mul_lo_u32 v18, s82, v18
	v_mul_lo_u32 v38, s83, v2
	v_mad_u64_u32 v[36:37], s[6:7], s82, v2, v[36:37]
	s_mul_i32 s6, s83, s23
	s_mul_hi_u32 s7, s82, s23
	v_add3_u32 v37, v38, v37, v18
	s_add_i32 s14, s7, s6
	s_mov_b64 s[10:11], 0
	s_branch .LBB46_80
.LBB46_79:                              ;   in Loop: Header=BB46_80 Depth=2
	s_or_b64 exec, exec, s[12:13]
	s_and_b64 s[6:7], exec, vcc
	s_waitcnt vmcnt(0)
	v_cmp_o_f64_e32 vcc, v[40:41], v[40:41]
	v_ashrrev_i32_e32 v2, 31, v41
	v_or_b32_e32 v18, 0x80000000, v2
	v_xor_b32_e32 v18, v18, v41
	v_xor_b32_e32 v2, v2, v40
	s_or_b64 s[10:11], s[6:7], s[10:11]
	v_cndmask_b32_e32 v41, -1, v18, vcc
	v_cndmask_b32_e32 v40, -1, v2, vcc
	v_and_b32_e32 v56, v41, v33
	v_and_b32_e32 v55, v40, v32
	v_lshrrev_b64 v[40:41], s9, v[40:41]
	v_cmp_eq_u64_e32 vcc, v[55:56], v[30:31]
	v_and_b32_e32 v18, 3, v40
	v_cmp_eq_u64_e64 s[6:7], 0, v[18:19]
	v_mov_b32_e32 v41, v39
	s_and_b64 s[6:7], vcc, s[6:7]
	v_cndmask_b32_e64 v2, 0, 1, s[6:7]
	v_cmp_ne_u32_e64 s[6:7], 0, v2
	s_bcnt1_i32_b64 s6, s[6:7]
	v_add_co_u32_e64 v8, s[6:7], s6, v8
	v_addc_co_u32_e64 v9, s[6:7], 0, v9, s[6:7]
	v_cmp_eq_u64_e64 s[6:7], 1, v[18:19]
	v_mov_b32_e32 v40, v38
	s_and_b64 s[6:7], vcc, s[6:7]
	v_cndmask_b32_e64 v2, 0, 1, s[6:7]
	v_cmp_ne_u32_e64 s[6:7], 0, v2
	s_bcnt1_i32_b64 s6, s[6:7]
	v_add_co_u32_e64 v10, s[6:7], s6, v10
	v_addc_co_u32_e64 v11, s[6:7], 0, v11, s[6:7]
	v_cmp_eq_u64_e64 s[6:7], 2, v[18:19]
	s_and_b64 s[6:7], vcc, s[6:7]
	v_cndmask_b32_e64 v2, 0, 1, s[6:7]
	v_cmp_ne_u32_e64 s[6:7], 0, v2
	s_bcnt1_i32_b64 s6, s[6:7]
	v_add_co_u32_e64 v12, s[6:7], s6, v12
	v_addc_co_u32_e64 v13, s[6:7], 0, v13, s[6:7]
	v_cmp_eq_u64_e64 s[6:7], 3, v[18:19]
	s_and_b64 s[6:7], vcc, s[6:7]
	v_cndmask_b32_e64 v2, 0, 1, s[6:7]
	v_cmp_ne_u32_e32 vcc, 0, v2
	s_bcnt1_i32_b64 s6, vcc
	v_add_co_u32_e32 v14, vcc, s6, v14
	v_addc_co_u32_e32 v15, vcc, 0, v15, vcc
	s_mul_i32 s6, s82, s23
	v_add_co_u32_e32 v36, vcc, s6, v36
	v_mov_b32_e32 v2, s14
	v_addc_co_u32_e32 v37, vcc, v37, v2, vcc
	s_andn2_b64 exec, exec, s[10:11]
	s_cbranch_execz .LBB46_82
.LBB46_80:                              ;   Parent Loop BB46_33 Depth=1
                                        ; =>  This Inner Loop Header: Depth=2
	v_add_co_u32_e32 v4, vcc, s23, v4
	v_addc_co_u32_e32 v5, vcc, 0, v5, vcc
	v_cmp_gt_i64_e64 s[6:7], s[20:21], v[4:5]
	v_cmp_le_i64_e32 vcc, s[20:21], v[4:5]
	v_mov_b32_e32 v38, 0
	v_mov_b32_e32 v39, 0
	s_and_saveexec_b64 s[12:13], s[6:7]
	s_cbranch_execz .LBB46_79
; %bb.81:                               ;   in Loop: Header=BB46_80 Depth=2
	global_load_dwordx2 v[38:39], v[36:37], off
	s_branch .LBB46_79
.LBB46_82:                              ;   in Loop: Header=BB46_33 Depth=1
	s_or_b64 exec, exec, s[10:11]
.LBB46_83:                              ;   in Loop: Header=BB46_33 Depth=1
	s_or_b64 exec, exec, s[2:3]
	s_branch .LBB46_62
.LBB46_84:                              ;   in Loop: Header=BB46_33 Depth=1
	global_load_ushort v2, v19, s[74:75]
	v_mov_b32_e32 v8, 0
	v_mov_b32_e32 v10, 0
	v_mov_b32_e32 v12, 0
	v_mov_b32_e32 v14, 0
	v_mov_b32_e32 v9, 0
	v_mov_b32_e32 v11, 0
	v_mov_b32_e32 v13, 0
	v_mov_b32_e32 v15, 0
	s_waitcnt vmcnt(0)
	v_readfirstlane_b32 s2, v2
	s_and_b32 s2, 0xffff, s2
	s_lshl_b32 s3, s2, 2
	v_cvt_f32_u32_e32 v4, s3
	s_sub_i32 s6, 0, s3
	v_rcp_iflag_f32_e32 v4, v4
	v_mul_f32_e32 v4, 0x4f7ffffe, v4
	v_cvt_u32_f32_e32 v4, v4
	v_readfirstlane_b32 s7, v4
	s_mul_i32 s6, s6, s7
	s_mul_hi_u32 s6, s7, s6
	s_add_i32 s7, s7, s6
	s_mul_hi_u32 s6, s22, s7
	s_mul_i32 s7, s6, s3
	s_sub_i32 s7, s22, s7
	s_add_i32 s10, s6, 1
	s_sub_i32 s11, s7, s3
	s_cmp_ge_u32 s7, s3
	s_cselect_b32 s6, s10, s6
	s_cselect_b32 s7, s11, s7
	s_add_i32 s10, s6, 1
	s_cmp_ge_u32 s7, s3
	s_cselect_b32 s6, s10, s6
	s_mul_hi_u32 s11, s2, s6
	s_mul_i32 s10, s2, s6
	s_lshl_b64 s[40:41], s[10:11], 2
	v_cmp_gt_u64_e32 vcc, s[40:41], v[22:23]
	s_and_saveexec_b64 s[42:43], vcc
	s_cbranch_execz .LBB46_88
; %bb.85:                               ;   in Loop: Header=BB46_33 Depth=1
	v_mov_b32_e32 v4, v22
	s_lshl_b32 s11, s2, 5
	s_mov_b64 s[44:45], 0
	v_mov_b32_e32 v36, v45
	s_mov_b64 s[46:47], 0
	s_mov_b64 s[48:49], 0
	;; [unrolled: 1-line block ×4, first 2 shown]
	v_mov_b32_e32 v5, v23
.LBB46_86:                              ;   Parent Loop BB46_33 Depth=1
                                        ; =>  This Inner Loop Header: Depth=2
	ds_read_b128 v[8:11], v36
	ds_read_b128 v[12:15], v36 offset:16
	v_add_u32_e32 v36, s11, v36
	s_waitcnt lgkmcnt(1)
	v_cmp_o_f64_e32 vcc, v[8:9], v[8:9]
	v_ashrrev_i32_e32 v18, 31, v9
	v_or_b32_e32 v37, 0x80000000, v18
	v_xor_b32_e32 v9, v37, v9
	v_xor_b32_e32 v8, v18, v8
	v_ashrrev_i32_e32 v18, 31, v11
	v_or_b32_e32 v37, 0x80000000, v18
	v_cndmask_b32_e32 v9, -1, v9, vcc
	v_cndmask_b32_e32 v8, -1, v8, vcc
	v_cmp_o_f64_e32 vcc, v[10:11], v[10:11]
	v_xor_b32_e32 v11, v37, v11
	v_xor_b32_e32 v10, v18, v10
	v_cndmask_b32_e32 v38, -1, v11, vcc
	v_cndmask_b32_e32 v37, -1, v10, vcc
	s_waitcnt lgkmcnt(0)
	v_cmp_o_f64_e32 vcc, v[12:13], v[12:13]
	v_ashrrev_i32_e32 v10, 31, v13
	v_or_b32_e32 v11, 0x80000000, v10
	v_xor_b32_e32 v11, v11, v13
	v_xor_b32_e32 v10, v10, v12
	v_cndmask_b32_e32 v13, -1, v11, vcc
	v_cndmask_b32_e32 v12, -1, v10, vcc
	v_cmp_o_f64_e32 vcc, v[14:15], v[14:15]
	v_ashrrev_i32_e32 v10, 31, v15
	v_or_b32_e32 v11, 0x80000000, v10
	v_xor_b32_e32 v11, v11, v15
	v_xor_b32_e32 v10, v10, v14
	v_and_b32_e32 v15, v9, v33
	v_and_b32_e32 v14, v8, v32
	v_lshrrev_b64 v[8:9], s9, v[8:9]
	v_cndmask_b32_e32 v11, -1, v11, vcc
	v_and_b32_e32 v18, 3, v8
	v_lshrrev_b64 v[8:9], s9, v[37:38]
	v_cndmask_b32_e32 v10, -1, v10, vcc
	v_cmp_eq_u64_e32 vcc, v[14:15], v[30:31]
	v_and_b32_e32 v15, v38, v33
	v_and_b32_e32 v14, v37, v32
	v_cmp_eq_u64_e64 s[6:7], 0, v[18:19]
	v_cmp_eq_u64_e64 s[12:13], v[14:15], v[30:31]
	v_and_b32_e32 v15, v13, v33
	v_and_b32_e32 v14, v12, v32
	;; [unrolled: 1-line block ×3, first 2 shown]
	v_mov_b32_e32 v9, v19
	v_lshrrev_b64 v[12:13], s9, v[12:13]
	s_and_b64 s[24:25], vcc, s[6:7]
	v_cmp_eq_u64_e64 s[6:7], 0, v[8:9]
	v_cmp_eq_u64_e64 s[14:15], v[14:15], v[30:31]
	v_and_b32_e32 v15, v11, v33
	v_and_b32_e32 v14, v10, v32
	;; [unrolled: 1-line block ×3, first 2 shown]
	v_mov_b32_e32 v13, v19
	v_lshrrev_b64 v[10:11], s9, v[10:11]
	s_and_b64 s[28:29], s[12:13], s[6:7]
	v_cmp_eq_u64_e64 s[6:7], 0, v[12:13]
	v_and_b32_e32 v10, 3, v10
	v_mov_b32_e32 v11, v19
	v_cmp_eq_u64_e64 s[16:17], v[14:15], v[30:31]
	s_and_b64 s[30:31], s[14:15], s[6:7]
	v_cmp_eq_u64_e64 s[6:7], 0, v[10:11]
	v_cndmask_b32_e64 v14, 0, 1, s[24:25]
	s_and_b64 s[34:35], s[16:17], s[6:7]
	v_cmp_ne_u32_e64 s[6:7], 0, v14
	v_cndmask_b32_e64 v14, 0, 1, s[28:29]
	s_bcnt1_i32_b64 s23, s[6:7]
	v_cmp_ne_u32_e64 s[6:7], 0, v14
	v_cndmask_b32_e64 v14, 0, 1, s[30:31]
	s_bcnt1_i32_b64 s24, s[6:7]
	;; [unrolled: 3-line block ×3, first 2 shown]
	v_cmp_ne_u32_e64 s[6:7], 0, v14
	s_bcnt1_i32_b64 s6, s[6:7]
	s_add_u32 s7, s23, s54
	s_addc_u32 s23, 0, s55
	s_add_u32 s7, s7, s24
	s_addc_u32 s23, s23, 0
	;; [unrolled: 2-line block ×3, first 2 shown]
	s_add_u32 s54, s7, s6
	v_cmp_eq_u64_e64 s[6:7], 1, v[18:19]
	s_addc_u32 s55, s23, 0
	s_and_b64 s[24:25], vcc, s[6:7]
	v_cmp_eq_u64_e64 s[6:7], 1, v[8:9]
	v_cndmask_b32_e64 v14, 0, 1, s[24:25]
	s_and_b64 s[28:29], s[12:13], s[6:7]
	v_cmp_eq_u64_e64 s[6:7], 1, v[12:13]
	s_and_b64 s[30:31], s[14:15], s[6:7]
	v_cmp_eq_u64_e64 s[6:7], 1, v[10:11]
	s_and_b64 s[34:35], s[16:17], s[6:7]
	v_cmp_ne_u32_e64 s[6:7], 0, v14
	v_cndmask_b32_e64 v14, 0, 1, s[28:29]
	s_bcnt1_i32_b64 s23, s[6:7]
	v_cmp_ne_u32_e64 s[6:7], 0, v14
	v_cndmask_b32_e64 v14, 0, 1, s[30:31]
	s_bcnt1_i32_b64 s24, s[6:7]
	;; [unrolled: 3-line block ×3, first 2 shown]
	v_cmp_ne_u32_e64 s[6:7], 0, v14
	s_bcnt1_i32_b64 s6, s[6:7]
	s_add_u32 s7, s23, s52
	s_addc_u32 s23, 0, s53
	s_add_u32 s7, s7, s24
	s_addc_u32 s23, s23, 0
	;; [unrolled: 2-line block ×3, first 2 shown]
	s_add_u32 s52, s7, s6
	v_cmp_eq_u64_e64 s[6:7], 2, v[18:19]
	s_addc_u32 s53, s23, 0
	s_and_b64 s[24:25], vcc, s[6:7]
	v_cmp_eq_u64_e64 s[6:7], 2, v[8:9]
	v_cndmask_b32_e64 v14, 0, 1, s[24:25]
	s_and_b64 s[28:29], s[12:13], s[6:7]
	v_cmp_eq_u64_e64 s[6:7], 2, v[12:13]
	s_and_b64 s[30:31], s[14:15], s[6:7]
	v_cmp_eq_u64_e64 s[6:7], 2, v[10:11]
	s_and_b64 s[34:35], s[16:17], s[6:7]
	v_cmp_ne_u32_e64 s[6:7], 0, v14
	v_cndmask_b32_e64 v14, 0, 1, s[28:29]
	s_bcnt1_i32_b64 s23, s[6:7]
	v_cmp_ne_u32_e64 s[6:7], 0, v14
	v_cndmask_b32_e64 v14, 0, 1, s[30:31]
	s_bcnt1_i32_b64 s24, s[6:7]
	;; [unrolled: 3-line block ×3, first 2 shown]
	v_cmp_ne_u32_e64 s[6:7], 0, v14
	s_bcnt1_i32_b64 s6, s[6:7]
	s_add_u32 s7, s23, s48
	s_addc_u32 s23, 0, s49
	s_add_u32 s7, s7, s24
	s_addc_u32 s23, s23, 0
	;; [unrolled: 2-line block ×3, first 2 shown]
	s_add_u32 s48, s7, s6
	v_cmp_eq_u64_e64 s[6:7], 3, v[18:19]
	s_addc_u32 s49, s23, 0
	s_and_b64 s[6:7], vcc, s[6:7]
	v_cmp_eq_u64_e32 vcc, 3, v[8:9]
	v_cndmask_b32_e64 v8, 0, 1, s[6:7]
	s_and_b64 s[12:13], s[12:13], vcc
	v_cmp_eq_u64_e32 vcc, 3, v[12:13]
	v_mov_b32_e32 v12, s48
	s_and_b64 s[14:15], s[14:15], vcc
	v_cmp_eq_u64_e32 vcc, 3, v[10:11]
	v_mov_b32_e32 v10, s52
	s_and_b64 s[16:17], s[16:17], vcc
	v_cmp_ne_u32_e32 vcc, 0, v8
	v_cndmask_b32_e64 v8, 0, 1, s[12:13]
	s_bcnt1_i32_b64 s6, vcc
	v_cmp_ne_u32_e32 vcc, 0, v8
	v_cndmask_b32_e64 v8, 0, 1, s[14:15]
	s_bcnt1_i32_b64 s7, vcc
	;; [unrolled: 3-line block ×3, first 2 shown]
	v_cmp_ne_u32_e32 vcc, 0, v8
	s_bcnt1_i32_b64 s13, vcc
	s_add_u32 s6, s6, s46
	s_addc_u32 s14, 0, s47
	s_add_u32 s6, s6, s7
	s_addc_u32 s7, s14, 0
	s_add_u32 s6, s6, s12
	v_add_co_u32_e32 v4, vcc, s3, v4
	s_addc_u32 s7, s7, 0
	v_addc_co_u32_e32 v5, vcc, 0, v5, vcc
	s_add_u32 s46, s6, s13
	v_cmp_le_u64_e32 vcc, s[40:41], v[4:5]
	s_addc_u32 s47, s7, 0
	v_mov_b32_e32 v8, s54
	v_mov_b32_e32 v14, s46
	s_or_b64 s[44:45], vcc, s[44:45]
	v_mov_b32_e32 v9, s55
	v_mov_b32_e32 v11, s53
	v_mov_b32_e32 v13, s49
	v_mov_b32_e32 v15, s47
	s_andn2_b64 exec, exec, s[44:45]
	s_cbranch_execnz .LBB46_86
; %bb.87:                               ;   in Loop: Header=BB46_33 Depth=1
	s_or_b64 exec, exec, s[44:45]
.LBB46_88:                              ;   in Loop: Header=BB46_33 Depth=1
	s_or_b64 exec, exec, s[42:43]
	v_mov_b32_e32 v5, s41
	v_add_co_u32_e32 v4, vcc, s40, v0
	s_and_b32 s62, s22, 0x7fffffff
	v_addc_co_u32_e32 v5, vcc, 0, v5, vcc
	v_cmp_gt_u64_e32 vcc, s[62:63], v[4:5]
	s_and_saveexec_b64 s[12:13], vcc
	s_cbranch_execz .LBB46_92
; %bb.89:                               ;   in Loop: Header=BB46_33 Depth=1
	v_lshl_add_u32 v36, s10, 5, v53
	s_lshl_b32 s2, s2, 3
	s_mov_b64 s[10:11], 0
.LBB46_90:                              ;   Parent Loop BB46_33 Depth=1
                                        ; =>  This Inner Loop Header: Depth=2
	ds_read_b64 v[37:38], v36
	v_add_u32_e32 v36, s2, v36
	s_waitcnt lgkmcnt(0)
	v_cmp_o_f64_e32 vcc, v[37:38], v[37:38]
	v_ashrrev_i32_e32 v18, 31, v38
	v_or_b32_e32 v39, 0x80000000, v18
	v_xor_b32_e32 v38, v39, v38
	v_xor_b32_e32 v18, v18, v37
	v_cndmask_b32_e32 v38, -1, v38, vcc
	v_cndmask_b32_e32 v37, -1, v18, vcc
	v_and_b32_e32 v40, v38, v33
	v_and_b32_e32 v39, v37, v32
	v_lshrrev_b64 v[37:38], s9, v[37:38]
	v_cmp_eq_u64_e32 vcc, v[39:40], v[30:31]
	v_and_b32_e32 v18, 3, v37
	v_cmp_eq_u64_e64 s[6:7], 0, v[18:19]
	s_and_b64 s[6:7], vcc, s[6:7]
	v_cndmask_b32_e64 v37, 0, 1, s[6:7]
	v_cmp_ne_u32_e64 s[6:7], 0, v37
	s_bcnt1_i32_b64 s3, s[6:7]
	v_add_co_u32_e64 v8, s[6:7], s3, v8
	v_addc_co_u32_e64 v9, s[6:7], 0, v9, s[6:7]
	v_cmp_eq_u64_e64 s[6:7], 1, v[18:19]
	s_and_b64 s[6:7], vcc, s[6:7]
	v_cndmask_b32_e64 v37, 0, 1, s[6:7]
	v_cmp_ne_u32_e64 s[6:7], 0, v37
	s_bcnt1_i32_b64 s3, s[6:7]
	v_add_co_u32_e64 v10, s[6:7], s3, v10
	v_addc_co_u32_e64 v11, s[6:7], 0, v11, s[6:7]
	v_cmp_eq_u64_e64 s[6:7], 2, v[18:19]
	s_and_b64 s[6:7], vcc, s[6:7]
	v_cndmask_b32_e64 v37, 0, 1, s[6:7]
	v_cmp_ne_u32_e64 s[6:7], 0, v37
	s_bcnt1_i32_b64 s3, s[6:7]
	v_add_co_u32_e64 v12, s[6:7], s3, v12
	v_addc_co_u32_e64 v13, s[6:7], 0, v13, s[6:7]
	v_cmp_eq_u64_e64 s[6:7], 3, v[18:19]
	s_and_b64 s[6:7], vcc, s[6:7]
	v_cndmask_b32_e64 v18, 0, 1, s[6:7]
	v_cmp_ne_u32_e32 vcc, 0, v18
	s_bcnt1_i32_b64 s3, vcc
	v_add_co_u32_e32 v14, vcc, s3, v14
	v_addc_co_u32_e32 v15, vcc, 0, v15, vcc
	v_add_co_u32_sdwa v4, vcc, v4, v2 dst_sel:DWORD dst_unused:UNUSED_PAD src0_sel:DWORD src1_sel:WORD_0
	v_addc_co_u32_e32 v5, vcc, 0, v5, vcc
	v_cmp_le_u64_e32 vcc, s[62:63], v[4:5]
	s_or_b64 s[10:11], vcc, s[10:11]
	s_andn2_b64 exec, exec, s[10:11]
	s_cbranch_execnz .LBB46_90
; %bb.91:                               ;   in Loop: Header=BB46_33 Depth=1
	s_or_b64 exec, exec, s[10:11]
.LBB46_92:                              ;   in Loop: Header=BB46_33 Depth=1
	s_or_b64 exec, exec, s[12:13]
	s_lshl_b32 s6, s70, 6
	s_and_saveexec_b64 s[2:3], s[4:5]
	s_cbranch_execnz .LBB46_63
	s_branch .LBB46_64
.LBB46_93:                              ;   in Loop: Header=BB46_33 Depth=1
                                        ; implicit-def: $sgpr40_sgpr41
	s_branch .LBB46_72
.LBB46_94:                              ;   in Loop: Header=BB46_33 Depth=1
	s_or_b64 exec, exec, s[10:11]
	s_waitcnt lgkmcnt(0)
	s_barrier
	s_mov_b64 s[6:7], exec
	v_readlane_b32 s10, v57, 30
	v_readlane_b32 s11, v57, 31
	s_and_b64 s[10:11], s[6:7], s[10:11]
	s_mov_b64 exec, s[10:11]
	s_cbranch_execz .LBB46_96
; %bb.95:                               ;   in Loop: Header=BB46_33 Depth=1
	ds_read_b32 v4, v19 offset:5136
	s_waitcnt lgkmcnt(0)
	v_ashrrev_i32_e32 v5, 31, v4
	ds_write_b64 v19, v[4:5] offset:5120
.LBB46_96:                              ;   in Loop: Header=BB46_33 Depth=1
	s_or_b64 exec, exec, s[6:7]
	s_waitcnt lgkmcnt(0)
	s_barrier
	s_mov_b64 s[6:7], -1
	s_and_b64 vcc, exec, s[2:3]
	s_cbranch_vccnz .LBB46_49
	s_branch .LBB46_58
.LBB46_97:                              ;   in Loop: Header=BB46_33 Depth=1
	v_mov_b32_e32 v4, 0
	v_mov_b32_e32 v5, 0
	s_mov_b32 s7, 0
.LBB46_98:                              ;   in Loop: Header=BB46_33 Depth=1
	v_readlane_b32 s10, v57, 44
	v_readlane_b32 s11, v57, 45
	s_andn2_b64 vcc, exec, s[10:11]
	s_cbranch_vccnz .LBB46_101
; %bb.99:                               ;   in Loop: Header=BB46_33 Depth=1
	s_lshl_b32 s10, s70, 9
	s_lshl_b32 s7, s7, 5
	s_add_i32 s10, s10, s7
	v_add_u32_e32 v2, s10, v52
	s_mov_b32 s7, s80
.LBB46_100:                             ;   Parent Loop BB46_33 Depth=1
                                        ; =>  This Inner Loop Header: Depth=2
	ds_read_b64 v[8:9], v2
	s_add_i32 s7, s7, -1
	v_add_u32_e32 v2, 32, v2
	s_cmp_lg_u32 s7, 0
	s_waitcnt lgkmcnt(0)
	v_add_co_u32_e32 v4, vcc, v8, v4
	v_addc_co_u32_e32 v5, vcc, v9, v5, vcc
	s_cbranch_scc1 .LBB46_100
.LBB46_101:                             ;   in Loop: Header=BB46_33 Depth=1
	v_add_lshl_u32 v2, s6, v42, 3
	ds_write_b64 v2, v[4:5] offset:3072
.LBB46_102:                             ;   in Loop: Header=BB46_33 Depth=1
	s_or_b64 exec, exec, s[2:3]
	s_lshl_b32 s2, s6, 3
	v_mov_b32_e32 v2, s2
	s_waitcnt lgkmcnt(0)
	s_barrier
	ds_read_b128 v[12:15], v2 offset:3088
	ds_read_b128 v[8:11], v2 offset:3072
	v_cmp_eq_u64_e64 s[6:7], 1, v[34:35]
	s_lshl_b64 s[14:15], 3, s9
	s_not_b64 s[40:41], s[14:15]
	s_waitcnt lgkmcnt(1)
	v_readfirstlane_b32 s60, v12
	s_waitcnt lgkmcnt(0)
	v_cmp_eq_u64_e32 vcc, 1, v[8:9]
	v_readfirstlane_b32 s61, v13
	v_readfirstlane_b32 s12, v14
	;; [unrolled: 1-line block ×3, first 2 shown]
	s_and_b64 s[10:11], vcc, s[6:7]
	s_mov_b64 s[6:7], -1
	s_mov_b64 s[2:3], -1
                                        ; implicit-def: $sgpr42_sgpr43
                                        ; implicit-def: $sgpr24_sgpr25
	s_and_saveexec_b64 s[16:17], s[10:11]
	s_cbranch_execz .LBB46_136
; %bb.103:                              ;   in Loop: Header=BB46_33 Depth=1
	ds_read_b64 v[4:5], v19 offset:5120
	s_waitcnt lgkmcnt(0)
	s_barrier
	v_readfirstlane_b32 s22, v4
	v_readfirstlane_b32 s23, v5
	s_and_saveexec_b64 s[2:3], s[18:19]
; %bb.104:                              ;   in Loop: Header=BB46_33 Depth=1
	v_mov_b32_e32 v18, v19
	ds_write_b64 v54, v[18:19]
; %bb.105:                              ;   in Loop: Header=BB46_33 Depth=1
	s_or_b64 exec, exec, s[2:3]
	v_cmp_lt_i64_e64 s[2:3], s[22:23], 1
	v_and_b32_e32 v31, s41, v31
	v_and_b32_e32 v30, s40, v30
	v_or_b32_e32 v33, s15, v33
	v_or_b32_e32 v32, s14, v32
	s_mov_b64 s[24:25], -1
	s_mov_b64 s[42:43], 0
	s_and_b64 vcc, exec, s[2:3]
	s_mov_b64 s[2:3], 0
	s_mov_b64 s[28:29], -1
	s_waitcnt lgkmcnt(0)
	s_barrier
                                        ; implicit-def: $vgpr6_vgpr7
	s_cbranch_vccz .LBB46_120
; %bb.106:                              ;   in Loop: Header=BB46_33 Depth=1
	s_mov_b32 s72, s63
	s_cmp_lg_u64 s[72:73], 0
	s_cbranch_scc0 .LBB46_163
; %bb.107:                              ;   in Loop: Header=BB46_33 Depth=1
	s_add_u32 s2, s33, 0
	s_addc_u32 s3, 0, 0
	s_xor_b64 s[2:3], s[2:3], 0
	v_cvt_f32_u32_e32 v2, s2
	v_cvt_f32_u32_e32 v4, s3
	s_sub_u32 s30, 0, s2
	s_subb_u32 s31, 0, s3
	v_mac_f32_e32 v2, 0x4f800000, v4
	v_rcp_f32_e32 v2, v2
	v_mul_f32_e32 v2, 0x5f7ffffc, v2
	v_mul_f32_e32 v4, 0x2f800000, v2
	v_trunc_f32_e32 v4, v4
	v_mac_f32_e32 v2, 0xcf800000, v4
	v_cvt_u32_f32_e32 v4, v4
	v_cvt_u32_f32_e32 v2, v2
	v_readfirstlane_b32 s34, v4
	v_readfirstlane_b32 s28, v2
	s_mul_i32 s29, s30, s34
	s_mul_hi_u32 s36, s30, s28
	s_mul_i32 s35, s31, s28
	s_add_i32 s29, s36, s29
	s_mul_i32 s37, s30, s28
	s_add_i32 s29, s29, s35
	s_mul_i32 s36, s28, s29
	s_mul_hi_u32 s38, s28, s37
	s_mul_hi_u32 s35, s28, s29
	s_add_u32 s36, s38, s36
	s_addc_u32 s35, 0, s35
	s_mul_hi_u32 s39, s34, s37
	s_mul_i32 s37, s34, s37
	s_add_u32 s36, s36, s37
	s_mul_hi_u32 s38, s34, s29
	s_addc_u32 s35, s35, s39
	s_addc_u32 s36, s38, 0
	s_mul_i32 s29, s34, s29
	s_add_u32 s29, s35, s29
	s_addc_u32 s35, 0, s36
	s_add_u32 s36, s28, s29
	s_cselect_b64 s[28:29], -1, 0
	s_cmp_lg_u64 s[28:29], 0
	s_addc_u32 s34, s34, s35
	s_mul_i32 s28, s30, s34
	s_mul_hi_u32 s29, s30, s36
	s_add_i32 s28, s29, s28
	s_mul_i32 s31, s31, s36
	s_add_i32 s28, s28, s31
	s_mul_i32 s30, s30, s36
	s_mul_hi_u32 s31, s34, s30
	s_mul_i32 s35, s34, s30
	s_mul_i32 s38, s36, s28
	s_mul_hi_u32 s30, s36, s30
	s_mul_hi_u32 s37, s36, s28
	s_add_u32 s30, s30, s38
	s_addc_u32 s37, 0, s37
	s_add_u32 s30, s30, s35
	s_mul_hi_u32 s29, s34, s28
	s_addc_u32 s30, s37, s31
	s_addc_u32 s29, s29, 0
	s_mul_i32 s28, s34, s28
	s_add_u32 s28, s30, s28
	s_addc_u32 s30, 0, s29
	s_add_u32 s35, s36, s28
	s_cselect_b64 s[28:29], -1, 0
	s_cmp_lg_u64 s[28:29], 0
	s_addc_u32 s34, s34, s30
	s_ashr_i32 s28, s73, 31
	s_add_u32 s30, s0, s28
	s_mov_b32 s29, s28
	s_addc_u32 s31, s73, s28
	s_xor_b64 s[30:31], s[30:31], s[28:29]
	s_mul_i32 s37, s30, s34
	s_mul_hi_u32 s38, s30, s35
	s_mul_hi_u32 s36, s30, s34
	s_add_u32 s37, s38, s37
	s_addc_u32 s36, 0, s36
	s_mul_hi_u32 s39, s31, s35
	s_mul_i32 s35, s31, s35
	s_add_u32 s35, s37, s35
	s_mul_hi_u32 s38, s31, s34
	s_addc_u32 s35, s36, s39
	s_addc_u32 s36, s38, 0
	s_mul_i32 s34, s31, s34
	s_add_u32 s34, s35, s34
	s_addc_u32 s35, 0, s36
	s_mul_i32 s35, s2, s35
	s_mul_hi_u32 s36, s2, s34
	s_add_i32 s35, s36, s35
	s_mul_i32 s36, s3, s34
	s_add_i32 s38, s35, s36
	s_sub_i32 s36, s31, s38
	s_mul_i32 s34, s2, s34
	s_sub_u32 s30, s30, s34
	s_cselect_b64 s[34:35], -1, 0
	s_cmp_lg_u64 s[34:35], 0
	s_subb_u32 s39, s36, s3
	s_sub_u32 s44, s30, s2
	s_cselect_b64 s[36:37], -1, 0
	s_cmp_lg_u64 s[36:37], 0
	s_subb_u32 s45, s39, 0
	s_cmp_ge_u32 s45, s3
	s_cselect_b32 s46, -1, 0
	s_cmp_ge_u32 s44, s2
	s_cselect_b32 s47, -1, 0
	s_cmp_eq_u32 s45, s3
	s_cselect_b32 s46, s47, s46
	s_cmp_lg_u64 s[36:37], 0
	s_subb_u32 s39, s39, s3
	s_sub_u32 s47, s44, s2
	s_cselect_b64 s[36:37], -1, 0
	s_cmp_lg_u64 s[36:37], 0
	s_subb_u32 s36, s39, 0
	s_cmp_lg_u32 s46, 0
	s_cselect_b32 s37, s47, s44
	s_cselect_b32 s36, s36, s45
	s_cmp_lg_u64 s[34:35], 0
	s_subb_u32 s31, s31, s38
	s_cmp_ge_u32 s31, s3
	s_cselect_b32 s34, -1, 0
	s_cmp_ge_u32 s30, s2
	s_cselect_b32 s2, -1, 0
	s_cmp_eq_u32 s31, s3
	s_cselect_b32 s2, s2, s34
	s_cmp_lg_u32 s2, 0
	s_cselect_b32 s3, s36, s31
	s_cselect_b32 s2, s37, s30
	s_xor_b64 s[2:3], s[2:3], s[28:29]
	s_sub_u32 s2, s2, s28
	s_subb_u32 s3, s3, s28
	s_cbranch_execnz .LBB46_109
.LBB46_108:                             ;   in Loop: Header=BB46_33 Depth=1
	v_cvt_f32_u32_e32 v2, s33
	s_sub_i32 s2, 0, s33
	v_rcp_iflag_f32_e32 v2, v2
	v_mul_f32_e32 v2, 0x4f7ffffe, v2
	v_cvt_u32_f32_e32 v2, v2
	v_readfirstlane_b32 s3, v2
	s_mul_i32 s2, s2, s3
	s_mul_hi_u32 s2, s3, s2
	s_add_i32 s3, s3, s2
	s_mul_hi_u32 s2, s0, s3
	s_mul_i32 s2, s2, s33
	s_sub_i32 s2, s0, s2
	s_sub_i32 s3, s2, s33
	s_cmp_ge_u32 s2, s33
	s_cselect_b32 s2, s3, s2
	s_sub_i32 s3, s2, s33
	s_cmp_ge_u32 s2, s33
	s_cselect_b32 s62, s3, s2
	s_mov_b64 s[2:3], s[62:63]
.LBB46_109:                             ;   in Loop: Header=BB46_33 Depth=1
	s_sub_u32 s36, s0, s2
	s_subb_u32 s37, s73, s3
	v_cmp_gt_i64_e32 vcc, s[36:37], v[0:1]
	s_mov_b64 s[28:29], 0
	s_mov_b64 s[2:3], 0
                                        ; implicit-def: $vgpr6_vgpr7
	s_and_saveexec_b64 s[30:31], vcc
	s_cbranch_execz .LBB46_119
; %bb.110:                              ;   in Loop: Header=BB46_33 Depth=1
	v_mov_b32_e32 v12, v16
	v_mov_b32_e32 v15, v1
	v_mov_b32_e32 v13, v17
	v_mov_b32_e32 v14, v0
                                        ; implicit-def: $sgpr38_sgpr39
	s_branch .LBB46_114
.LBB46_111:                             ;   in Loop: Header=BB46_114 Depth=2
	s_or_b64 exec, exec, s[34:35]
	s_waitcnt lgkmcnt(0)
	s_barrier
	ds_read_b128 v[4:7], v19 offset:3072
	s_waitcnt lgkmcnt(0)
	s_barrier
	v_cmp_neq_f64_e32 vcc, 0, v[4:5]
	s_cbranch_vccnz .LBB46_117
; %bb.112:                              ;   in Loop: Header=BB46_114 Depth=2
	v_add_co_u32_e32 v14, vcc, s33, v14
	v_addc_co_u32_e32 v15, vcc, 0, v15, vcc
	v_mov_b32_e32 v2, s65
	v_add_co_u32_e32 v12, vcc, s64, v12
	v_addc_co_u32_e32 v13, vcc, v13, v2, vcc
	v_cmp_le_i64_e32 vcc, s[36:37], v[14:15]
	s_mov_b64 s[34:35], 0
	s_orn2_b64 s[44:45], vcc, exec
.LBB46_113:                             ;   in Loop: Header=BB46_114 Depth=2
	s_and_b64 s[44:45], exec, s[44:45]
	s_or_b64 s[2:3], s[44:45], s[2:3]
	s_andn2_b64 s[38:39], s[38:39], exec
	s_and_b64 s[34:35], s[34:35], exec
	s_or_b64 s[38:39], s[38:39], s[34:35]
	s_andn2_b64 exec, exec, s[2:3]
	s_cbranch_execz .LBB46_118
.LBB46_114:                             ;   Parent Loop BB46_33 Depth=1
                                        ; =>  This Inner Loop Header: Depth=2
	v_cmp_gt_i64_e32 vcc, s[20:21], v[14:15]
	s_and_saveexec_b64 s[34:35], vcc
	s_cbranch_execz .LBB46_111
; %bb.115:                              ;   in Loop: Header=BB46_114 Depth=2
	global_load_dwordx2 v[4:5], v[12:13], off
	s_waitcnt vmcnt(0)
	v_cmp_o_f64_e32 vcc, v[4:5], v[4:5]
	v_ashrrev_i32_e32 v2, 31, v5
	v_or_b32_e32 v6, 0x80000000, v2
	v_xor_b32_e32 v6, v6, v5
	v_xor_b32_e32 v2, v2, v4
	v_cndmask_b32_e32 v6, -1, v6, vcc
	v_cndmask_b32_e32 v2, -1, v2, vcc
	v_and_b32_e32 v7, v6, v33
	v_and_b32_e32 v6, v2, v32
	v_cmp_eq_u64_e32 vcc, v[6:7], v[30:31]
	s_and_b64 exec, exec, vcc
	s_cbranch_execz .LBB46_111
; %bb.116:                              ;   in Loop: Header=BB46_114 Depth=2
	v_mov_b32_e32 v2, v19
	ds_write_b128 v19, v[2:5] offset:3072
	s_branch .LBB46_111
.LBB46_117:                             ;   in Loop: Header=BB46_114 Depth=2
	s_mov_b64 s[44:45], -1
                                        ; implicit-def: $vgpr14_vgpr15
                                        ; implicit-def: $vgpr12_vgpr13
	s_mov_b64 s[34:35], -1
	s_branch .LBB46_113
.LBB46_118:                             ;   in Loop: Header=BB46_33 Depth=1
	s_or_b64 exec, exec, s[2:3]
	s_and_b64 s[2:3], s[38:39], exec
.LBB46_119:                             ;   in Loop: Header=BB46_33 Depth=1
	s_or_b64 exec, exec, s[30:31]
.LBB46_120:                             ;   in Loop: Header=BB46_33 Depth=1
	s_and_b64 vcc, exec, s[28:29]
	s_cbranch_vccz .LBB46_135
; %bb.121:                              ;   in Loop: Header=BB46_33 Depth=1
	s_add_u32 s34, s22, s71
	s_addc_u32 s25, s23, s81
	s_mov_b32 s24, s63
	s_cmp_lg_u64 s[24:25], 0
	s_cbranch_scc0 .LBB46_164
; %bb.122:                              ;   in Loop: Header=BB46_33 Depth=1
	s_add_u32 s28, s33, 0
	s_addc_u32 s29, 0, 0
	s_xor_b64 s[28:29], s[28:29], 0
	v_cvt_f32_u32_e32 v2, s28
	v_cvt_f32_u32_e32 v4, s29
	s_sub_u32 s24, 0, s28
	s_subb_u32 s35, 0, s29
	v_mac_f32_e32 v2, 0x4f800000, v4
	v_rcp_f32_e32 v2, v2
	v_mul_f32_e32 v2, 0x5f7ffffc, v2
	v_mul_f32_e32 v4, 0x2f800000, v2
	v_trunc_f32_e32 v4, v4
	v_mac_f32_e32 v2, 0xcf800000, v4
	v_cvt_u32_f32_e32 v4, v4
	v_cvt_u32_f32_e32 v2, v2
	v_readfirstlane_b32 s36, v4
	v_readfirstlane_b32 s30, v2
	s_mul_i32 s31, s24, s36
	s_mul_hi_u32 s38, s24, s30
	s_mul_i32 s37, s35, s30
	s_add_i32 s31, s38, s31
	s_mul_i32 s39, s24, s30
	s_add_i32 s31, s31, s37
	s_mul_i32 s38, s30, s31
	s_mul_hi_u32 s42, s30, s39
	s_mul_hi_u32 s37, s30, s31
	s_add_u32 s38, s42, s38
	s_addc_u32 s37, 0, s37
	s_mul_hi_u32 s43, s36, s39
	s_mul_i32 s39, s36, s39
	s_add_u32 s38, s38, s39
	s_mul_hi_u32 s42, s36, s31
	s_addc_u32 s37, s37, s43
	s_addc_u32 s38, s42, 0
	s_mul_i32 s31, s36, s31
	s_add_u32 s31, s37, s31
	s_addc_u32 s37, 0, s38
	s_add_u32 s38, s30, s31
	s_cselect_b64 s[30:31], -1, 0
	s_cmp_lg_u64 s[30:31], 0
	s_addc_u32 s36, s36, s37
	s_mul_i32 s30, s24, s36
	s_mul_hi_u32 s31, s24, s38
	s_add_i32 s30, s31, s30
	s_mul_i32 s35, s35, s38
	s_add_i32 s30, s30, s35
	s_mul_i32 s24, s24, s38
	s_mul_hi_u32 s35, s36, s24
	s_mul_i32 s37, s36, s24
	s_mul_i32 s42, s38, s30
	s_mul_hi_u32 s24, s38, s24
	s_mul_hi_u32 s39, s38, s30
	s_add_u32 s24, s24, s42
	s_addc_u32 s39, 0, s39
	s_add_u32 s24, s24, s37
	s_mul_hi_u32 s31, s36, s30
	s_addc_u32 s24, s39, s35
	s_addc_u32 s31, s31, 0
	s_mul_i32 s30, s36, s30
	s_add_u32 s24, s24, s30
	s_addc_u32 s35, 0, s31
	s_add_u32 s24, s38, s24
	s_cselect_b64 s[30:31], -1, 0
	s_cmp_lg_u64 s[30:31], 0
	s_addc_u32 s35, s36, s35
	s_ashr_i32 s30, s25, 31
	s_add_u32 s36, s34, s30
	s_mov_b32 s31, s30
	s_addc_u32 s37, s25, s30
	s_xor_b64 s[36:37], s[36:37], s[30:31]
	s_mul_i32 s39, s36, s35
	s_mul_hi_u32 s42, s36, s24
	s_mul_hi_u32 s38, s36, s35
	s_add_u32 s39, s42, s39
	s_addc_u32 s38, 0, s38
	s_mul_hi_u32 s43, s37, s24
	s_mul_i32 s24, s37, s24
	s_add_u32 s24, s39, s24
	s_mul_hi_u32 s42, s37, s35
	s_addc_u32 s24, s38, s43
	s_addc_u32 s38, s42, 0
	s_mul_i32 s35, s37, s35
	s_add_u32 s24, s24, s35
	s_addc_u32 s35, 0, s38
	s_mul_i32 s35, s28, s35
	s_mul_hi_u32 s38, s28, s24
	s_add_i32 s35, s38, s35
	s_mul_i32 s38, s29, s24
	s_add_i32 s35, s35, s38
	s_sub_i32 s42, s37, s35
	s_mul_i32 s24, s28, s24
	s_sub_u32 s24, s36, s24
	s_cselect_b64 s[38:39], -1, 0
	s_cmp_lg_u64 s[38:39], 0
	s_subb_u32 s36, s42, s29
	s_sub_u32 s44, s24, s28
	s_cselect_b64 s[42:43], -1, 0
	s_cmp_lg_u64 s[42:43], 0
	s_subb_u32 s45, s36, 0
	s_cmp_ge_u32 s45, s29
	s_cselect_b32 s46, -1, 0
	s_cmp_ge_u32 s44, s28
	s_cselect_b32 s47, -1, 0
	s_cmp_eq_u32 s45, s29
	s_cselect_b32 s46, s47, s46
	s_cmp_lg_u64 s[42:43], 0
	s_subb_u32 s36, s36, s29
	s_sub_u32 s47, s44, s28
	s_cselect_b64 s[42:43], -1, 0
	s_cmp_lg_u64 s[42:43], 0
	s_subb_u32 s36, s36, 0
	s_cmp_lg_u32 s46, 0
	s_cselect_b32 s42, s47, s44
	s_cselect_b32 s36, s36, s45
	s_cmp_lg_u64 s[38:39], 0
	s_subb_u32 s35, s37, s35
	s_cmp_ge_u32 s35, s29
	s_cselect_b32 s37, -1, 0
	s_cmp_ge_u32 s24, s28
	s_cselect_b32 s28, -1, 0
	s_cmp_eq_u32 s35, s29
	s_cselect_b32 s28, s28, s37
	s_cmp_lg_u32 s28, 0
	s_cselect_b32 s29, s36, s35
	s_cselect_b32 s28, s42, s24
	s_xor_b64 s[28:29], s[28:29], s[30:31]
	s_sub_u32 s28, s28, s30
	s_subb_u32 s29, s29, s30
	s_cbranch_execnz .LBB46_124
.LBB46_123:                             ;   in Loop: Header=BB46_33 Depth=1
	v_cvt_f32_u32_e32 v2, s33
	s_sub_i32 s24, 0, s33
	v_rcp_iflag_f32_e32 v2, v2
	v_mul_f32_e32 v2, 0x4f7ffffe, v2
	v_cvt_u32_f32_e32 v2, v2
	v_readfirstlane_b32 s28, v2
	s_mul_i32 s24, s24, s28
	s_mul_hi_u32 s24, s28, s24
	s_add_i32 s28, s28, s24
	s_mul_hi_u32 s24, s34, s28
	s_mul_i32 s24, s24, s33
	s_sub_i32 s24, s34, s24
	s_sub_i32 s28, s24, s33
	s_cmp_ge_u32 s24, s33
	s_cselect_b32 s24, s28, s24
	s_sub_i32 s28, s24, s33
	s_cmp_ge_u32 s24, s33
	s_cselect_b32 s62, s28, s24
	s_mov_b64 s[28:29], s[62:63]
.LBB46_124:                             ;   in Loop: Header=BB46_33 Depth=1
	s_sub_u32 s28, s34, s28
	s_subb_u32 s29, s25, s29
	v_cmp_gt_i64_e32 vcc, s[28:29], v[0:1]
                                        ; implicit-def: $vgpr6_vgpr7
	s_and_saveexec_b64 s[24:25], vcc
	s_cbranch_execz .LBB46_134
; %bb.125:                              ;   in Loop: Header=BB46_33 Depth=1
	v_mov_b32_e32 v13, v1
	s_mov_b64 s[36:37], 0
	v_mov_b32_e32 v14, v53
	v_mov_b32_e32 v12, v0
                                        ; implicit-def: $sgpr30_sgpr31
	s_branch .LBB46_129
.LBB46_126:                             ;   in Loop: Header=BB46_129 Depth=2
	s_or_b64 exec, exec, s[34:35]
	s_waitcnt lgkmcnt(0)
	s_barrier
	ds_read_b128 v[4:7], v19 offset:3072
	s_waitcnt lgkmcnt(0)
	s_barrier
	v_cmp_neq_f64_e32 vcc, 0, v[4:5]
	s_cbranch_vccnz .LBB46_132
; %bb.127:                              ;   in Loop: Header=BB46_129 Depth=2
	v_add_co_u32_e32 v12, vcc, s33, v12
	v_addc_co_u32_e32 v13, vcc, 0, v13, vcc
	v_cmp_le_i64_e32 vcc, s[28:29], v[12:13]
	v_add_u32_e32 v14, s8, v14
	s_mov_b64 s[34:35], 0
	s_orn2_b64 s[38:39], vcc, exec
.LBB46_128:                             ;   in Loop: Header=BB46_129 Depth=2
	s_and_b64 s[38:39], exec, s[38:39]
	s_or_b64 s[36:37], s[38:39], s[36:37]
	s_andn2_b64 s[30:31], s[30:31], exec
	s_and_b64 s[34:35], s[34:35], exec
	s_or_b64 s[30:31], s[30:31], s[34:35]
	s_andn2_b64 exec, exec, s[36:37]
	s_cbranch_execz .LBB46_133
.LBB46_129:                             ;   Parent Loop BB46_33 Depth=1
                                        ; =>  This Inner Loop Header: Depth=2
	v_cmp_gt_u64_e32 vcc, s[22:23], v[12:13]
	s_and_saveexec_b64 s[34:35], vcc
	s_cbranch_execz .LBB46_126
; %bb.130:                              ;   in Loop: Header=BB46_129 Depth=2
	ds_read_b64 v[4:5], v14
	s_waitcnt lgkmcnt(0)
	v_cmp_o_f64_e32 vcc, v[4:5], v[4:5]
	v_ashrrev_i32_e32 v2, 31, v5
	v_or_b32_e32 v6, 0x80000000, v2
	v_xor_b32_e32 v6, v6, v5
	v_xor_b32_e32 v2, v2, v4
	v_cndmask_b32_e32 v6, -1, v6, vcc
	v_cndmask_b32_e32 v2, -1, v2, vcc
	v_and_b32_e32 v7, v6, v33
	v_and_b32_e32 v6, v2, v32
	v_cmp_eq_u64_e32 vcc, v[6:7], v[30:31]
	s_and_b64 exec, exec, vcc
	s_cbranch_execz .LBB46_126
; %bb.131:                              ;   in Loop: Header=BB46_129 Depth=2
	v_mov_b32_e32 v2, v19
	ds_write_b128 v19, v[2:5] offset:3072
	s_branch .LBB46_126
.LBB46_132:                             ;   in Loop: Header=BB46_129 Depth=2
	s_mov_b64 s[38:39], -1
                                        ; implicit-def: $vgpr12_vgpr13
                                        ; implicit-def: $vgpr14
	s_mov_b64 s[34:35], -1
	s_branch .LBB46_128
.LBB46_133:                             ;   in Loop: Header=BB46_33 Depth=1
	s_or_b64 exec, exec, s[36:37]
	s_andn2_b64 s[2:3], s[2:3], exec
	s_and_b64 s[22:23], s[30:31], exec
	s_or_b64 s[2:3], s[2:3], s[22:23]
.LBB46_134:                             ;   in Loop: Header=BB46_33 Depth=1
	s_or_b64 exec, exec, s[24:25]
	s_mov_b64 s[24:25], 0
	s_mov_b64 s[42:43], -1
.LBB46_135:                             ;   in Loop: Header=BB46_33 Depth=1
	s_orn2_b64 s[2:3], s[2:3], exec
.LBB46_136:                             ;   in Loop: Header=BB46_33 Depth=1
	s_or_b64 exec, exec, s[16:17]
	s_andn2_b64 s[16:17], s[58:59], exec
	s_and_b64 s[22:23], s[42:43], exec
	s_or_b64 s[58:59], s[16:17], s[22:23]
	s_andn2_b64 s[16:17], s[56:57], exec
	s_and_b64 s[22:23], s[24:25], exec
	s_andn2_b64 s[94:95], s[94:95], exec
	s_or_b64 s[56:57], s[16:17], s[22:23]
                                        ; implicit-def: $vgpr12_vgpr13
	s_and_saveexec_b64 s[16:17], s[2:3]
	s_cbranch_execz .LBB46_32
; %bb.137:                              ;   in Loop: Header=BB46_33 Depth=1
	v_mov_b32_e32 v12, 1
	s_xor_b64 s[6:7], s[10:11], -1
	v_mov_b32_e32 v36, 1
	v_mov_b32_e32 v13, 0
	s_mov_b64 s[10:11], 0
	s_and_saveexec_b64 s[2:3], s[6:7]
	s_cbranch_execz .LBB46_146
; %bb.138:                              ;   in Loop: Header=BB46_33 Depth=1
	v_cmp_le_i64_e32 vcc, v[34:35], v[8:9]
	s_and_saveexec_b64 s[6:7], vcc
	s_xor_b64 s[6:7], exec, s[6:7]
	s_cbranch_execz .LBB46_143
; %bb.139:                              ;   in Loop: Header=BB46_33 Depth=1
	ds_read_b64 v[4:5], v19 offset:5120
	v_and_b32_e32 v31, s41, v31
	v_and_b32_e32 v30, s40, v30
	v_or_b32_e32 v33, s15, v33
	v_or_b32_e32 v32, s14, v32
	s_waitcnt lgkmcnt(0)
	v_cmp_ne_u64_e32 vcc, 0, v[4:5]
	s_cbranch_vccnz .LBB46_143
; %bb.140:                              ;   in Loop: Header=BB46_33 Depth=1
	s_mov_b64 s[10:11], exec
	v_readlane_b32 s22, v57, 30
	v_readlane_b32 s23, v57, 31
	s_and_b64 s[22:23], s[10:11], s[22:23]
	s_mov_b64 exec, s[22:23]
; %bb.141:                              ;   in Loop: Header=BB46_33 Depth=1
	ds_write_b64 v19, v[8:9] offset:5128
; %bb.142:                              ;   in Loop: Header=BB46_33 Depth=1
	s_or_b64 exec, exec, s[10:11]
	s_waitcnt lgkmcnt(0)
	s_barrier
.LBB46_143:                             ;   in Loop: Header=BB46_33 Depth=1
	s_or_saveexec_b64 s[6:7], s[6:7]
	s_mov_b64 s[10:11], 0
	v_mov_b32_e32 v36, 8
	s_xor_b64 exec, exec, s[6:7]
; %bb.144:                              ;   in Loop: Header=BB46_33 Depth=1
	v_sub_co_u32_e32 v34, vcc, v34, v8
	v_subb_co_u32_e32 v35, vcc, v35, v9, vcc
	v_mov_b32_e32 v36, 0
	s_mov_b64 s[10:11], exec
; %bb.145:                              ;   in Loop: Header=BB46_33 Depth=1
	s_or_b64 exec, exec, s[6:7]
	v_mov_b32_e32 v12, v34
	s_and_b64 s[10:11], s[10:11], exec
	v_mov_b32_e32 v13, v35
.LBB46_146:                             ;   in Loop: Header=BB46_33 Depth=1
	s_or_b64 exec, exec, s[2:3]
	s_mov_b64 s[22:23], -1
	s_mov_b64 s[2:3], -1
                                        ; implicit-def: $sgpr6_sgpr7
                                        ; implicit-def: $sgpr42_sgpr43
	s_and_saveexec_b64 s[24:25], s[10:11]
	s_xor_b64 s[54:55], exec, s[24:25]
	s_cbranch_execz .LBB46_294
; %bb.147:                              ;   in Loop: Header=BB46_33 Depth=1
	v_cmp_eq_u64_e32 vcc, 1, v[10:11]
	v_cmp_eq_u64_e64 s[6:7], 1, v[12:13]
                                        ; implicit-def: $sgpr42_sgpr43
	s_and_b64 s[10:11], vcc, s[6:7]
                                        ; implicit-def: $sgpr6_sgpr7
	s_and_saveexec_b64 s[24:25], s[10:11]
	s_cbranch_execz .LBB46_183
; %bb.148:                              ;   in Loop: Header=BB46_33 Depth=1
	ds_read_b64 v[4:5], v19 offset:5120
	s_waitcnt lgkmcnt(0)
	s_barrier
	v_readfirstlane_b32 s44, v4
	v_readfirstlane_b32 s45, v5
	s_and_saveexec_b64 s[2:3], s[18:19]
; %bb.149:                              ;   in Loop: Header=BB46_33 Depth=1
	v_mov_b32_e32 v18, v19
	ds_write_b64 v54, v[18:19]
; %bb.150:                              ;   in Loop: Header=BB46_33 Depth=1
	s_or_b64 exec, exec, s[2:3]
	s_lshl_b64 s[2:3], 1, s9
	v_and_b32_e32 v2, s41, v31
	v_and_b32_e32 v4, s40, v30
	v_or_b32_e32 v31, s3, v2
	v_or_b32_e32 v30, s2, v4
	v_cmp_gt_i64_e64 s[2:3], s[44:45], 0
	v_or_b32_e32 v33, s15, v33
	v_or_b32_e32 v32, s14, v32
	s_mov_b64 s[6:7], -1
	s_mov_b64 s[42:43], 0
	s_and_b64 vcc, exec, s[2:3]
	s_mov_b64 s[46:47], 0
	s_mov_b64 s[2:3], -1
	s_waitcnt lgkmcnt(0)
	s_barrier
                                        ; implicit-def: $vgpr6_vgpr7
	s_cbranch_vccnz .LBB46_167
; %bb.151:                              ;   in Loop: Header=BB46_33 Depth=1
	s_mov_b32 s72, s63
	s_cmp_lg_u64 s[72:73], 0
	s_cbranch_scc0 .LBB46_211
; %bb.152:                              ;   in Loop: Header=BB46_33 Depth=1
	s_add_u32 s2, s33, 0
	s_addc_u32 s3, 0, 0
	s_xor_b64 s[2:3], s[2:3], 0
	v_cvt_f32_u32_e32 v2, s2
	v_cvt_f32_u32_e32 v4, s3
	s_sub_u32 s30, 0, s2
	s_subb_u32 s31, 0, s3
	v_mac_f32_e32 v2, 0x4f800000, v4
	v_rcp_f32_e32 v2, v2
	v_mul_f32_e32 v2, 0x5f7ffffc, v2
	v_mul_f32_e32 v4, 0x2f800000, v2
	v_trunc_f32_e32 v4, v4
	v_mac_f32_e32 v2, 0xcf800000, v4
	v_cvt_u32_f32_e32 v4, v4
	v_cvt_u32_f32_e32 v2, v2
	v_readfirstlane_b32 s34, v4
	v_readfirstlane_b32 s28, v2
	s_mul_i32 s29, s30, s34
	s_mul_hi_u32 s36, s30, s28
	s_mul_i32 s35, s31, s28
	s_add_i32 s29, s36, s29
	s_mul_i32 s37, s30, s28
	s_add_i32 s29, s29, s35
	s_mul_i32 s36, s28, s29
	s_mul_hi_u32 s38, s28, s37
	s_mul_hi_u32 s35, s28, s29
	s_add_u32 s36, s38, s36
	s_addc_u32 s35, 0, s35
	s_mul_hi_u32 s39, s34, s37
	s_mul_i32 s37, s34, s37
	s_add_u32 s36, s36, s37
	s_mul_hi_u32 s38, s34, s29
	s_addc_u32 s35, s35, s39
	s_addc_u32 s36, s38, 0
	s_mul_i32 s29, s34, s29
	s_add_u32 s29, s35, s29
	s_addc_u32 s35, 0, s36
	s_add_u32 s36, s28, s29
	s_cselect_b64 s[28:29], -1, 0
	s_cmp_lg_u64 s[28:29], 0
	s_addc_u32 s34, s34, s35
	s_mul_i32 s28, s30, s34
	s_mul_hi_u32 s29, s30, s36
	s_add_i32 s28, s29, s28
	s_mul_i32 s31, s31, s36
	s_add_i32 s28, s28, s31
	s_mul_i32 s30, s30, s36
	s_mul_hi_u32 s31, s34, s30
	s_mul_i32 s35, s34, s30
	s_mul_i32 s38, s36, s28
	s_mul_hi_u32 s30, s36, s30
	s_mul_hi_u32 s37, s36, s28
	s_add_u32 s30, s30, s38
	s_addc_u32 s37, 0, s37
	s_add_u32 s30, s30, s35
	s_mul_hi_u32 s29, s34, s28
	s_addc_u32 s30, s37, s31
	s_addc_u32 s29, s29, 0
	s_mul_i32 s28, s34, s28
	s_add_u32 s28, s30, s28
	s_addc_u32 s30, 0, s29
	s_add_u32 s35, s36, s28
	s_cselect_b64 s[28:29], -1, 0
	s_cmp_lg_u64 s[28:29], 0
	s_addc_u32 s34, s34, s30
	s_ashr_i32 s28, s73, 31
	s_add_u32 s30, s0, s28
	s_mov_b32 s29, s28
	s_addc_u32 s31, s73, s28
	s_xor_b64 s[30:31], s[30:31], s[28:29]
	s_mul_i32 s37, s30, s34
	s_mul_hi_u32 s38, s30, s35
	s_mul_hi_u32 s36, s30, s34
	s_add_u32 s37, s38, s37
	s_addc_u32 s36, 0, s36
	s_mul_hi_u32 s39, s31, s35
	s_mul_i32 s35, s31, s35
	s_add_u32 s35, s37, s35
	s_mul_hi_u32 s38, s31, s34
	s_addc_u32 s35, s36, s39
	s_addc_u32 s36, s38, 0
	s_mul_i32 s34, s31, s34
	s_add_u32 s34, s35, s34
	s_addc_u32 s35, 0, s36
	s_mul_i32 s35, s2, s35
	s_mul_hi_u32 s36, s2, s34
	s_add_i32 s35, s36, s35
	s_mul_i32 s36, s3, s34
	s_add_i32 s38, s35, s36
	s_sub_i32 s36, s31, s38
	s_mul_i32 s34, s2, s34
	s_sub_u32 s30, s30, s34
	s_cselect_b64 s[34:35], -1, 0
	s_cmp_lg_u64 s[34:35], 0
	s_subb_u32 s39, s36, s3
	s_sub_u32 s46, s30, s2
	s_cselect_b64 s[36:37], -1, 0
	s_cmp_lg_u64 s[36:37], 0
	s_subb_u32 s47, s39, 0
	s_cmp_ge_u32 s47, s3
	s_cselect_b32 s48, -1, 0
	s_cmp_ge_u32 s46, s2
	s_cselect_b32 s49, -1, 0
	s_cmp_eq_u32 s47, s3
	s_cselect_b32 s48, s49, s48
	s_cmp_lg_u64 s[36:37], 0
	s_subb_u32 s39, s39, s3
	s_sub_u32 s49, s46, s2
	s_cselect_b64 s[36:37], -1, 0
	s_cmp_lg_u64 s[36:37], 0
	s_subb_u32 s36, s39, 0
	s_cmp_lg_u32 s48, 0
	s_cselect_b32 s37, s49, s46
	s_cselect_b32 s36, s36, s47
	s_cmp_lg_u64 s[34:35], 0
	s_subb_u32 s31, s31, s38
	s_cmp_ge_u32 s31, s3
	s_cselect_b32 s34, -1, 0
	s_cmp_ge_u32 s30, s2
	s_cselect_b32 s2, -1, 0
	s_cmp_eq_u32 s31, s3
	s_cselect_b32 s2, s2, s34
	s_cmp_lg_u32 s2, 0
	s_cselect_b32 s3, s36, s31
	s_cselect_b32 s2, s37, s30
	s_xor_b64 s[2:3], s[2:3], s[28:29]
	s_sub_u32 s2, s2, s28
	s_subb_u32 s3, s3, s28
	s_cbranch_execnz .LBB46_154
.LBB46_153:                             ;   in Loop: Header=BB46_33 Depth=1
	v_cvt_f32_u32_e32 v2, s33
	s_sub_i32 s2, 0, s33
	v_rcp_iflag_f32_e32 v2, v2
	v_mul_f32_e32 v2, 0x4f7ffffe, v2
	v_cvt_u32_f32_e32 v2, v2
	v_readfirstlane_b32 s3, v2
	s_mul_i32 s2, s2, s3
	s_mul_hi_u32 s2, s3, s2
	s_add_i32 s3, s3, s2
	s_mul_hi_u32 s2, s0, s3
	s_mul_i32 s2, s2, s33
	s_sub_i32 s2, s0, s2
	s_sub_i32 s3, s2, s33
	s_cmp_ge_u32 s2, s33
	s_cselect_b32 s2, s3, s2
	s_sub_i32 s3, s2, s33
	s_cmp_ge_u32 s2, s33
	s_cselect_b32 s62, s3, s2
	s_mov_b64 s[2:3], s[62:63]
.LBB46_154:                             ;   in Loop: Header=BB46_33 Depth=1
	s_sub_u32 s30, s0, s2
	s_subb_u32 s31, s73, s3
	v_cmp_gt_i64_e32 vcc, s[30:31], v[0:1]
	s_mov_b64 s[2:3], 0
	s_mov_b64 s[46:47], 0
                                        ; implicit-def: $vgpr6_vgpr7
	s_and_saveexec_b64 s[28:29], vcc
	s_cbranch_execz .LBB46_166
; %bb.155:                              ;   in Loop: Header=BB46_33 Depth=1
	v_mov_b32_e32 v8, v16
	v_mov_b32_e32 v15, v1
	s_mov_b64 s[36:37], 0
	v_mov_b32_e32 v9, v17
	v_mov_b32_e32 v14, v0
                                        ; implicit-def: $sgpr38_sgpr39
	s_branch .LBB46_159
.LBB46_156:                             ;   in Loop: Header=BB46_159 Depth=2
	s_or_b64 exec, exec, s[46:47]
	s_waitcnt lgkmcnt(0)
	s_barrier
	ds_read_b128 v[4:7], v19 offset:3072
	s_waitcnt lgkmcnt(0)
	s_barrier
	v_cmp_neq_f64_e32 vcc, 0, v[4:5]
	s_cbranch_vccnz .LBB46_162
; %bb.157:                              ;   in Loop: Header=BB46_159 Depth=2
	v_add_co_u32_e32 v14, vcc, s33, v14
	v_addc_co_u32_e32 v15, vcc, 0, v15, vcc
	v_mov_b32_e32 v2, s65
	v_add_co_u32_e32 v8, vcc, s64, v8
	v_addc_co_u32_e32 v9, vcc, v9, v2, vcc
	v_cmp_le_i64_e32 vcc, s[30:31], v[14:15]
	s_mov_b64 s[34:35], 0
	s_orn2_b64 s[46:47], vcc, exec
.LBB46_158:                             ;   in Loop: Header=BB46_159 Depth=2
	s_and_b64 s[46:47], exec, s[46:47]
	s_or_b64 s[36:37], s[46:47], s[36:37]
	s_andn2_b64 s[38:39], s[38:39], exec
	s_and_b64 s[34:35], s[34:35], exec
	s_or_b64 s[38:39], s[38:39], s[34:35]
	s_andn2_b64 exec, exec, s[36:37]
	s_cbranch_execz .LBB46_165
.LBB46_159:                             ;   Parent Loop BB46_33 Depth=1
                                        ; =>  This Inner Loop Header: Depth=2
	v_cmp_gt_i64_e32 vcc, s[20:21], v[14:15]
	s_and_saveexec_b64 s[46:47], vcc
	s_cbranch_execz .LBB46_156
; %bb.160:                              ;   in Loop: Header=BB46_159 Depth=2
	global_load_dwordx2 v[4:5], v[8:9], off
	s_waitcnt vmcnt(0)
	v_cmp_o_f64_e32 vcc, v[4:5], v[4:5]
	v_ashrrev_i32_e32 v2, 31, v5
	v_or_b32_e32 v6, 0x80000000, v2
	v_xor_b32_e32 v6, v6, v5
	v_xor_b32_e32 v2, v2, v4
	v_cndmask_b32_e32 v6, -1, v6, vcc
	v_cndmask_b32_e32 v2, -1, v2, vcc
	v_and_b32_e32 v7, v6, v33
	v_and_b32_e32 v6, v2, v32
	v_cmp_eq_u64_e32 vcc, v[6:7], v[30:31]
	s_and_b64 exec, exec, vcc
	s_cbranch_execz .LBB46_156
; %bb.161:                              ;   in Loop: Header=BB46_159 Depth=2
	v_mov_b32_e32 v2, v19
	ds_write_b128 v19, v[2:5] offset:3072
	s_branch .LBB46_156
.LBB46_162:                             ;   in Loop: Header=BB46_159 Depth=2
	s_mov_b64 s[46:47], -1
                                        ; implicit-def: $vgpr14_vgpr15
                                        ; implicit-def: $vgpr8_vgpr9
	s_mov_b64 s[34:35], -1
	s_branch .LBB46_158
.LBB46_163:                             ;   in Loop: Header=BB46_33 Depth=1
                                        ; implicit-def: $sgpr2_sgpr3
	s_andn2_b64 vcc, exec, s[28:29]
	s_cbranch_vccz .LBB46_108
	s_branch .LBB46_109
.LBB46_164:                             ;   in Loop: Header=BB46_33 Depth=1
                                        ; implicit-def: $sgpr28_sgpr29
	s_branch .LBB46_123
.LBB46_165:                             ;   in Loop: Header=BB46_33 Depth=1
	s_or_b64 exec, exec, s[36:37]
	s_and_b64 s[46:47], s[38:39], exec
.LBB46_166:                             ;   in Loop: Header=BB46_33 Depth=1
	s_or_b64 exec, exec, s[28:29]
.LBB46_167:                             ;   in Loop: Header=BB46_33 Depth=1
	s_and_b64 vcc, exec, s[2:3]
	s_cbranch_vccz .LBB46_182
; %bb.168:                              ;   in Loop: Header=BB46_33 Depth=1
	s_add_u32 s30, s44, s71
	s_addc_u32 s3, s45, s81
	s_mov_b32 s2, s63
	s_cmp_lg_u64 s[2:3], 0
	s_cbranch_scc0 .LBB46_212
; %bb.169:                              ;   in Loop: Header=BB46_33 Depth=1
	s_add_u32 s6, s33, 0
	s_addc_u32 s7, 0, 0
	s_xor_b64 s[6:7], s[6:7], 0
	v_cvt_f32_u32_e32 v2, s6
	v_cvt_f32_u32_e32 v4, s7
	s_sub_u32 s2, 0, s6
	s_subb_u32 s31, 0, s7
	v_mac_f32_e32 v2, 0x4f800000, v4
	v_rcp_f32_e32 v2, v2
	v_mul_f32_e32 v2, 0x5f7ffffc, v2
	v_mul_f32_e32 v4, 0x2f800000, v2
	v_trunc_f32_e32 v4, v4
	v_mac_f32_e32 v2, 0xcf800000, v4
	v_cvt_u32_f32_e32 v4, v4
	v_cvt_u32_f32_e32 v2, v2
	v_readfirstlane_b32 s34, v4
	v_readfirstlane_b32 s28, v2
	s_mul_i32 s29, s2, s34
	s_mul_hi_u32 s36, s2, s28
	s_mul_i32 s35, s31, s28
	s_add_i32 s29, s36, s29
	s_mul_i32 s37, s2, s28
	s_add_i32 s29, s29, s35
	s_mul_i32 s36, s28, s29
	s_mul_hi_u32 s38, s28, s37
	s_mul_hi_u32 s35, s28, s29
	s_add_u32 s36, s38, s36
	s_addc_u32 s35, 0, s35
	s_mul_hi_u32 s39, s34, s37
	s_mul_i32 s37, s34, s37
	s_add_u32 s36, s36, s37
	s_mul_hi_u32 s38, s34, s29
	s_addc_u32 s35, s35, s39
	s_addc_u32 s36, s38, 0
	s_mul_i32 s29, s34, s29
	s_add_u32 s29, s35, s29
	s_addc_u32 s35, 0, s36
	s_add_u32 s36, s28, s29
	s_cselect_b64 s[28:29], -1, 0
	s_cmp_lg_u64 s[28:29], 0
	s_addc_u32 s34, s34, s35
	s_mul_i32 s28, s2, s34
	s_mul_hi_u32 s29, s2, s36
	s_add_i32 s28, s29, s28
	s_mul_i32 s31, s31, s36
	s_add_i32 s28, s28, s31
	s_mul_i32 s2, s2, s36
	s_mul_hi_u32 s31, s34, s2
	s_mul_i32 s35, s34, s2
	s_mul_i32 s38, s36, s28
	s_mul_hi_u32 s2, s36, s2
	s_mul_hi_u32 s37, s36, s28
	s_add_u32 s2, s2, s38
	s_addc_u32 s37, 0, s37
	s_add_u32 s2, s2, s35
	s_mul_hi_u32 s29, s34, s28
	s_addc_u32 s2, s37, s31
	s_addc_u32 s29, s29, 0
	s_mul_i32 s28, s34, s28
	s_add_u32 s2, s2, s28
	s_addc_u32 s31, 0, s29
	s_add_u32 s2, s36, s2
	s_cselect_b64 s[28:29], -1, 0
	s_cmp_lg_u64 s[28:29], 0
	s_addc_u32 s31, s34, s31
	s_ashr_i32 s28, s3, 31
	s_add_u32 s34, s30, s28
	s_mov_b32 s29, s28
	s_addc_u32 s35, s3, s28
	s_xor_b64 s[34:35], s[34:35], s[28:29]
	s_mul_i32 s37, s34, s31
	s_mul_hi_u32 s38, s34, s2
	s_mul_hi_u32 s36, s34, s31
	s_add_u32 s37, s38, s37
	s_addc_u32 s36, 0, s36
	s_mul_hi_u32 s39, s35, s2
	s_mul_i32 s2, s35, s2
	s_add_u32 s2, s37, s2
	s_mul_hi_u32 s38, s35, s31
	s_addc_u32 s2, s36, s39
	s_addc_u32 s36, s38, 0
	s_mul_i32 s31, s35, s31
	s_add_u32 s2, s2, s31
	s_addc_u32 s31, 0, s36
	s_mul_i32 s31, s6, s31
	s_mul_hi_u32 s36, s6, s2
	s_add_i32 s31, s36, s31
	s_mul_i32 s36, s7, s2
	s_add_i32 s31, s31, s36
	s_sub_i32 s38, s35, s31
	s_mul_i32 s2, s6, s2
	s_sub_u32 s2, s34, s2
	s_cselect_b64 s[36:37], -1, 0
	s_cmp_lg_u64 s[36:37], 0
	s_subb_u32 s34, s38, s7
	s_sub_u32 s42, s2, s6
	s_cselect_b64 s[38:39], -1, 0
	s_cmp_lg_u64 s[38:39], 0
	s_subb_u32 s43, s34, 0
	s_cmp_ge_u32 s43, s7
	s_cselect_b32 s48, -1, 0
	s_cmp_ge_u32 s42, s6
	s_cselect_b32 s49, -1, 0
	s_cmp_eq_u32 s43, s7
	s_cselect_b32 s48, s49, s48
	s_cmp_lg_u64 s[38:39], 0
	s_subb_u32 s34, s34, s7
	s_sub_u32 s49, s42, s6
	s_cselect_b64 s[38:39], -1, 0
	s_cmp_lg_u64 s[38:39], 0
	s_subb_u32 s34, s34, 0
	s_cmp_lg_u32 s48, 0
	s_cselect_b32 s38, s49, s42
	s_cselect_b32 s34, s34, s43
	s_cmp_lg_u64 s[36:37], 0
	s_subb_u32 s31, s35, s31
	s_cmp_ge_u32 s31, s7
	s_cselect_b32 s35, -1, 0
	s_cmp_ge_u32 s2, s6
	s_cselect_b32 s6, -1, 0
	s_cmp_eq_u32 s31, s7
	s_cselect_b32 s6, s6, s35
	s_cmp_lg_u32 s6, 0
	s_cselect_b32 s7, s34, s31
	s_cselect_b32 s6, s38, s2
	s_xor_b64 s[6:7], s[6:7], s[28:29]
	s_sub_u32 s6, s6, s28
	s_subb_u32 s7, s7, s28
	s_cbranch_execnz .LBB46_171
.LBB46_170:                             ;   in Loop: Header=BB46_33 Depth=1
	v_cvt_f32_u32_e32 v2, s33
	s_sub_i32 s2, 0, s33
	v_rcp_iflag_f32_e32 v2, v2
	v_mul_f32_e32 v2, 0x4f7ffffe, v2
	v_cvt_u32_f32_e32 v2, v2
	v_readfirstlane_b32 s6, v2
	s_mul_i32 s2, s2, s6
	s_mul_hi_u32 s2, s6, s2
	s_add_i32 s6, s6, s2
	s_mul_hi_u32 s2, s30, s6
	s_mul_i32 s2, s2, s33
	s_sub_i32 s2, s30, s2
	s_sub_i32 s6, s2, s33
	s_cmp_ge_u32 s2, s33
	s_cselect_b32 s2, s6, s2
	s_sub_i32 s6, s2, s33
	s_cmp_ge_u32 s2, s33
	s_cselect_b32 s62, s6, s2
	s_mov_b64 s[6:7], s[62:63]
.LBB46_171:                             ;   in Loop: Header=BB46_33 Depth=1
	s_sub_u32 s6, s30, s6
	s_subb_u32 s7, s3, s7
	v_cmp_gt_i64_e32 vcc, s[6:7], v[0:1]
                                        ; implicit-def: $vgpr6_vgpr7
	s_and_saveexec_b64 s[2:3], vcc
	s_cbranch_execz .LBB46_181
; %bb.172:                              ;   in Loop: Header=BB46_33 Depth=1
	v_mov_b32_e32 v9, v1
	s_mov_b64 s[28:29], 0
	v_mov_b32_e32 v14, v53
	v_mov_b32_e32 v8, v0
                                        ; implicit-def: $sgpr30_sgpr31
	s_branch .LBB46_176
.LBB46_173:                             ;   in Loop: Header=BB46_176 Depth=2
	s_or_b64 exec, exec, s[36:37]
	s_waitcnt lgkmcnt(0)
	s_barrier
	ds_read_b128 v[4:7], v19 offset:3072
	s_waitcnt lgkmcnt(0)
	s_barrier
	v_cmp_eq_f64_e32 vcc, 0, v[4:5]
	s_cbranch_vccz .LBB46_179
; %bb.174:                              ;   in Loop: Header=BB46_176 Depth=2
	v_add_co_u32_e32 v8, vcc, s33, v8
	v_addc_co_u32_e32 v9, vcc, 0, v9, vcc
	v_cmp_le_i64_e32 vcc, s[6:7], v[8:9]
	v_add_u32_e32 v14, s8, v14
	s_mov_b64 s[34:35], 0
	s_orn2_b64 s[36:37], vcc, exec
.LBB46_175:                             ;   in Loop: Header=BB46_176 Depth=2
	s_and_b64 s[36:37], exec, s[36:37]
	s_or_b64 s[28:29], s[36:37], s[28:29]
	s_andn2_b64 s[30:31], s[30:31], exec
	s_and_b64 s[34:35], s[34:35], exec
	s_or_b64 s[30:31], s[30:31], s[34:35]
	s_andn2_b64 exec, exec, s[28:29]
	s_cbranch_execz .LBB46_180
.LBB46_176:                             ;   Parent Loop BB46_33 Depth=1
                                        ; =>  This Inner Loop Header: Depth=2
	v_cmp_gt_u64_e32 vcc, s[44:45], v[8:9]
	s_and_saveexec_b64 s[36:37], vcc
	s_cbranch_execz .LBB46_173
; %bb.177:                              ;   in Loop: Header=BB46_176 Depth=2
	ds_read_b64 v[4:5], v14
	s_waitcnt lgkmcnt(0)
	v_cmp_o_f64_e32 vcc, v[4:5], v[4:5]
	v_ashrrev_i32_e32 v2, 31, v5
	v_or_b32_e32 v6, 0x80000000, v2
	v_xor_b32_e32 v6, v6, v5
	v_xor_b32_e32 v2, v2, v4
	v_cndmask_b32_e32 v6, -1, v6, vcc
	v_cndmask_b32_e32 v2, -1, v2, vcc
	v_and_b32_e32 v7, v6, v33
	v_and_b32_e32 v6, v2, v32
	v_cmp_eq_u64_e32 vcc, v[6:7], v[30:31]
	s_and_b64 exec, exec, vcc
	s_cbranch_execz .LBB46_173
; %bb.178:                              ;   in Loop: Header=BB46_176 Depth=2
	v_mov_b32_e32 v2, v19
	ds_write_b128 v19, v[2:5] offset:3072
	s_branch .LBB46_173
.LBB46_179:                             ;   in Loop: Header=BB46_176 Depth=2
	s_mov_b64 s[36:37], -1
                                        ; implicit-def: $vgpr8_vgpr9
                                        ; implicit-def: $vgpr14
	s_mov_b64 s[34:35], -1
	s_branch .LBB46_175
.LBB46_180:                             ;   in Loop: Header=BB46_33 Depth=1
	s_or_b64 exec, exec, s[28:29]
	s_andn2_b64 s[6:7], s[46:47], exec
	s_and_b64 s[28:29], s[30:31], exec
	s_or_b64 s[46:47], s[6:7], s[28:29]
.LBB46_181:                             ;   in Loop: Header=BB46_33 Depth=1
	s_or_b64 exec, exec, s[2:3]
	s_mov_b64 s[6:7], 0
	s_mov_b64 s[42:43], -1
.LBB46_182:                             ;   in Loop: Header=BB46_33 Depth=1
	s_orn2_b64 s[2:3], s[46:47], exec
.LBB46_183:                             ;   in Loop: Header=BB46_33 Depth=1
	s_or_b64 exec, exec, s[24:25]
	s_mov_b64 s[24:25], 0
	s_and_saveexec_b64 s[44:45], s[2:3]
	s_cbranch_execz .LBB46_293
; %bb.184:                              ;   in Loop: Header=BB46_33 Depth=1
	v_mov_b32_e32 v8, 1
	s_xor_b64 s[24:25], s[10:11], -1
	v_mov_b32_e32 v36, 1
	v_mov_b32_e32 v9, 0
	s_mov_b64 s[10:11], 0
	s_and_saveexec_b64 s[2:3], s[24:25]
	s_cbranch_execz .LBB46_194
; %bb.185:                              ;   in Loop: Header=BB46_33 Depth=1
	v_cmp_le_i64_e32 vcc, v[12:13], v[10:11]
	s_and_saveexec_b64 s[10:11], vcc
	s_xor_b64 s[10:11], exec, s[10:11]
	s_cbranch_execz .LBB46_191
; %bb.186:                              ;   in Loop: Header=BB46_33 Depth=1
	s_lshl_b64 s[24:25], 1, s9
	v_and_b32_e32 v4, s40, v30
	v_or_b32_e32 v30, s24, v4
	ds_read_b64 v[4:5], v19 offset:5120
	v_and_b32_e32 v2, s41, v31
	v_or_b32_e32 v31, s25, v2
	v_or_b32_e32 v33, s15, v33
	;; [unrolled: 1-line block ×3, first 2 shown]
	s_waitcnt lgkmcnt(0)
	v_cmp_ne_u64_e32 vcc, 0, v[4:5]
	s_cbranch_vccnz .LBB46_190
; %bb.187:                              ;   in Loop: Header=BB46_33 Depth=1
	s_mov_b64 s[24:25], exec
	v_readlane_b32 s28, v57, 30
	v_readlane_b32 s29, v57, 31
	s_and_b64 s[28:29], s[24:25], s[28:29]
	s_mov_b64 exec, s[28:29]
; %bb.188:                              ;   in Loop: Header=BB46_33 Depth=1
	ds_write_b64 v19, v[10:11] offset:5128
; %bb.189:                              ;   in Loop: Header=BB46_33 Depth=1
	s_or_b64 exec, exec, s[24:25]
	s_waitcnt lgkmcnt(0)
	s_barrier
.LBB46_190:                             ;   in Loop: Header=BB46_33 Depth=1
                                        ; implicit-def: $vgpr8_vgpr9_vgpr10_vgpr11
.LBB46_191:                             ;   in Loop: Header=BB46_33 Depth=1
	s_or_saveexec_b64 s[10:11], s[10:11]
	s_mov_b64 s[24:25], 0
	v_mov_b32_e32 v36, 8
	s_xor_b64 exec, exec, s[10:11]
; %bb.192:                              ;   in Loop: Header=BB46_33 Depth=1
	v_sub_co_u32_e32 v12, vcc, v12, v10
	v_subb_co_u32_e32 v13, vcc, v13, v11, vcc
	v_mov_b32_e32 v36, 0
	s_mov_b64 s[24:25], exec
; %bb.193:                              ;   in Loop: Header=BB46_33 Depth=1
	s_or_b64 exec, exec, s[10:11]
	v_mov_b32_e32 v8, v12
	s_and_b64 s[10:11], s[24:25], exec
	v_mov_b32_e32 v9, v13
.LBB46_194:                             ;   in Loop: Header=BB46_33 Depth=1
	s_or_b64 exec, exec, s[2:3]
	s_mov_b64 s[2:3], -1
                                        ; implicit-def: $sgpr48_sgpr49
                                        ; implicit-def: $sgpr52_sgpr53
	s_and_saveexec_b64 s[46:47], s[10:11]
	s_cbranch_execz .LBB46_292
; %bb.195:                              ;   in Loop: Header=BB46_33 Depth=1
	s_cmp_eq_u64 s[60:61], 1
	v_cmp_eq_u64_e32 vcc, 1, v[8:9]
	s_cselect_b64 s[2:3], -1, 0
	s_and_b64 s[24:25], s[2:3], vcc
	s_mov_b64 s[2:3], -1
                                        ; implicit-def: $sgpr52_sgpr53
                                        ; implicit-def: $sgpr48_sgpr49
	s_and_saveexec_b64 s[10:11], s[24:25]
	s_cbranch_execz .LBB46_231
; %bb.196:                              ;   in Loop: Header=BB46_33 Depth=1
	ds_read_b64 v[4:5], v19 offset:5120
	s_waitcnt lgkmcnt(0)
	s_barrier
	v_readfirstlane_b32 s50, v4
	v_readfirstlane_b32 s51, v5
	s_and_saveexec_b64 s[2:3], s[18:19]
; %bb.197:                              ;   in Loop: Header=BB46_33 Depth=1
	v_mov_b32_e32 v18, v19
	ds_write_b64 v54, v[18:19]
; %bb.198:                              ;   in Loop: Header=BB46_33 Depth=1
	s_or_b64 exec, exec, s[2:3]
	s_lshl_b64 s[2:3], 2, s9
	v_and_b32_e32 v2, s41, v31
	v_and_b32_e32 v4, s40, v30
	v_or_b32_e32 v31, s3, v2
	v_or_b32_e32 v30, s2, v4
	v_cmp_gt_i64_e64 s[2:3], s[50:51], 0
	v_or_b32_e32 v33, s15, v33
	v_or_b32_e32 v32, s14, v32
	s_mov_b64 s[48:49], -1
	s_mov_b64 s[52:53], 0
	s_and_b64 vcc, exec, s[2:3]
	s_mov_b64 s[76:77], 0
	s_mov_b64 s[2:3], -1
	s_waitcnt lgkmcnt(0)
	s_barrier
                                        ; implicit-def: $vgpr6_vgpr7
	s_cbranch_vccnz .LBB46_215
; %bb.199:                              ;   in Loop: Header=BB46_33 Depth=1
	s_mov_b32 s72, s63
	s_mov_b64 s[78:79], s[18:19]
	s_mov_b32 s18, s81
	s_mov_b32 s81, s80
	;; [unrolled: 1-line block ×3, first 2 shown]
	s_cmp_lg_u64 s[72:73], 0
	s_cbranch_scc0 .LBB46_258
; %bb.200:                              ;   in Loop: Header=BB46_33 Depth=1
	s_add_u32 s2, s33, 0
	s_addc_u32 s3, 0, 0
	s_xor_b64 s[2:3], s[2:3], 0
	v_cvt_f32_u32_e32 v2, s2
	v_cvt_f32_u32_e32 v4, s3
	s_sub_u32 s30, 0, s2
	s_subb_u32 s31, 0, s3
	v_mac_f32_e32 v2, 0x4f800000, v4
	v_rcp_f32_e32 v2, v2
	v_mul_f32_e32 v2, 0x5f7ffffc, v2
	v_mul_f32_e32 v4, 0x2f800000, v2
	v_trunc_f32_e32 v4, v4
	v_mac_f32_e32 v2, 0xcf800000, v4
	v_cvt_u32_f32_e32 v4, v4
	v_cvt_u32_f32_e32 v2, v2
	v_readfirstlane_b32 s34, v4
	v_readfirstlane_b32 s28, v2
	s_mul_i32 s29, s30, s34
	s_mul_hi_u32 s36, s30, s28
	s_mul_i32 s35, s31, s28
	s_add_i32 s29, s36, s29
	s_mul_i32 s37, s30, s28
	s_add_i32 s29, s29, s35
	s_mul_i32 s36, s28, s29
	s_mul_hi_u32 s38, s28, s37
	s_mul_hi_u32 s35, s28, s29
	s_add_u32 s36, s38, s36
	s_addc_u32 s35, 0, s35
	s_mul_hi_u32 s39, s34, s37
	s_mul_i32 s37, s34, s37
	s_add_u32 s36, s36, s37
	s_mul_hi_u32 s38, s34, s29
	s_addc_u32 s35, s35, s39
	s_addc_u32 s36, s38, 0
	s_mul_i32 s29, s34, s29
	s_add_u32 s29, s35, s29
	s_addc_u32 s35, 0, s36
	s_add_u32 s36, s28, s29
	s_cselect_b64 s[28:29], -1, 0
	s_cmp_lg_u64 s[28:29], 0
	s_addc_u32 s34, s34, s35
	s_mul_i32 s28, s30, s34
	s_mul_hi_u32 s29, s30, s36
	s_add_i32 s28, s29, s28
	s_mul_i32 s31, s31, s36
	s_add_i32 s28, s28, s31
	s_mul_i32 s30, s30, s36
	s_mul_hi_u32 s31, s34, s30
	s_mul_i32 s35, s34, s30
	s_mul_i32 s38, s36, s28
	s_mul_hi_u32 s30, s36, s30
	s_mul_hi_u32 s37, s36, s28
	s_add_u32 s30, s30, s38
	s_addc_u32 s37, 0, s37
	s_add_u32 s30, s30, s35
	s_mul_hi_u32 s29, s34, s28
	s_addc_u32 s30, s37, s31
	s_addc_u32 s29, s29, 0
	s_mul_i32 s28, s34, s28
	s_add_u32 s28, s30, s28
	s_addc_u32 s30, 0, s29
	s_add_u32 s35, s36, s28
	s_cselect_b64 s[28:29], -1, 0
	s_cmp_lg_u64 s[28:29], 0
	s_addc_u32 s34, s34, s30
	s_ashr_i32 s28, s73, 31
	s_add_u32 s30, s0, s28
	s_mov_b32 s29, s28
	s_addc_u32 s31, s73, s28
	s_xor_b64 s[30:31], s[30:31], s[28:29]
	s_mul_i32 s37, s30, s34
	s_mul_hi_u32 s38, s30, s35
	s_mul_hi_u32 s36, s30, s34
	s_add_u32 s37, s38, s37
	s_addc_u32 s36, 0, s36
	s_mul_hi_u32 s39, s31, s35
	s_mul_i32 s35, s31, s35
	s_add_u32 s35, s37, s35
	s_mul_hi_u32 s38, s31, s34
	s_addc_u32 s35, s36, s39
	s_addc_u32 s36, s38, 0
	s_mul_i32 s34, s31, s34
	s_add_u32 s34, s35, s34
	s_addc_u32 s35, 0, s36
	s_mul_i32 s35, s2, s35
	s_mul_hi_u32 s36, s2, s34
	s_add_i32 s35, s36, s35
	s_mul_i32 s36, s3, s34
	s_add_i32 s38, s35, s36
	s_sub_i32 s36, s31, s38
	s_mul_i32 s34, s2, s34
	s_sub_u32 s30, s30, s34
	s_cselect_b64 s[34:35], -1, 0
	s_cmp_lg_u64 s[34:35], 0
	s_subb_u32 s39, s36, s3
	s_sub_u32 s62, s30, s2
	s_cselect_b64 s[36:37], -1, 0
	s_cmp_lg_u64 s[36:37], 0
	s_subb_u32 s71, s39, 0
	s_cmp_ge_u32 s71, s3
	s_cselect_b32 s72, -1, 0
	s_cmp_ge_u32 s62, s2
	s_cselect_b32 s76, -1, 0
	s_cmp_eq_u32 s71, s3
	s_cselect_b32 s72, s76, s72
	s_cmp_lg_u64 s[36:37], 0
	s_subb_u32 s39, s39, s3
	s_sub_u32 s76, s62, s2
	s_cselect_b64 s[36:37], -1, 0
	s_cmp_lg_u64 s[36:37], 0
	s_subb_u32 s36, s39, 0
	s_cmp_lg_u32 s72, 0
	s_cselect_b32 s37, s76, s62
	s_cselect_b32 s36, s36, s71
	s_cmp_lg_u64 s[34:35], 0
	s_subb_u32 s31, s31, s38
	s_cmp_ge_u32 s31, s3
	s_cselect_b32 s34, -1, 0
	s_cmp_ge_u32 s30, s2
	s_cselect_b32 s2, -1, 0
	s_cmp_eq_u32 s31, s3
	s_cselect_b32 s2, s2, s34
	s_cmp_lg_u32 s2, 0
	s_cselect_b32 s3, s36, s31
	s_cselect_b32 s2, s37, s30
	s_xor_b64 s[2:3], s[2:3], s[28:29]
	s_sub_u32 s2, s2, s28
	s_subb_u32 s3, s3, s28
	s_cbranch_execnz .LBB46_202
.LBB46_201:                             ;   in Loop: Header=BB46_33 Depth=1
	v_cvt_f32_u32_e32 v2, s33
	s_sub_i32 s2, 0, s33
	v_rcp_iflag_f32_e32 v2, v2
	v_mul_f32_e32 v2, 0x4f7ffffe, v2
	v_cvt_u32_f32_e32 v2, v2
	v_readfirstlane_b32 s3, v2
	s_mul_i32 s2, s2, s3
	s_mul_hi_u32 s2, s3, s2
	s_add_i32 s3, s3, s2
	s_mul_hi_u32 s2, s0, s3
	s_mul_i32 s2, s2, s33
	s_sub_i32 s2, s0, s2
	s_sub_i32 s3, s2, s33
	s_cmp_ge_u32 s2, s33
	s_cselect_b32 s2, s3, s2
	s_sub_i32 s3, s2, s33
	s_cmp_ge_u32 s2, s33
	s_cselect_b32 s62, s3, s2
	s_mov_b64 s[2:3], s[62:63]
.LBB46_202:                             ;   in Loop: Header=BB46_33 Depth=1
	s_sub_u32 s30, s0, s2
	s_subb_u32 s31, s73, s3
	v_cmp_gt_i64_e32 vcc, s[30:31], v[0:1]
	s_mov_b64 s[2:3], 0
	s_mov_b64 s[76:77], 0
                                        ; implicit-def: $vgpr6_vgpr7
	s_and_saveexec_b64 s[28:29], vcc
	s_mov_b32 s71, s80
	s_mov_b32 s80, s81
	;; [unrolled: 1-line block ×3, first 2 shown]
	s_mov_b64 s[18:19], s[78:79]
	s_cbranch_execz .LBB46_214
; %bb.203:                              ;   in Loop: Header=BB46_33 Depth=1
	v_mov_b32_e32 v10, v16
	v_mov_b32_e32 v13, v1
	s_mov_b64 s[36:37], 0
	v_mov_b32_e32 v11, v17
	v_mov_b32_e32 v12, v0
                                        ; implicit-def: $sgpr38_sgpr39
	s_branch .LBB46_207
.LBB46_204:                             ;   in Loop: Header=BB46_207 Depth=2
	s_or_b64 exec, exec, s[76:77]
	s_waitcnt lgkmcnt(0)
	s_barrier
	ds_read_b128 v[4:7], v19 offset:3072
	s_waitcnt lgkmcnt(0)
	s_barrier
	v_cmp_neq_f64_e32 vcc, 0, v[4:5]
	s_cbranch_vccnz .LBB46_210
; %bb.205:                              ;   in Loop: Header=BB46_207 Depth=2
	v_add_co_u32_e32 v12, vcc, s33, v12
	v_addc_co_u32_e32 v13, vcc, 0, v13, vcc
	v_mov_b32_e32 v2, s65
	v_add_co_u32_e32 v10, vcc, s64, v10
	v_addc_co_u32_e32 v11, vcc, v11, v2, vcc
	v_cmp_le_i64_e32 vcc, s[30:31], v[12:13]
	s_mov_b64 s[34:35], 0
	s_orn2_b64 s[76:77], vcc, exec
.LBB46_206:                             ;   in Loop: Header=BB46_207 Depth=2
	s_and_b64 s[76:77], exec, s[76:77]
	s_or_b64 s[36:37], s[76:77], s[36:37]
	s_andn2_b64 s[38:39], s[38:39], exec
	s_and_b64 s[34:35], s[34:35], exec
	s_or_b64 s[38:39], s[38:39], s[34:35]
	s_andn2_b64 exec, exec, s[36:37]
	s_cbranch_execz .LBB46_213
.LBB46_207:                             ;   Parent Loop BB46_33 Depth=1
                                        ; =>  This Inner Loop Header: Depth=2
	v_cmp_gt_i64_e32 vcc, s[20:21], v[12:13]
	s_and_saveexec_b64 s[76:77], vcc
	s_cbranch_execz .LBB46_204
; %bb.208:                              ;   in Loop: Header=BB46_207 Depth=2
	global_load_dwordx2 v[4:5], v[10:11], off
	s_waitcnt vmcnt(0)
	v_cmp_o_f64_e32 vcc, v[4:5], v[4:5]
	v_ashrrev_i32_e32 v2, 31, v5
	v_or_b32_e32 v6, 0x80000000, v2
	v_xor_b32_e32 v6, v6, v5
	v_xor_b32_e32 v2, v2, v4
	v_cndmask_b32_e32 v6, -1, v6, vcc
	v_cndmask_b32_e32 v2, -1, v2, vcc
	v_and_b32_e32 v7, v6, v33
	v_and_b32_e32 v6, v2, v32
	v_cmp_eq_u64_e32 vcc, v[6:7], v[30:31]
	s_and_b64 exec, exec, vcc
	s_cbranch_execz .LBB46_204
; %bb.209:                              ;   in Loop: Header=BB46_207 Depth=2
	v_mov_b32_e32 v2, v19
	ds_write_b128 v19, v[2:5] offset:3072
	s_branch .LBB46_204
.LBB46_210:                             ;   in Loop: Header=BB46_207 Depth=2
	s_mov_b64 s[76:77], -1
                                        ; implicit-def: $vgpr12_vgpr13
                                        ; implicit-def: $vgpr10_vgpr11
	s_mov_b64 s[34:35], -1
	s_branch .LBB46_206
.LBB46_211:                             ;   in Loop: Header=BB46_33 Depth=1
                                        ; implicit-def: $sgpr2_sgpr3
	s_branch .LBB46_153
.LBB46_212:                             ;   in Loop: Header=BB46_33 Depth=1
                                        ; implicit-def: $sgpr6_sgpr7
	s_branch .LBB46_170
.LBB46_213:                             ;   in Loop: Header=BB46_33 Depth=1
	s_or_b64 exec, exec, s[36:37]
	s_and_b64 s[76:77], s[38:39], exec
.LBB46_214:                             ;   in Loop: Header=BB46_33 Depth=1
	s_or_b64 exec, exec, s[28:29]
.LBB46_215:                             ;   in Loop: Header=BB46_33 Depth=1
	s_and_b64 vcc, exec, s[2:3]
	s_cbranch_vccz .LBB46_230
; %bb.216:                              ;   in Loop: Header=BB46_33 Depth=1
	s_add_u32 s34, s50, s71
	s_addc_u32 s3, s51, s81
	s_mov_b32 s2, s63
	s_mov_b32 s72, s71
	s_cmp_lg_u64 s[2:3], 0
	s_cbranch_scc0 .LBB46_259
; %bb.217:                              ;   in Loop: Header=BB46_33 Depth=1
	s_add_u32 s28, s33, 0
	s_addc_u32 s29, 0, 0
	s_xor_b64 s[28:29], s[28:29], 0
	v_cvt_f32_u32_e32 v2, s28
	v_cvt_f32_u32_e32 v4, s29
	s_sub_u32 s2, 0, s28
	s_subb_u32 s35, 0, s29
	v_mac_f32_e32 v2, 0x4f800000, v4
	v_rcp_f32_e32 v2, v2
	v_mul_f32_e32 v2, 0x5f7ffffc, v2
	v_mul_f32_e32 v4, 0x2f800000, v2
	v_trunc_f32_e32 v4, v4
	v_mac_f32_e32 v2, 0xcf800000, v4
	v_cvt_u32_f32_e32 v4, v4
	v_cvt_u32_f32_e32 v2, v2
	v_readfirstlane_b32 s36, v4
	v_readfirstlane_b32 s30, v2
	s_mul_i32 s31, s2, s36
	s_mul_hi_u32 s38, s2, s30
	s_mul_i32 s37, s35, s30
	s_add_i32 s31, s38, s31
	s_mul_i32 s39, s2, s30
	s_add_i32 s31, s31, s37
	s_mul_i32 s38, s30, s31
	s_mul_hi_u32 s48, s30, s39
	s_mul_hi_u32 s37, s30, s31
	s_add_u32 s38, s48, s38
	s_addc_u32 s37, 0, s37
	s_mul_hi_u32 s49, s36, s39
	s_mul_i32 s39, s36, s39
	s_add_u32 s38, s38, s39
	s_mul_hi_u32 s48, s36, s31
	s_addc_u32 s37, s37, s49
	s_addc_u32 s38, s48, 0
	s_mul_i32 s31, s36, s31
	s_add_u32 s31, s37, s31
	s_addc_u32 s37, 0, s38
	s_add_u32 s38, s30, s31
	s_cselect_b64 s[30:31], -1, 0
	s_cmp_lg_u64 s[30:31], 0
	s_addc_u32 s36, s36, s37
	s_mul_i32 s30, s2, s36
	s_mul_hi_u32 s31, s2, s38
	s_add_i32 s30, s31, s30
	s_mul_i32 s35, s35, s38
	s_add_i32 s30, s30, s35
	s_mul_i32 s2, s2, s38
	s_mul_hi_u32 s35, s36, s2
	s_mul_i32 s37, s36, s2
	s_mul_i32 s48, s38, s30
	s_mul_hi_u32 s2, s38, s2
	s_mul_hi_u32 s39, s38, s30
	s_add_u32 s2, s2, s48
	s_addc_u32 s39, 0, s39
	s_add_u32 s2, s2, s37
	s_mul_hi_u32 s31, s36, s30
	s_addc_u32 s2, s39, s35
	s_addc_u32 s31, s31, 0
	s_mul_i32 s30, s36, s30
	s_add_u32 s2, s2, s30
	s_addc_u32 s35, 0, s31
	s_add_u32 s2, s38, s2
	s_cselect_b64 s[30:31], -1, 0
	s_cmp_lg_u64 s[30:31], 0
	s_addc_u32 s35, s36, s35
	s_ashr_i32 s30, s3, 31
	s_add_u32 s36, s34, s30
	s_mov_b32 s31, s30
	s_addc_u32 s37, s3, s30
	s_xor_b64 s[36:37], s[36:37], s[30:31]
	s_mul_i32 s39, s36, s35
	s_mul_hi_u32 s48, s36, s2
	s_mul_hi_u32 s38, s36, s35
	s_add_u32 s39, s48, s39
	s_addc_u32 s38, 0, s38
	s_mul_hi_u32 s49, s37, s2
	s_mul_i32 s2, s37, s2
	s_add_u32 s2, s39, s2
	s_mul_hi_u32 s48, s37, s35
	s_addc_u32 s2, s38, s49
	s_addc_u32 s38, s48, 0
	s_mul_i32 s35, s37, s35
	s_add_u32 s2, s2, s35
	s_addc_u32 s35, 0, s38
	s_mul_i32 s35, s28, s35
	s_mul_hi_u32 s38, s28, s2
	s_add_i32 s35, s38, s35
	s_mul_i32 s38, s29, s2
	s_add_i32 s35, s35, s38
	s_sub_i32 s48, s37, s35
	s_mul_i32 s2, s28, s2
	s_sub_u32 s2, s36, s2
	s_cselect_b64 s[38:39], -1, 0
	s_cmp_lg_u64 s[38:39], 0
	s_subb_u32 s36, s48, s29
	s_sub_u32 s52, s2, s28
	s_cselect_b64 s[48:49], -1, 0
	s_cmp_lg_u64 s[48:49], 0
	s_subb_u32 s53, s36, 0
	s_cmp_ge_u32 s53, s29
	s_cselect_b32 s62, -1, 0
	s_cmp_ge_u32 s52, s28
	s_cselect_b32 s71, -1, 0
	s_cmp_eq_u32 s53, s29
	s_cselect_b32 s62, s71, s62
	s_cmp_lg_u64 s[48:49], 0
	s_subb_u32 s36, s36, s29
	s_sub_u32 s71, s52, s28
	s_cselect_b64 s[48:49], -1, 0
	s_cmp_lg_u64 s[48:49], 0
	s_subb_u32 s36, s36, 0
	s_cmp_lg_u32 s62, 0
	s_cselect_b32 s48, s71, s52
	s_cselect_b32 s36, s36, s53
	s_cmp_lg_u64 s[38:39], 0
	s_subb_u32 s35, s37, s35
	s_cmp_ge_u32 s35, s29
	s_cselect_b32 s37, -1, 0
	s_cmp_ge_u32 s2, s28
	s_cselect_b32 s28, -1, 0
	s_cmp_eq_u32 s35, s29
	s_cselect_b32 s28, s28, s37
	s_cmp_lg_u32 s28, 0
	s_cselect_b32 s29, s36, s35
	s_cselect_b32 s28, s48, s2
	s_xor_b64 s[28:29], s[28:29], s[30:31]
	s_sub_u32 s28, s28, s30
	s_subb_u32 s29, s29, s30
	s_cbranch_execnz .LBB46_219
.LBB46_218:                             ;   in Loop: Header=BB46_33 Depth=1
	v_cvt_f32_u32_e32 v2, s33
	s_sub_i32 s2, 0, s33
	v_rcp_iflag_f32_e32 v2, v2
	v_mul_f32_e32 v2, 0x4f7ffffe, v2
	v_cvt_u32_f32_e32 v2, v2
	v_readfirstlane_b32 s28, v2
	s_mul_i32 s2, s2, s28
	s_mul_hi_u32 s2, s28, s2
	s_add_i32 s28, s28, s2
	s_mul_hi_u32 s2, s34, s28
	s_mul_i32 s2, s2, s33
	s_sub_i32 s2, s34, s2
	s_sub_i32 s28, s2, s33
	s_cmp_ge_u32 s2, s33
	s_cselect_b32 s2, s28, s2
	s_sub_i32 s28, s2, s33
	s_cmp_ge_u32 s2, s33
	s_cselect_b32 s62, s28, s2
	s_mov_b64 s[28:29], s[62:63]
.LBB46_219:                             ;   in Loop: Header=BB46_33 Depth=1
	s_sub_u32 s28, s34, s28
	s_subb_u32 s29, s3, s29
	v_cmp_gt_i64_e32 vcc, s[28:29], v[0:1]
                                        ; implicit-def: $vgpr6_vgpr7
	s_and_saveexec_b64 s[2:3], vcc
	s_mov_b32 s71, s72
	s_cbranch_execz .LBB46_229
; %bb.220:                              ;   in Loop: Header=BB46_33 Depth=1
	v_mov_b32_e32 v11, v1
	s_mov_b64 s[30:31], 0
	v_mov_b32_e32 v12, v53
	v_mov_b32_e32 v10, v0
                                        ; implicit-def: $sgpr36_sgpr37
	s_branch .LBB46_224
.LBB46_221:                             ;   in Loop: Header=BB46_224 Depth=2
	s_or_b64 exec, exec, s[38:39]
	s_waitcnt lgkmcnt(0)
	s_barrier
	ds_read_b128 v[4:7], v19 offset:3072
	s_waitcnt lgkmcnt(0)
	s_barrier
	v_cmp_eq_f64_e32 vcc, 0, v[4:5]
	s_cbranch_vccz .LBB46_227
; %bb.222:                              ;   in Loop: Header=BB46_224 Depth=2
	v_add_co_u32_e32 v10, vcc, s33, v10
	v_addc_co_u32_e32 v11, vcc, 0, v11, vcc
	v_cmp_le_i64_e32 vcc, s[28:29], v[10:11]
	v_add_u32_e32 v12, s8, v12
	s_mov_b64 s[34:35], 0
	s_orn2_b64 s[38:39], vcc, exec
.LBB46_223:                             ;   in Loop: Header=BB46_224 Depth=2
	s_and_b64 s[38:39], exec, s[38:39]
	s_or_b64 s[30:31], s[38:39], s[30:31]
	s_andn2_b64 s[36:37], s[36:37], exec
	s_and_b64 s[34:35], s[34:35], exec
	s_or_b64 s[36:37], s[36:37], s[34:35]
	s_andn2_b64 exec, exec, s[30:31]
	s_cbranch_execz .LBB46_228
.LBB46_224:                             ;   Parent Loop BB46_33 Depth=1
                                        ; =>  This Inner Loop Header: Depth=2
	v_cmp_gt_u64_e32 vcc, s[50:51], v[10:11]
	s_and_saveexec_b64 s[38:39], vcc
	s_cbranch_execz .LBB46_221
; %bb.225:                              ;   in Loop: Header=BB46_224 Depth=2
	ds_read_b64 v[4:5], v12
	s_waitcnt lgkmcnt(0)
	v_cmp_o_f64_e32 vcc, v[4:5], v[4:5]
	v_ashrrev_i32_e32 v2, 31, v5
	v_or_b32_e32 v6, 0x80000000, v2
	v_xor_b32_e32 v6, v6, v5
	v_xor_b32_e32 v2, v2, v4
	v_cndmask_b32_e32 v6, -1, v6, vcc
	v_cndmask_b32_e32 v2, -1, v2, vcc
	v_and_b32_e32 v7, v6, v33
	v_and_b32_e32 v6, v2, v32
	v_cmp_eq_u64_e32 vcc, v[6:7], v[30:31]
	s_and_b64 exec, exec, vcc
	s_cbranch_execz .LBB46_221
; %bb.226:                              ;   in Loop: Header=BB46_224 Depth=2
	v_mov_b32_e32 v2, v19
	ds_write_b128 v19, v[2:5] offset:3072
	s_branch .LBB46_221
.LBB46_227:                             ;   in Loop: Header=BB46_224 Depth=2
	s_mov_b64 s[38:39], -1
                                        ; implicit-def: $vgpr10_vgpr11
                                        ; implicit-def: $vgpr12
	s_mov_b64 s[34:35], -1
	s_branch .LBB46_223
.LBB46_228:                             ;   in Loop: Header=BB46_33 Depth=1
	s_or_b64 exec, exec, s[30:31]
	s_andn2_b64 s[28:29], s[76:77], exec
	s_and_b64 s[30:31], s[36:37], exec
	s_or_b64 s[76:77], s[28:29], s[30:31]
.LBB46_229:                             ;   in Loop: Header=BB46_33 Depth=1
	s_or_b64 exec, exec, s[2:3]
	s_mov_b64 s[48:49], 0
	s_mov_b64 s[52:53], -1
.LBB46_230:                             ;   in Loop: Header=BB46_33 Depth=1
	v_readlane_b32 s50, v57, 48
	s_orn2_b64 s[2:3], s[76:77], exec
	v_readlane_b32 s51, v57, 49
.LBB46_231:                             ;   in Loop: Header=BB46_33 Depth=1
	s_or_b64 exec, exec, s[10:11]
	s_mov_b64 s[28:29], 0
	s_and_saveexec_b64 s[10:11], s[2:3]
	s_cbranch_execz .LBB46_291
; %bb.232:                              ;   in Loop: Header=BB46_33 Depth=1
	v_mov_b32_e32 v10, 1
	s_xor_b64 s[28:29], s[24:25], -1
	v_mov_b32_e32 v36, 1
	v_mov_b32_e32 v11, 0
	s_mov_b64 s[24:25], 0
	s_and_saveexec_b64 s[2:3], s[28:29]
	s_cbranch_execz .LBB46_241
; %bb.233:                              ;   in Loop: Header=BB46_33 Depth=1
	v_cmp_ge_i64_e32 vcc, s[60:61], v[8:9]
	s_and_saveexec_b64 s[24:25], vcc
	s_xor_b64 s[24:25], exec, s[24:25]
	s_cbranch_execz .LBB46_238
; %bb.234:                              ;   in Loop: Header=BB46_33 Depth=1
	s_lshl_b64 s[28:29], 2, s9
	v_and_b32_e32 v4, s40, v30
	v_or_b32_e32 v30, s28, v4
	ds_read_b64 v[4:5], v19 offset:5120
	v_and_b32_e32 v2, s41, v31
	v_or_b32_e32 v31, s29, v2
	v_or_b32_e32 v33, s15, v33
	;; [unrolled: 1-line block ×3, first 2 shown]
	s_waitcnt lgkmcnt(0)
	v_cmp_ne_u64_e32 vcc, 0, v[4:5]
	s_cbranch_vccnz .LBB46_238
; %bb.235:                              ;   in Loop: Header=BB46_33 Depth=1
	s_mov_b64 s[28:29], exec
	v_readlane_b32 s30, v57, 30
	v_readlane_b32 s31, v57, 31
	s_and_b64 s[30:31], s[28:29], s[30:31]
	s_mov_b64 exec, s[30:31]
; %bb.236:                              ;   in Loop: Header=BB46_33 Depth=1
	v_mov_b32_e32 v4, s60
	v_mov_b32_e32 v5, s61
	ds_write_b64 v19, v[4:5] offset:5128
; %bb.237:                              ;   in Loop: Header=BB46_33 Depth=1
	s_or_b64 exec, exec, s[28:29]
	s_waitcnt lgkmcnt(0)
	s_barrier
.LBB46_238:                             ;   in Loop: Header=BB46_33 Depth=1
	s_or_saveexec_b64 s[24:25], s[24:25]
	s_mov_b64 s[28:29], 0
	v_mov_b32_e32 v36, 8
	s_xor_b64 exec, exec, s[24:25]
; %bb.239:                              ;   in Loop: Header=BB46_33 Depth=1
	v_subrev_co_u32_e32 v8, vcc, s60, v8
	v_mov_b32_e32 v2, s61
	v_subb_co_u32_e32 v9, vcc, v9, v2, vcc
	v_mov_b32_e32 v36, 0
	s_mov_b64 s[28:29], exec
; %bb.240:                              ;   in Loop: Header=BB46_33 Depth=1
	s_or_b64 exec, exec, s[24:25]
	v_mov_b32_e32 v11, v9
	s_and_b64 s[24:25], s[28:29], exec
	v_mov_b32_e32 v10, v8
.LBB46_241:                             ;   in Loop: Header=BB46_33 Depth=1
	s_or_b64 exec, exec, s[2:3]
	s_mov_b64 s[2:3], -1
                                        ; implicit-def: $sgpr78_sgpr79
                                        ; implicit-def: $sgpr76_sgpr77
	s_and_saveexec_b64 s[40:41], s[24:25]
	s_cbranch_execz .LBB46_290
; %bb.242:                              ;   in Loop: Header=BB46_33 Depth=1
	s_cmp_eq_u64 s[12:13], 1
	v_cmp_eq_u64_e32 vcc, 1, v[10:11]
	s_cselect_b64 s[2:3], -1, 0
	s_and_b64 s[24:25], s[2:3], vcc
	s_mov_b64 s[28:29], -1
                                        ; implicit-def: $sgpr78_sgpr79
                                        ; implicit-def: $sgpr76_sgpr77
	s_and_saveexec_b64 s[60:61], s[24:25]
	s_cbranch_execz .LBB46_278
; %bb.243:                              ;   in Loop: Header=BB46_33 Depth=1
	ds_read_b64 v[4:5], v19 offset:5120
	s_waitcnt lgkmcnt(0)
	s_barrier
	v_readfirstlane_b32 s50, v4
	v_readfirstlane_b32 s51, v5
	s_and_saveexec_b64 s[2:3], s[18:19]
; %bb.244:                              ;   in Loop: Header=BB46_33 Depth=1
	v_mov_b32_e32 v18, v19
	ds_write_b64 v54, v[18:19]
; %bb.245:                              ;   in Loop: Header=BB46_33 Depth=1
	s_or_b64 exec, exec, s[2:3]
	v_cmp_gt_i64_e64 s[2:3], s[50:51], 0
	v_or_b32_e32 v31, s15, v31
	v_or_b32_e32 v30, s14, v30
	;; [unrolled: 1-line block ×4, first 2 shown]
	s_mov_b64 s[76:77], -1
	s_mov_b64 s[78:79], 0
	s_and_b64 vcc, exec, s[2:3]
	s_mov_b64 s[2:3], 0
	s_waitcnt lgkmcnt(0)
	s_barrier
                                        ; implicit-def: $vgpr6_vgpr7
	s_cbranch_vccnz .LBB46_262
; %bb.246:                              ;   in Loop: Header=BB46_33 Depth=1
	v_writelane_b32 v57, s18, 50
	s_mov_b32 s72, s63
	v_writelane_b32 v57, s19, 51
	s_mov_b32 s18, s81
	s_mov_b32 s81, s80
	;; [unrolled: 1-line block ×3, first 2 shown]
	s_cmp_lg_u64 s[72:73], 0
	s_cbranch_scc0 .LBB46_297
; %bb.247:                              ;   in Loop: Header=BB46_33 Depth=1
	s_add_u32 s2, s33, 0
	s_addc_u32 s3, 0, 0
	s_xor_b64 s[2:3], s[2:3], 0
	v_cvt_f32_u32_e32 v2, s2
	v_cvt_f32_u32_e32 v4, s3
	s_sub_u32 s30, 0, s2
	s_subb_u32 s31, 0, s3
	v_mac_f32_e32 v2, 0x4f800000, v4
	v_rcp_f32_e32 v2, v2
	v_mul_f32_e32 v2, 0x5f7ffffc, v2
	v_mul_f32_e32 v4, 0x2f800000, v2
	v_trunc_f32_e32 v4, v4
	v_mac_f32_e32 v2, 0xcf800000, v4
	v_cvt_u32_f32_e32 v4, v4
	v_cvt_u32_f32_e32 v2, v2
	v_readfirstlane_b32 s34, v4
	v_readfirstlane_b32 s28, v2
	s_mul_i32 s29, s30, s34
	s_mul_hi_u32 s36, s30, s28
	s_mul_i32 s35, s31, s28
	s_add_i32 s29, s36, s29
	s_mul_i32 s37, s30, s28
	s_add_i32 s29, s29, s35
	s_mul_i32 s36, s28, s29
	s_mul_hi_u32 s38, s28, s37
	s_mul_hi_u32 s35, s28, s29
	s_add_u32 s36, s38, s36
	s_addc_u32 s35, 0, s35
	s_mul_hi_u32 s39, s34, s37
	s_mul_i32 s37, s34, s37
	s_add_u32 s36, s36, s37
	s_mul_hi_u32 s38, s34, s29
	s_addc_u32 s35, s35, s39
	s_addc_u32 s36, s38, 0
	s_mul_i32 s29, s34, s29
	s_add_u32 s29, s35, s29
	s_addc_u32 s35, 0, s36
	s_add_u32 s36, s28, s29
	s_cselect_b64 s[28:29], -1, 0
	s_cmp_lg_u64 s[28:29], 0
	s_addc_u32 s34, s34, s35
	s_mul_i32 s28, s30, s34
	s_mul_hi_u32 s29, s30, s36
	s_add_i32 s28, s29, s28
	s_mul_i32 s31, s31, s36
	s_add_i32 s28, s28, s31
	s_mul_i32 s30, s30, s36
	s_mul_hi_u32 s31, s34, s30
	s_mul_i32 s35, s34, s30
	s_mul_i32 s38, s36, s28
	s_mul_hi_u32 s30, s36, s30
	s_mul_hi_u32 s37, s36, s28
	s_add_u32 s30, s30, s38
	s_addc_u32 s37, 0, s37
	s_add_u32 s30, s30, s35
	s_mul_hi_u32 s29, s34, s28
	s_addc_u32 s30, s37, s31
	s_addc_u32 s29, s29, 0
	s_mul_i32 s28, s34, s28
	s_add_u32 s28, s30, s28
	s_addc_u32 s30, 0, s29
	s_add_u32 s35, s36, s28
	s_cselect_b64 s[28:29], -1, 0
	s_cmp_lg_u64 s[28:29], 0
	s_addc_u32 s34, s34, s30
	s_ashr_i32 s28, s73, 31
	s_add_u32 s30, s0, s28
	s_mov_b32 s29, s28
	s_addc_u32 s31, s73, s28
	s_xor_b64 s[30:31], s[30:31], s[28:29]
	s_mul_i32 s37, s30, s34
	s_mul_hi_u32 s38, s30, s35
	s_mul_hi_u32 s36, s30, s34
	s_add_u32 s37, s38, s37
	s_addc_u32 s36, 0, s36
	s_mul_hi_u32 s39, s31, s35
	s_mul_i32 s35, s31, s35
	s_add_u32 s35, s37, s35
	s_mul_hi_u32 s38, s31, s34
	s_addc_u32 s35, s36, s39
	s_addc_u32 s36, s38, 0
	s_mul_i32 s34, s31, s34
	s_add_u32 s34, s35, s34
	s_addc_u32 s35, 0, s36
	s_mul_i32 s35, s2, s35
	s_mul_hi_u32 s36, s2, s34
	s_add_i32 s35, s36, s35
	s_mul_i32 s36, s3, s34
	s_add_i32 s38, s35, s36
	s_sub_i32 s36, s31, s38
	s_mul_i32 s34, s2, s34
	s_sub_u32 s30, s30, s34
	s_cselect_b64 s[34:35], -1, 0
	s_cmp_lg_u64 s[34:35], 0
	s_subb_u32 s39, s36, s3
	s_sub_u32 s62, s30, s2
	s_cselect_b64 s[36:37], -1, 0
	s_cmp_lg_u64 s[36:37], 0
	s_subb_u32 s71, s39, 0
	s_cmp_ge_u32 s71, s3
	s_cselect_b32 s72, -1, 0
	s_cmp_ge_u32 s62, s2
	s_cselect_b32 vcc_lo, -1, 0
	s_cmp_eq_u32 s71, s3
	s_cselect_b32 s72, vcc_lo, s72
	s_cmp_lg_u64 s[36:37], 0
	s_subb_u32 s39, s39, s3
	s_sub_u32 vcc_lo, s62, s2
	s_cselect_b64 s[36:37], -1, 0
	s_cmp_lg_u64 s[36:37], 0
	s_subb_u32 s36, s39, 0
	s_cmp_lg_u32 s72, 0
	s_cselect_b32 s37, vcc_lo, s62
	s_cselect_b32 s36, s36, s71
	s_cmp_lg_u64 s[34:35], 0
	s_subb_u32 s31, s31, s38
	s_cmp_ge_u32 s31, s3
	s_cselect_b32 s34, -1, 0
	s_cmp_ge_u32 s30, s2
	s_cselect_b32 s2, -1, 0
	s_cmp_eq_u32 s31, s3
	s_cselect_b32 s2, s2, s34
	s_cmp_lg_u32 s2, 0
	s_cselect_b32 s3, s36, s31
	s_cselect_b32 s2, s37, s30
	s_xor_b64 s[2:3], s[2:3], s[28:29]
	s_sub_u32 s2, s2, s28
	s_subb_u32 s3, s3, s28
	s_cbranch_execnz .LBB46_249
.LBB46_248:                             ;   in Loop: Header=BB46_33 Depth=1
	v_cvt_f32_u32_e32 v2, s33
	s_sub_i32 s2, 0, s33
	v_rcp_iflag_f32_e32 v2, v2
	v_mul_f32_e32 v2, 0x4f7ffffe, v2
	v_cvt_u32_f32_e32 v2, v2
	v_readfirstlane_b32 s3, v2
	s_mul_i32 s2, s2, s3
	s_mul_hi_u32 s2, s3, s2
	s_add_i32 s3, s3, s2
	s_mul_hi_u32 s2, s0, s3
	s_mul_i32 s2, s2, s33
	s_sub_i32 s2, s0, s2
	s_sub_i32 s3, s2, s33
	s_cmp_ge_u32 s2, s33
	s_cselect_b32 s2, s3, s2
	s_sub_i32 s3, s2, s33
	s_cmp_ge_u32 s2, s33
	s_cselect_b32 s62, s3, s2
	s_mov_b64 s[2:3], s[62:63]
.LBB46_249:                             ;   in Loop: Header=BB46_33 Depth=1
	s_sub_u32 s36, s0, s2
	s_subb_u32 s37, s73, s3
	v_cmp_gt_i64_e32 vcc, s[36:37], v[0:1]
	s_mov_b64 s[28:29], 0
	s_mov_b64 s[2:3], 0
                                        ; implicit-def: $vgpr6_vgpr7
	s_and_saveexec_b64 s[30:31], vcc
	s_mov_b32 s71, s80
	s_mov_b32 s80, s81
	;; [unrolled: 1-line block ×3, first 2 shown]
	v_readlane_b32 s18, v57, 50
	v_readlane_b32 s19, v57, 51
	s_cbranch_execz .LBB46_261
; %bb.250:                              ;   in Loop: Header=BB46_33 Depth=1
	v_mov_b32_e32 v8, v16
	v_mov_b32_e32 v13, v1
	v_mov_b32_e32 v9, v17
	v_mov_b32_e32 v12, v0
                                        ; implicit-def: $sgpr38_sgpr39
	s_branch .LBB46_254
.LBB46_251:                             ;   in Loop: Header=BB46_254 Depth=2
	s_or_b64 exec, exec, s[34:35]
	s_waitcnt lgkmcnt(0)
	s_barrier
	ds_read_b128 v[4:7], v19 offset:3072
	s_waitcnt lgkmcnt(0)
	s_barrier
	v_cmp_neq_f64_e32 vcc, 0, v[4:5]
	s_cbranch_vccnz .LBB46_257
; %bb.252:                              ;   in Loop: Header=BB46_254 Depth=2
	v_add_co_u32_e32 v12, vcc, s33, v12
	v_addc_co_u32_e32 v13, vcc, 0, v13, vcc
	v_mov_b32_e32 v2, s65
	v_add_co_u32_e32 v8, vcc, s64, v8
	v_addc_co_u32_e32 v9, vcc, v9, v2, vcc
	v_cmp_le_i64_e32 vcc, s[36:37], v[12:13]
	s_mov_b64 s[34:35], 0
	s_orn2_b64 vcc, vcc, exec
.LBB46_253:                             ;   in Loop: Header=BB46_254 Depth=2
	s_and_b64 vcc, exec, vcc
	s_or_b64 s[2:3], vcc, s[2:3]
	s_andn2_b64 s[38:39], s[38:39], exec
	s_and_b64 s[34:35], s[34:35], exec
	s_or_b64 s[38:39], s[38:39], s[34:35]
	s_andn2_b64 exec, exec, s[2:3]
	s_cbranch_execz .LBB46_260
.LBB46_254:                             ;   Parent Loop BB46_33 Depth=1
                                        ; =>  This Inner Loop Header: Depth=2
	v_cmp_gt_i64_e32 vcc, s[20:21], v[12:13]
	s_and_saveexec_b64 s[34:35], vcc
	s_cbranch_execz .LBB46_251
; %bb.255:                              ;   in Loop: Header=BB46_254 Depth=2
	global_load_dwordx2 v[4:5], v[8:9], off
	s_waitcnt vmcnt(0)
	v_cmp_o_f64_e32 vcc, v[4:5], v[4:5]
	v_ashrrev_i32_e32 v2, 31, v5
	v_or_b32_e32 v6, 0x80000000, v2
	v_xor_b32_e32 v6, v6, v5
	v_xor_b32_e32 v2, v2, v4
	v_cndmask_b32_e32 v6, -1, v6, vcc
	v_cndmask_b32_e32 v2, -1, v2, vcc
	v_and_b32_e32 v7, v6, v33
	v_and_b32_e32 v6, v2, v32
	v_cmp_eq_u64_e32 vcc, v[6:7], v[30:31]
	s_and_b64 exec, exec, vcc
	s_cbranch_execz .LBB46_251
; %bb.256:                              ;   in Loop: Header=BB46_254 Depth=2
	v_mov_b32_e32 v2, v19
	ds_write_b128 v19, v[2:5] offset:3072
	s_branch .LBB46_251
.LBB46_257:                             ;   in Loop: Header=BB46_254 Depth=2
	s_mov_b64 vcc, -1
                                        ; implicit-def: $vgpr12_vgpr13
                                        ; implicit-def: $vgpr8_vgpr9
	s_mov_b64 s[34:35], -1
	s_branch .LBB46_253
.LBB46_258:                             ;   in Loop: Header=BB46_33 Depth=1
                                        ; implicit-def: $sgpr2_sgpr3
	s_branch .LBB46_201
.LBB46_259:                             ;   in Loop: Header=BB46_33 Depth=1
                                        ; implicit-def: $sgpr28_sgpr29
	s_branch .LBB46_218
.LBB46_260:                             ;   in Loop: Header=BB46_33 Depth=1
	s_or_b64 exec, exec, s[2:3]
	s_and_b64 s[2:3], s[38:39], exec
.LBB46_261:                             ;   in Loop: Header=BB46_33 Depth=1
	s_or_b64 exec, exec, s[30:31]
.LBB46_262:                             ;   in Loop: Header=BB46_33 Depth=1
	s_and_b64 vcc, exec, s[28:29]
	s_cbranch_vccz .LBB46_277
; %bb.263:                              ;   in Loop: Header=BB46_33 Depth=1
	s_add_u32 s34, s50, s71
	s_addc_u32 s77, s51, s81
	s_mov_b32 s76, s63
	s_cmp_lg_u64 s[76:77], 0
	v_writelane_b32 v57, s71, 50
	s_cbranch_scc0 .LBB46_298
; %bb.264:                              ;   in Loop: Header=BB46_33 Depth=1
	s_add_u32 s28, s33, 0
	s_addc_u32 s29, 0, 0
	s_xor_b64 s[28:29], s[28:29], 0
	v_cvt_f32_u32_e32 v2, s28
	v_cvt_f32_u32_e32 v4, s29
	s_sub_u32 s35, 0, s28
	s_subb_u32 s36, 0, s29
	v_mac_f32_e32 v2, 0x4f800000, v4
	v_rcp_f32_e32 v2, v2
	v_mul_f32_e32 v2, 0x5f7ffffc, v2
	v_mul_f32_e32 v4, 0x2f800000, v2
	v_trunc_f32_e32 v4, v4
	v_mac_f32_e32 v2, 0xcf800000, v4
	v_cvt_u32_f32_e32 v4, v4
	v_cvt_u32_f32_e32 v2, v2
	v_readfirstlane_b32 s37, v4
	v_readfirstlane_b32 s30, v2
	s_mul_i32 s31, s35, s37
	s_mul_hi_u32 s39, s35, s30
	s_mul_i32 s38, s36, s30
	s_add_i32 s31, s39, s31
	s_mul_i32 s62, s35, s30
	s_add_i32 s31, s31, s38
	s_mul_i32 s39, s30, s31
	s_mul_hi_u32 s71, s30, s62
	s_mul_hi_u32 s38, s30, s31
	s_add_u32 s39, s71, s39
	s_addc_u32 s38, 0, s38
	s_mul_hi_u32 s72, s37, s62
	s_mul_i32 s62, s37, s62
	s_add_u32 s39, s39, s62
	s_mul_hi_u32 s71, s37, s31
	s_addc_u32 s38, s38, s72
	s_addc_u32 s39, s71, 0
	s_mul_i32 s31, s37, s31
	s_add_u32 s31, s38, s31
	s_addc_u32 s38, 0, s39
	s_add_u32 s39, s30, s31
	s_cselect_b64 s[30:31], -1, 0
	s_cmp_lg_u64 s[30:31], 0
	s_addc_u32 s37, s37, s38
	s_mul_i32 s30, s35, s37
	s_mul_hi_u32 s31, s35, s39
	s_add_i32 s30, s31, s30
	s_mul_i32 s36, s36, s39
	s_add_i32 s30, s30, s36
	s_mul_i32 s35, s35, s39
	s_mul_hi_u32 s36, s37, s35
	s_mul_i32 s38, s37, s35
	s_mul_i32 s71, s39, s30
	s_mul_hi_u32 s35, s39, s35
	s_mul_hi_u32 s62, s39, s30
	s_add_u32 s35, s35, s71
	s_addc_u32 s62, 0, s62
	s_add_u32 s35, s35, s38
	s_mul_hi_u32 s31, s37, s30
	s_addc_u32 s35, s62, s36
	s_addc_u32 s31, s31, 0
	s_mul_i32 s30, s37, s30
	s_add_u32 s30, s35, s30
	s_addc_u32 s35, 0, s31
	s_add_u32 s38, s39, s30
	s_cselect_b64 s[30:31], -1, 0
	s_cmp_lg_u64 s[30:31], 0
	s_addc_u32 s35, s37, s35
	s_ashr_i32 s30, s77, 31
	s_add_u32 s36, s34, s30
	s_mov_b32 s31, s30
	s_addc_u32 s37, s77, s30
	s_xor_b64 s[36:37], s[36:37], s[30:31]
	s_mul_i32 s62, s36, s35
	s_mul_hi_u32 s71, s36, s38
	s_mul_hi_u32 s39, s36, s35
	s_add_u32 s62, s71, s62
	s_addc_u32 s39, 0, s39
	s_mul_hi_u32 s72, s37, s38
	s_mul_i32 s38, s37, s38
	s_add_u32 s38, s62, s38
	s_mul_hi_u32 s71, s37, s35
	s_addc_u32 s38, s39, s72
	s_addc_u32 s39, s71, 0
	s_mul_i32 s35, s37, s35
	s_add_u32 s35, s38, s35
	s_addc_u32 s38, 0, s39
	s_mul_i32 s38, s28, s38
	s_mul_hi_u32 s39, s28, s35
	s_add_i32 s38, s39, s38
	s_mul_i32 s39, s29, s35
	s_add_i32 s62, s38, s39
	s_sub_i32 s71, s37, s62
	s_mul_i32 s35, s28, s35
	s_sub_u32 s35, s36, s35
	s_cselect_b64 s[38:39], -1, 0
	s_cmp_lg_u64 s[38:39], 0
	s_subb_u32 s36, s71, s29
	s_sub_u32 s71, s35, s28
	s_cselect_b64 s[78:79], -1, 0
	s_cmp_lg_u64 s[78:79], 0
	s_subb_u32 s72, s36, 0
	s_cmp_ge_u32 s72, s29
	s_cselect_b32 s76, -1, 0
	s_cmp_ge_u32 s71, s28
	s_cselect_b32 vcc_lo, -1, 0
	s_cmp_eq_u32 s72, s29
	s_cselect_b32 s76, vcc_lo, s76
	s_cmp_lg_u64 s[78:79], 0
	s_subb_u32 s36, s36, s29
	s_sub_u32 vcc_lo, s71, s28
	s_cselect_b64 s[78:79], -1, 0
	s_cmp_lg_u64 s[78:79], 0
	s_subb_u32 s36, s36, 0
	s_cmp_lg_u32 s76, 0
	s_cselect_b32 s71, vcc_lo, s71
	s_cselect_b32 s36, s36, s72
	s_cmp_lg_u64 s[38:39], 0
	s_subb_u32 s37, s37, s62
	s_cmp_ge_u32 s37, s29
	s_cselect_b32 s38, -1, 0
	s_cmp_ge_u32 s35, s28
	s_cselect_b32 s28, -1, 0
	s_cmp_eq_u32 s37, s29
	s_cselect_b32 s28, s28, s38
	s_cmp_lg_u32 s28, 0
	s_cselect_b32 s29, s36, s37
	s_cselect_b32 s28, s71, s35
	s_xor_b64 s[28:29], s[28:29], s[30:31]
	s_sub_u32 s28, s28, s30
	s_subb_u32 s29, s29, s30
	s_cbranch_execnz .LBB46_266
.LBB46_265:                             ;   in Loop: Header=BB46_33 Depth=1
	v_cvt_f32_u32_e32 v2, s33
	s_sub_i32 s28, 0, s33
	v_rcp_iflag_f32_e32 v2, v2
	v_mul_f32_e32 v2, 0x4f7ffffe, v2
	v_cvt_u32_f32_e32 v2, v2
	v_readfirstlane_b32 s29, v2
	s_mul_i32 s28, s28, s29
	s_mul_hi_u32 s28, s29, s28
	s_add_i32 s29, s29, s28
	s_mul_hi_u32 s28, s34, s29
	s_mul_i32 s28, s28, s33
	s_sub_i32 s28, s34, s28
	s_sub_i32 s29, s28, s33
	s_cmp_ge_u32 s28, s33
	s_cselect_b32 s28, s29, s28
	s_sub_i32 s29, s28, s33
	s_cmp_ge_u32 s28, s33
	s_cselect_b32 s62, s29, s28
	s_mov_b64 s[28:29], s[62:63]
.LBB46_266:                             ;   in Loop: Header=BB46_33 Depth=1
	s_sub_u32 s30, s34, s28
	s_subb_u32 s31, s77, s29
	v_cmp_gt_i64_e32 vcc, s[30:31], v[0:1]
                                        ; implicit-def: $vgpr6_vgpr7
	s_and_saveexec_b64 s[28:29], vcc
	v_readlane_b32 s71, v57, 50
	s_cbranch_execz .LBB46_276
; %bb.267:                              ;   in Loop: Header=BB46_33 Depth=1
	v_mov_b32_e32 v9, v1
	s_mov_b64 s[36:37], 0
	v_mov_b32_e32 v12, v53
	v_mov_b32_e32 v8, v0
                                        ; implicit-def: $sgpr38_sgpr39
	s_branch .LBB46_271
.LBB46_268:                             ;   in Loop: Header=BB46_271 Depth=2
	s_or_b64 exec, exec, s[34:35]
	s_waitcnt lgkmcnt(0)
	s_barrier
	ds_read_b128 v[4:7], v19 offset:3072
	s_waitcnt lgkmcnt(0)
	s_barrier
	v_cmp_eq_f64_e32 vcc, 0, v[4:5]
	s_cbranch_vccz .LBB46_274
; %bb.269:                              ;   in Loop: Header=BB46_271 Depth=2
	v_add_co_u32_e32 v8, vcc, s33, v8
	v_addc_co_u32_e32 v9, vcc, 0, v9, vcc
	v_cmp_le_i64_e32 vcc, s[30:31], v[8:9]
	v_add_u32_e32 v12, s8, v12
	s_mov_b64 s[34:35], 0
	s_orn2_b64 s[76:77], vcc, exec
.LBB46_270:                             ;   in Loop: Header=BB46_271 Depth=2
	s_and_b64 s[76:77], exec, s[76:77]
	s_or_b64 s[36:37], s[76:77], s[36:37]
	s_andn2_b64 s[38:39], s[38:39], exec
	s_and_b64 s[34:35], s[34:35], exec
	s_or_b64 s[38:39], s[38:39], s[34:35]
	s_andn2_b64 exec, exec, s[36:37]
	s_cbranch_execz .LBB46_275
.LBB46_271:                             ;   Parent Loop BB46_33 Depth=1
                                        ; =>  This Inner Loop Header: Depth=2
	v_cmp_gt_u64_e32 vcc, s[50:51], v[8:9]
	s_and_saveexec_b64 s[34:35], vcc
	s_cbranch_execz .LBB46_268
; %bb.272:                              ;   in Loop: Header=BB46_271 Depth=2
	ds_read_b64 v[4:5], v12
	s_waitcnt lgkmcnt(0)
	v_cmp_o_f64_e32 vcc, v[4:5], v[4:5]
	v_ashrrev_i32_e32 v2, 31, v5
	v_or_b32_e32 v6, 0x80000000, v2
	v_xor_b32_e32 v6, v6, v5
	v_xor_b32_e32 v2, v2, v4
	v_cndmask_b32_e32 v6, -1, v6, vcc
	v_cndmask_b32_e32 v2, -1, v2, vcc
	v_and_b32_e32 v7, v6, v33
	v_and_b32_e32 v6, v2, v32
	v_cmp_eq_u64_e32 vcc, v[6:7], v[30:31]
	s_and_b64 exec, exec, vcc
	s_cbranch_execz .LBB46_268
; %bb.273:                              ;   in Loop: Header=BB46_271 Depth=2
	v_mov_b32_e32 v2, v19
	ds_write_b128 v19, v[2:5] offset:3072
	s_branch .LBB46_268
.LBB46_274:                             ;   in Loop: Header=BB46_271 Depth=2
	s_mov_b64 s[76:77], -1
                                        ; implicit-def: $vgpr8_vgpr9
                                        ; implicit-def: $vgpr12
	s_mov_b64 s[34:35], -1
	s_branch .LBB46_270
.LBB46_275:                             ;   in Loop: Header=BB46_33 Depth=1
	s_or_b64 exec, exec, s[36:37]
	s_andn2_b64 s[2:3], s[2:3], exec
	s_and_b64 s[30:31], s[38:39], exec
	s_or_b64 s[2:3], s[2:3], s[30:31]
.LBB46_276:                             ;   in Loop: Header=BB46_33 Depth=1
	s_or_b64 exec, exec, s[28:29]
	s_mov_b64 s[76:77], 0
	s_mov_b64 s[78:79], -1
.LBB46_277:                             ;   in Loop: Header=BB46_33 Depth=1
	v_readlane_b32 s50, v57, 48
	s_orn2_b64 s[28:29], s[2:3], exec
	v_readlane_b32 s51, v57, 49
.LBB46_278:                             ;   in Loop: Header=BB46_33 Depth=1
	s_or_b64 exec, exec, s[60:61]
	s_mov_b64 s[30:31], 0
	s_and_saveexec_b64 s[2:3], s[28:29]
	s_cbranch_execz .LBB46_289
; %bb.279:                              ;   in Loop: Header=BB46_33 Depth=1
	v_mov_b32_e32 v4, 1
	s_xor_b64 s[28:29], s[24:25], -1
	v_mov_b32_e32 v5, 0
	v_mov_b32_e32 v36, 1
	s_and_saveexec_b64 s[24:25], s[28:29]
	s_cbranch_execz .LBB46_288
; %bb.280:                              ;   in Loop: Header=BB46_33 Depth=1
	v_cmp_ge_i64_e32 vcc, s[12:13], v[10:11]
	s_and_saveexec_b64 s[28:29], vcc
	s_xor_b64 s[28:29], exec, s[28:29]
	s_cbranch_execz .LBB46_285
; %bb.281:                              ;   in Loop: Header=BB46_33 Depth=1
	ds_read_b64 v[4:5], v19 offset:5120
	v_or_b32_e32 v31, s15, v31
	v_or_b32_e32 v30, s14, v30
	;; [unrolled: 1-line block ×4, first 2 shown]
	s_waitcnt lgkmcnt(0)
	v_cmp_ne_u64_e32 vcc, 0, v[4:5]
	s_cbranch_vccnz .LBB46_285
; %bb.282:                              ;   in Loop: Header=BB46_33 Depth=1
	s_mov_b64 s[14:15], exec
	v_readlane_b32 s30, v57, 30
	v_readlane_b32 s31, v57, 31
	s_and_b64 s[30:31], s[14:15], s[30:31]
	s_mov_b64 exec, s[30:31]
; %bb.283:                              ;   in Loop: Header=BB46_33 Depth=1
	v_mov_b32_e32 v4, s12
	v_mov_b32_e32 v5, s13
	ds_write_b64 v19, v[4:5] offset:5128
; %bb.284:                              ;   in Loop: Header=BB46_33 Depth=1
	s_or_b64 exec, exec, s[14:15]
	s_waitcnt lgkmcnt(0)
	s_barrier
.LBB46_285:                             ;   in Loop: Header=BB46_33 Depth=1
	s_andn2_saveexec_b64 s[14:15], s[28:29]
; %bb.286:                              ;   in Loop: Header=BB46_33 Depth=1
	v_mov_b32_e32 v2, s13
	v_subrev_co_u32_e32 v10, vcc, s12, v10
	v_subb_co_u32_e32 v11, vcc, v11, v2, vcc
; %bb.287:                              ;   in Loop: Header=BB46_33 Depth=1
	s_or_b64 exec, exec, s[14:15]
	v_mov_b32_e32 v4, v10
	v_mov_b32_e32 v36, 8
	;; [unrolled: 1-line block ×3, first 2 shown]
.LBB46_288:                             ;   in Loop: Header=BB46_33 Depth=1
	s_or_b64 exec, exec, s[24:25]
	v_mov_b32_e32 v11, v5
	s_mov_b64 s[30:31], exec
	v_mov_b32_e32 v10, v4
.LBB46_289:                             ;   in Loop: Header=BB46_33 Depth=1
	s_or_b64 exec, exec, s[2:3]
	s_orn2_b64 s[2:3], s[30:31], exec
.LBB46_290:                             ;   in Loop: Header=BB46_33 Depth=1
	s_or_b64 exec, exec, s[40:41]
	s_andn2_b64 s[12:13], s[52:53], exec
	s_and_b64 s[14:15], s[78:79], exec
	s_or_b64 s[52:53], s[12:13], s[14:15]
	s_andn2_b64 s[12:13], s[48:49], exec
	s_and_b64 s[14:15], s[76:77], exec
	v_mov_b32_e32 v8, v10
	s_or_b64 s[48:49], s[12:13], s[14:15]
	s_and_b64 s[28:29], s[2:3], exec
	v_mov_b32_e32 v9, v11
.LBB46_291:                             ;   in Loop: Header=BB46_33 Depth=1
	s_or_b64 exec, exec, s[10:11]
	s_orn2_b64 s[2:3], s[28:29], exec
.LBB46_292:                             ;   in Loop: Header=BB46_33 Depth=1
	s_or_b64 exec, exec, s[46:47]
	s_andn2_b64 s[10:11], s[42:43], exec
	s_and_b64 s[12:13], s[52:53], exec
	s_or_b64 s[42:43], s[10:11], s[12:13]
	s_andn2_b64 s[6:7], s[6:7], exec
	s_and_b64 s[10:11], s[48:49], exec
	v_mov_b32_e32 v13, v9
	s_or_b64 s[6:7], s[6:7], s[10:11]
	s_and_b64 s[24:25], s[2:3], exec
	v_mov_b32_e32 v12, v8
.LBB46_293:                             ;   in Loop: Header=BB46_33 Depth=1
	s_or_b64 exec, exec, s[44:45]
	s_orn2_b64 s[2:3], s[24:25], exec
.LBB46_294:                             ;   in Loop: Header=BB46_33 Depth=1
	s_or_b64 exec, exec, s[54:55]
	s_mov_b64 s[10:11], 0
	s_and_saveexec_b64 s[12:13], s[2:3]
	s_xor_b64 s[2:3], exec, s[12:13]
	s_cbranch_execz .LBB46_31
; %bb.295:                              ;   in Loop: Header=BB46_33 Depth=1
	v_and_b32_e32 v2, 7, v36
	v_cmp_eq_u32_e32 vcc, 0, v2
	s_mov_b64 s[12:13], -1
	s_mov_b64 s[10:11], -1
	s_and_saveexec_b64 s[14:15], vcc
	s_cbranch_execz .LBB46_30
; %bb.296:                              ;   in Loop: Header=BB46_33 Depth=1
	s_xor_b32 s70, s70, 1
	s_add_i32 s22, s9, -2
	s_cmp_eq_u32 s9, 0
	s_cselect_b64 s[12:13], -1, 0
	s_xor_b64 s[10:11], exec, -1
	s_orn2_b64 s[12:13], s[12:13], exec
	s_mov_b32 s9, s22
	s_branch .LBB46_30
.LBB46_297:                             ;   in Loop: Header=BB46_33 Depth=1
                                        ; implicit-def: $sgpr2_sgpr3
	s_andn2_b64 vcc, exec, s[28:29]
	s_cbranch_vccz .LBB46_248
	s_branch .LBB46_249
.LBB46_298:                             ;   in Loop: Header=BB46_33 Depth=1
                                        ; implicit-def: $sgpr28_sgpr29
	s_branch .LBB46_265
.LBB46_299:
	s_or_b64 exec, exec, s[86:87]
	s_xor_b64 s[6:7], s[92:93], -1
	s_xor_b64 s[0:1], s[88:89], -1
	;; [unrolled: 1-line block ×3, first 2 shown]
	s_mov_b64 s[2:3], 0
	s_and_saveexec_b64 s[4:5], s[0:1]
	s_xor_b64 s[4:5], exec, s[4:5]
	s_cbranch_execnz .LBB46_304
; %bb.300:
	s_andn2_saveexec_b64 s[0:1], s[4:5]
	s_cbranch_execnz .LBB46_326
.LBB46_301:
	s_or_b64 exec, exec, s[0:1]
	s_and_saveexec_b64 s[0:1], s[2:3]
.LBB46_302:
	; divergent unreachable
.LBB46_303:
	s_endpgm
.LBB46_304:
	s_and_saveexec_b64 s[0:1], s[6:7]
	s_xor_b64 s[6:7], exec, s[0:1]
	s_cbranch_execz .LBB46_324
; %bb.305:
	s_and_saveexec_b64 s[0:1], s[8:9]
	s_xor_b64 s[2:3], exec, s[0:1]
; %bb.306:
	v_lshrrev_b32_e32 v2, 31, v31
	v_add_co_u32_e32 v2, vcc, -1, v2
	v_addc_co_u32_e64 v3, s[0:1], 0, -1, vcc
	v_or_b32_e32 v3, 0x80000000, v3
	v_xor_b32_e32 v7, v3, v31
	v_xor_b32_e32 v6, v2, v30
; %bb.307:
	s_or_b64 exec, exec, s[2:3]
	s_mov_b64 s[2:3], exec
	v_readlane_b32 s0, v57, 30
	v_readlane_b32 s1, v57, 31
	s_and_b64 s[0:1], s[2:3], s[0:1]
	v_readlane_b32 s30, v57, 32
	v_readlane_b32 s31, v57, 33
	s_mov_b64 exec, s[0:1]
; %bb.308:
	v_mov_b32_e32 v2, 0
	v_mov_b32_e32 v3, s20
	ds_write_b32 v2, v3 offset:5140
; %bb.309:
	s_or_b64 exec, exec, s[2:3]
	s_waitcnt lgkmcnt(0)
	s_barrier
	s_mov_b64 s[8:9], exec
	v_readlane_b32 s0, v57, 38
	v_readlane_b32 s1, v57, 39
	s_and_b64 s[0:1], s[8:9], s[0:1]
	s_mov_b64 exec, s[0:1]
	s_cbranch_execz .LBB46_321
; %bb.310:
	v_cmp_u_f64_e32 vcc, v[6:7], v[6:7]
	v_mov_b32_e32 v2, 0
	ds_read_b32 v4, v2 offset:5140
	s_mov_b64 s[10:11], 0
                                        ; implicit-def: $sgpr14_sgpr15
                                        ; implicit-def: $sgpr16_sgpr17
                                        ; implicit-def: $sgpr18_sgpr19
	s_waitcnt lgkmcnt(0)
	v_ashrrev_i32_e32 v5, 31, v4
	s_xor_b64 s[12:13], vcc, -1
	s_branch .LBB46_313
.LBB46_311:                             ;   in Loop: Header=BB46_313 Depth=1
	s_or_b64 exec, exec, s[28:29]
	s_andn2_b64 s[0:1], s[18:19], exec
	s_and_b64 s[2:3], s[24:25], exec
	s_or_b64 s[18:19], s[0:1], s[2:3]
	s_andn2_b64 s[0:1], s[16:17], exec
	s_and_b64 s[2:3], s[26:27], exec
	s_or_b64 s[16:17], s[0:1], s[2:3]
.LBB46_312:                             ;   in Loop: Header=BB46_313 Depth=1
	s_or_b64 exec, exec, s[22:23]
	s_and_b64 s[0:1], exec, s[16:17]
	s_or_b64 s[10:11], s[0:1], s[10:11]
	s_andn2_b64 s[0:1], s[14:15], exec
	s_and_b64 s[2:3], s[18:19], exec
	s_or_b64 s[14:15], s[0:1], s[2:3]
	s_andn2_b64 exec, exec, s[10:11]
	s_cbranch_execz .LBB46_316
.LBB46_313:                             ; =>This Inner Loop Header: Depth=1
	v_mov_b32_e32 v3, v1
	v_mov_b32_e32 v2, v0
	v_cmp_lt_i64_e32 vcc, v[2:3], v[4:5]
	s_or_b64 s[18:19], s[18:19], exec
	s_or_b64 s[16:17], s[16:17], exec
                                        ; implicit-def: $vgpr0_vgpr1
	s_and_saveexec_b64 s[22:23], vcc
	s_cbranch_execz .LBB46_312
; %bb.314:                              ;   in Loop: Header=BB46_313 Depth=1
	global_load_dwordx2 v[0:1], v[16:17], off
	s_mov_b64 s[26:27], -1
	s_mov_b64 s[24:25], 0
	s_waitcnt vmcnt(0)
	v_cmp_o_f64_e32 vcc, v[0:1], v[0:1]
	v_cmp_neq_f64_e64 s[2:3], v[0:1], v[6:7]
                                        ; implicit-def: $vgpr0_vgpr1
	s_or_b64 s[0:1], vcc, s[12:13]
	s_and_b64 s[0:1], s[2:3], s[0:1]
	s_and_saveexec_b64 s[28:29], s[0:1]
	s_cbranch_execz .LBB46_311
; %bb.315:                              ;   in Loop: Header=BB46_313 Depth=1
	v_add_co_u32_e32 v0, vcc, s33, v2
	v_addc_co_u32_e32 v1, vcc, 0, v3, vcc
	v_cmp_le_i64_e32 vcc, s[20:21], v[0:1]
	v_mov_b32_e32 v3, s65
	v_add_co_u32_e64 v16, s[2:3], s64, v16
	s_mov_b64 s[24:25], exec
	v_addc_co_u32_e64 v17, s[2:3], v17, v3, s[2:3]
	s_orn2_b64 s[26:27], vcc, exec
	s_branch .LBB46_311
.LBB46_316:
	s_or_b64 exec, exec, s[10:11]
	s_xor_b64 s[0:1], s[14:15], -1
	s_and_saveexec_b64 s[2:3], s[0:1]
	s_xor_b64 s[2:3], exec, s[2:3]
	s_cbranch_execz .LBB46_321
; %bb.317:
	s_mov_b64 s[2:3], exec
	s_brev_b32 s0, -2
.LBB46_318:                             ; =>This Inner Loop Header: Depth=1
	s_ff1_i32_b64 s1, s[2:3]
	v_readlane_b32 s12, v2, s1
	s_lshl_b64 s[10:11], 1, s1
	s_min_i32 s0, s0, s12
	s_andn2_b64 s[2:3], s[2:3], s[10:11]
	s_cmp_lg_u64 s[2:3], 0
	s_cbranch_scc1 .LBB46_318
; %bb.319:
	v_mbcnt_lo_u32_b32 v0, exec_lo, 0
	v_mbcnt_hi_u32_b32 v0, exec_hi, v0
	v_cmp_eq_u32_e32 vcc, 0, v0
	s_and_saveexec_b64 s[2:3], vcc
	s_xor_b64 s[2:3], exec, s[2:3]
; %bb.320:
	v_mov_b32_e32 v0, 0
	v_mov_b32_e32 v1, s0
	ds_min_i32 v0, v1 offset:5140
.LBB46_321:
	s_or_b64 exec, exec, s[8:9]
	s_waitcnt lgkmcnt(0)
	s_barrier
	s_mov_b64 s[2:3], exec
	v_readlane_b32 s0, v57, 30
	v_readlane_b32 s1, v57, 31
	s_and_b64 s[0:1], s[2:3], s[0:1]
	s_mov_b64 exec, s[0:1]
	s_cbranch_execz .LBB46_323
; %bb.322:
	v_readlane_b32 s16, v57, 4
	v_readlane_b32 s18, v57, 6
	;; [unrolled: 1-line block ×5, first 2 shown]
	s_mul_i32 s0, s20, s19
	s_mul_hi_u32 s1, s20, s18
	s_add_i32 s0, s1, s0
	s_mul_i32 s1, s21, s18
	s_add_i32 s0, s0, s1
	s_mul_i32 s1, s20, s18
	v_readlane_b32 s10, v57, 12
	s_sub_u32 s8, s30, s1
	v_readlane_b32 s11, v57, 13
	s_subb_u32 s0, 0, s0
	s_mul_i32 s1, s8, s11
	s_mul_hi_u32 s9, s8, s10
	v_readlane_b32 s12, v57, 0
	s_add_i32 s1, s9, s1
	s_mul_i32 s0, s0, s10
	v_readlane_b32 s13, v57, 1
	v_readlane_b32 s18, v57, 8
	s_add_i32 s1, s1, s0
	s_mul_i32 s0, s8, s10
	v_readlane_b32 s19, v57, 9
	s_mul_i32 s8, s18, s13
	s_mul_hi_u32 s9, s18, s12
	s_add_i32 s8, s9, s8
	s_mul_i32 s9, s19, s12
	s_add_i32 s8, s8, s9
	s_mul_i32 s9, s18, s12
	v_readlane_b32 s24, v57, 20
	s_sub_u32 s10, s50, s9
	v_readlane_b32 s26, v57, 22
	v_readlane_b32 s27, v57, 23
	s_subb_u32 s8, s51, s8
	s_mul_i32 s9, s10, s27
	s_mul_hi_u32 s11, s10, s26
	v_readlane_b32 s14, v57, 2
	v_readlane_b32 s15, v57, 3
	;; [unrolled: 1-line block ×3, first 2 shown]
	s_add_i32 s9, s11, s9
	s_mul_i32 s8, s8, s26
	s_add_i32 s9, s9, s8
	s_mul_i32 s8, s10, s26
	s_mul_i32 s10, s18, s25
	s_mul_hi_u32 s11, s18, s24
	s_mul_i32 s12, s50, s15
	s_mul_hi_u32 s13, s50, s14
	s_add_i32 s10, s11, s10
	s_mul_i32 s11, s19, s24
	s_add_i32 s12, s13, s12
	s_mul_i32 s13, s51, s14
	;; [unrolled: 2-line block ×4, first 2 shown]
	v_readlane_b32 s18, v57, 18
	s_sub_u32 s14, s30, s13
	v_readlane_b32 s19, v57, 19
	s_subb_u32 s12, 0, s12
	s_mul_i32 s13, s14, s19
	s_mul_hi_u32 s15, s14, s18
	s_add_i32 s13, s15, s13
	s_mul_i32 s12, s12, s18
	v_readlane_b32 s17, v57, 5
	s_add_i32 s13, s13, s12
	s_mul_i32 s12, s14, s18
	v_readlane_b32 s18, v57, 24
	v_readlane_b32 s19, v57, 25
	s_mul_i32 s14, s18, s17
	s_mul_hi_u32 s15, s18, s16
	s_add_i32 s14, s15, s14
	s_mul_i32 s15, s19, s16
	s_add_i32 s14, s14, s15
	s_mul_i32 s15, s18, s16
	s_sub_u32 s16, s20, s15
	s_subb_u32 s14, s21, s14
	v_readlane_b32 s20, v57, 14
	v_readlane_b32 s22, v57, 16
	;; [unrolled: 1-line block ×3, first 2 shown]
	s_mul_i32 s15, s16, s23
	s_mul_hi_u32 s17, s16, s22
	v_readlane_b32 s21, v57, 15
	s_add_i32 s15, s17, s15
	s_mul_i32 s14, s14, s22
	s_add_i32 s15, s15, s14
	s_mul_i32 s14, s16, s22
	s_mul_i32 s16, s18, s21
	s_mul_hi_u32 s17, s18, s20
	s_add_i32 s16, s17, s16
	s_mul_i32 s17, s19, s20
	s_add_i32 s17, s16, s17
	s_mul_i32 s16, s18, s20
	s_lshl_b64 s[10:11], s[10:11], 3
	v_readlane_b32 s18, v57, 28
	v_readlane_b32 s19, v57, 29
	s_add_u32 s10, s18, s10
	s_addc_u32 s11, s19, s11
	s_lshl_b64 s[8:9], s[8:9], 3
	s_add_u32 s10, s10, s8
	s_addc_u32 s11, s11, s9
	s_lshl_b64 s[8:9], s[12:13], 3
	;; [unrolled: 3-line block ×3, first 2 shown]
	v_readlane_b32 s12, v57, 26
	v_mov_b32_e32 v2, 0
	v_readlane_b32 s13, v57, 27
	s_add_u32 s12, s12, s10
	ds_read_b32 v0, v2 offset:5140
	s_addc_u32 s13, s13, s11
	s_lshl_b64 s[10:11], s[14:15], 3
	s_add_u32 s10, s12, s10
	s_addc_u32 s11, s13, s11
	s_lshl_b64 s[0:1], s[0:1], 3
	s_add_u32 s0, s10, s0
	s_addc_u32 s1, s11, s1
	s_waitcnt lgkmcnt(0)
	v_ashrrev_i32_e32 v1, 31, v0
	global_store_dwordx2 v2, v[0:1], s[0:1]
	global_store_dwordx2 v2, v[6:7], s[8:9]
.LBB46_323:
	s_or_b64 exec, exec, s[2:3]
.LBB46_324:
	s_or_saveexec_b64 s[0:1], s[6:7]
	s_mov_b64 s[2:3], 0
	s_xor_b64 exec, exec, s[0:1]
	s_cbranch_execnz .LBB46_327
.LBB46_325:
	s_or_b64 exec, exec, s[0:1]
	s_and_b64 s[2:3], s[2:3], exec
	s_andn2_saveexec_b64 s[0:1], s[4:5]
	s_cbranch_execz .LBB46_301
.LBB46_326:
	s_or_b64 s[2:3], s[2:3], exec
	s_trap 2
	s_or_b64 exec, exec, s[0:1]
	s_and_saveexec_b64 s[0:1], s[2:3]
	s_cbranch_execnz .LBB46_302
	s_branch .LBB46_303
.LBB46_327:
	s_mov_b64 s[2:3], exec
	s_trap 2
	s_branch .LBB46_325
	.section	.rodata,"a",@progbits
	.p2align	6, 0x0
	.amdhsa_kernel _ZN2at6native12_GLOBAL__N_114gatherKthValueIdlLi3EEEvNS_4cuda6detail10TensorInfoIKT_T0_EES8_S8_S8_S8_NS5_IS6_S8_EENS5_IlS8_EE
		.amdhsa_group_segment_fixed_size 5144
		.amdhsa_private_segment_fixed_size 0
		.amdhsa_kernarg_size 1536
		.amdhsa_user_sgpr_count 6
		.amdhsa_user_sgpr_private_segment_buffer 1
		.amdhsa_user_sgpr_dispatch_ptr 0
		.amdhsa_user_sgpr_queue_ptr 0
		.amdhsa_user_sgpr_kernarg_segment_ptr 1
		.amdhsa_user_sgpr_dispatch_id 0
		.amdhsa_user_sgpr_flat_scratch_init 0
		.amdhsa_user_sgpr_private_segment_size 0
		.amdhsa_uses_dynamic_stack 0
		.amdhsa_system_sgpr_private_segment_wavefront_offset 0
		.amdhsa_system_sgpr_workgroup_id_x 1
		.amdhsa_system_sgpr_workgroup_id_y 1
		.amdhsa_system_sgpr_workgroup_id_z 1
		.amdhsa_system_sgpr_workgroup_info 0
		.amdhsa_system_vgpr_workitem_id 0
		.amdhsa_next_free_vgpr 58
		.amdhsa_next_free_sgpr 96
		.amdhsa_reserve_vcc 1
		.amdhsa_reserve_flat_scratch 0
		.amdhsa_float_round_mode_32 0
		.amdhsa_float_round_mode_16_64 0
		.amdhsa_float_denorm_mode_32 3
		.amdhsa_float_denorm_mode_16_64 3
		.amdhsa_dx10_clamp 1
		.amdhsa_ieee_mode 1
		.amdhsa_fp16_overflow 0
		.amdhsa_exception_fp_ieee_invalid_op 0
		.amdhsa_exception_fp_denorm_src 0
		.amdhsa_exception_fp_ieee_div_zero 0
		.amdhsa_exception_fp_ieee_overflow 0
		.amdhsa_exception_fp_ieee_underflow 0
		.amdhsa_exception_fp_ieee_inexact 0
		.amdhsa_exception_int_div_zero 0
	.end_amdhsa_kernel
	.section	.text._ZN2at6native12_GLOBAL__N_114gatherKthValueIdlLi3EEEvNS_4cuda6detail10TensorInfoIKT_T0_EES8_S8_S8_S8_NS5_IS6_S8_EENS5_IlS8_EE,"axG",@progbits,_ZN2at6native12_GLOBAL__N_114gatherKthValueIdlLi3EEEvNS_4cuda6detail10TensorInfoIKT_T0_EES8_S8_S8_S8_NS5_IS6_S8_EENS5_IlS8_EE,comdat
.Lfunc_end46:
	.size	_ZN2at6native12_GLOBAL__N_114gatherKthValueIdlLi3EEEvNS_4cuda6detail10TensorInfoIKT_T0_EES8_S8_S8_S8_NS5_IS6_S8_EENS5_IlS8_EE, .Lfunc_end46-_ZN2at6native12_GLOBAL__N_114gatherKthValueIdlLi3EEEvNS_4cuda6detail10TensorInfoIKT_T0_EES8_S8_S8_S8_NS5_IS6_S8_EENS5_IlS8_EE
                                        ; -- End function
	.set _ZN2at6native12_GLOBAL__N_114gatherKthValueIdlLi3EEEvNS_4cuda6detail10TensorInfoIKT_T0_EES8_S8_S8_S8_NS5_IS6_S8_EENS5_IlS8_EE.num_vgpr, 58
	.set _ZN2at6native12_GLOBAL__N_114gatherKthValueIdlLi3EEEvNS_4cuda6detail10TensorInfoIKT_T0_EES8_S8_S8_S8_NS5_IS6_S8_EENS5_IlS8_EE.num_agpr, 0
	.set _ZN2at6native12_GLOBAL__N_114gatherKthValueIdlLi3EEEvNS_4cuda6detail10TensorInfoIKT_T0_EES8_S8_S8_S8_NS5_IS6_S8_EENS5_IlS8_EE.numbered_sgpr, 96
	.set _ZN2at6native12_GLOBAL__N_114gatherKthValueIdlLi3EEEvNS_4cuda6detail10TensorInfoIKT_T0_EES8_S8_S8_S8_NS5_IS6_S8_EENS5_IlS8_EE.num_named_barrier, 0
	.set _ZN2at6native12_GLOBAL__N_114gatherKthValueIdlLi3EEEvNS_4cuda6detail10TensorInfoIKT_T0_EES8_S8_S8_S8_NS5_IS6_S8_EENS5_IlS8_EE.private_seg_size, 0
	.set _ZN2at6native12_GLOBAL__N_114gatherKthValueIdlLi3EEEvNS_4cuda6detail10TensorInfoIKT_T0_EES8_S8_S8_S8_NS5_IS6_S8_EENS5_IlS8_EE.uses_vcc, 1
	.set _ZN2at6native12_GLOBAL__N_114gatherKthValueIdlLi3EEEvNS_4cuda6detail10TensorInfoIKT_T0_EES8_S8_S8_S8_NS5_IS6_S8_EENS5_IlS8_EE.uses_flat_scratch, 0
	.set _ZN2at6native12_GLOBAL__N_114gatherKthValueIdlLi3EEEvNS_4cuda6detail10TensorInfoIKT_T0_EES8_S8_S8_S8_NS5_IS6_S8_EENS5_IlS8_EE.has_dyn_sized_stack, 0
	.set _ZN2at6native12_GLOBAL__N_114gatherKthValueIdlLi3EEEvNS_4cuda6detail10TensorInfoIKT_T0_EES8_S8_S8_S8_NS5_IS6_S8_EENS5_IlS8_EE.has_recursion, 0
	.set _ZN2at6native12_GLOBAL__N_114gatherKthValueIdlLi3EEEvNS_4cuda6detail10TensorInfoIKT_T0_EES8_S8_S8_S8_NS5_IS6_S8_EENS5_IlS8_EE.has_indirect_call, 0
	.section	.AMDGPU.csdata,"",@progbits
; Kernel info:
; codeLenInByte = 21132
; TotalNumSgprs: 100
; NumVgprs: 58
; ScratchSize: 0
; MemoryBound: 0
; FloatMode: 240
; IeeeMode: 1
; LDSByteSize: 5144 bytes/workgroup (compile time only)
; SGPRBlocks: 12
; VGPRBlocks: 14
; NumSGPRsForWavesPerEU: 100
; NumVGPRsForWavesPerEU: 58
; Occupancy: 4
; WaveLimiterHint : 1
; COMPUTE_PGM_RSRC2:SCRATCH_EN: 0
; COMPUTE_PGM_RSRC2:USER_SGPR: 6
; COMPUTE_PGM_RSRC2:TRAP_HANDLER: 0
; COMPUTE_PGM_RSRC2:TGID_X_EN: 1
; COMPUTE_PGM_RSRC2:TGID_Y_EN: 1
; COMPUTE_PGM_RSRC2:TGID_Z_EN: 1
; COMPUTE_PGM_RSRC2:TIDIG_COMP_CNT: 0
	.section	.text._ZN2at6native12_GLOBAL__N_114gatherKthValueIdlLin1EEEvNS_4cuda6detail10TensorInfoIKT_T0_EES8_S8_S8_S8_NS5_IS6_S8_EENS5_IlS8_EE,"axG",@progbits,_ZN2at6native12_GLOBAL__N_114gatherKthValueIdlLin1EEEvNS_4cuda6detail10TensorInfoIKT_T0_EES8_S8_S8_S8_NS5_IS6_S8_EENS5_IlS8_EE,comdat
	.globl	_ZN2at6native12_GLOBAL__N_114gatherKthValueIdlLin1EEEvNS_4cuda6detail10TensorInfoIKT_T0_EES8_S8_S8_S8_NS5_IS6_S8_EENS5_IlS8_EE ; -- Begin function _ZN2at6native12_GLOBAL__N_114gatherKthValueIdlLin1EEEvNS_4cuda6detail10TensorInfoIKT_T0_EES8_S8_S8_S8_NS5_IS6_S8_EENS5_IlS8_EE
	.p2align	8
	.type	_ZN2at6native12_GLOBAL__N_114gatherKthValueIdlLin1EEEvNS_4cuda6detail10TensorInfoIKT_T0_EES8_S8_S8_S8_NS5_IS6_S8_EENS5_IlS8_EE,@function
_ZN2at6native12_GLOBAL__N_114gatherKthValueIdlLin1EEEvNS_4cuda6detail10TensorInfoIKT_T0_EES8_S8_S8_S8_NS5_IS6_S8_EENS5_IlS8_EE: ; @_ZN2at6native12_GLOBAL__N_114gatherKthValueIdlLin1EEEvNS_4cuda6detail10TensorInfoIKT_T0_EES8_S8_S8_S8_NS5_IS6_S8_EENS5_IlS8_EE
; %bb.0:
	s_load_dwordx2 s[14:15], s[4:5], 0x500
	s_load_dwordx8 s[24:31], s[4:5], 0x1a0
	s_add_u32 s12, s4, 0x500
	s_addc_u32 s13, s5, 0
	s_mov_b32 s1, 0
	s_waitcnt lgkmcnt(0)
	s_mul_i32 s0, s15, s8
	s_add_i32 s0, s0, s7
	s_mul_i32 s0, s0, s14
	s_add_i32 s0, s0, s6
	v_mov_b32_e32 v2, s1
	v_mov_b32_e32 v1, s0
	v_cmp_le_i64_e32 vcc, s[28:29], v[1:2]
	s_cbranch_vccnz .LBB47_302
; %bb.1:
	s_load_dword s10, s[4:5], 0x198
	s_mov_b64 s[2:3], 0
	s_mov_b64 s[8:9], s[0:1]
	s_waitcnt lgkmcnt(0)
	s_cmp_lt_i32 s10, 2
	s_cbranch_scc1 .LBB47_9
; %bb.2:
	s_add_i32 s7, s10, 1
	s_add_i32 s2, s10, -1
	s_mov_b32 s10, 0
	s_mov_b32 s3, s10
	s_lshl_b64 s[2:3], s[2:3], 3
	s_add_u32 s2, s4, s2
	s_addc_u32 s3, s5, s3
	s_add_u32 s16, s2, 8
	s_addc_u32 s17, s3, 0
	s_mov_b64 s[2:3], 0
	s_mov_b64 s[18:19], s[0:1]
.LBB47_3:                               ; =>This Inner Loop Header: Depth=1
	s_load_dwordx2 s[20:21], s[16:17], 0x0
	s_waitcnt lgkmcnt(0)
	s_or_b64 s[8:9], s[18:19], s[20:21]
	s_mov_b32 s11, s9
	s_cmp_lg_u64 s[10:11], 0
	s_cbranch_scc0 .LBB47_8
; %bb.4:                                ;   in Loop: Header=BB47_3 Depth=1
	s_ashr_i32 s8, s21, 31
	s_add_u32 s22, s20, s8
	s_mov_b32 s9, s8
	s_addc_u32 s23, s21, s8
	s_xor_b64 s[22:23], s[22:23], s[8:9]
	v_cvt_f32_u32_e32 v1, s22
	v_cvt_f32_u32_e32 v2, s23
	s_sub_u32 s11, 0, s22
	s_subb_u32 s15, 0, s23
	v_mac_f32_e32 v1, 0x4f800000, v2
	v_rcp_f32_e32 v1, v1
	v_mul_f32_e32 v1, 0x5f7ffffc, v1
	v_mul_f32_e32 v2, 0x2f800000, v1
	v_trunc_f32_e32 v2, v2
	v_mac_f32_e32 v1, 0xcf800000, v2
	v_cvt_u32_f32_e32 v2, v2
	v_cvt_u32_f32_e32 v1, v1
	v_readfirstlane_b32 s33, v2
	v_readfirstlane_b32 s28, v1
	s_mul_i32 s29, s11, s33
	s_mul_hi_u32 s35, s11, s28
	s_mul_i32 s34, s15, s28
	s_add_i32 s29, s35, s29
	s_add_i32 s29, s29, s34
	s_mul_i32 s36, s11, s28
	s_mul_i32 s35, s28, s29
	s_mul_hi_u32 s37, s28, s36
	s_mul_hi_u32 s34, s28, s29
	s_add_u32 s35, s37, s35
	s_addc_u32 s34, 0, s34
	s_mul_hi_u32 s38, s33, s36
	s_mul_i32 s36, s33, s36
	s_add_u32 s35, s35, s36
	s_mul_hi_u32 s37, s33, s29
	s_addc_u32 s34, s34, s38
	s_addc_u32 s35, s37, 0
	s_mul_i32 s29, s33, s29
	s_add_u32 s29, s34, s29
	s_addc_u32 s34, 0, s35
	s_add_u32 s35, s28, s29
	s_cselect_b64 s[28:29], -1, 0
	s_cmp_lg_u64 s[28:29], 0
	s_addc_u32 s33, s33, s34
	s_mul_i32 s28, s11, s33
	s_mul_hi_u32 s29, s11, s35
	s_add_i32 s28, s29, s28
	s_mul_i32 s15, s15, s35
	s_add_i32 s28, s28, s15
	s_mul_i32 s11, s11, s35
	s_mul_hi_u32 s29, s33, s11
	s_mul_i32 s34, s33, s11
	s_mul_i32 s37, s35, s28
	s_mul_hi_u32 s11, s35, s11
	s_mul_hi_u32 s36, s35, s28
	s_add_u32 s11, s11, s37
	s_addc_u32 s36, 0, s36
	s_add_u32 s11, s11, s34
	s_mul_hi_u32 s15, s33, s28
	s_addc_u32 s11, s36, s29
	s_addc_u32 s15, s15, 0
	s_mul_i32 s28, s33, s28
	s_add_u32 s11, s11, s28
	s_addc_u32 s15, 0, s15
	s_add_u32 s11, s35, s11
	s_cselect_b64 s[28:29], -1, 0
	s_cmp_lg_u64 s[28:29], 0
	s_addc_u32 s15, s33, s15
	s_ashr_i32 s28, s19, 31
	s_add_u32 s34, s18, s28
	s_mov_b32 s29, s28
	s_addc_u32 s35, s19, s28
	s_xor_b64 s[34:35], s[34:35], s[28:29]
	s_mul_i32 s36, s34, s15
	s_mul_hi_u32 s37, s34, s11
	s_mul_hi_u32 s33, s34, s15
	s_add_u32 s36, s37, s36
	s_addc_u32 s33, 0, s33
	s_mul_hi_u32 s38, s35, s11
	s_mul_i32 s11, s35, s11
	s_add_u32 s11, s36, s11
	s_mul_hi_u32 s37, s35, s15
	s_addc_u32 s11, s33, s38
	s_addc_u32 s33, s37, 0
	s_mul_i32 s15, s35, s15
	s_add_u32 s11, s11, s15
	s_addc_u32 s15, 0, s33
	s_mul_i32 s33, s22, s15
	s_mul_hi_u32 s36, s22, s11
	s_add_i32 s33, s36, s33
	s_mul_i32 s36, s23, s11
	s_add_i32 s33, s33, s36
	s_sub_i32 s38, s35, s33
	s_mul_i32 s36, s22, s11
	s_sub_u32 s34, s34, s36
	s_cselect_b64 s[36:37], -1, 0
	s_cmp_lg_u64 s[36:37], 0
	s_subb_u32 s40, s38, s23
	s_sub_u32 s41, s34, s22
	s_cselect_b64 s[38:39], -1, 0
	s_cmp_lg_u64 s[38:39], 0
	s_subb_u32 s38, s40, 0
	s_cmp_ge_u32 s38, s23
	s_cselect_b32 s39, -1, 0
	s_cmp_ge_u32 s41, s22
	s_cselect_b32 s40, -1, 0
	s_cmp_eq_u32 s38, s23
	s_cselect_b32 s38, s40, s39
	s_add_u32 s39, s11, 1
	s_addc_u32 s40, s15, 0
	s_add_u32 s41, s11, 2
	s_addc_u32 s42, s15, 0
	s_cmp_lg_u32 s38, 0
	s_cselect_b32 s38, s41, s39
	s_cselect_b32 s39, s42, s40
	s_cmp_lg_u64 s[36:37], 0
	s_subb_u32 s33, s35, s33
	s_cmp_ge_u32 s33, s23
	s_cselect_b32 s35, -1, 0
	s_cmp_ge_u32 s34, s22
	s_cselect_b32 s22, -1, 0
	s_cmp_eq_u32 s33, s23
	s_cselect_b32 s22, s22, s35
	s_cmp_lg_u32 s22, 0
	s_cselect_b32 s23, s39, s15
	s_cselect_b32 s22, s38, s11
	s_xor_b64 s[8:9], s[28:29], s[8:9]
	s_xor_b64 s[22:23], s[22:23], s[8:9]
	s_sub_u32 s8, s22, s8
	s_subb_u32 s9, s23, s9
	s_cbranch_execnz .LBB47_6
.LBB47_5:                               ;   in Loop: Header=BB47_3 Depth=1
	v_cvt_f32_u32_e32 v1, s20
	s_sub_i32 s8, 0, s20
	v_rcp_iflag_f32_e32 v1, v1
	v_mul_f32_e32 v1, 0x4f7ffffe, v1
	v_cvt_u32_f32_e32 v1, v1
	v_readfirstlane_b32 s9, v1
	s_mul_i32 s8, s8, s9
	s_mul_hi_u32 s8, s9, s8
	s_add_i32 s9, s9, s8
	s_mul_hi_u32 s8, s18, s9
	s_mul_i32 s11, s8, s20
	s_sub_i32 s11, s18, s11
	s_add_i32 s9, s8, 1
	s_sub_i32 s15, s11, s20
	s_cmp_ge_u32 s11, s20
	s_cselect_b32 s8, s9, s8
	s_cselect_b32 s11, s15, s11
	s_add_i32 s9, s8, 1
	s_cmp_ge_u32 s11, s20
	s_cselect_b32 s8, s9, s8
	s_mov_b32 s9, s10
.LBB47_6:                               ;   in Loop: Header=BB47_3 Depth=1
	s_mul_i32 s11, s8, s21
	s_mul_hi_u32 s15, s8, s20
	s_load_dwordx2 s[22:23], s[16:17], 0xc8
	s_add_i32 s11, s15, s11
	s_mul_i32 s15, s9, s20
	s_add_i32 s11, s11, s15
	s_mul_i32 s15, s8, s20
	s_sub_u32 s15, s18, s15
	s_subb_u32 s11, s19, s11
	s_waitcnt lgkmcnt(0)
	s_mul_i32 s11, s22, s11
	s_mul_hi_u32 s18, s22, s15
	s_add_i32 s11, s18, s11
	s_mul_i32 s18, s23, s15
	s_add_i32 s11, s11, s18
	s_mul_i32 s15, s22, s15
	s_add_u32 s2, s15, s2
	s_addc_u32 s3, s11, s3
	s_add_i32 s7, s7, -1
	s_add_u32 s16, s16, -8
	s_addc_u32 s17, s17, -1
	s_cmp_gt_u32 s7, 2
	s_cbranch_scc0 .LBB47_9
; %bb.7:                                ;   in Loop: Header=BB47_3 Depth=1
	s_mov_b64 s[18:19], s[8:9]
	s_branch .LBB47_3
.LBB47_8:                               ;   in Loop: Header=BB47_3 Depth=1
                                        ; implicit-def: $sgpr8_sgpr9
	s_branch .LBB47_5
.LBB47_9:
	s_load_dword s15, s[4:5], 0x358
	s_load_dwordx2 s[10:11], s[4:5], 0xd0
	s_add_u32 s16, s4, 0x1c0
	s_addc_u32 s17, s5, 0
	s_mov_b64 s[22:23], 0
	s_waitcnt lgkmcnt(0)
	s_cmp_lt_i32 s15, 2
	s_mov_b64 s[28:29], s[0:1]
	s_cbranch_scc1 .LBB47_17
; %bb.10:
	s_mov_b32 s18, 0
	s_add_i32 s20, s15, -1
	s_mov_b32 s21, s18
	s_add_i32 s7, s15, 1
	s_lshl_b64 s[20:21], s[20:21], 3
	s_add_u32 s15, s16, s20
	s_addc_u32 s19, s17, s21
	s_add_u32 s20, s15, 8
	s_addc_u32 s21, s19, 0
	s_mov_b64 s[34:35], s[0:1]
.LBB47_11:                              ; =>This Inner Loop Header: Depth=1
	s_load_dwordx2 s[36:37], s[20:21], 0x0
	s_waitcnt lgkmcnt(0)
	s_or_b64 s[28:29], s[34:35], s[36:37]
	s_mov_b32 s19, s29
	s_cmp_lg_u64 s[18:19], 0
	s_cbranch_scc0 .LBB47_16
; %bb.12:                               ;   in Loop: Header=BB47_11 Depth=1
	s_ashr_i32 s28, s37, 31
	s_add_u32 s38, s36, s28
	s_mov_b32 s29, s28
	s_addc_u32 s39, s37, s28
	s_xor_b64 s[38:39], s[38:39], s[28:29]
	v_cvt_f32_u32_e32 v1, s38
	v_cvt_f32_u32_e32 v2, s39
	s_sub_u32 s15, 0, s38
	s_subb_u32 s19, 0, s39
	v_mac_f32_e32 v1, 0x4f800000, v2
	v_rcp_f32_e32 v1, v1
	v_mul_f32_e32 v1, 0x5f7ffffc, v1
	v_mul_f32_e32 v2, 0x2f800000, v1
	v_trunc_f32_e32 v2, v2
	v_mac_f32_e32 v1, 0xcf800000, v2
	v_cvt_u32_f32_e32 v2, v2
	v_cvt_u32_f32_e32 v1, v1
	v_readfirstlane_b32 s33, v2
	v_readfirstlane_b32 s40, v1
	s_mul_i32 s41, s15, s33
	s_mul_hi_u32 s43, s15, s40
	s_mul_i32 s42, s19, s40
	s_add_i32 s41, s43, s41
	s_add_i32 s41, s41, s42
	s_mul_i32 s44, s15, s40
	s_mul_i32 s43, s40, s41
	s_mul_hi_u32 s45, s40, s44
	s_mul_hi_u32 s42, s40, s41
	s_add_u32 s43, s45, s43
	s_addc_u32 s42, 0, s42
	s_mul_hi_u32 s46, s33, s44
	s_mul_i32 s44, s33, s44
	s_add_u32 s43, s43, s44
	s_mul_hi_u32 s45, s33, s41
	s_addc_u32 s42, s42, s46
	s_addc_u32 s43, s45, 0
	s_mul_i32 s41, s33, s41
	s_add_u32 s41, s42, s41
	s_addc_u32 s42, 0, s43
	s_add_u32 s43, s40, s41
	s_cselect_b64 s[40:41], -1, 0
	s_cmp_lg_u64 s[40:41], 0
	s_addc_u32 s33, s33, s42
	s_mul_i32 s40, s15, s33
	s_mul_hi_u32 s41, s15, s43
	s_add_i32 s40, s41, s40
	s_mul_i32 s19, s19, s43
	s_add_i32 s40, s40, s19
	s_mul_i32 s15, s15, s43
	s_mul_hi_u32 s41, s33, s15
	s_mul_i32 s42, s33, s15
	s_mul_i32 s45, s43, s40
	s_mul_hi_u32 s15, s43, s15
	s_mul_hi_u32 s44, s43, s40
	s_add_u32 s15, s15, s45
	s_addc_u32 s44, 0, s44
	s_add_u32 s15, s15, s42
	s_mul_hi_u32 s19, s33, s40
	s_addc_u32 s15, s44, s41
	s_addc_u32 s19, s19, 0
	s_mul_i32 s40, s33, s40
	s_add_u32 s15, s15, s40
	s_addc_u32 s19, 0, s19
	s_add_u32 s15, s43, s15
	s_cselect_b64 s[40:41], -1, 0
	s_cmp_lg_u64 s[40:41], 0
	s_addc_u32 s19, s33, s19
	s_ashr_i32 s40, s35, 31
	s_add_u32 s42, s34, s40
	s_mov_b32 s41, s40
	s_addc_u32 s43, s35, s40
	s_xor_b64 s[42:43], s[42:43], s[40:41]
	s_mul_i32 s44, s42, s19
	s_mul_hi_u32 s45, s42, s15
	s_mul_hi_u32 s33, s42, s19
	s_add_u32 s44, s45, s44
	s_addc_u32 s33, 0, s33
	s_mul_hi_u32 s46, s43, s15
	s_mul_i32 s15, s43, s15
	s_add_u32 s15, s44, s15
	s_mul_hi_u32 s45, s43, s19
	s_addc_u32 s15, s33, s46
	s_addc_u32 s33, s45, 0
	s_mul_i32 s19, s43, s19
	s_add_u32 s15, s15, s19
	s_addc_u32 s19, 0, s33
	s_mul_i32 s33, s38, s19
	s_mul_hi_u32 s44, s38, s15
	s_add_i32 s33, s44, s33
	s_mul_i32 s44, s39, s15
	s_add_i32 s33, s33, s44
	s_sub_i32 s46, s43, s33
	s_mul_i32 s44, s38, s15
	s_sub_u32 s42, s42, s44
	s_cselect_b64 s[44:45], -1, 0
	s_cmp_lg_u64 s[44:45], 0
	s_subb_u32 s48, s46, s39
	s_sub_u32 s49, s42, s38
	s_cselect_b64 s[46:47], -1, 0
	s_cmp_lg_u64 s[46:47], 0
	s_subb_u32 s46, s48, 0
	s_cmp_ge_u32 s46, s39
	s_cselect_b32 s47, -1, 0
	s_cmp_ge_u32 s49, s38
	s_cselect_b32 s48, -1, 0
	s_cmp_eq_u32 s46, s39
	s_cselect_b32 s46, s48, s47
	s_add_u32 s47, s15, 1
	s_addc_u32 s48, s19, 0
	s_add_u32 s49, s15, 2
	s_addc_u32 s50, s19, 0
	s_cmp_lg_u32 s46, 0
	s_cselect_b32 s46, s49, s47
	s_cselect_b32 s47, s50, s48
	s_cmp_lg_u64 s[44:45], 0
	s_subb_u32 s33, s43, s33
	s_cmp_ge_u32 s33, s39
	s_cselect_b32 s43, -1, 0
	s_cmp_ge_u32 s42, s38
	s_cselect_b32 s38, -1, 0
	s_cmp_eq_u32 s33, s39
	s_cselect_b32 s33, s38, s43
	s_cmp_lg_u32 s33, 0
	s_cselect_b32 s39, s47, s19
	s_cselect_b32 s38, s46, s15
	s_xor_b64 s[28:29], s[40:41], s[28:29]
	s_xor_b64 s[38:39], s[38:39], s[28:29]
	s_sub_u32 s28, s38, s28
	s_subb_u32 s29, s39, s29
	s_cbranch_execnz .LBB47_14
.LBB47_13:                              ;   in Loop: Header=BB47_11 Depth=1
	v_cvt_f32_u32_e32 v1, s36
	s_sub_i32 s15, 0, s36
	v_rcp_iflag_f32_e32 v1, v1
	v_mul_f32_e32 v1, 0x4f7ffffe, v1
	v_cvt_u32_f32_e32 v1, v1
	v_readfirstlane_b32 s19, v1
	s_mul_i32 s15, s15, s19
	s_mul_hi_u32 s15, s19, s15
	s_add_i32 s19, s19, s15
	s_mul_hi_u32 s15, s34, s19
	s_mul_i32 s28, s15, s36
	s_sub_i32 s28, s34, s28
	s_add_i32 s19, s15, 1
	s_sub_i32 s29, s28, s36
	s_cmp_ge_u32 s28, s36
	s_cselect_b32 s15, s19, s15
	s_cselect_b32 s28, s29, s28
	s_add_i32 s19, s15, 1
	s_cmp_ge_u32 s28, s36
	s_cselect_b32 s28, s19, s15
	s_mov_b32 s29, s18
.LBB47_14:                              ;   in Loop: Header=BB47_11 Depth=1
	s_mul_i32 s15, s28, s37
	s_mul_hi_u32 s19, s28, s36
	s_load_dwordx2 s[38:39], s[20:21], 0xc8
	s_add_i32 s15, s19, s15
	s_mul_i32 s19, s29, s36
	s_add_i32 s15, s15, s19
	s_mul_i32 s19, s28, s36
	s_sub_u32 s19, s34, s19
	s_subb_u32 s15, s35, s15
	s_waitcnt lgkmcnt(0)
	s_mul_i32 s15, s38, s15
	s_mul_hi_u32 s33, s38, s19
	s_add_i32 s15, s33, s15
	s_mul_i32 s33, s39, s19
	s_add_i32 s15, s15, s33
	s_mul_i32 s19, s38, s19
	s_add_u32 s22, s19, s22
	s_addc_u32 s23, s15, s23
	s_add_i32 s7, s7, -1
	s_add_u32 s20, s20, -8
	s_addc_u32 s21, s21, -1
	s_cmp_gt_u32 s7, 2
	s_cbranch_scc0 .LBB47_17
; %bb.15:                               ;   in Loop: Header=BB47_11 Depth=1
	s_mov_b64 s[34:35], s[28:29]
	s_branch .LBB47_11
.LBB47_16:                              ;   in Loop: Header=BB47_11 Depth=1
                                        ; implicit-def: $sgpr28_sgpr29
	s_branch .LBB47_13
.LBB47_17:
	s_load_dword s18, s[4:5], 0x4f8
	s_load_dwordx2 s[20:21], s[16:17], 0xd0
	s_add_u32 s15, s4, 0x360
                                        ; implicit-def: $vgpr59 : SGPR spill to VGPR lane
                                        ; kill: killed $sgpr16 killed $sgpr17
	s_addc_u32 s17, s5, 0
	s_mov_b64 s[34:35], 0
	s_waitcnt lgkmcnt(0)
	s_cmp_lt_i32 s18, 2
	v_writelane_b32 v59, s20, 0
	v_writelane_b32 v59, s21, 1
	s_cbranch_scc1 .LBB47_25
; %bb.18:
	s_mov_b32 s16, 0
	s_add_i32 s7, s18, 1
	s_add_i32 s18, s18, -1
	s_mov_b32 s19, s16
	s_lshl_b64 s[18:19], s[18:19], 3
	s_add_u32 s15, s15, s18
	s_addc_u32 s17, s17, s19
	s_add_u32 s18, s15, 8
	s_addc_u32 s19, s17, 0
.LBB47_19:                              ; =>This Inner Loop Header: Depth=1
	s_load_dwordx2 s[20:21], s[18:19], 0x0
	s_waitcnt lgkmcnt(0)
	s_or_b64 s[36:37], s[0:1], s[20:21]
	s_mov_b32 s17, s37
	s_cmp_lg_u64 s[16:17], 0
	s_cbranch_scc0 .LBB47_24
; %bb.20:                               ;   in Loop: Header=BB47_19 Depth=1
	s_ashr_i32 s36, s21, 31
	s_add_u32 s38, s20, s36
	s_mov_b32 s37, s36
	s_addc_u32 s39, s21, s36
	s_xor_b64 s[38:39], s[38:39], s[36:37]
	v_cvt_f32_u32_e32 v1, s38
	v_cvt_f32_u32_e32 v2, s39
	s_sub_u32 s15, 0, s38
	s_subb_u32 s17, 0, s39
	v_mac_f32_e32 v1, 0x4f800000, v2
	v_rcp_f32_e32 v1, v1
	v_mul_f32_e32 v1, 0x5f7ffffc, v1
	v_mul_f32_e32 v2, 0x2f800000, v1
	v_trunc_f32_e32 v2, v2
	v_mac_f32_e32 v1, 0xcf800000, v2
	v_cvt_u32_f32_e32 v2, v2
	v_cvt_u32_f32_e32 v1, v1
	v_readfirstlane_b32 s33, v2
	v_readfirstlane_b32 s40, v1
	s_mul_i32 s41, s15, s33
	s_mul_hi_u32 s43, s15, s40
	s_mul_i32 s42, s17, s40
	s_add_i32 s41, s43, s41
	s_add_i32 s41, s41, s42
	s_mul_i32 s44, s15, s40
	s_mul_i32 s43, s40, s41
	s_mul_hi_u32 s45, s40, s44
	s_mul_hi_u32 s42, s40, s41
	s_add_u32 s43, s45, s43
	s_addc_u32 s42, 0, s42
	s_mul_hi_u32 s46, s33, s44
	s_mul_i32 s44, s33, s44
	s_add_u32 s43, s43, s44
	s_mul_hi_u32 s45, s33, s41
	s_addc_u32 s42, s42, s46
	s_addc_u32 s43, s45, 0
	s_mul_i32 s41, s33, s41
	s_add_u32 s41, s42, s41
	s_addc_u32 s42, 0, s43
	s_add_u32 s43, s40, s41
	s_cselect_b64 s[40:41], -1, 0
	s_cmp_lg_u64 s[40:41], 0
	s_addc_u32 s33, s33, s42
	s_mul_i32 s40, s15, s33
	s_mul_hi_u32 s41, s15, s43
	s_add_i32 s40, s41, s40
	s_mul_i32 s17, s17, s43
	s_add_i32 s40, s40, s17
	s_mul_i32 s15, s15, s43
	s_mul_hi_u32 s41, s33, s15
	s_mul_i32 s42, s33, s15
	s_mul_i32 s45, s43, s40
	s_mul_hi_u32 s15, s43, s15
	s_mul_hi_u32 s44, s43, s40
	s_add_u32 s15, s15, s45
	s_addc_u32 s44, 0, s44
	s_add_u32 s15, s15, s42
	s_mul_hi_u32 s17, s33, s40
	s_addc_u32 s15, s44, s41
	s_addc_u32 s17, s17, 0
	s_mul_i32 s40, s33, s40
	s_add_u32 s15, s15, s40
	s_addc_u32 s17, 0, s17
	s_add_u32 s15, s43, s15
	s_cselect_b64 s[40:41], -1, 0
	s_cmp_lg_u64 s[40:41], 0
	s_addc_u32 s17, s33, s17
	s_ashr_i32 s40, s1, 31
	s_add_u32 s42, s0, s40
	s_mov_b32 s41, s40
	s_addc_u32 s43, s1, s40
	s_xor_b64 s[42:43], s[42:43], s[40:41]
	s_mul_i32 s44, s42, s17
	s_mul_hi_u32 s45, s42, s15
	s_mul_hi_u32 s33, s42, s17
	s_add_u32 s44, s45, s44
	s_addc_u32 s33, 0, s33
	s_mul_hi_u32 s46, s43, s15
	s_mul_i32 s15, s43, s15
	s_add_u32 s15, s44, s15
	s_mul_hi_u32 s45, s43, s17
	s_addc_u32 s15, s33, s46
	s_addc_u32 s33, s45, 0
	s_mul_i32 s17, s43, s17
	s_add_u32 s15, s15, s17
	s_addc_u32 s17, 0, s33
	s_mul_i32 s33, s38, s17
	s_mul_hi_u32 s44, s38, s15
	s_add_i32 s33, s44, s33
	s_mul_i32 s44, s39, s15
	s_add_i32 s33, s33, s44
	s_sub_i32 s46, s43, s33
	s_mul_i32 s44, s38, s15
	s_sub_u32 s42, s42, s44
	s_cselect_b64 s[44:45], -1, 0
	s_cmp_lg_u64 s[44:45], 0
	s_subb_u32 s48, s46, s39
	s_sub_u32 s49, s42, s38
	s_cselect_b64 s[46:47], -1, 0
	s_cmp_lg_u64 s[46:47], 0
	s_subb_u32 s46, s48, 0
	s_cmp_ge_u32 s46, s39
	s_cselect_b32 s47, -1, 0
	s_cmp_ge_u32 s49, s38
	s_cselect_b32 s48, -1, 0
	s_cmp_eq_u32 s46, s39
	s_cselect_b32 s46, s48, s47
	s_add_u32 s47, s15, 1
	s_addc_u32 s48, s17, 0
	s_add_u32 s49, s15, 2
	s_addc_u32 s50, s17, 0
	s_cmp_lg_u32 s46, 0
	s_cselect_b32 s46, s49, s47
	s_cselect_b32 s47, s50, s48
	s_cmp_lg_u64 s[44:45], 0
	s_subb_u32 s33, s43, s33
	s_cmp_ge_u32 s33, s39
	s_cselect_b32 s43, -1, 0
	s_cmp_ge_u32 s42, s38
	s_cselect_b32 s38, -1, 0
	s_cmp_eq_u32 s33, s39
	s_cselect_b32 s33, s38, s43
	s_cmp_lg_u32 s33, 0
	s_cselect_b32 s39, s47, s17
	s_cselect_b32 s38, s46, s15
	s_xor_b64 s[36:37], s[40:41], s[36:37]
	s_xor_b64 s[38:39], s[38:39], s[36:37]
	s_sub_u32 s38, s38, s36
	s_subb_u32 s39, s39, s37
	s_cbranch_execnz .LBB47_22
.LBB47_21:                              ;   in Loop: Header=BB47_19 Depth=1
	v_cvt_f32_u32_e32 v1, s20
	s_sub_i32 s15, 0, s20
	s_mov_b32 s39, s16
	v_rcp_iflag_f32_e32 v1, v1
	v_mul_f32_e32 v1, 0x4f7ffffe, v1
	v_cvt_u32_f32_e32 v1, v1
	v_readfirstlane_b32 s17, v1
	s_mul_i32 s15, s15, s17
	s_mul_hi_u32 s15, s17, s15
	s_add_i32 s17, s17, s15
	s_mul_hi_u32 s15, s0, s17
	s_mul_i32 s33, s15, s20
	s_sub_i32 s33, s0, s33
	s_add_i32 s17, s15, 1
	s_sub_i32 s36, s33, s20
	s_cmp_ge_u32 s33, s20
	s_cselect_b32 s15, s17, s15
	s_cselect_b32 s33, s36, s33
	s_add_i32 s17, s15, 1
	s_cmp_ge_u32 s33, s20
	s_cselect_b32 s38, s17, s15
.LBB47_22:                              ;   in Loop: Header=BB47_19 Depth=1
	s_mul_i32 s15, s38, s21
	s_mul_hi_u32 s17, s38, s20
	s_load_dwordx2 s[36:37], s[18:19], 0xc8
	s_add_i32 s15, s17, s15
	s_mul_i32 s17, s39, s20
	s_add_i32 s15, s15, s17
	s_mul_i32 s17, s38, s20
	s_sub_u32 s0, s0, s17
	s_subb_u32 s1, s1, s15
	s_waitcnt lgkmcnt(0)
	s_mul_i32 s1, s36, s1
	s_mul_hi_u32 s15, s36, s0
	s_add_i32 s1, s15, s1
	s_mul_i32 s15, s37, s0
	s_add_i32 s1, s1, s15
	s_mul_i32 s0, s36, s0
	s_add_u32 s34, s0, s34
	s_addc_u32 s35, s1, s35
	s_add_i32 s7, s7, -1
	s_add_u32 s18, s18, -8
	s_addc_u32 s19, s19, -1
	s_cmp_gt_u32 s7, 2
	s_cbranch_scc0 .LBB47_26
; %bb.23:                               ;   in Loop: Header=BB47_19 Depth=1
	s_mov_b64 s[0:1], s[38:39]
	s_branch .LBB47_19
.LBB47_24:                              ;   in Loop: Header=BB47_19 Depth=1
                                        ; implicit-def: $sgpr38_sgpr39
	s_branch .LBB47_21
.LBB47_25:
	s_mov_b64 s[38:39], s[0:1]
.LBB47_26:
	s_load_dwordx2 s[0:1], s[4:5], 0x430
	s_mov_b32 s47, 0
                                        ; kill: killed $sgpr4 killed $sgpr5
	s_waitcnt lgkmcnt(0)
	v_writelane_b32 v59, s0, 2
	v_writelane_b32 v59, s1, 3
	s_load_dwordx2 s[16:17], s[4:5], 0x0
	s_load_dwordx2 s[0:1], s[4:5], 0x1c0
	s_waitcnt lgkmcnt(0)
	v_writelane_b32 v59, s0, 4
	v_writelane_b32 v59, s1, 5
	s_load_dwordx2 s[0:1], s[4:5], 0x360
	v_cmp_eq_u32_e64 s[4:5], 0, v0
	s_waitcnt lgkmcnt(0)
	v_writelane_b32 v59, s0, 6
	v_writelane_b32 v59, s1, 7
	s_mov_b64 s[0:1], exec
	v_writelane_b32 v59, s4, 8
	v_writelane_b32 v59, s5, 9
	s_and_b64 s[4:5], s[0:1], s[4:5]
	s_mov_b64 exec, s[4:5]
	s_cbranch_execz .LBB47_28
; %bb.27:
	v_mov_b32_e32 v1, 0
	v_mov_b32_e32 v3, s24
	;; [unrolled: 1-line block ×4, first 2 shown]
	ds_write_b32 v1, v1 offset:5136
	ds_write_b128 v1, v[1:4] offset:5120
.LBB47_28:
	s_or_b64 exec, exec, s[0:1]
	s_mul_i32 s0, s10, s9
	s_mul_hi_u32 s1, s10, s8
	s_add_i32 s0, s1, s0
	s_mul_i32 s1, s11, s8
	s_add_i32 s1, s0, s1
	s_mul_i32 s0, s10, s8
	s_lshl_b64 s[10:11], s[0:1], 3
	v_cmp_gt_u32_e64 s[0:1], 2, v0
	v_writelane_b32 v59, s0, 10
	v_writelane_b32 v59, s1, 11
	v_mad_u64_u32 v[4:5], s[0:1], s30, v0, 0
	v_mov_b32_e32 v2, 0x180
	v_mov_b32_e32 v3, 0
	v_mad_u64_u32 v[5:6], s[0:1], s31, v0, v[5:6]
	v_cmp_gt_i64_e64 s[0:1], s[24:25], v[2:3]
	v_mbcnt_lo_u32_b32 v1, -1, 0
	v_mov_b32_e32 v19, 0
	v_mbcnt_hi_u32_b32 v46, -1, v1
	v_mov_b32_e32 v1, v19
	v_writelane_b32 v59, s0, 12
	s_add_u32 s20, s16, s10
	v_writelane_b32 v59, s1, 13
	v_cmp_gt_u64_e64 s[0:1], s[24:25], v[0:1]
	s_addc_u32 s21, s17, s11
	s_lshl_b64 s[50:51], s[2:3], 3
	s_add_u32 s7, s20, s50
	v_writelane_b32 v59, s0, 14
	s_addc_u32 s8, s21, s51
	v_writelane_b32 v59, s1, 15
	v_writelane_b32 v59, s8, 16
	v_cmp_gt_i64_e64 s[0:1], s[24:25], v[0:1]
	v_writelane_b32 v59, s7, 17
	v_writelane_b32 v59, s0, 18
	s_waitcnt lgkmcnt(0)
	s_barrier
	v_writelane_b32 v59, s1, 19
	s_load_dword s0, s[12:13], 0xc
	v_cmp_gt_u32_e32 vcc, 64, v0
	v_cmp_gt_i32_e64 s[2:3], 4, v46
	s_and_b64 s[52:53], vcc, s[2:3]
	v_lshlrev_b64 v[2:3], 3, v[4:5]
	s_waitcnt lgkmcnt(0)
	s_and_b32 s33, s0, 0xffff
	s_bfe_u32 s2, s0, 0xa0006
	s_cmp_gt_u32 s33, 63
	s_cselect_b64 s[0:1], -1, 0
	v_writelane_b32 v59, s0, 20
	v_writelane_b32 v59, s1, 21
	s_add_u32 s0, s33, -1
	s_addc_u32 s1, 0, -1
	v_mov_b32_e32 v6, s8
	v_add_co_u32_e32 v20, vcc, s7, v2
	s_add_u32 s8, s0, s24
	v_addc_co_u32_e32 v21, vcc, v6, v3, vcc
	v_lshlrev_b64 v[6:7], v46, -1
	s_addc_u32 s57, s1, s25
	s_cmp_lt_u32 s6, s14
	v_not_b32_e32 v50, v6
	v_writelane_b32 v59, s0, 22
	v_lshrrev_b32_e32 v6, 1, v0
	s_cselect_b32 s0, 12, 18
	v_and_b32_e32 v6, 0x1e0, v6
	s_add_u32 s58, s12, s0
	v_not_b32_e32 v49, v7
	v_or_b32_e32 v51, 0xc00, v6
	s_addc_u32 s59, s13, 0
	s_add_i32 s0, s2, -1
	v_lshlrev_b32_e32 v52, 5, v0
	v_mov_b32_e32 v6, s20
	s_bfe_u32 s3, s33, 0x30006
	s_and_b32 s0, s0, 0xffff
	v_or_b32_e32 v9, 24, v52
	v_mov_b32_e32 v7, s21
	v_writelane_b32 v59, s1, 23
	s_cmp_gt_u32 s0, 6
	v_mad_u64_u32 v[24:25], s[0:1], s30, v9, v[6:7]
	v_lshlrev_b32_e32 v8, 2, v46
	s_cselect_b64 s[0:1], -1, 0
	v_and_b32_e32 v48, 0x100, v8
	v_writelane_b32 v59, s0, 24
	v_mov_b32_e32 v8, v25
	v_writelane_b32 v59, s1, 25
	v_mad_u64_u32 v[8:9], s[0:1], s31, v9, v[8:9]
	v_or_b32_e32 v9, 16, v52
	v_mad_u64_u32 v[26:27], s[0:1], s30, v9, v[6:7]
	s_and_b32 s9, s2, 0x3f8
	s_cmp_lg_u32 s3, 0
	v_writelane_b32 v59, s3, 26
	s_cselect_b64 s[0:1], -1, 0
	v_writelane_b32 v59, s0, 27
	v_mov_b32_e32 v25, v8
	v_mov_b32_e32 v8, v27
	v_writelane_b32 v59, s1, 28
	v_mad_u64_u32 v[8:9], s[0:1], s31, v9, v[8:9]
	v_or_b32_e32 v9, 8, v52
	v_mad_u64_u32 v[28:29], s[0:1], s30, v9, v[6:7]
	s_add_u32 s2, s10, s50
	s_addc_u32 s3, s11, s51
	v_mov_b32_e32 v6, v29
	s_add_u32 s2, s16, s2
	v_mad_u64_u32 v[6:7], s[0:1], s31, v9, v[6:7]
	s_addc_u32 s3, s17, s3
	s_lshl_b64 s[66:67], s[30:31], 3
	s_lshl_b64 s[68:69], s[30:31], 5
	v_lshlrev_b64 v[4:5], 5, v[4:5]
	s_add_u32 s0, s16, s50
	s_addc_u32 s1, s17, s51
	v_mov_b32_e32 v29, v6
	v_mov_b32_e32 v6, s21
	v_add_co_u32_e32 v30, vcc, s20, v4
	s_add_u32 s0, s0, s10
	v_addc_co_u32_e32 v31, vcc, v6, v5, vcc
	s_addc_u32 s1, s1, s11
	v_mov_b32_e32 v4, s1
	v_add_co_u32_e32 v16, vcc, s0, v2
	v_addc_co_u32_e32 v17, vcc, v4, v3, vcc
	v_mov_b32_e32 v2, s25
	v_add_co_u32_e32 v53, vcc, s24, v0
	s_mul_i32 s0, s31, s33
	s_mul_hi_u32 s1, s30, s33
	v_lshlrev_b32_e32 v47, 3, v0
	v_addc_co_u32_e32 v54, vcc, 0, v2, vcc
	v_mov_b32_e32 v2, 0xc00
	s_add_i32 s1, s1, s0
	s_mul_i32 s0, s30, s33
	v_mov_b32_e32 v37, s27
	v_mov_b32_e32 v32, 0
	;; [unrolled: 1-line block ×4, first 2 shown]
	v_cmp_eq_u32_e64 s[4:5], 0, v46
	v_lshlrev_b32_e32 v22, 2, v0
	v_mov_b32_e32 v23, v19
	v_mov_b32_e32 v27, v8
	v_writelane_b32 v59, s2, 29
	v_lshl_or_b32 v55, v46, 3, v2
	s_lshl_b64 s[48:49], s[0:1], 3
	s_lshl_b32 s54, s33, 3
	s_mov_b32 s55, 62
	s_mov_b64 s[70:71], 0
	s_mov_b32 s18, 0
	v_add_u32_e32 v56, 0xc00, v47
	v_mov_b32_e32 v36, s26
	v_mov_b32_e32 v33, 0
	;; [unrolled: 1-line block ×5, first 2 shown]
	v_writelane_b32 v59, s3, 30
                                        ; implicit-def: $sgpr72_sgpr73
                                        ; implicit-def: $sgpr76_sgpr77
                                        ; implicit-def: $sgpr74_sgpr75
                                        ; implicit-def: $sgpr80_sgpr81
                                        ; implicit-def: $sgpr82_sgpr83
                                        ; implicit-def: $sgpr78_sgpr79
	s_branch .LBB47_32
.LBB47_29:                              ;   in Loop: Header=BB47_32 Depth=1
	s_or_b64 exec, exec, s[12:13]
	s_and_b64 s[2:3], s[2:3], exec
	s_andn2_b64 s[88:89], s[88:89], exec
	s_andn2_b64 s[6:7], s[6:7], exec
	s_orn2_b64 s[20:21], s[10:11], exec
.LBB47_30:                              ;   in Loop: Header=BB47_32 Depth=1
	s_or_b64 exec, exec, s[0:1]
	s_andn2_b64 s[0:1], s[78:79], exec
	s_and_b64 s[2:3], s[2:3], exec
	s_or_b64 s[78:79], s[0:1], s[2:3]
	s_andn2_b64 s[0:1], s[82:83], exec
	s_and_b64 s[2:3], s[88:89], exec
	s_or_b64 s[82:83], s[0:1], s[2:3]
	;; [unrolled: 3-line block ×3, first 2 shown]
	s_orn2_b64 s[6:7], s[20:21], exec
.LBB47_31:                              ;   in Loop: Header=BB47_32 Depth=1
	s_or_b64 exec, exec, s[16:17]
	s_and_b64 s[0:1], exec, s[6:7]
	s_or_b64 s[70:71], s[0:1], s[70:71]
	s_andn2_b64 s[0:1], s[74:75], exec
	s_and_b64 s[2:3], s[78:79], exec
	s_or_b64 s[74:75], s[0:1], s[2:3]
	s_andn2_b64 s[0:1], s[76:77], exec
	s_and_b64 s[2:3], s[82:83], exec
	;; [unrolled: 3-line block ×3, first 2 shown]
	v_mov_b32_e32 v37, v13
	s_or_b64 s[72:73], s[0:1], s[2:3]
	v_mov_b32_e32 v36, v12
	s_andn2_b64 exec, exec, s[70:71]
	s_cbranch_execz .LBB47_298
.LBB47_32:                              ; =>This Loop Header: Depth=1
                                        ;     Child Loop BB47_38 Depth 2
                                        ;     Child Loop BB47_51 Depth 2
                                        ;     Child Loop BB47_85 Depth 2
                                        ;     Child Loop BB47_89 Depth 2
                                        ;     Child Loop BB47_74 Depth 2
                                        ;     Child Loop BB47_79 Depth 2
                                        ;     Child Loop BB47_67 Depth 2
                                        ;     Child Loop BB47_99 Depth 2
                                        ;     Child Loop BB47_113 Depth 2
                                        ;     Child Loop BB47_128 Depth 2
                                        ;     Child Loop BB47_158 Depth 2
                                        ;     Child Loop BB47_175 Depth 2
                                        ;     Child Loop BB47_206 Depth 2
                                        ;     Child Loop BB47_223 Depth 2
                                        ;     Child Loop BB47_253 Depth 2
                                        ;     Child Loop BB47_270 Depth 2
	ds_read_b128 v[8:11], v19 offset:5120
	s_waitcnt lgkmcnt(0)
	v_readfirstlane_b32 s21, v9
	v_readfirstlane_b32 s20, v8
	v_cmp_gt_i64_e64 s[0:1], s[20:21], 0
	s_and_b64 vcc, exec, s[0:1]
	s_cbranch_vccnz .LBB47_59
; %bb.33:                               ;   in Loop: Header=BB47_32 Depth=1
	v_readlane_b32 s0, v59, 12
	v_readlane_b32 s1, v59, 13
	s_and_b64 vcc, exec, s[0:1]
	s_cbranch_vccz .LBB47_46
; %bb.34:                               ;   in Loop: Header=BB47_32 Depth=1
	s_mov_b64 s[0:1], 0x181
	v_cmp_gt_i64_e32 vcc, s[0:1], v[10:11]
	s_mov_b64 s[10:11], 0
	s_mov_b64 s[0:1], 0
	s_cbranch_vccz .LBB47_47
; %bb.35:                               ;   in Loop: Header=BB47_32 Depth=1
	s_mov_b64 s[14:15], exec
	v_readlane_b32 s0, v59, 14
	v_readlane_b32 s1, v59, 15
	s_and_b64 s[0:1], s[14:15], s[0:1]
	s_mov_b64 exec, s[0:1]
	s_cbranch_execz .LBB47_93
; %bb.36:                               ;   in Loop: Header=BB47_32 Depth=1
	global_load_ushort v2, v19, s[58:59]
	global_load_dwordx2 v[8:9], v[20:21], off
	v_readlane_b32 s0, v59, 29
	v_readlane_b32 s1, v59, 30
	v_mov_b32_e32 v5, s1
	v_mov_b32_e32 v4, s0
	s_mov_b64 s[2:3], 0
	s_waitcnt vmcnt(1)
	v_readfirstlane_b32 s0, v2
	s_and_b32 s6, 0xffff, s0
	v_add_u32_e32 v10, s6, v0
	v_mad_u64_u32 v[4:5], s[0:1], s66, v10, v[4:5]
	s_mul_i32 s7, s67, s6
	s_mul_i32 s19, s66, s6
	v_mad_u64_u32 v[10:11], s[0:1], s67, v10, v[5:6]
	s_mul_hi_u32 s0, s66, s6
	s_add_i32 s21, s0, s7
	v_mov_b32_e32 v5, v10
	v_mov_b32_e32 v11, v1
	;; [unrolled: 1-line block ×3, first 2 shown]
	s_branch .LBB47_38
.LBB47_37:                              ;   in Loop: Header=BB47_38 Depth=2
	s_or_b64 exec, exec, s[0:1]
	v_mov_b32_e32 v8, s21
	v_add_co_u32_e32 v4, vcc, s19, v4
	v_addc_co_u32_e32 v5, vcc, v5, v8, vcc
	v_mov_b32_e32 v8, v12
	v_mov_b32_e32 v9, v13
	s_andn2_b64 exec, exec, s[2:3]
	s_cbranch_execz .LBB47_93
.LBB47_38:                              ;   Parent Loop BB47_32 Depth=1
                                        ; =>  This Inner Loop Header: Depth=2
	v_add_co_u32_sdwa v10, vcc, v10, v2 dst_sel:DWORD dst_unused:UNUSED_PAD src0_sel:DWORD src1_sel:WORD_0
	v_addc_co_u32_e32 v11, vcc, 0, v11, vcc
	v_cmp_gt_i64_e64 s[6:7], s[24:25], v[10:11]
	v_cmp_le_i64_e32 vcc, s[24:25], v[10:11]
	v_mov_b32_e32 v12, 0
	v_mov_b32_e32 v13, 0
	s_and_saveexec_b64 s[0:1], s[6:7]
	s_cbranch_execz .LBB47_40
; %bb.39:                               ;   in Loop: Header=BB47_38 Depth=2
	global_load_dwordx2 v[12:13], v[4:5], off
.LBB47_40:                              ;   in Loop: Header=BB47_38 Depth=2
	s_or_b64 exec, exec, s[0:1]
	s_waitcnt vmcnt(0)
	v_cmp_o_f64_e64 s[6:7], v[8:9], v[8:9]
	s_waitcnt lgkmcnt(0)
	v_ashrrev_i32_e32 v14, 31, v9
	v_or_b32_e32 v15, 0x80000000, v14
	v_xor_b32_e32 v15, v15, v9
	v_xor_b32_e32 v14, v14, v8
	v_cndmask_b32_e64 v15, -1, v15, s[6:7]
	v_cndmask_b32_e64 v14, -1, v14, s[6:7]
	v_and_b32_e32 v15, v15, v35
	v_and_b32_e32 v14, v14, v34
	v_cmp_eq_u64_e64 s[12:13], v[14:15], v[32:33]
	v_mov_b32_e32 v14, 0
	s_cmp_lg_u64 s[12:13], 0
	s_cselect_b64 s[0:1], -1, 0
	s_and_b64 s[6:7], s[4:5], s[0:1]
	s_and_saveexec_b64 s[0:1], s[6:7]
	s_cbranch_execz .LBB47_44
; %bb.41:                               ;   in Loop: Header=BB47_38 Depth=2
	s_mov_b64 s[26:27], exec
	v_mbcnt_lo_u32_b32 v14, s26, 0
	v_mbcnt_hi_u32_b32 v14, s27, v14
	s_bcnt1_i32_b64 s36, s[12:13]
	v_cmp_eq_u32_e64 s[6:7], 0, v14
                                        ; implicit-def: $vgpr15
	s_and_saveexec_b64 s[16:17], s[6:7]
; %bb.42:                               ;   in Loop: Header=BB47_38 Depth=2
	s_bcnt1_i32_b64 s6, s[26:27]
	s_mul_i32 s6, s36, s6
	v_mov_b32_e32 v15, s6
	ds_add_rtn_u32 v15, v19, v15 offset:5136
; %bb.43:                               ;   in Loop: Header=BB47_38 Depth=2
	s_or_b64 exec, exec, s[16:17]
	s_waitcnt lgkmcnt(0)
	v_readfirstlane_b32 s6, v15
	v_mov_b32_e32 v15, s6
	v_mad_u32_u24 v14, s36, v14, v15
.LBB47_44:                              ;   in Loop: Header=BB47_38 Depth=2
	s_or_b64 exec, exec, s[0:1]
	ds_bpermute_b32 v14, v48, v14
	s_and_b64 s[0:1], exec, vcc
	s_or_b64 s[2:3], s[0:1], s[2:3]
	s_and_saveexec_b64 s[0:1], s[12:13]
	s_cbranch_execz .LBB47_37
; %bb.45:                               ;   in Loop: Header=BB47_38 Depth=2
	v_and_b32_e32 v18, s12, v50
	v_and_b32_e32 v15, s13, v49
	v_bcnt_u32_b32 v18, v18, 0
	v_bcnt_u32_b32 v15, v15, v18
	v_lshlrev_b32_e32 v15, 3, v15
	s_waitcnt lgkmcnt(0)
	v_lshl_add_u32 v14, v14, 3, v15
	ds_write_b64 v14, v[8:9]
	s_branch .LBB47_37
.LBB47_46:                              ;   in Loop: Header=BB47_32 Depth=1
	s_mov_b64 s[10:11], -1
	s_mov_b64 s[0:1], 0
.LBB47_47:                              ;   in Loop: Header=BB47_32 Depth=1
	s_and_b64 vcc, exec, s[10:11]
	s_cbranch_vccz .LBB47_57
.LBB47_48:                              ;   in Loop: Header=BB47_32 Depth=1
	s_mov_b64 s[0:1], exec
	v_readlane_b32 s2, v59, 18
	v_readlane_b32 s3, v59, 19
	s_and_b64 s[2:3], s[0:1], s[2:3]
	s_mov_b64 exec, s[2:3]
	s_cbranch_execz .LBB47_54
; %bb.49:                               ;   in Loop: Header=BB47_32 Depth=1
	global_load_ushort v2, v19, s[58:59]
	global_load_dwordx2 v[4:5], v[20:21], off
	s_waitcnt vmcnt(1)
	v_add_u32_sdwa v18, v2, v0 dst_sel:DWORD dst_unused:UNUSED_PAD src0_sel:WORD_0 src1_sel:DWORD
	v_cmp_gt_i64_e32 vcc, s[24:25], v[18:19]
	v_readfirstlane_b32 s6, v2
	v_mov_b32_e32 v2, v0
	s_and_saveexec_b64 s[2:3], vcc
	s_cbranch_execz .LBB47_53
; %bb.50:                               ;   in Loop: Header=BB47_32 Depth=1
	v_readlane_b32 s10, v59, 29
	v_readlane_b32 s11, v59, 30
	v_mov_b32_e32 v8, s10
	v_mov_b32_e32 v9, s11
	v_mad_u64_u32 v[8:9], s[10:11], s66, v18, v[8:9]
	s_and_b32 s12, s6, 0xffff
	v_mov_b32_e32 v12, v18
	v_mov_b32_e32 v2, v9
	v_mad_u64_u32 v[9:10], s[6:7], s67, v18, v[2:3]
	s_mul_i32 s6, s67, s12
	s_mul_hi_u32 s7, s66, s12
	v_mov_b32_e32 v15, v1
	s_add_i32 s13, s7, s6
	s_mul_i32 s14, s66, s12
	s_mov_b64 s[10:11], 0
	v_mov_b32_e32 v13, v19
	v_mov_b32_e32 v14, v0
.LBB47_51:                              ;   Parent Loop BB47_32 Depth=1
                                        ; =>  This Inner Loop Header: Depth=2
	global_load_dwordx2 v[10:11], v[8:9], off
	v_mov_b32_e32 v39, v13
	v_mov_b32_e32 v38, v12
	v_lshlrev_b32_e32 v2, 3, v14
	v_mov_b32_e32 v14, s13
	v_add_co_u32_e32 v8, vcc, s14, v8
	v_add_co_u32_e64 v12, s[6:7], s12, v38
	v_addc_co_u32_e64 v13, s[6:7], 0, v39, s[6:7]
	v_addc_co_u32_e32 v9, vcc, v9, v14, vcc
	v_cmp_le_i64_e32 vcc, s[24:25], v[12:13]
	s_waitcnt vmcnt(1)
	ds_write_b64 v2, v[4:5]
	v_mov_b32_e32 v14, v38
	s_or_b64 s[10:11], vcc, s[10:11]
	v_mov_b32_e32 v15, v39
	s_waitcnt vmcnt(0)
	v_mov_b32_e32 v4, v10
	v_mov_b32_e32 v5, v11
	s_andn2_b64 exec, exec, s[10:11]
	s_cbranch_execnz .LBB47_51
; %bb.52:                               ;   in Loop: Header=BB47_32 Depth=1
	s_or_b64 exec, exec, s[10:11]
	v_mov_b32_e32 v4, v10
	v_subrev_u32_e32 v2, s12, v12
	v_mov_b32_e32 v5, v11
.LBB47_53:                              ;   in Loop: Header=BB47_32 Depth=1
	s_or_b64 exec, exec, s[2:3]
	v_lshlrev_b32_e32 v2, 3, v2
	s_waitcnt vmcnt(0)
	ds_write_b64 v2, v[4:5]
.LBB47_54:                              ;   in Loop: Header=BB47_32 Depth=1
	s_or_b64 exec, exec, s[0:1]
	s_waitcnt lgkmcnt(0)
	s_barrier
	s_mov_b64 s[0:1], exec
	v_readlane_b32 s2, v59, 8
	v_readlane_b32 s3, v59, 9
	s_and_b64 s[2:3], s[0:1], s[2:3]
	s_mov_b64 exec, s[2:3]
; %bb.55:                               ;   in Loop: Header=BB47_32 Depth=1
	v_mov_b32_e32 v4, s24
	v_mov_b32_e32 v5, s25
	ds_write_b64 v19, v[4:5] offset:5120
; %bb.56:                               ;   in Loop: Header=BB47_32 Depth=1
	s_or_b64 exec, exec, s[0:1]
	s_waitcnt lgkmcnt(0)
	s_barrier
	s_mov_b64 s[0:1], -1
.LBB47_57:                              ;   in Loop: Header=BB47_32 Depth=1
	s_and_b64 vcc, exec, s[0:1]
	s_cbranch_vccz .LBB47_59
; %bb.58:                               ;   in Loop: Header=BB47_32 Depth=1
	ds_read_b64 v[4:5], v19 offset:5120
	s_waitcnt lgkmcnt(0)
	v_readfirstlane_b32 s20, v4
.LBB47_59:                              ;   in Loop: Header=BB47_32 Depth=1
	s_cmp_lt_i32 s20, 1
	s_mov_b64 s[0:1], -1
                                        ; implicit-def: $vgpr8_vgpr9
                                        ; implicit-def: $vgpr12_vgpr13
	s_cbranch_scc1 .LBB47_69
; %bb.60:                               ;   in Loop: Header=BB47_32 Depth=1
	s_and_b64 vcc, exec, s[0:1]
	s_cbranch_vccnz .LBB47_83
.LBB47_61:                              ;   in Loop: Header=BB47_32 Depth=1
	s_lshl_b32 s2, s18, 6
	s_and_saveexec_b64 s[0:1], s[4:5]
	s_cbranch_execz .LBB47_63
.LBB47_62:                              ;   in Loop: Header=BB47_32 Depth=1
	v_lshl_add_u32 v2, s2, 3, v51
	ds_write_b128 v2, v[8:11]
	ds_write_b128 v2, v[12:15] offset:16
.LBB47_63:                              ;   in Loop: Header=BB47_32 Depth=1
	s_or_b64 exec, exec, s[0:1]
	s_waitcnt lgkmcnt(0)
	s_barrier
	s_and_saveexec_b64 s[6:7], s[52:53]
	s_cbranch_execz .LBB47_101
; %bb.64:                               ;   in Loop: Header=BB47_32 Depth=1
	v_readlane_b32 s0, v59, 20
	v_mov_b32_e32 v4, 0
	v_readlane_b32 s1, v59, 21
	v_mov_b32_e32 v5, 0
	s_andn2_b64 vcc, exec, s[0:1]
	s_cbranch_vccnz .LBB47_100
; %bb.65:                               ;   in Loop: Header=BB47_32 Depth=1
	v_readlane_b32 s0, v59, 24
	v_readlane_b32 s1, v59, 25
	s_andn2_b64 vcc, exec, s[0:1]
	s_cbranch_vccnz .LBB47_96
; %bb.66:                               ;   in Loop: Header=BB47_32 Depth=1
	v_mov_b32_e32 v4, 0
	v_lshl_add_u32 v2, s18, 9, v55
	v_mov_b32_e32 v5, 0
	s_mov_b32 s0, 0
.LBB47_67:                              ;   Parent Loop BB47_32 Depth=1
                                        ; =>  This Inner Loop Header: Depth=2
	ds_read2_b64 v[8:11], v2 offset1:4
	ds_read2_b64 v[12:15], v2 offset0:8 offset1:12
	ds_read2_b64 v[38:41], v2 offset0:16 offset1:20
	;; [unrolled: 1-line block ×3, first 2 shown]
	s_add_i32 s0, s0, 8
	s_waitcnt lgkmcnt(3)
	v_add_co_u32_e32 v4, vcc, v8, v4
	v_addc_co_u32_e32 v5, vcc, v9, v5, vcc
	v_add_co_u32_e32 v4, vcc, v10, v4
	v_addc_co_u32_e32 v5, vcc, v11, v5, vcc
	s_waitcnt lgkmcnt(2)
	v_add_co_u32_e32 v4, vcc, v12, v4
	v_addc_co_u32_e32 v5, vcc, v13, v5, vcc
	v_add_co_u32_e32 v4, vcc, v14, v4
	v_addc_co_u32_e32 v5, vcc, v15, v5, vcc
	;; [unrolled: 5-line block ×3, first 2 shown]
	s_waitcnt lgkmcnt(0)
	v_add_co_u32_e32 v4, vcc, v42, v4
	v_addc_co_u32_e32 v5, vcc, v43, v5, vcc
	v_add_co_u32_e32 v4, vcc, v44, v4
	v_add_u32_e32 v2, 0x100, v2
	s_cmp_eq_u32 s9, s0
	v_addc_co_u32_e32 v5, vcc, v45, v5, vcc
	s_cbranch_scc0 .LBB47_67
; %bb.68:                               ;   in Loop: Header=BB47_32 Depth=1
	s_mov_b32 s0, s9
	s_branch .LBB47_97
.LBB47_69:                              ;   in Loop: Header=BB47_32 Depth=1
	global_load_ushort v2, v19, s[58:59]
	s_mov_b32 s0, s47
	s_waitcnt vmcnt(0)
	v_readfirstlane_b32 s1, v2
	s_and_b32 s19, s1, 0xffff
	s_lshl_b32 s10, s19, 2
	s_mov_b32 s1, s25
	s_cmp_lg_u64 s[0:1], 0
	s_cbranch_scc0 .LBB47_92
; %bb.70:                               ;   in Loop: Header=BB47_32 Depth=1
	s_add_u32 s0, s10, 0
	s_addc_u32 s1, 0, 0
	s_xor_b64 s[2:3], s[0:1], 0
	v_cvt_f32_u32_e32 v2, s2
	v_cvt_f32_u32_e32 v4, s3
	s_sub_u32 s6, 0, s2
	s_subb_u32 s7, 0, s3
	v_mac_f32_e32 v2, 0x4f800000, v4
	v_rcp_f32_e32 v2, v2
	v_mul_f32_e32 v2, 0x5f7ffffc, v2
	v_mul_f32_e32 v4, 0x2f800000, v2
	v_trunc_f32_e32 v4, v4
	v_mac_f32_e32 v2, 0xcf800000, v4
	v_cvt_u32_f32_e32 v4, v4
	v_cvt_u32_f32_e32 v2, v2
	v_readfirstlane_b32 s11, v4
	v_readfirstlane_b32 s0, v2
	s_mul_i32 s1, s6, s11
	s_mul_hi_u32 s13, s6, s0
	s_mul_i32 s12, s7, s0
	s_add_i32 s1, s13, s1
	s_mul_i32 s14, s6, s0
	s_add_i32 s1, s1, s12
	s_mul_i32 s13, s0, s1
	s_mul_hi_u32 s15, s0, s14
	s_mul_hi_u32 s12, s0, s1
	s_add_u32 s13, s15, s13
	s_addc_u32 s12, 0, s12
	s_mul_hi_u32 s16, s11, s14
	s_mul_i32 s14, s11, s14
	s_add_u32 s13, s13, s14
	s_mul_hi_u32 s15, s11, s1
	s_addc_u32 s12, s12, s16
	s_addc_u32 s13, s15, 0
	s_mul_i32 s1, s11, s1
	s_add_u32 s1, s12, s1
	s_addc_u32 s12, 0, s13
	s_add_u32 s13, s0, s1
	s_cselect_b64 s[0:1], -1, 0
	s_cmp_lg_u64 s[0:1], 0
	s_addc_u32 s11, s11, s12
	s_mul_i32 s0, s6, s11
	s_mul_hi_u32 s1, s6, s13
	s_add_i32 s0, s1, s0
	s_mul_i32 s7, s7, s13
	s_add_i32 s0, s0, s7
	s_mul_i32 s6, s6, s13
	s_mul_hi_u32 s7, s11, s6
	s_mul_i32 s12, s11, s6
	s_mul_i32 s15, s13, s0
	s_mul_hi_u32 s6, s13, s6
	s_mul_hi_u32 s14, s13, s0
	s_add_u32 s6, s6, s15
	s_addc_u32 s14, 0, s14
	s_add_u32 s6, s6, s12
	s_mul_hi_u32 s1, s11, s0
	s_addc_u32 s6, s14, s7
	s_addc_u32 s1, s1, 0
	s_mul_i32 s0, s11, s0
	s_add_u32 s0, s6, s0
	s_addc_u32 s6, 0, s1
	s_add_u32 s12, s13, s0
	s_cselect_b64 s[0:1], -1, 0
	s_cmp_lg_u64 s[0:1], 0
	s_addc_u32 s11, s11, s6
	s_ashr_i32 s0, s25, 31
	s_add_u32 s6, s24, s0
	s_mov_b32 s1, s0
	s_addc_u32 s7, s25, s0
	s_xor_b64 s[6:7], s[6:7], s[0:1]
	s_mul_i32 s14, s6, s11
	s_mul_hi_u32 s15, s6, s12
	s_mul_hi_u32 s13, s6, s11
	s_add_u32 s14, s15, s14
	s_addc_u32 s13, 0, s13
	s_mul_hi_u32 s16, s7, s12
	s_mul_i32 s12, s7, s12
	s_add_u32 s12, s14, s12
	s_mul_hi_u32 s15, s7, s11
	s_addc_u32 s12, s13, s16
	s_addc_u32 s13, s15, 0
	s_mul_i32 s11, s7, s11
	s_add_u32 s11, s12, s11
	s_addc_u32 s12, 0, s13
	s_mul_i32 s12, s2, s12
	s_mul_hi_u32 s13, s2, s11
	s_add_i32 s12, s13, s12
	s_mul_i32 s13, s3, s11
	s_add_i32 s16, s12, s13
	s_sub_i32 s14, s7, s16
	s_mul_i32 s11, s2, s11
	s_sub_u32 s6, s6, s11
	s_cselect_b64 s[12:13], -1, 0
	s_cmp_lg_u64 s[12:13], 0
	s_subb_u32 s11, s14, s3
	s_sub_u32 s17, s6, s2
	s_cselect_b64 s[14:15], -1, 0
	s_cmp_lg_u64 s[14:15], 0
	s_subb_u32 s21, s11, 0
	s_cmp_ge_u32 s21, s3
	s_cselect_b32 s26, -1, 0
	s_cmp_ge_u32 s17, s2
	s_cselect_b32 s27, -1, 0
	s_cmp_eq_u32 s21, s3
	s_cselect_b32 s26, s27, s26
	s_cmp_lg_u64 s[14:15], 0
	s_subb_u32 s11, s11, s3
	s_sub_u32 s27, s17, s2
	s_cselect_b64 s[14:15], -1, 0
	s_cmp_lg_u64 s[14:15], 0
	s_subb_u32 s11, s11, 0
	s_cmp_lg_u32 s26, 0
	s_cselect_b32 s14, s27, s17
	s_cselect_b32 s11, s11, s21
	s_cmp_lg_u64 s[12:13], 0
	s_subb_u32 s7, s7, s16
	s_cmp_ge_u32 s7, s3
	s_cselect_b32 s12, -1, 0
	s_cmp_ge_u32 s6, s2
	s_cselect_b32 s2, -1, 0
	s_cmp_eq_u32 s7, s3
	s_cselect_b32 s2, s2, s12
	s_cmp_lg_u32 s2, 0
	s_cselect_b32 s3, s11, s7
	s_cselect_b32 s2, s14, s6
	s_xor_b64 s[2:3], s[2:3], s[0:1]
	s_sub_u32 s26, s2, s0
	s_subb_u32 s27, s3, s0
	s_cbranch_execnz .LBB47_72
.LBB47_71:                              ;   in Loop: Header=BB47_32 Depth=1
	v_cvt_f32_u32_e32 v2, s10
	s_sub_i32 s0, 0, s10
	v_rcp_iflag_f32_e32 v2, v2
	v_mul_f32_e32 v2, 0x4f7ffffe, v2
	v_cvt_u32_f32_e32 v2, v2
	v_readfirstlane_b32 s1, v2
	s_mul_i32 s0, s0, s1
	s_mul_hi_u32 s0, s1, s0
	s_add_i32 s1, s1, s0
	s_mul_hi_u32 s0, s24, s1
	s_mul_i32 s0, s0, s10
	s_sub_i32 s0, s24, s0
	s_sub_i32 s1, s0, s10
	s_cmp_ge_u32 s0, s10
	s_cselect_b32 s0, s1, s0
	s_sub_i32 s1, s0, s10
	s_cmp_ge_u32 s0, s10
	s_cselect_b32 s46, s1, s0
	s_mov_b64 s[26:27], s[46:47]
.LBB47_72:                              ;   in Loop: Header=BB47_32 Depth=1
	s_sub_u32 s84, s24, s26
	s_subb_u32 s85, s25, s27
	v_cmp_gt_i64_e32 vcc, s[84:85], v[22:23]
	v_mov_b32_e32 v8, 0
	v_mov_b32_e32 v10, 0
	;; [unrolled: 1-line block ×8, first 2 shown]
	s_and_saveexec_b64 s[86:87], vcc
	s_cbranch_execz .LBB47_76
; %bb.73:                               ;   in Loop: Header=BB47_32 Depth=1
	s_mul_i32 s0, s69, s19
	s_mul_hi_u32 s1, s68, s19
	v_mov_b32_e32 v4, v30
	v_mov_b32_e32 v39, v29
	;; [unrolled: 1-line block ×5, first 2 shown]
	s_add_i32 s0, s1, s0
	s_mul_i32 s1, s68, s19
	s_mov_b64 s[88:89], 0
	v_mov_b32_e32 v5, v31
	v_mov_b32_e32 v38, v28
	;; [unrolled: 1-line block ×4, first 2 shown]
	s_mov_b64 s[90:91], 0
	s_mov_b64 s[92:93], 0
	;; [unrolled: 1-line block ×4, first 2 shown]
	v_mov_b32_e32 v44, v22
.LBB47_74:                              ;   Parent Loop BB47_32 Depth=1
                                        ; =>  This Inner Loop Header: Depth=2
	v_add_co_u32_e32 v8, vcc, s50, v4
	v_mov_b32_e32 v2, s51
	v_addc_co_u32_e32 v9, vcc, v5, v2, vcc
	global_load_dwordx2 v[8:9], v[8:9], off
	v_add_co_u32_e32 v10, vcc, s50, v38
	v_addc_co_u32_e32 v11, vcc, v39, v2, vcc
	global_load_dwordx2 v[10:11], v[10:11], off
	v_add_co_u32_e32 v12, vcc, s50, v40
	;; [unrolled: 3-line block ×3, first 2 shown]
	v_addc_co_u32_e32 v15, vcc, v43, v2, vcc
	global_load_dwordx2 v[14:15], v[14:15], off
	s_waitcnt vmcnt(3)
	v_cmp_o_f64_e32 vcc, v[8:9], v[8:9]
	v_ashrrev_i32_e32 v2, 31, v9
	v_or_b32_e32 v18, 0x80000000, v2
	v_xor_b32_e32 v9, v18, v9
	v_xor_b32_e32 v2, v2, v8
	v_cndmask_b32_e32 v9, -1, v9, vcc
	v_cndmask_b32_e32 v8, -1, v2, vcc
	s_waitcnt vmcnt(2)
	v_cmp_o_f64_e32 vcc, v[10:11], v[10:11]
	v_ashrrev_i32_e32 v2, 31, v11
	v_or_b32_e32 v18, 0x80000000, v2
	v_xor_b32_e32 v11, v18, v11
	v_xor_b32_e32 v2, v2, v10
	v_cndmask_b32_e32 v58, -1, v11, vcc
	v_cndmask_b32_e32 v57, -1, v2, vcc
	s_waitcnt vmcnt(1)
	v_cmp_o_f64_e32 vcc, v[12:13], v[12:13]
	v_ashrrev_i32_e32 v2, 31, v13
	v_or_b32_e32 v10, 0x80000000, v2
	v_xor_b32_e32 v10, v10, v13
	v_xor_b32_e32 v2, v2, v12
	v_cndmask_b32_e32 v13, -1, v10, vcc
	v_cndmask_b32_e32 v12, -1, v2, vcc
	s_waitcnt vmcnt(0)
	v_cmp_o_f64_e32 vcc, v[14:15], v[14:15]
	v_ashrrev_i32_e32 v2, 31, v15
	v_or_b32_e32 v10, 0x80000000, v2
	v_xor_b32_e32 v10, v10, v15
	v_xor_b32_e32 v2, v2, v14
	v_and_b32_e32 v15, v9, v35
	v_and_b32_e32 v14, v8, v34
	v_lshrrev_b64 v[8:9], s55, v[8:9]
	v_cndmask_b32_e32 v11, -1, v10, vcc
	v_and_b32_e32 v18, 3, v8
	v_lshrrev_b64 v[8:9], s55, v[57:58]
	v_cndmask_b32_e32 v10, -1, v2, vcc
	v_cmp_eq_u64_e32 vcc, v[14:15], v[32:33]
	v_and_b32_e32 v15, v58, v35
	v_and_b32_e32 v14, v57, v34
	v_cmp_eq_u64_e64 s[6:7], 0, v[18:19]
	v_cmp_eq_u64_e64 s[12:13], v[14:15], v[32:33]
	v_and_b32_e32 v15, v13, v35
	v_and_b32_e32 v14, v12, v34
	;; [unrolled: 1-line block ×3, first 2 shown]
	v_mov_b32_e32 v9, v19
	v_lshrrev_b64 v[12:13], s55, v[12:13]
	s_and_b64 s[2:3], vcc, s[6:7]
	v_cmp_eq_u64_e64 s[6:7], 0, v[8:9]
	v_cmp_eq_u64_e64 s[14:15], v[14:15], v[32:33]
	v_and_b32_e32 v15, v11, v35
	v_and_b32_e32 v14, v10, v34
	v_and_b32_e32 v12, 3, v12
	v_mov_b32_e32 v13, v19
	v_lshrrev_b64 v[10:11], s55, v[10:11]
	s_and_b64 s[36:37], s[12:13], s[6:7]
	v_cmp_eq_u64_e64 s[6:7], 0, v[12:13]
	v_and_b32_e32 v10, 3, v10
	v_mov_b32_e32 v11, v19
	v_cmp_eq_u64_e64 s[16:17], v[14:15], v[32:33]
	s_and_b64 s[42:43], s[14:15], s[6:7]
	v_cmp_eq_u64_e64 s[6:7], 0, v[10:11]
	v_cndmask_b32_e64 v2, 0, 1, s[2:3]
	s_and_b64 s[44:45], s[16:17], s[6:7]
	v_cmp_ne_u32_e64 s[6:7], 0, v2
	v_cndmask_b32_e64 v2, 0, 1, s[36:37]
	s_bcnt1_i32_b64 s2, s[6:7]
	v_cmp_ne_u32_e64 s[6:7], 0, v2
	v_cndmask_b32_e64 v2, 0, 1, s[42:43]
	s_bcnt1_i32_b64 s3, s[6:7]
	v_cmp_ne_u32_e64 s[6:7], 0, v2
	v_cndmask_b32_e64 v2, 0, 1, s[44:45]
	s_bcnt1_i32_b64 s11, s[6:7]
	v_cmp_ne_u32_e64 s[6:7], 0, v2
	s_bcnt1_i32_b64 s6, s[6:7]
	s_add_u32 s2, s2, s40
	s_addc_u32 s7, 0, s41
	s_add_u32 s2, s2, s3
	s_addc_u32 s3, s7, 0
	s_add_u32 s2, s2, s11
	s_addc_u32 s3, s3, 0
	s_add_u32 s40, s2, s6
	v_cmp_eq_u64_e64 s[6:7], 1, v[18:19]
	s_addc_u32 s41, s3, 0
	s_and_b64 s[2:3], vcc, s[6:7]
	v_cmp_eq_u64_e64 s[6:7], 1, v[8:9]
	v_cndmask_b32_e64 v2, 0, 1, s[2:3]
	s_and_b64 s[36:37], s[12:13], s[6:7]
	v_cmp_eq_u64_e64 s[6:7], 1, v[12:13]
	s_and_b64 s[42:43], s[14:15], s[6:7]
	v_cmp_eq_u64_e64 s[6:7], 1, v[10:11]
	s_and_b64 s[44:45], s[16:17], s[6:7]
	v_cmp_ne_u32_e64 s[6:7], 0, v2
	v_cndmask_b32_e64 v2, 0, 1, s[36:37]
	s_bcnt1_i32_b64 s2, s[6:7]
	v_cmp_ne_u32_e64 s[6:7], 0, v2
	v_cndmask_b32_e64 v2, 0, 1, s[42:43]
	s_bcnt1_i32_b64 s3, s[6:7]
	;; [unrolled: 3-line block ×3, first 2 shown]
	v_cmp_ne_u32_e64 s[6:7], 0, v2
	s_bcnt1_i32_b64 s6, s[6:7]
	s_add_u32 s2, s2, s94
	s_addc_u32 s7, 0, s95
	s_add_u32 s2, s2, s3
	s_addc_u32 s3, s7, 0
	;; [unrolled: 2-line block ×3, first 2 shown]
	s_add_u32 s94, s2, s6
	v_cmp_eq_u64_e64 s[6:7], 2, v[18:19]
	s_addc_u32 s95, s3, 0
	s_and_b64 s[2:3], vcc, s[6:7]
	v_cmp_eq_u64_e64 s[6:7], 2, v[8:9]
	v_cndmask_b32_e64 v2, 0, 1, s[2:3]
	s_and_b64 s[36:37], s[12:13], s[6:7]
	v_cmp_eq_u64_e64 s[6:7], 2, v[12:13]
	s_and_b64 s[42:43], s[14:15], s[6:7]
	v_cmp_eq_u64_e64 s[6:7], 2, v[10:11]
	s_and_b64 s[44:45], s[16:17], s[6:7]
	v_cmp_ne_u32_e64 s[6:7], 0, v2
	v_cndmask_b32_e64 v2, 0, 1, s[36:37]
	s_bcnt1_i32_b64 s2, s[6:7]
	v_cmp_ne_u32_e64 s[6:7], 0, v2
	v_cndmask_b32_e64 v2, 0, 1, s[42:43]
	s_bcnt1_i32_b64 s3, s[6:7]
	;; [unrolled: 3-line block ×3, first 2 shown]
	v_cmp_ne_u32_e64 s[6:7], 0, v2
	s_bcnt1_i32_b64 s6, s[6:7]
	s_add_u32 s2, s2, s92
	s_addc_u32 s7, 0, s93
	s_add_u32 s2, s2, s3
	s_addc_u32 s3, s7, 0
	;; [unrolled: 2-line block ×3, first 2 shown]
	s_add_u32 s92, s2, s6
	v_cmp_eq_u64_e64 s[6:7], 3, v[18:19]
	s_addc_u32 s93, s3, 0
	s_and_b64 s[2:3], vcc, s[6:7]
	v_cmp_eq_u64_e32 vcc, 3, v[8:9]
	v_cndmask_b32_e64 v2, 0, 1, s[2:3]
	s_and_b64 s[6:7], s[12:13], vcc
	v_cmp_eq_u64_e32 vcc, 3, v[12:13]
	v_mov_b32_e32 v8, s40
	s_and_b64 s[12:13], s[14:15], vcc
	v_cmp_eq_u64_e32 vcc, 3, v[10:11]
	v_mov_b32_e32 v10, s94
	s_and_b64 s[14:15], s[16:17], vcc
	v_cmp_ne_u32_e32 vcc, 0, v2
	v_cndmask_b32_e64 v2, 0, 1, s[6:7]
	s_bcnt1_i32_b64 s2, vcc
	v_cmp_ne_u32_e32 vcc, 0, v2
	v_cndmask_b32_e64 v2, 0, 1, s[12:13]
	s_bcnt1_i32_b64 s3, vcc
	v_cmp_ne_u32_e32 vcc, 0, v2
	v_cndmask_b32_e64 v2, 0, 1, s[14:15]
	s_bcnt1_i32_b64 s6, vcc
	v_cmp_ne_u32_e32 vcc, 0, v2
	s_bcnt1_i32_b64 s7, vcc
	v_add_co_u32_e32 v44, vcc, s10, v44
	v_addc_co_u32_e32 v45, vcc, 0, v45, vcc
	v_add_co_u32_e32 v42, vcc, s1, v42
	v_mov_b32_e32 v2, s0
	v_addc_co_u32_e32 v43, vcc, v43, v2, vcc
	s_add_u32 s2, s2, s90
	v_add_co_u32_e32 v40, vcc, s1, v40
	s_addc_u32 s11, 0, s91
	v_addc_co_u32_e32 v41, vcc, v41, v2, vcc
	s_add_u32 s2, s2, s3
	v_add_co_u32_e32 v38, vcc, s1, v38
	s_addc_u32 s3, s11, 0
	;; [unrolled: 4-line block ×3, first 2 shown]
	v_addc_co_u32_e32 v5, vcc, v5, v2, vcc
	s_add_u32 s90, s2, s7
	v_cmp_le_i64_e32 vcc, s[84:85], v[44:45]
	s_addc_u32 s91, s3, 0
	v_mov_b32_e32 v12, s92
	v_mov_b32_e32 v14, s90
	s_or_b64 s[88:89], vcc, s[88:89]
	v_mov_b32_e32 v9, s41
	v_mov_b32_e32 v11, s95
	;; [unrolled: 1-line block ×4, first 2 shown]
	s_andn2_b64 exec, exec, s[88:89]
	s_cbranch_execnz .LBB47_74
; %bb.75:                               ;   in Loop: Header=BB47_32 Depth=1
	s_or_b64 exec, exec, s[88:89]
.LBB47_76:                              ;   in Loop: Header=BB47_32 Depth=1
	s_or_b64 exec, exec, s[86:87]
	v_mov_b32_e32 v2, s85
	v_add_co_u32_e32 v4, vcc, s84, v0
	v_addc_co_u32_e32 v5, vcc, 0, v2, vcc
	v_cmp_gt_i64_e32 vcc, s[24:25], v[4:5]
	s_and_saveexec_b64 s[10:11], vcc
	s_cbranch_execz .LBB47_82
; %bb.77:                               ;   in Loop: Header=BB47_32 Depth=1
	v_mul_lo_u32 v2, v5, s30
	v_mul_lo_u32 v18, v4, s31
	v_mad_u64_u32 v[38:39], s[0:1], v4, s30, 0
	v_readlane_b32 s0, v59, 16
	s_mul_i32 s15, s66, s19
	v_add3_u32 v39, v39, v18, v2
	v_lshlrev_b64 v[38:39], 3, v[38:39]
	v_mov_b32_e32 v2, s0
	v_readlane_b32 s0, v59, 17
	v_add_co_u32_e32 v38, vcc, s0, v38
	v_addc_co_u32_e32 v39, vcc, v2, v39, vcc
	global_load_dwordx2 v[42:43], v[38:39], off
	v_add_co_u32_e32 v2, vcc, s19, v53
	v_addc_co_u32_e32 v18, vcc, 0, v54, vcc
	v_readlane_b32 s0, v59, 29
	v_mov_b32_e32 v38, s27
	v_subrev_co_u32_e32 v2, vcc, s26, v2
	v_readlane_b32 s1, v59, 30
	v_subb_co_u32_e32 v18, vcc, v18, v38, vcc
	v_mov_b32_e32 v39, s1
	v_mov_b32_e32 v38, s0
	v_mul_lo_u32 v18, s66, v18
	v_mul_lo_u32 v40, s67, v2
	v_mad_u64_u32 v[38:39], s[0:1], s66, v2, v[38:39]
	s_mul_i32 s0, s67, s19
	s_mul_hi_u32 s1, s66, s19
	v_add3_u32 v39, v40, v39, v18
	s_add_i32 s14, s1, s0
	s_mov_b64 s[2:3], 0
	s_branch .LBB47_79
.LBB47_78:                              ;   in Loop: Header=BB47_79 Depth=2
	s_or_b64 exec, exec, s[0:1]
	s_waitcnt vmcnt(0)
	v_cmp_o_f64_e64 s[6:7], v[42:43], v[42:43]
	v_ashrrev_i32_e32 v2, 31, v43
	v_or_b32_e32 v18, 0x80000000, v2
	v_xor_b32_e32 v18, v18, v43
	v_xor_b32_e32 v2, v2, v42
	s_and_b64 s[0:1], exec, vcc
	s_or_b64 s[2:3], s[0:1], s[2:3]
	v_cndmask_b32_e64 v43, -1, v18, s[6:7]
	v_cndmask_b32_e64 v42, -1, v2, s[6:7]
	v_and_b32_e32 v45, v43, v35
	v_and_b32_e32 v44, v42, v34
	v_lshrrev_b64 v[42:43], s55, v[42:43]
	v_cmp_eq_u64_e32 vcc, v[44:45], v[32:33]
	v_and_b32_e32 v18, 3, v42
	v_cmp_eq_u64_e64 s[6:7], 0, v[18:19]
	v_mov_b32_e32 v43, v41
	s_and_b64 s[0:1], vcc, s[6:7]
	v_cndmask_b32_e64 v2, 0, 1, s[0:1]
	v_cmp_ne_u32_e64 s[6:7], 0, v2
	s_bcnt1_i32_b64 s0, s[6:7]
	v_cmp_eq_u64_e64 s[6:7], 1, v[18:19]
	v_add_co_u32_e64 v8, s[12:13], s0, v8
	s_and_b64 s[0:1], vcc, s[6:7]
	v_cndmask_b32_e64 v2, 0, 1, s[0:1]
	v_cmp_ne_u32_e64 s[6:7], 0, v2
	s_bcnt1_i32_b64 s0, s[6:7]
	v_cmp_eq_u64_e64 s[6:7], 2, v[18:19]
	v_addc_co_u32_e64 v9, s[12:13], 0, v9, s[12:13]
	v_add_co_u32_e64 v10, s[12:13], s0, v10
	s_and_b64 s[0:1], vcc, s[6:7]
	v_cndmask_b32_e64 v2, 0, 1, s[0:1]
	v_cmp_ne_u32_e64 s[6:7], 0, v2
	s_bcnt1_i32_b64 s0, s[6:7]
	v_cmp_eq_u64_e64 s[6:7], 3, v[18:19]
	v_addc_co_u32_e64 v11, s[12:13], 0, v11, s[12:13]
	v_add_co_u32_e64 v12, s[12:13], s0, v12
	s_and_b64 s[0:1], vcc, s[6:7]
	v_cndmask_b32_e64 v2, 0, 1, s[0:1]
	v_cmp_ne_u32_e32 vcc, 0, v2
	s_bcnt1_i32_b64 s0, vcc
	v_add_co_u32_e32 v14, vcc, s0, v14
	v_addc_co_u32_e32 v15, vcc, 0, v15, vcc
	v_mov_b32_e32 v2, s14
	v_add_co_u32_e32 v38, vcc, s15, v38
	v_addc_co_u32_e64 v13, s[12:13], 0, v13, s[12:13]
	v_addc_co_u32_e32 v39, vcc, v39, v2, vcc
	v_mov_b32_e32 v42, v40
	s_andn2_b64 exec, exec, s[2:3]
	s_cbranch_execz .LBB47_81
.LBB47_79:                              ;   Parent Loop BB47_32 Depth=1
                                        ; =>  This Inner Loop Header: Depth=2
	v_add_co_u32_e32 v4, vcc, s19, v4
	v_addc_co_u32_e32 v5, vcc, 0, v5, vcc
	v_cmp_gt_i64_e64 s[6:7], s[24:25], v[4:5]
	v_cmp_le_i64_e32 vcc, s[24:25], v[4:5]
	v_mov_b32_e32 v40, 0
	v_mov_b32_e32 v41, 0
	s_and_saveexec_b64 s[0:1], s[6:7]
	s_cbranch_execz .LBB47_78
; %bb.80:                               ;   in Loop: Header=BB47_79 Depth=2
	global_load_dwordx2 v[40:41], v[38:39], off
	s_branch .LBB47_78
.LBB47_81:                              ;   in Loop: Header=BB47_32 Depth=1
	s_or_b64 exec, exec, s[2:3]
.LBB47_82:                              ;   in Loop: Header=BB47_32 Depth=1
	s_or_b64 exec, exec, s[10:11]
	s_branch .LBB47_61
.LBB47_83:                              ;   in Loop: Header=BB47_32 Depth=1
	global_load_ushort v2, v19, s[58:59]
	v_mov_b32_e32 v8, 0
	v_mov_b32_e32 v10, 0
	;; [unrolled: 1-line block ×8, first 2 shown]
	s_waitcnt vmcnt(0)
	v_readfirstlane_b32 s0, v2
	s_and_b32 s0, 0xffff, s0
	s_lshl_b32 s1, s0, 2
	v_cvt_f32_u32_e32 v4, s1
	s_sub_i32 s2, 0, s1
	v_rcp_iflag_f32_e32 v4, v4
	v_mul_f32_e32 v4, 0x4f7ffffe, v4
	v_cvt_u32_f32_e32 v4, v4
	v_readfirstlane_b32 s3, v4
	s_mul_i32 s2, s2, s3
	s_mul_hi_u32 s2, s3, s2
	s_add_i32 s3, s3, s2
	s_mul_hi_u32 s2, s20, s3
	s_mul_i32 s3, s2, s1
	s_sub_i32 s3, s20, s3
	s_add_i32 s6, s2, 1
	s_sub_i32 s7, s3, s1
	s_cmp_ge_u32 s3, s1
	s_cselect_b32 s2, s6, s2
	s_cselect_b32 s3, s7, s3
	s_add_i32 s6, s2, 1
	s_cmp_ge_u32 s3, s1
	s_cselect_b32 s2, s6, s2
	s_mul_hi_u32 s27, s0, s2
	s_mul_i32 s26, s0, s2
	s_lshl_b64 s[40:41], s[26:27], 2
	v_cmp_gt_u64_e32 vcc, s[40:41], v[22:23]
	s_and_saveexec_b64 s[84:85], vcc
	s_cbranch_execz .LBB47_87
; %bb.84:                               ;   in Loop: Header=BB47_32 Depth=1
	v_mov_b32_e32 v4, v22
	s_lshl_b32 s2, s0, 5
	s_mov_b64 s[86:87], 0
	v_mov_b32_e32 v38, v52
	s_mov_b64 s[88:89], 0
	s_mov_b64 s[90:91], 0
	;; [unrolled: 1-line block ×4, first 2 shown]
	v_mov_b32_e32 v5, v23
.LBB47_85:                              ;   Parent Loop BB47_32 Depth=1
                                        ; =>  This Inner Loop Header: Depth=2
	ds_read_b128 v[8:11], v38
	ds_read_b128 v[12:15], v38 offset:16
	v_add_u32_e32 v38, s2, v38
	s_waitcnt lgkmcnt(1)
	v_cmp_o_f64_e32 vcc, v[8:9], v[8:9]
	v_ashrrev_i32_e32 v18, 31, v9
	v_or_b32_e32 v39, 0x80000000, v18
	v_xor_b32_e32 v9, v39, v9
	v_xor_b32_e32 v8, v18, v8
	v_ashrrev_i32_e32 v18, 31, v11
	v_or_b32_e32 v39, 0x80000000, v18
	v_cndmask_b32_e32 v9, -1, v9, vcc
	v_cndmask_b32_e32 v8, -1, v8, vcc
	v_cmp_o_f64_e32 vcc, v[10:11], v[10:11]
	v_xor_b32_e32 v11, v39, v11
	v_xor_b32_e32 v10, v18, v10
	v_cndmask_b32_e32 v40, -1, v11, vcc
	v_cndmask_b32_e32 v39, -1, v10, vcc
	s_waitcnt lgkmcnt(0)
	v_cmp_o_f64_e32 vcc, v[12:13], v[12:13]
	v_ashrrev_i32_e32 v10, 31, v13
	v_or_b32_e32 v11, 0x80000000, v10
	v_xor_b32_e32 v11, v11, v13
	v_xor_b32_e32 v10, v10, v12
	v_cndmask_b32_e32 v13, -1, v11, vcc
	v_cndmask_b32_e32 v12, -1, v10, vcc
	v_cmp_o_f64_e32 vcc, v[14:15], v[14:15]
	v_ashrrev_i32_e32 v10, 31, v15
	v_or_b32_e32 v11, 0x80000000, v10
	v_xor_b32_e32 v11, v11, v15
	v_xor_b32_e32 v10, v10, v14
	v_and_b32_e32 v15, v9, v35
	v_and_b32_e32 v14, v8, v34
	v_lshrrev_b64 v[8:9], s55, v[8:9]
	v_cndmask_b32_e32 v11, -1, v11, vcc
	v_and_b32_e32 v18, 3, v8
	v_lshrrev_b64 v[8:9], s55, v[39:40]
	v_cndmask_b32_e32 v10, -1, v10, vcc
	v_cmp_eq_u64_e32 vcc, v[14:15], v[32:33]
	v_and_b32_e32 v15, v40, v35
	v_and_b32_e32 v14, v39, v34
	v_cmp_eq_u64_e64 s[6:7], 0, v[18:19]
	v_cmp_eq_u64_e64 s[12:13], v[14:15], v[32:33]
	v_and_b32_e32 v15, v13, v35
	v_and_b32_e32 v14, v12, v34
	;; [unrolled: 1-line block ×3, first 2 shown]
	v_mov_b32_e32 v9, v19
	v_lshrrev_b64 v[12:13], s55, v[12:13]
	s_and_b64 s[10:11], vcc, s[6:7]
	v_cmp_eq_u64_e64 s[6:7], 0, v[8:9]
	v_cmp_eq_u64_e64 s[14:15], v[14:15], v[32:33]
	v_and_b32_e32 v15, v11, v35
	v_and_b32_e32 v14, v10, v34
	;; [unrolled: 1-line block ×3, first 2 shown]
	v_mov_b32_e32 v13, v19
	v_lshrrev_b64 v[10:11], s55, v[10:11]
	s_and_b64 s[36:37], s[12:13], s[6:7]
	v_cmp_eq_u64_e64 s[6:7], 0, v[12:13]
	v_and_b32_e32 v10, 3, v10
	v_mov_b32_e32 v11, v19
	v_cmp_eq_u64_e64 s[16:17], v[14:15], v[32:33]
	s_and_b64 s[42:43], s[14:15], s[6:7]
	v_cmp_eq_u64_e64 s[6:7], 0, v[10:11]
	v_cndmask_b32_e64 v14, 0, 1, s[10:11]
	s_and_b64 s[44:45], s[16:17], s[6:7]
	v_cmp_ne_u32_e64 s[6:7], 0, v14
	v_cndmask_b32_e64 v14, 0, 1, s[36:37]
	s_bcnt1_i32_b64 s3, s[6:7]
	v_cmp_ne_u32_e64 s[6:7], 0, v14
	v_cndmask_b32_e64 v14, 0, 1, s[42:43]
	s_bcnt1_i32_b64 s10, s[6:7]
	;; [unrolled: 3-line block ×3, first 2 shown]
	v_cmp_ne_u32_e64 s[6:7], 0, v14
	s_bcnt1_i32_b64 s6, s[6:7]
	s_add_u32 s3, s3, s94
	s_addc_u32 s7, 0, s95
	s_add_u32 s3, s3, s10
	s_addc_u32 s7, s7, 0
	;; [unrolled: 2-line block ×4, first 2 shown]
	v_cmp_eq_u64_e64 s[6:7], 1, v[18:19]
	s_and_b64 s[10:11], vcc, s[6:7]
	v_cmp_eq_u64_e64 s[6:7], 1, v[8:9]
	v_cndmask_b32_e64 v14, 0, 1, s[10:11]
	s_and_b64 s[36:37], s[12:13], s[6:7]
	v_cmp_eq_u64_e64 s[6:7], 1, v[12:13]
	s_and_b64 s[42:43], s[14:15], s[6:7]
	v_cmp_eq_u64_e64 s[6:7], 1, v[10:11]
	s_and_b64 s[44:45], s[16:17], s[6:7]
	v_cmp_ne_u32_e64 s[6:7], 0, v14
	v_cndmask_b32_e64 v14, 0, 1, s[36:37]
	s_bcnt1_i32_b64 s3, s[6:7]
	v_cmp_ne_u32_e64 s[6:7], 0, v14
	v_cndmask_b32_e64 v14, 0, 1, s[42:43]
	s_bcnt1_i32_b64 s10, s[6:7]
	;; [unrolled: 3-line block ×3, first 2 shown]
	v_cmp_ne_u32_e64 s[6:7], 0, v14
	s_bcnt1_i32_b64 s6, s[6:7]
	s_add_u32 s3, s3, s92
	s_addc_u32 s7, 0, s93
	s_add_u32 s3, s3, s10
	s_addc_u32 s7, s7, 0
	;; [unrolled: 2-line block ×4, first 2 shown]
	v_cmp_eq_u64_e64 s[6:7], 2, v[18:19]
	s_and_b64 s[10:11], vcc, s[6:7]
	v_cmp_eq_u64_e64 s[6:7], 2, v[8:9]
	v_cndmask_b32_e64 v14, 0, 1, s[10:11]
	s_and_b64 s[36:37], s[12:13], s[6:7]
	v_cmp_eq_u64_e64 s[6:7], 2, v[12:13]
	s_and_b64 s[42:43], s[14:15], s[6:7]
	v_cmp_eq_u64_e64 s[6:7], 2, v[10:11]
	s_and_b64 s[44:45], s[16:17], s[6:7]
	v_cmp_ne_u32_e64 s[6:7], 0, v14
	v_cndmask_b32_e64 v14, 0, 1, s[36:37]
	s_bcnt1_i32_b64 s3, s[6:7]
	v_cmp_ne_u32_e64 s[6:7], 0, v14
	v_cndmask_b32_e64 v14, 0, 1, s[42:43]
	s_bcnt1_i32_b64 s10, s[6:7]
	;; [unrolled: 3-line block ×3, first 2 shown]
	v_cmp_ne_u32_e64 s[6:7], 0, v14
	s_bcnt1_i32_b64 s6, s[6:7]
	s_add_u32 s3, s3, s90
	s_addc_u32 s7, 0, s91
	s_add_u32 s3, s3, s10
	s_addc_u32 s7, s7, 0
	;; [unrolled: 2-line block ×4, first 2 shown]
	v_cmp_eq_u64_e64 s[6:7], 3, v[18:19]
	s_and_b64 s[6:7], vcc, s[6:7]
	v_cmp_eq_u64_e32 vcc, 3, v[8:9]
	v_cndmask_b32_e64 v8, 0, 1, s[6:7]
	s_and_b64 s[10:11], s[12:13], vcc
	v_cmp_eq_u64_e32 vcc, 3, v[12:13]
	v_mov_b32_e32 v12, s90
	s_and_b64 s[12:13], s[14:15], vcc
	v_cmp_eq_u64_e32 vcc, 3, v[10:11]
	v_mov_b32_e32 v10, s92
	s_and_b64 s[14:15], s[16:17], vcc
	v_cmp_ne_u32_e32 vcc, 0, v8
	v_cndmask_b32_e64 v8, 0, 1, s[10:11]
	s_bcnt1_i32_b64 s3, vcc
	v_cmp_ne_u32_e32 vcc, 0, v8
	v_cndmask_b32_e64 v8, 0, 1, s[12:13]
	s_bcnt1_i32_b64 s6, vcc
	;; [unrolled: 3-line block ×3, first 2 shown]
	v_cmp_ne_u32_e32 vcc, 0, v8
	s_bcnt1_i32_b64 s10, vcc
	s_add_u32 s3, s3, s88
	s_addc_u32 s11, 0, s89
	s_add_u32 s3, s3, s6
	s_addc_u32 s6, s11, 0
	s_add_u32 s3, s3, s7
	v_add_co_u32_e32 v4, vcc, s1, v4
	s_addc_u32 s6, s6, 0
	v_addc_co_u32_e32 v5, vcc, 0, v5, vcc
	s_add_u32 s88, s3, s10
	v_cmp_le_u64_e32 vcc, s[40:41], v[4:5]
	s_addc_u32 s89, s6, 0
	v_mov_b32_e32 v8, s94
	v_mov_b32_e32 v14, s88
	s_or_b64 s[86:87], vcc, s[86:87]
	v_mov_b32_e32 v9, s95
	v_mov_b32_e32 v11, s93
	;; [unrolled: 1-line block ×4, first 2 shown]
	s_andn2_b64 exec, exec, s[86:87]
	s_cbranch_execnz .LBB47_85
; %bb.86:                               ;   in Loop: Header=BB47_32 Depth=1
	s_or_b64 exec, exec, s[86:87]
.LBB47_87:                              ;   in Loop: Header=BB47_32 Depth=1
	s_or_b64 exec, exec, s[84:85]
	v_mov_b32_e32 v5, s41
	v_add_co_u32_e32 v4, vcc, s40, v0
	s_and_b32 s46, s20, 0x7fffffff
	v_addc_co_u32_e32 v5, vcc, 0, v5, vcc
	v_cmp_gt_u64_e32 vcc, s[46:47], v[4:5]
	s_and_saveexec_b64 s[2:3], vcc
	s_cbranch_execz .LBB47_91
; %bb.88:                               ;   in Loop: Header=BB47_32 Depth=1
	v_lshl_add_u32 v38, s26, 5, v47
	s_lshl_b32 s0, s0, 3
	s_mov_b64 s[10:11], 0
.LBB47_89:                              ;   Parent Loop BB47_32 Depth=1
                                        ; =>  This Inner Loop Header: Depth=2
	ds_read_b64 v[39:40], v38
	v_add_co_u32_sdwa v4, vcc, v4, v2 dst_sel:DWORD dst_unused:UNUSED_PAD src0_sel:DWORD src1_sel:WORD_0
	v_addc_co_u32_e32 v5, vcc, 0, v5, vcc
	s_waitcnt lgkmcnt(0)
	v_cmp_o_f64_e64 s[6:7], v[39:40], v[39:40]
	v_ashrrev_i32_e32 v18, 31, v40
	v_or_b32_e32 v41, 0x80000000, v18
	v_xor_b32_e32 v18, v18, v39
	v_xor_b32_e32 v41, v41, v40
	v_cmp_le_u64_e32 vcc, s[46:47], v[4:5]
	v_add_u32_e32 v38, s0, v38
	v_cndmask_b32_e64 v40, -1, v41, s[6:7]
	v_cndmask_b32_e64 v39, -1, v18, s[6:7]
	v_and_b32_e32 v42, v40, v35
	v_and_b32_e32 v41, v39, v34
	v_lshrrev_b64 v[39:40], s55, v[39:40]
	v_cmp_eq_u64_e64 s[6:7], v[41:42], v[32:33]
	v_and_b32_e32 v18, 3, v39
	v_cmp_eq_u64_e64 s[12:13], 0, v[18:19]
	v_cmp_eq_u64_e64 s[14:15], 1, v[18:19]
	;; [unrolled: 1-line block ×4, first 2 shown]
	s_and_b64 s[12:13], s[6:7], s[12:13]
	v_cndmask_b32_e64 v18, 0, 1, s[12:13]
	s_and_b64 s[12:13], s[6:7], s[14:15]
	v_cndmask_b32_e64 v39, 0, 1, s[12:13]
	s_and_b64 s[12:13], s[6:7], s[16:17]
	s_and_b64 s[6:7], s[6:7], s[20:21]
	v_cndmask_b32_e64 v41, 0, 1, s[6:7]
	v_cmp_ne_u32_e64 s[6:7], 0, v18
	s_bcnt1_i32_b64 s1, s[6:7]
	v_cndmask_b32_e64 v40, 0, 1, s[12:13]
	v_cmp_ne_u32_e64 s[12:13], 0, v39
	v_add_co_u32_e64 v8, s[6:7], s1, v8
	s_bcnt1_i32_b64 s12, s[12:13]
	v_addc_co_u32_e64 v9, s[6:7], 0, v9, s[6:7]
	v_cmp_ne_u32_e64 s[14:15], 0, v40
	v_cmp_ne_u32_e64 s[16:17], 0, v41
	v_add_co_u32_e64 v10, s[6:7], s12, v10
	s_bcnt1_i32_b64 s13, s[14:15]
	s_bcnt1_i32_b64 s14, s[16:17]
	v_addc_co_u32_e64 v11, s[6:7], 0, v11, s[6:7]
	v_add_co_u32_e64 v12, s[6:7], s13, v12
	s_or_b64 s[10:11], vcc, s[10:11]
	v_add_co_u32_e32 v14, vcc, s14, v14
	v_addc_co_u32_e64 v13, s[6:7], 0, v13, s[6:7]
	v_addc_co_u32_e32 v15, vcc, 0, v15, vcc
	s_andn2_b64 exec, exec, s[10:11]
	s_cbranch_execnz .LBB47_89
; %bb.90:                               ;   in Loop: Header=BB47_32 Depth=1
	s_or_b64 exec, exec, s[10:11]
.LBB47_91:                              ;   in Loop: Header=BB47_32 Depth=1
	s_or_b64 exec, exec, s[2:3]
	s_lshl_b32 s2, s18, 6
	s_and_saveexec_b64 s[0:1], s[4:5]
	s_cbranch_execnz .LBB47_62
	s_branch .LBB47_63
.LBB47_92:                              ;   in Loop: Header=BB47_32 Depth=1
                                        ; implicit-def: $sgpr26_sgpr27
	s_branch .LBB47_71
.LBB47_93:                              ;   in Loop: Header=BB47_32 Depth=1
	s_or_b64 exec, exec, s[14:15]
	s_waitcnt lgkmcnt(0)
	s_barrier
	s_mov_b64 s[0:1], exec
	v_readlane_b32 s2, v59, 8
	v_readlane_b32 s3, v59, 9
	s_and_b64 s[2:3], s[0:1], s[2:3]
	s_mov_b64 exec, s[2:3]
	s_cbranch_execz .LBB47_95
; %bb.94:                               ;   in Loop: Header=BB47_32 Depth=1
	ds_read_b32 v4, v19 offset:5136
	s_waitcnt lgkmcnt(0)
	v_ashrrev_i32_e32 v5, 31, v4
	ds_write_b64 v19, v[4:5] offset:5120
.LBB47_95:                              ;   in Loop: Header=BB47_32 Depth=1
	s_or_b64 exec, exec, s[0:1]
	s_waitcnt lgkmcnt(0)
	s_barrier
	s_mov_b64 s[0:1], -1
	s_and_b64 vcc, exec, s[10:11]
	s_cbranch_vccnz .LBB47_48
	s_branch .LBB47_57
.LBB47_96:                              ;   in Loop: Header=BB47_32 Depth=1
	v_mov_b32_e32 v4, 0
	v_mov_b32_e32 v5, 0
	s_mov_b32 s0, 0
.LBB47_97:                              ;   in Loop: Header=BB47_32 Depth=1
	v_readlane_b32 s10, v59, 27
	v_readlane_b32 s11, v59, 28
	s_andn2_b64 vcc, exec, s[10:11]
	s_cbranch_vccnz .LBB47_100
; %bb.98:                               ;   in Loop: Header=BB47_32 Depth=1
	s_lshl_b32 s1, s18, 9
	s_lshl_b32 s0, s0, 5
	s_add_i32 s1, s1, s0
	v_add_u32_e32 v2, s1, v55
	v_readlane_b32 s0, v59, 26
.LBB47_99:                              ;   Parent Loop BB47_32 Depth=1
                                        ; =>  This Inner Loop Header: Depth=2
	ds_read_b64 v[8:9], v2
	s_add_i32 s0, s0, -1
	v_add_u32_e32 v2, 32, v2
	s_cmp_lg_u32 s0, 0
	s_waitcnt lgkmcnt(0)
	v_add_co_u32_e32 v4, vcc, v8, v4
	v_addc_co_u32_e32 v5, vcc, v9, v5, vcc
	s_cbranch_scc1 .LBB47_99
.LBB47_100:                             ;   in Loop: Header=BB47_32 Depth=1
	v_add_lshl_u32 v2, s2, v46, 3
	ds_write_b64 v2, v[4:5] offset:3072
.LBB47_101:                             ;   in Loop: Header=BB47_32 Depth=1
	s_or_b64 exec, exec, s[6:7]
	s_lshl_b32 s0, s2, 3
	v_mov_b32_e32 v2, s0
	s_waitcnt lgkmcnt(0)
	s_barrier
	ds_read_b128 v[12:15], v2 offset:3088
	ds_read_b128 v[8:11], v2 offset:3072
	v_cmp_eq_u64_e64 s[6:7], 1, v[36:37]
	s_lshl_b64 s[14:15], 3, s55
	s_not_b64 s[86:87], s[14:15]
	s_waitcnt lgkmcnt(1)
	v_readfirstlane_b32 s84, v12
	s_waitcnt lgkmcnt(0)
	v_cmp_eq_u64_e32 vcc, 1, v[8:9]
	v_readfirstlane_b32 s85, v13
	v_readfirstlane_b32 s12, v14
	;; [unrolled: 1-line block ×3, first 2 shown]
	s_and_b64 s[20:21], vcc, s[6:7]
	s_mov_b64 s[6:7], -1
	s_mov_b64 s[0:1], -1
                                        ; implicit-def: $sgpr36_sgpr37
                                        ; implicit-def: $sgpr10_sgpr11
	s_and_saveexec_b64 s[16:17], s[20:21]
	s_cbranch_execz .LBB47_135
; %bb.102:                              ;   in Loop: Header=BB47_32 Depth=1
	ds_read_b64 v[4:5], v19 offset:5120
	s_waitcnt lgkmcnt(0)
	s_barrier
	v_readfirstlane_b32 s26, v4
	v_readfirstlane_b32 s27, v5
	s_mov_b64 s[0:1], exec
	v_readlane_b32 s2, v59, 10
	v_readlane_b32 s3, v59, 11
	s_and_b64 s[2:3], s[0:1], s[2:3]
	s_mov_b64 exec, s[2:3]
; %bb.103:                              ;   in Loop: Header=BB47_32 Depth=1
	v_mov_b32_e32 v18, v19
	ds_write_b64 v56, v[18:19]
; %bb.104:                              ;   in Loop: Header=BB47_32 Depth=1
	s_or_b64 exec, exec, s[0:1]
	v_cmp_lt_i64_e64 s[0:1], s[26:27], 1
	v_and_b32_e32 v33, s87, v33
	v_and_b32_e32 v32, s86, v32
	v_or_b32_e32 v35, s15, v35
	v_or_b32_e32 v34, s14, v34
	s_mov_b64 s[10:11], -1
	s_mov_b64 s[36:37], 0
	s_and_b64 vcc, exec, s[0:1]
	s_mov_b64 s[40:41], 0
	s_mov_b64 s[2:3], -1
	s_waitcnt lgkmcnt(0)
	s_barrier
                                        ; implicit-def: $vgpr6_vgpr7
	s_cbranch_vccz .LBB47_119
; %bb.105:                              ;   in Loop: Header=BB47_32 Depth=1
	s_mov_b32 s56, s47
	s_cmp_lg_u64 s[56:57], 0
	s_cbranch_scc0 .LBB47_162
; %bb.106:                              ;   in Loop: Header=BB47_32 Depth=1
	s_add_u32 s0, s33, 0
	s_addc_u32 s1, 0, 0
	s_xor_b64 s[2:3], s[0:1], 0
	v_cvt_f32_u32_e32 v2, s2
	v_cvt_f32_u32_e32 v4, s3
	s_sub_u32 s19, 0, s2
	s_subb_u32 s40, 0, s3
	v_mac_f32_e32 v2, 0x4f800000, v4
	v_rcp_f32_e32 v2, v2
	v_mul_f32_e32 v2, 0x5f7ffffc, v2
	v_mul_f32_e32 v4, 0x2f800000, v2
	v_trunc_f32_e32 v4, v4
	v_mac_f32_e32 v2, 0xcf800000, v4
	v_cvt_u32_f32_e32 v4, v4
	v_cvt_u32_f32_e32 v2, v2
	v_readfirstlane_b32 s41, v4
	v_readfirstlane_b32 s0, v2
	s_mul_i32 s1, s19, s41
	s_mul_hi_u32 s43, s19, s0
	s_mul_i32 s42, s40, s0
	s_add_i32 s1, s43, s1
	s_mul_i32 s44, s19, s0
	s_add_i32 s1, s1, s42
	s_mul_i32 s43, s0, s1
	s_mul_hi_u32 s45, s0, s44
	s_mul_hi_u32 s42, s0, s1
	s_add_u32 s43, s45, s43
	s_addc_u32 s42, 0, s42
	s_mul_hi_u32 s46, s41, s44
	s_mul_i32 s44, s41, s44
	s_add_u32 s43, s43, s44
	s_mul_hi_u32 s45, s41, s1
	s_addc_u32 s42, s42, s46
	s_addc_u32 s43, s45, 0
	s_mul_i32 s1, s41, s1
	s_add_u32 s1, s42, s1
	s_addc_u32 s42, 0, s43
	s_add_u32 s43, s0, s1
	s_cselect_b64 s[0:1], -1, 0
	s_cmp_lg_u64 s[0:1], 0
	s_addc_u32 s41, s41, s42
	s_mul_i32 s0, s19, s41
	s_mul_hi_u32 s1, s19, s43
	s_add_i32 s0, s1, s0
	s_mul_i32 s40, s40, s43
	s_add_i32 s0, s0, s40
	s_mul_i32 s19, s19, s43
	s_mul_hi_u32 s40, s41, s19
	s_mul_i32 s42, s41, s19
	s_mul_i32 s45, s43, s0
	s_mul_hi_u32 s19, s43, s19
	s_mul_hi_u32 s44, s43, s0
	s_add_u32 s19, s19, s45
	s_addc_u32 s44, 0, s44
	s_add_u32 s19, s19, s42
	s_mul_hi_u32 s1, s41, s0
	s_addc_u32 s19, s44, s40
	s_addc_u32 s1, s1, 0
	s_mul_i32 s0, s41, s0
	s_add_u32 s0, s19, s0
	s_addc_u32 s19, 0, s1
	s_add_u32 s42, s43, s0
	s_cselect_b64 s[0:1], -1, 0
	s_cmp_lg_u64 s[0:1], 0
	s_addc_u32 s19, s41, s19
	s_ashr_i32 s40, s57, 31
	s_add_u32 s0, s8, s40
	s_mov_b32 s41, s40
	s_addc_u32 s1, s57, s40
	s_xor_b64 s[0:1], s[0:1], s[40:41]
	s_mul_i32 s44, s0, s19
	s_mul_hi_u32 s45, s0, s42
	s_mul_hi_u32 s43, s0, s19
	s_add_u32 s44, s45, s44
	s_addc_u32 s43, 0, s43
	s_mul_hi_u32 s46, s1, s42
	s_mul_i32 s42, s1, s42
	s_add_u32 s42, s44, s42
	s_mul_hi_u32 s45, s1, s19
	s_addc_u32 s42, s43, s46
	s_addc_u32 s43, s45, 0
	s_mul_i32 s19, s1, s19
	s_add_u32 s19, s42, s19
	s_addc_u32 s42, 0, s43
	s_mul_i32 s42, s2, s42
	s_mul_hi_u32 s43, s2, s19
	s_add_i32 s42, s43, s42
	s_mul_i32 s43, s3, s19
	s_add_i32 s46, s42, s43
	s_sub_i32 s44, s1, s46
	s_mul_i32 s19, s2, s19
	s_sub_u32 s0, s0, s19
	s_cselect_b64 s[42:43], -1, 0
	s_cmp_lg_u64 s[42:43], 0
	s_subb_u32 s19, s44, s3
	s_sub_u32 s56, s0, s2
	s_cselect_b64 s[44:45], -1, 0
	s_cmp_lg_u64 s[44:45], 0
	s_subb_u32 s60, s19, 0
	s_cmp_ge_u32 s60, s3
	s_cselect_b32 s61, -1, 0
	s_cmp_ge_u32 s56, s2
	s_cselect_b32 s62, -1, 0
	s_cmp_eq_u32 s60, s3
	s_cselect_b32 s61, s62, s61
	s_cmp_lg_u64 s[44:45], 0
	s_subb_u32 s19, s19, s3
	s_sub_u32 s62, s56, s2
	s_cselect_b64 s[44:45], -1, 0
	s_cmp_lg_u64 s[44:45], 0
	s_subb_u32 s19, s19, 0
	s_cmp_lg_u32 s61, 0
	s_cselect_b32 s44, s62, s56
	s_cselect_b32 s19, s19, s60
	s_cmp_lg_u64 s[42:43], 0
	s_subb_u32 s1, s1, s46
	s_cmp_ge_u32 s1, s3
	s_cselect_b32 s42, -1, 0
	s_cmp_ge_u32 s0, s2
	s_cselect_b32 s2, -1, 0
	s_cmp_eq_u32 s1, s3
	s_cselect_b32 s2, s2, s42
	s_cmp_lg_u32 s2, 0
	s_cselect_b32 s1, s19, s1
	s_cselect_b32 s0, s44, s0
	s_xor_b64 s[0:1], s[0:1], s[40:41]
	s_sub_u32 s0, s0, s40
	s_subb_u32 s1, s1, s40
	s_cbranch_execnz .LBB47_108
.LBB47_107:                             ;   in Loop: Header=BB47_32 Depth=1
	v_cvt_f32_u32_e32 v2, s33
	s_sub_i32 s0, 0, s33
	v_rcp_iflag_f32_e32 v2, v2
	v_mul_f32_e32 v2, 0x4f7ffffe, v2
	v_cvt_u32_f32_e32 v2, v2
	v_readfirstlane_b32 s1, v2
	s_mul_i32 s0, s0, s1
	s_mul_hi_u32 s0, s1, s0
	s_add_i32 s1, s1, s0
	s_mul_hi_u32 s0, s8, s1
	s_mul_i32 s0, s0, s33
	s_sub_i32 s0, s8, s0
	s_sub_i32 s1, s0, s33
	s_cmp_ge_u32 s0, s33
	s_cselect_b32 s0, s1, s0
	s_sub_i32 s1, s0, s33
	s_cmp_ge_u32 s0, s33
	s_cselect_b32 s46, s1, s0
	s_mov_b64 s[0:1], s[46:47]
.LBB47_108:                             ;   in Loop: Header=BB47_32 Depth=1
	s_sub_u32 s44, s8, s0
	s_subb_u32 s45, s57, s1
	v_cmp_gt_i64_e32 vcc, s[44:45], v[0:1]
	s_mov_b64 s[2:3], 0
	s_mov_b64 s[40:41], 0
                                        ; implicit-def: $vgpr6_vgpr7
	s_and_saveexec_b64 s[42:43], vcc
	s_cbranch_execz .LBB47_118
; %bb.109:                              ;   in Loop: Header=BB47_32 Depth=1
	v_mov_b32_e32 v12, v16
	v_mov_b32_e32 v15, v1
	;; [unrolled: 1-line block ×4, first 2 shown]
                                        ; implicit-def: $sgpr0_sgpr1
	s_branch .LBB47_113
.LBB47_110:                             ;   in Loop: Header=BB47_113 Depth=2
	s_or_b64 exec, exec, s[60:61]
	s_waitcnt lgkmcnt(0)
	s_barrier
	ds_read_b128 v[4:7], v19 offset:3072
	s_waitcnt lgkmcnt(0)
	s_barrier
	v_cmp_neq_f64_e32 vcc, 0, v[4:5]
	s_cbranch_vccnz .LBB47_116
; %bb.111:                              ;   in Loop: Header=BB47_113 Depth=2
	v_add_co_u32_e32 v14, vcc, s33, v14
	v_addc_co_u32_e32 v15, vcc, 0, v15, vcc
	v_mov_b32_e32 v2, s49
	v_add_co_u32_e32 v12, vcc, s48, v12
	v_addc_co_u32_e32 v13, vcc, v13, v2, vcc
	v_cmp_le_i64_e32 vcc, s[44:45], v[14:15]
	s_mov_b64 s[60:61], 0
	s_orn2_b64 s[62:63], vcc, exec
.LBB47_112:                             ;   in Loop: Header=BB47_113 Depth=2
	s_and_b64 s[62:63], exec, s[62:63]
	s_or_b64 s[40:41], s[62:63], s[40:41]
	s_andn2_b64 s[0:1], s[0:1], exec
	s_and_b64 s[60:61], s[60:61], exec
	s_or_b64 s[0:1], s[0:1], s[60:61]
	s_andn2_b64 exec, exec, s[40:41]
	s_cbranch_execz .LBB47_117
.LBB47_113:                             ;   Parent Loop BB47_32 Depth=1
                                        ; =>  This Inner Loop Header: Depth=2
	v_cmp_gt_i64_e32 vcc, s[24:25], v[14:15]
	s_and_saveexec_b64 s[60:61], vcc
	s_cbranch_execz .LBB47_110
; %bb.114:                              ;   in Loop: Header=BB47_113 Depth=2
	global_load_dwordx2 v[4:5], v[12:13], off
	s_waitcnt vmcnt(0)
	v_cmp_o_f64_e32 vcc, v[4:5], v[4:5]
	v_ashrrev_i32_e32 v2, 31, v5
	v_or_b32_e32 v6, 0x80000000, v2
	v_xor_b32_e32 v6, v6, v5
	v_xor_b32_e32 v2, v2, v4
	v_cndmask_b32_e32 v6, -1, v6, vcc
	v_cndmask_b32_e32 v2, -1, v2, vcc
	v_and_b32_e32 v7, v6, v35
	v_and_b32_e32 v6, v2, v34
	v_cmp_eq_u64_e32 vcc, v[6:7], v[32:33]
	s_and_b64 exec, exec, vcc
	s_cbranch_execz .LBB47_110
; %bb.115:                              ;   in Loop: Header=BB47_113 Depth=2
	v_mov_b32_e32 v2, v19
	ds_write_b128 v19, v[2:5] offset:3072
	s_branch .LBB47_110
.LBB47_116:                             ;   in Loop: Header=BB47_113 Depth=2
	s_mov_b64 s[62:63], -1
                                        ; implicit-def: $vgpr14_vgpr15
                                        ; implicit-def: $vgpr12_vgpr13
	s_mov_b64 s[60:61], -1
	s_branch .LBB47_112
.LBB47_117:                             ;   in Loop: Header=BB47_32 Depth=1
	s_or_b64 exec, exec, s[40:41]
	s_and_b64 s[40:41], s[0:1], exec
.LBB47_118:                             ;   in Loop: Header=BB47_32 Depth=1
	s_or_b64 exec, exec, s[42:43]
.LBB47_119:                             ;   in Loop: Header=BB47_32 Depth=1
	s_and_b64 vcc, exec, s[2:3]
	s_cbranch_vccz .LBB47_134
; %bb.120:                              ;   in Loop: Header=BB47_32 Depth=1
	v_readlane_b32 s0, v59, 22
	s_add_u32 s19, s26, s0
	v_readlane_b32 s0, v59, 23
	s_addc_u32 s11, s27, s0
	s_mov_b32 s10, s47
	s_cmp_lg_u64 s[10:11], 0
	s_cbranch_scc0 .LBB47_163
; %bb.121:                              ;   in Loop: Header=BB47_32 Depth=1
	s_add_u32 s0, s33, 0
	s_addc_u32 s1, 0, 0
	s_xor_b64 s[2:3], s[0:1], 0
	v_cvt_f32_u32_e32 v2, s2
	v_cvt_f32_u32_e32 v4, s3
	s_sub_u32 s10, 0, s2
	s_subb_u32 s36, 0, s3
	v_mac_f32_e32 v2, 0x4f800000, v4
	v_rcp_f32_e32 v2, v2
	v_mul_f32_e32 v2, 0x5f7ffffc, v2
	v_mul_f32_e32 v4, 0x2f800000, v2
	v_trunc_f32_e32 v4, v4
	v_mac_f32_e32 v2, 0xcf800000, v4
	v_cvt_u32_f32_e32 v4, v4
	v_cvt_u32_f32_e32 v2, v2
	v_readfirstlane_b32 s37, v4
	v_readfirstlane_b32 s0, v2
	s_mul_i32 s1, s10, s37
	s_mul_hi_u32 s43, s10, s0
	s_mul_i32 s42, s36, s0
	s_add_i32 s1, s43, s1
	s_mul_i32 s44, s10, s0
	s_add_i32 s1, s1, s42
	s_mul_i32 s43, s0, s1
	s_mul_hi_u32 s45, s0, s44
	s_mul_hi_u32 s42, s0, s1
	s_add_u32 s43, s45, s43
	s_addc_u32 s42, 0, s42
	s_mul_hi_u32 s46, s37, s44
	s_mul_i32 s44, s37, s44
	s_add_u32 s43, s43, s44
	s_mul_hi_u32 s45, s37, s1
	s_addc_u32 s42, s42, s46
	s_addc_u32 s43, s45, 0
	s_mul_i32 s1, s37, s1
	s_add_u32 s1, s42, s1
	s_addc_u32 s42, 0, s43
	s_add_u32 s43, s0, s1
	s_cselect_b64 s[0:1], -1, 0
	s_cmp_lg_u64 s[0:1], 0
	s_addc_u32 s37, s37, s42
	s_mul_i32 s0, s10, s37
	s_mul_hi_u32 s1, s10, s43
	s_add_i32 s0, s1, s0
	s_mul_i32 s36, s36, s43
	s_add_i32 s0, s0, s36
	s_mul_i32 s10, s10, s43
	s_mul_hi_u32 s36, s37, s10
	s_mul_i32 s42, s37, s10
	s_mul_i32 s45, s43, s0
	s_mul_hi_u32 s10, s43, s10
	s_mul_hi_u32 s44, s43, s0
	s_add_u32 s10, s10, s45
	s_addc_u32 s44, 0, s44
	s_add_u32 s10, s10, s42
	s_mul_hi_u32 s1, s37, s0
	s_addc_u32 s10, s44, s36
	s_addc_u32 s1, s1, 0
	s_mul_i32 s0, s37, s0
	s_add_u32 s0, s10, s0
	s_addc_u32 s10, 0, s1
	s_add_u32 s42, s43, s0
	s_cselect_b64 s[0:1], -1, 0
	s_cmp_lg_u64 s[0:1], 0
	s_addc_u32 s10, s37, s10
	s_ashr_i32 s36, s11, 31
	s_add_u32 s0, s19, s36
	s_mov_b32 s37, s36
	s_addc_u32 s1, s11, s36
	s_xor_b64 s[0:1], s[0:1], s[36:37]
	s_mul_i32 s44, s0, s10
	s_mul_hi_u32 s45, s0, s42
	s_mul_hi_u32 s43, s0, s10
	s_add_u32 s44, s45, s44
	s_addc_u32 s43, 0, s43
	s_mul_hi_u32 s46, s1, s42
	s_mul_i32 s42, s1, s42
	s_add_u32 s42, s44, s42
	s_mul_hi_u32 s45, s1, s10
	s_addc_u32 s42, s43, s46
	s_addc_u32 s43, s45, 0
	s_mul_i32 s10, s1, s10
	s_add_u32 s10, s42, s10
	s_addc_u32 s42, 0, s43
	s_mul_i32 s42, s2, s42
	s_mul_hi_u32 s43, s2, s10
	s_add_i32 s42, s43, s42
	s_mul_i32 s43, s3, s10
	s_add_i32 s46, s42, s43
	s_sub_i32 s44, s1, s46
	s_mul_i32 s10, s2, s10
	s_sub_u32 s0, s0, s10
	s_cselect_b64 s[42:43], -1, 0
	s_cmp_lg_u64 s[42:43], 0
	s_subb_u32 s10, s44, s3
	s_sub_u32 s56, s0, s2
	s_cselect_b64 s[44:45], -1, 0
	s_cmp_lg_u64 s[44:45], 0
	s_subb_u32 s60, s10, 0
	s_cmp_ge_u32 s60, s3
	s_cselect_b32 s61, -1, 0
	s_cmp_ge_u32 s56, s2
	s_cselect_b32 s62, -1, 0
	s_cmp_eq_u32 s60, s3
	s_cselect_b32 s61, s62, s61
	s_cmp_lg_u64 s[44:45], 0
	s_subb_u32 s10, s10, s3
	s_sub_u32 s62, s56, s2
	s_cselect_b64 s[44:45], -1, 0
	s_cmp_lg_u64 s[44:45], 0
	s_subb_u32 s10, s10, 0
	s_cmp_lg_u32 s61, 0
	s_cselect_b32 s44, s62, s56
	s_cselect_b32 s10, s10, s60
	s_cmp_lg_u64 s[42:43], 0
	s_subb_u32 s1, s1, s46
	s_cmp_ge_u32 s1, s3
	s_cselect_b32 s42, -1, 0
	s_cmp_ge_u32 s0, s2
	s_cselect_b32 s2, -1, 0
	s_cmp_eq_u32 s1, s3
	s_cselect_b32 s2, s2, s42
	s_cmp_lg_u32 s2, 0
	s_cselect_b32 s1, s10, s1
	s_cselect_b32 s0, s44, s0
	s_xor_b64 s[0:1], s[0:1], s[36:37]
	s_sub_u32 s0, s0, s36
	s_subb_u32 s1, s1, s36
	s_cbranch_execnz .LBB47_123
.LBB47_122:                             ;   in Loop: Header=BB47_32 Depth=1
	v_cvt_f32_u32_e32 v2, s33
	s_sub_i32 s0, 0, s33
	v_rcp_iflag_f32_e32 v2, v2
	v_mul_f32_e32 v2, 0x4f7ffffe, v2
	v_cvt_u32_f32_e32 v2, v2
	v_readfirstlane_b32 s1, v2
	s_mul_i32 s0, s0, s1
	s_mul_hi_u32 s0, s1, s0
	s_add_i32 s1, s1, s0
	s_mul_hi_u32 s0, s19, s1
	s_mul_i32 s0, s0, s33
	s_sub_i32 s0, s19, s0
	s_sub_i32 s1, s0, s33
	s_cmp_ge_u32 s0, s33
	s_cselect_b32 s0, s1, s0
	s_sub_i32 s1, s0, s33
	s_cmp_ge_u32 s0, s33
	s_cselect_b32 s46, s1, s0
	s_mov_b64 s[0:1], s[46:47]
.LBB47_123:                             ;   in Loop: Header=BB47_32 Depth=1
	s_sub_u32 s10, s19, s0
	s_subb_u32 s11, s11, s1
	v_cmp_gt_i64_e32 vcc, s[10:11], v[0:1]
                                        ; implicit-def: $vgpr6_vgpr7
	s_and_saveexec_b64 s[2:3], vcc
	s_cbranch_execz .LBB47_133
; %bb.124:                              ;   in Loop: Header=BB47_32 Depth=1
	v_mov_b32_e32 v13, v1
	s_mov_b64 s[36:37], 0
	v_mov_b32_e32 v14, v47
	v_mov_b32_e32 v12, v0
                                        ; implicit-def: $sgpr0_sgpr1
	s_branch .LBB47_128
.LBB47_125:                             ;   in Loop: Header=BB47_128 Depth=2
	s_or_b64 exec, exec, s[42:43]
	s_waitcnt lgkmcnt(0)
	s_barrier
	ds_read_b128 v[4:7], v19 offset:3072
	s_waitcnt lgkmcnt(0)
	s_barrier
	v_cmp_neq_f64_e32 vcc, 0, v[4:5]
	s_cbranch_vccnz .LBB47_131
; %bb.126:                              ;   in Loop: Header=BB47_128 Depth=2
	v_add_co_u32_e32 v12, vcc, s33, v12
	v_addc_co_u32_e32 v13, vcc, 0, v13, vcc
	v_cmp_le_i64_e32 vcc, s[10:11], v[12:13]
	v_add_u32_e32 v14, s54, v14
	s_mov_b64 s[42:43], 0
	s_orn2_b64 s[44:45], vcc, exec
.LBB47_127:                             ;   in Loop: Header=BB47_128 Depth=2
	s_and_b64 s[44:45], exec, s[44:45]
	s_or_b64 s[36:37], s[44:45], s[36:37]
	s_andn2_b64 s[0:1], s[0:1], exec
	s_and_b64 s[42:43], s[42:43], exec
	s_or_b64 s[0:1], s[0:1], s[42:43]
	s_andn2_b64 exec, exec, s[36:37]
	s_cbranch_execz .LBB47_132
.LBB47_128:                             ;   Parent Loop BB47_32 Depth=1
                                        ; =>  This Inner Loop Header: Depth=2
	v_cmp_gt_u64_e32 vcc, s[26:27], v[12:13]
	s_and_saveexec_b64 s[42:43], vcc
	s_cbranch_execz .LBB47_125
; %bb.129:                              ;   in Loop: Header=BB47_128 Depth=2
	ds_read_b64 v[4:5], v14
	s_waitcnt lgkmcnt(0)
	v_cmp_o_f64_e32 vcc, v[4:5], v[4:5]
	v_ashrrev_i32_e32 v2, 31, v5
	v_or_b32_e32 v6, 0x80000000, v2
	v_xor_b32_e32 v6, v6, v5
	v_xor_b32_e32 v2, v2, v4
	v_cndmask_b32_e32 v6, -1, v6, vcc
	v_cndmask_b32_e32 v2, -1, v2, vcc
	v_and_b32_e32 v7, v6, v35
	v_and_b32_e32 v6, v2, v34
	v_cmp_eq_u64_e32 vcc, v[6:7], v[32:33]
	s_and_b64 exec, exec, vcc
	s_cbranch_execz .LBB47_125
; %bb.130:                              ;   in Loop: Header=BB47_128 Depth=2
	v_mov_b32_e32 v2, v19
	ds_write_b128 v19, v[2:5] offset:3072
	s_branch .LBB47_125
.LBB47_131:                             ;   in Loop: Header=BB47_128 Depth=2
	s_mov_b64 s[44:45], -1
                                        ; implicit-def: $vgpr12_vgpr13
                                        ; implicit-def: $vgpr14
	s_mov_b64 s[42:43], -1
	s_branch .LBB47_127
.LBB47_132:                             ;   in Loop: Header=BB47_32 Depth=1
	s_or_b64 exec, exec, s[36:37]
	s_andn2_b64 s[10:11], s[40:41], exec
	s_and_b64 s[0:1], s[0:1], exec
	s_or_b64 s[40:41], s[10:11], s[0:1]
.LBB47_133:                             ;   in Loop: Header=BB47_32 Depth=1
	s_or_b64 exec, exec, s[2:3]
	s_mov_b64 s[10:11], 0
	s_mov_b64 s[36:37], -1
.LBB47_134:                             ;   in Loop: Header=BB47_32 Depth=1
	s_orn2_b64 s[0:1], s[40:41], exec
.LBB47_135:                             ;   in Loop: Header=BB47_32 Depth=1
	s_or_b64 exec, exec, s[16:17]
	s_andn2_b64 s[2:3], s[82:83], exec
	s_and_b64 s[16:17], s[36:37], exec
	s_or_b64 s[82:83], s[2:3], s[16:17]
	s_andn2_b64 s[2:3], s[80:81], exec
	s_and_b64 s[10:11], s[10:11], exec
	s_andn2_b64 s[78:79], s[78:79], exec
	s_or_b64 s[80:81], s[2:3], s[10:11]
                                        ; implicit-def: $vgpr12_vgpr13
	s_and_saveexec_b64 s[16:17], s[0:1]
	s_cbranch_execz .LBB47_31
; %bb.136:                              ;   in Loop: Header=BB47_32 Depth=1
	v_mov_b32_e32 v12, 1
	s_xor_b64 s[6:7], s[20:21], -1
	v_mov_b32_e32 v38, 1
	v_mov_b32_e32 v13, 0
	s_mov_b64 s[2:3], 0
	s_and_saveexec_b64 s[0:1], s[6:7]
	s_cbranch_execz .LBB47_145
; %bb.137:                              ;   in Loop: Header=BB47_32 Depth=1
	v_cmp_le_i64_e32 vcc, v[36:37], v[8:9]
	s_and_saveexec_b64 s[2:3], vcc
	s_xor_b64 s[2:3], exec, s[2:3]
	s_cbranch_execz .LBB47_142
; %bb.138:                              ;   in Loop: Header=BB47_32 Depth=1
	ds_read_b64 v[4:5], v19 offset:5120
	v_and_b32_e32 v33, s87, v33
	v_and_b32_e32 v32, s86, v32
	v_or_b32_e32 v35, s15, v35
	v_or_b32_e32 v34, s14, v34
	s_waitcnt lgkmcnt(0)
	v_cmp_ne_u64_e32 vcc, 0, v[4:5]
	s_cbranch_vccnz .LBB47_142
; %bb.139:                              ;   in Loop: Header=BB47_32 Depth=1
	s_mov_b64 s[6:7], exec
	v_readlane_b32 s10, v59, 8
	v_readlane_b32 s11, v59, 9
	s_and_b64 s[10:11], s[6:7], s[10:11]
	s_mov_b64 exec, s[10:11]
; %bb.140:                              ;   in Loop: Header=BB47_32 Depth=1
	ds_write_b64 v19, v[8:9] offset:5128
; %bb.141:                              ;   in Loop: Header=BB47_32 Depth=1
	s_or_b64 exec, exec, s[6:7]
	s_waitcnt lgkmcnt(0)
	s_barrier
.LBB47_142:                             ;   in Loop: Header=BB47_32 Depth=1
	s_or_saveexec_b64 s[2:3], s[2:3]
	s_mov_b64 s[6:7], 0
	v_mov_b32_e32 v38, 8
	s_xor_b64 exec, exec, s[2:3]
; %bb.143:                              ;   in Loop: Header=BB47_32 Depth=1
	v_sub_co_u32_e32 v36, vcc, v36, v8
	s_mov_b64 s[6:7], exec
	v_subb_co_u32_e32 v37, vcc, v37, v9, vcc
	v_mov_b32_e32 v38, 0
; %bb.144:                              ;   in Loop: Header=BB47_32 Depth=1
	s_or_b64 exec, exec, s[2:3]
	v_mov_b32_e32 v12, v36
	s_and_b64 s[2:3], s[6:7], exec
	v_mov_b32_e32 v13, v37
.LBB47_145:                             ;   in Loop: Header=BB47_32 Depth=1
	s_or_b64 exec, exec, s[0:1]
	s_mov_b64 s[20:21], -1
	s_mov_b64 s[0:1], -1
                                        ; implicit-def: $sgpr6_sgpr7
                                        ; implicit-def: $sgpr88_sgpr89
	s_and_saveexec_b64 s[10:11], s[2:3]
	s_xor_b64 s[26:27], exec, s[10:11]
	s_cbranch_execz .LBB47_293
; %bb.146:                              ;   in Loop: Header=BB47_32 Depth=1
	v_cmp_eq_u64_e32 vcc, 1, v[10:11]
	v_cmp_eq_u64_e64 s[6:7], 1, v[12:13]
                                        ; implicit-def: $sgpr88_sgpr89
	s_and_b64 s[40:41], vcc, s[6:7]
                                        ; implicit-def: $sgpr6_sgpr7
	s_and_saveexec_b64 s[36:37], s[40:41]
	s_cbranch_execz .LBB47_182
; %bb.147:                              ;   in Loop: Header=BB47_32 Depth=1
	ds_read_b64 v[4:5], v19 offset:5120
	s_waitcnt lgkmcnt(0)
	s_barrier
	v_readfirstlane_b32 s42, v4
	v_readfirstlane_b32 s43, v5
	s_mov_b64 s[0:1], exec
	v_readlane_b32 s2, v59, 10
	v_readlane_b32 s3, v59, 11
	s_and_b64 s[2:3], s[0:1], s[2:3]
	s_mov_b64 exec, s[2:3]
; %bb.148:                              ;   in Loop: Header=BB47_32 Depth=1
	v_mov_b32_e32 v18, v19
	ds_write_b64 v56, v[18:19]
; %bb.149:                              ;   in Loop: Header=BB47_32 Depth=1
	s_or_b64 exec, exec, s[0:1]
	s_lshl_b64 s[0:1], 1, s55
	v_and_b32_e32 v2, s87, v33
	v_and_b32_e32 v4, s86, v32
	v_or_b32_e32 v33, s1, v2
	v_or_b32_e32 v32, s0, v4
	v_cmp_gt_i64_e64 s[0:1], s[42:43], 0
	v_or_b32_e32 v35, s15, v35
	v_or_b32_e32 v34, s14, v34
	s_mov_b64 s[6:7], -1
	s_mov_b64 s[88:89], 0
	s_and_b64 vcc, exec, s[0:1]
	s_mov_b64 s[10:11], 0
	s_mov_b64 s[44:45], -1
	s_waitcnt lgkmcnt(0)
	s_barrier
                                        ; implicit-def: $vgpr6_vgpr7
	s_cbranch_vccnz .LBB47_166
; %bb.150:                              ;   in Loop: Header=BB47_32 Depth=1
	s_mov_b32 s56, s47
	s_cmp_lg_u64 s[56:57], 0
	s_cbranch_scc0 .LBB47_210
; %bb.151:                              ;   in Loop: Header=BB47_32 Depth=1
	s_add_u32 s0, s33, 0
	s_addc_u32 s1, 0, 0
	s_xor_b64 s[2:3], s[0:1], 0
	v_cvt_f32_u32_e32 v2, s2
	v_cvt_f32_u32_e32 v4, s3
	s_sub_u32 s10, 0, s2
	s_subb_u32 s11, 0, s3
	v_mac_f32_e32 v2, 0x4f800000, v4
	v_rcp_f32_e32 v2, v2
	v_mul_f32_e32 v2, 0x5f7ffffc, v2
	v_mul_f32_e32 v4, 0x2f800000, v2
	v_trunc_f32_e32 v4, v4
	v_mac_f32_e32 v2, 0xcf800000, v4
	v_cvt_u32_f32_e32 v4, v4
	v_cvt_u32_f32_e32 v2, v2
	v_readfirstlane_b32 s19, v4
	v_readfirstlane_b32 s0, v2
	s_mul_i32 s1, s10, s19
	s_mul_hi_u32 s45, s10, s0
	s_mul_i32 s44, s11, s0
	s_add_i32 s1, s45, s1
	s_mul_i32 s46, s10, s0
	s_add_i32 s1, s1, s44
	s_mul_i32 s45, s0, s1
	s_mul_hi_u32 s56, s0, s46
	s_mul_hi_u32 s44, s0, s1
	s_add_u32 s45, s56, s45
	s_addc_u32 s44, 0, s44
	s_mul_hi_u32 s60, s19, s46
	s_mul_i32 s46, s19, s46
	s_add_u32 s45, s45, s46
	s_mul_hi_u32 s56, s19, s1
	s_addc_u32 s44, s44, s60
	s_addc_u32 s45, s56, 0
	s_mul_i32 s1, s19, s1
	s_add_u32 s1, s44, s1
	s_addc_u32 s44, 0, s45
	s_add_u32 s45, s0, s1
	s_cselect_b64 s[0:1], -1, 0
	s_cmp_lg_u64 s[0:1], 0
	s_addc_u32 s19, s19, s44
	s_mul_i32 s0, s10, s19
	s_mul_hi_u32 s1, s10, s45
	s_add_i32 s0, s1, s0
	s_mul_i32 s11, s11, s45
	s_add_i32 s0, s0, s11
	s_mul_i32 s10, s10, s45
	s_mul_hi_u32 s11, s19, s10
	s_mul_i32 s44, s19, s10
	s_mul_i32 s56, s45, s0
	s_mul_hi_u32 s10, s45, s10
	s_mul_hi_u32 s46, s45, s0
	s_add_u32 s10, s10, s56
	s_addc_u32 s46, 0, s46
	s_add_u32 s10, s10, s44
	s_mul_hi_u32 s1, s19, s0
	s_addc_u32 s10, s46, s11
	s_addc_u32 s1, s1, 0
	s_mul_i32 s0, s19, s0
	s_add_u32 s0, s10, s0
	s_addc_u32 s10, 0, s1
	s_add_u32 s44, s45, s0
	s_cselect_b64 s[0:1], -1, 0
	s_cmp_lg_u64 s[0:1], 0
	s_addc_u32 s19, s19, s10
	s_ashr_i32 s10, s57, 31
	s_add_u32 s0, s8, s10
	s_mov_b32 s11, s10
	s_addc_u32 s1, s57, s10
	s_xor_b64 s[0:1], s[0:1], s[10:11]
	s_mul_i32 s46, s0, s19
	s_mul_hi_u32 s56, s0, s44
	s_mul_hi_u32 s45, s0, s19
	s_add_u32 s46, s56, s46
	s_addc_u32 s45, 0, s45
	s_mul_hi_u32 s60, s1, s44
	s_mul_i32 s44, s1, s44
	s_add_u32 s44, s46, s44
	s_mul_hi_u32 s56, s1, s19
	s_addc_u32 s44, s45, s60
	s_addc_u32 s45, s56, 0
	s_mul_i32 s19, s1, s19
	s_add_u32 s19, s44, s19
	s_addc_u32 s44, 0, s45
	s_mul_i32 s44, s2, s44
	s_mul_hi_u32 s45, s2, s19
	s_add_i32 s44, s45, s44
	s_mul_i32 s45, s3, s19
	s_add_i32 s46, s44, s45
	s_sub_i32 s56, s1, s46
	s_mul_i32 s19, s2, s19
	s_sub_u32 s0, s0, s19
	s_cselect_b64 s[44:45], -1, 0
	s_cmp_lg_u64 s[44:45], 0
	s_subb_u32 s19, s56, s3
	s_sub_u32 s56, s0, s2
	s_cselect_b64 s[60:61], -1, 0
	s_cmp_lg_u64 s[60:61], 0
	s_subb_u32 s62, s19, 0
	s_cmp_ge_u32 s62, s3
	s_cselect_b32 s63, -1, 0
	s_cmp_ge_u32 s56, s2
	s_cselect_b32 s64, -1, 0
	s_cmp_eq_u32 s62, s3
	s_cselect_b32 s63, s64, s63
	s_cmp_lg_u64 s[60:61], 0
	s_subb_u32 s19, s19, s3
	s_sub_u32 s64, s56, s2
	s_cselect_b64 s[60:61], -1, 0
	s_cmp_lg_u64 s[60:61], 0
	s_subb_u32 s19, s19, 0
	s_cmp_lg_u32 s63, 0
	s_cselect_b32 s56, s64, s56
	s_cselect_b32 s19, s19, s62
	s_cmp_lg_u64 s[44:45], 0
	s_subb_u32 s1, s1, s46
	s_cmp_ge_u32 s1, s3
	s_cselect_b32 s44, -1, 0
	s_cmp_ge_u32 s0, s2
	s_cselect_b32 s2, -1, 0
	s_cmp_eq_u32 s1, s3
	s_cselect_b32 s2, s2, s44
	s_cmp_lg_u32 s2, 0
	s_cselect_b32 s1, s19, s1
	s_cselect_b32 s0, s56, s0
	s_xor_b64 s[0:1], s[0:1], s[10:11]
	s_sub_u32 s0, s0, s10
	s_subb_u32 s1, s1, s10
	s_cbranch_execnz .LBB47_153
.LBB47_152:                             ;   in Loop: Header=BB47_32 Depth=1
	v_cvt_f32_u32_e32 v2, s33
	s_sub_i32 s0, 0, s33
	v_rcp_iflag_f32_e32 v2, v2
	v_mul_f32_e32 v2, 0x4f7ffffe, v2
	v_cvt_u32_f32_e32 v2, v2
	v_readfirstlane_b32 s1, v2
	s_mul_i32 s0, s0, s1
	s_mul_hi_u32 s0, s1, s0
	s_add_i32 s1, s1, s0
	s_mul_hi_u32 s0, s8, s1
	s_mul_i32 s0, s0, s33
	s_sub_i32 s0, s8, s0
	s_sub_i32 s1, s0, s33
	s_cmp_ge_u32 s0, s33
	s_cselect_b32 s0, s1, s0
	s_sub_i32 s1, s0, s33
	s_cmp_ge_u32 s0, s33
	s_cselect_b32 s46, s1, s0
	s_mov_b64 s[0:1], s[46:47]
.LBB47_153:                             ;   in Loop: Header=BB47_32 Depth=1
	s_sub_u32 s60, s8, s0
	s_subb_u32 s61, s57, s1
	v_cmp_gt_i64_e32 vcc, s[60:61], v[0:1]
	s_mov_b64 s[44:45], 0
	s_mov_b64 s[10:11], 0
                                        ; implicit-def: $vgpr6_vgpr7
	s_and_saveexec_b64 s[2:3], vcc
	s_cbranch_execz .LBB47_165
; %bb.154:                              ;   in Loop: Header=BB47_32 Depth=1
	v_mov_b32_e32 v8, v16
	v_mov_b32_e32 v15, v1
	;; [unrolled: 1-line block ×4, first 2 shown]
                                        ; implicit-def: $sgpr62_sgpr63
	s_branch .LBB47_158
.LBB47_155:                             ;   in Loop: Header=BB47_158 Depth=2
	s_or_b64 exec, exec, s[0:1]
	s_waitcnt lgkmcnt(0)
	s_barrier
	ds_read_b128 v[4:7], v19 offset:3072
	s_waitcnt lgkmcnt(0)
	s_barrier
	v_cmp_neq_f64_e32 vcc, 0, v[4:5]
	s_cbranch_vccnz .LBB47_161
; %bb.156:                              ;   in Loop: Header=BB47_158 Depth=2
	v_add_co_u32_e32 v14, vcc, s33, v14
	v_addc_co_u32_e32 v15, vcc, 0, v15, vcc
	v_mov_b32_e32 v2, s49
	v_add_co_u32_e32 v8, vcc, s48, v8
	v_addc_co_u32_e32 v9, vcc, v9, v2, vcc
	v_cmp_le_i64_e32 vcc, s[60:61], v[14:15]
	s_mov_b64 s[0:1], 0
	s_orn2_b64 s[64:65], vcc, exec
.LBB47_157:                             ;   in Loop: Header=BB47_158 Depth=2
	s_and_b64 s[64:65], exec, s[64:65]
	s_or_b64 s[10:11], s[64:65], s[10:11]
	s_andn2_b64 s[62:63], s[62:63], exec
	s_and_b64 s[0:1], s[0:1], exec
	s_or_b64 s[62:63], s[62:63], s[0:1]
	s_andn2_b64 exec, exec, s[10:11]
	s_cbranch_execz .LBB47_164
.LBB47_158:                             ;   Parent Loop BB47_32 Depth=1
                                        ; =>  This Inner Loop Header: Depth=2
	v_cmp_gt_i64_e32 vcc, s[24:25], v[14:15]
	s_and_saveexec_b64 s[0:1], vcc
	s_cbranch_execz .LBB47_155
; %bb.159:                              ;   in Loop: Header=BB47_158 Depth=2
	global_load_dwordx2 v[4:5], v[8:9], off
	s_waitcnt vmcnt(0)
	v_cmp_o_f64_e32 vcc, v[4:5], v[4:5]
	v_ashrrev_i32_e32 v2, 31, v5
	v_or_b32_e32 v6, 0x80000000, v2
	v_xor_b32_e32 v6, v6, v5
	v_xor_b32_e32 v2, v2, v4
	v_cndmask_b32_e32 v6, -1, v6, vcc
	v_cndmask_b32_e32 v2, -1, v2, vcc
	v_and_b32_e32 v7, v6, v35
	v_and_b32_e32 v6, v2, v34
	v_cmp_eq_u64_e32 vcc, v[6:7], v[32:33]
	s_and_b64 exec, exec, vcc
	s_cbranch_execz .LBB47_155
; %bb.160:                              ;   in Loop: Header=BB47_158 Depth=2
	v_mov_b32_e32 v2, v19
	ds_write_b128 v19, v[2:5] offset:3072
	s_branch .LBB47_155
.LBB47_161:                             ;   in Loop: Header=BB47_158 Depth=2
	s_mov_b64 s[64:65], -1
                                        ; implicit-def: $vgpr14_vgpr15
                                        ; implicit-def: $vgpr8_vgpr9
	s_mov_b64 s[0:1], -1
	s_branch .LBB47_157
.LBB47_162:                             ;   in Loop: Header=BB47_32 Depth=1
                                        ; implicit-def: $sgpr0_sgpr1
	s_andn2_b64 vcc, exec, s[2:3]
	s_cbranch_vccz .LBB47_107
	s_branch .LBB47_108
.LBB47_163:                             ;   in Loop: Header=BB47_32 Depth=1
                                        ; implicit-def: $sgpr0_sgpr1
	s_branch .LBB47_122
.LBB47_164:                             ;   in Loop: Header=BB47_32 Depth=1
	s_or_b64 exec, exec, s[10:11]
	s_and_b64 s[10:11], s[62:63], exec
.LBB47_165:                             ;   in Loop: Header=BB47_32 Depth=1
	s_or_b64 exec, exec, s[2:3]
.LBB47_166:                             ;   in Loop: Header=BB47_32 Depth=1
	s_and_b64 vcc, exec, s[44:45]
	s_cbranch_vccz .LBB47_181
; %bb.167:                              ;   in Loop: Header=BB47_32 Depth=1
	v_readlane_b32 s0, v59, 22
	s_add_u32 s19, s42, s0
	v_readlane_b32 s0, v59, 23
	s_addc_u32 s7, s43, s0
	s_mov_b32 s6, s47
	s_cmp_lg_u64 s[6:7], 0
	s_cbranch_scc0 .LBB47_211
; %bb.168:                              ;   in Loop: Header=BB47_32 Depth=1
	s_add_u32 s0, s33, 0
	s_addc_u32 s1, 0, 0
	s_xor_b64 s[2:3], s[0:1], 0
	v_cvt_f32_u32_e32 v2, s2
	v_cvt_f32_u32_e32 v4, s3
	s_sub_u32 s6, 0, s2
	s_subb_u32 s44, 0, s3
	v_mac_f32_e32 v2, 0x4f800000, v4
	v_rcp_f32_e32 v2, v2
	v_mul_f32_e32 v2, 0x5f7ffffc, v2
	v_mul_f32_e32 v4, 0x2f800000, v2
	v_trunc_f32_e32 v4, v4
	v_mac_f32_e32 v2, 0xcf800000, v4
	v_cvt_u32_f32_e32 v4, v4
	v_cvt_u32_f32_e32 v2, v2
	v_readfirstlane_b32 s45, v4
	v_readfirstlane_b32 s0, v2
	s_mul_i32 s1, s6, s45
	s_mul_hi_u32 s56, s6, s0
	s_mul_i32 s46, s44, s0
	s_add_i32 s1, s56, s1
	s_mul_i32 s60, s6, s0
	s_add_i32 s1, s1, s46
	s_mul_i32 s56, s0, s1
	s_mul_hi_u32 s61, s0, s60
	s_mul_hi_u32 s46, s0, s1
	s_add_u32 s56, s61, s56
	s_addc_u32 s46, 0, s46
	s_mul_hi_u32 s62, s45, s60
	s_mul_i32 s60, s45, s60
	s_add_u32 s56, s56, s60
	s_mul_hi_u32 s61, s45, s1
	s_addc_u32 s46, s46, s62
	s_addc_u32 s56, s61, 0
	s_mul_i32 s1, s45, s1
	s_add_u32 s1, s46, s1
	s_addc_u32 s46, 0, s56
	s_add_u32 s56, s0, s1
	s_cselect_b64 s[0:1], -1, 0
	s_cmp_lg_u64 s[0:1], 0
	s_addc_u32 s45, s45, s46
	s_mul_i32 s0, s6, s45
	s_mul_hi_u32 s1, s6, s56
	s_add_i32 s0, s1, s0
	s_mul_i32 s44, s44, s56
	s_add_i32 s0, s0, s44
	s_mul_i32 s6, s6, s56
	s_mul_hi_u32 s44, s45, s6
	s_mul_i32 s46, s45, s6
	s_mul_i32 s61, s56, s0
	s_mul_hi_u32 s6, s56, s6
	s_mul_hi_u32 s60, s56, s0
	s_add_u32 s6, s6, s61
	s_addc_u32 s60, 0, s60
	s_add_u32 s6, s6, s46
	s_mul_hi_u32 s1, s45, s0
	s_addc_u32 s6, s60, s44
	s_addc_u32 s1, s1, 0
	s_mul_i32 s0, s45, s0
	s_add_u32 s0, s6, s0
	s_addc_u32 s6, 0, s1
	s_add_u32 s46, s56, s0
	s_cselect_b64 s[0:1], -1, 0
	s_cmp_lg_u64 s[0:1], 0
	s_addc_u32 s6, s45, s6
	s_ashr_i32 s44, s7, 31
	s_add_u32 s0, s19, s44
	s_mov_b32 s45, s44
	s_addc_u32 s1, s7, s44
	s_xor_b64 s[0:1], s[0:1], s[44:45]
	s_mul_i32 s60, s0, s6
	s_mul_hi_u32 s61, s0, s46
	s_mul_hi_u32 s56, s0, s6
	s_add_u32 s60, s61, s60
	s_addc_u32 s56, 0, s56
	s_mul_hi_u32 s62, s1, s46
	s_mul_i32 s46, s1, s46
	s_add_u32 s46, s60, s46
	s_mul_hi_u32 s61, s1, s6
	s_addc_u32 s46, s56, s62
	s_addc_u32 s56, s61, 0
	s_mul_i32 s6, s1, s6
	s_add_u32 s6, s46, s6
	s_addc_u32 s46, 0, s56
	s_mul_i32 s46, s2, s46
	s_mul_hi_u32 s56, s2, s6
	s_add_i32 s46, s56, s46
	s_mul_i32 s56, s3, s6
	s_add_i32 s46, s46, s56
	s_sub_i32 s56, s1, s46
	s_mul_i32 s6, s2, s6
	s_sub_u32 s0, s0, s6
	s_cselect_b64 s[60:61], -1, 0
	s_cmp_lg_u64 s[60:61], 0
	s_subb_u32 s6, s56, s3
	s_sub_u32 s56, s0, s2
	s_cselect_b64 s[62:63], -1, 0
	s_cmp_lg_u64 s[62:63], 0
	s_subb_u32 s64, s6, 0
	s_cmp_ge_u32 s64, s3
	s_cselect_b32 s65, -1, 0
	s_cmp_ge_u32 s56, s2
	s_cselect_b32 s88, -1, 0
	s_cmp_eq_u32 s64, s3
	s_cselect_b32 s65, s88, s65
	s_cmp_lg_u64 s[62:63], 0
	s_subb_u32 s6, s6, s3
	s_sub_u32 s88, s56, s2
	s_cselect_b64 s[62:63], -1, 0
	s_cmp_lg_u64 s[62:63], 0
	s_subb_u32 s6, s6, 0
	s_cmp_lg_u32 s65, 0
	s_cselect_b32 s56, s88, s56
	s_cselect_b32 s6, s6, s64
	s_cmp_lg_u64 s[60:61], 0
	s_subb_u32 s1, s1, s46
	s_cmp_ge_u32 s1, s3
	s_cselect_b32 s46, -1, 0
	s_cmp_ge_u32 s0, s2
	s_cselect_b32 s2, -1, 0
	s_cmp_eq_u32 s1, s3
	s_cselect_b32 s2, s2, s46
	s_cmp_lg_u32 s2, 0
	s_cselect_b32 s1, s6, s1
	s_cselect_b32 s0, s56, s0
	s_xor_b64 s[0:1], s[0:1], s[44:45]
	s_sub_u32 s0, s0, s44
	s_subb_u32 s1, s1, s44
	s_cbranch_execnz .LBB47_170
.LBB47_169:                             ;   in Loop: Header=BB47_32 Depth=1
	v_cvt_f32_u32_e32 v2, s33
	s_sub_i32 s0, 0, s33
	v_rcp_iflag_f32_e32 v2, v2
	v_mul_f32_e32 v2, 0x4f7ffffe, v2
	v_cvt_u32_f32_e32 v2, v2
	v_readfirstlane_b32 s1, v2
	s_mul_i32 s0, s0, s1
	s_mul_hi_u32 s0, s1, s0
	s_add_i32 s1, s1, s0
	s_mul_hi_u32 s0, s19, s1
	s_mul_i32 s0, s0, s33
	s_sub_i32 s0, s19, s0
	s_sub_i32 s1, s0, s33
	s_cmp_ge_u32 s0, s33
	s_cselect_b32 s0, s1, s0
	s_sub_i32 s1, s0, s33
	s_cmp_ge_u32 s0, s33
	s_cselect_b32 s46, s1, s0
	s_mov_b64 s[0:1], s[46:47]
.LBB47_170:                             ;   in Loop: Header=BB47_32 Depth=1
	s_sub_u32 s6, s19, s0
	s_subb_u32 s7, s7, s1
	v_cmp_gt_i64_e32 vcc, s[6:7], v[0:1]
                                        ; implicit-def: $vgpr6_vgpr7
	s_and_saveexec_b64 s[2:3], vcc
	s_cbranch_execz .LBB47_180
; %bb.171:                              ;   in Loop: Header=BB47_32 Depth=1
	v_mov_b32_e32 v9, v1
	s_mov_b64 s[0:1], 0
	v_mov_b32_e32 v14, v47
	v_mov_b32_e32 v8, v0
                                        ; implicit-def: $sgpr44_sgpr45
	s_branch .LBB47_175
.LBB47_172:                             ;   in Loop: Header=BB47_175 Depth=2
	s_or_b64 exec, exec, s[60:61]
	s_waitcnt lgkmcnt(0)
	s_barrier
	ds_read_b128 v[4:7], v19 offset:3072
	s_waitcnt lgkmcnt(0)
	s_barrier
	v_cmp_eq_f64_e32 vcc, 0, v[4:5]
	s_cbranch_vccz .LBB47_178
; %bb.173:                              ;   in Loop: Header=BB47_175 Depth=2
	v_add_co_u32_e32 v8, vcc, s33, v8
	v_addc_co_u32_e32 v9, vcc, 0, v9, vcc
	v_cmp_le_i64_e32 vcc, s[6:7], v[8:9]
	v_add_u32_e32 v14, s54, v14
	s_mov_b64 s[60:61], 0
	s_orn2_b64 s[62:63], vcc, exec
.LBB47_174:                             ;   in Loop: Header=BB47_175 Depth=2
	s_and_b64 s[62:63], exec, s[62:63]
	s_or_b64 s[0:1], s[62:63], s[0:1]
	s_andn2_b64 s[44:45], s[44:45], exec
	s_and_b64 s[60:61], s[60:61], exec
	s_or_b64 s[44:45], s[44:45], s[60:61]
	s_andn2_b64 exec, exec, s[0:1]
	s_cbranch_execz .LBB47_179
.LBB47_175:                             ;   Parent Loop BB47_32 Depth=1
                                        ; =>  This Inner Loop Header: Depth=2
	v_cmp_gt_u64_e32 vcc, s[42:43], v[8:9]
	s_and_saveexec_b64 s[60:61], vcc
	s_cbranch_execz .LBB47_172
; %bb.176:                              ;   in Loop: Header=BB47_175 Depth=2
	ds_read_b64 v[4:5], v14
	s_waitcnt lgkmcnt(0)
	v_cmp_o_f64_e32 vcc, v[4:5], v[4:5]
	v_ashrrev_i32_e32 v2, 31, v5
	v_or_b32_e32 v6, 0x80000000, v2
	v_xor_b32_e32 v6, v6, v5
	v_xor_b32_e32 v2, v2, v4
	v_cndmask_b32_e32 v6, -1, v6, vcc
	v_cndmask_b32_e32 v2, -1, v2, vcc
	v_and_b32_e32 v7, v6, v35
	v_and_b32_e32 v6, v2, v34
	v_cmp_eq_u64_e32 vcc, v[6:7], v[32:33]
	s_and_b64 exec, exec, vcc
	s_cbranch_execz .LBB47_172
; %bb.177:                              ;   in Loop: Header=BB47_175 Depth=2
	v_mov_b32_e32 v2, v19
	ds_write_b128 v19, v[2:5] offset:3072
	s_branch .LBB47_172
.LBB47_178:                             ;   in Loop: Header=BB47_175 Depth=2
	s_mov_b64 s[62:63], -1
                                        ; implicit-def: $vgpr8_vgpr9
                                        ; implicit-def: $vgpr14
	s_mov_b64 s[60:61], -1
	s_branch .LBB47_174
.LBB47_179:                             ;   in Loop: Header=BB47_32 Depth=1
	s_or_b64 exec, exec, s[0:1]
	s_andn2_b64 s[0:1], s[10:11], exec
	s_and_b64 s[6:7], s[44:45], exec
	s_or_b64 s[10:11], s[0:1], s[6:7]
.LBB47_180:                             ;   in Loop: Header=BB47_32 Depth=1
	s_or_b64 exec, exec, s[2:3]
	s_mov_b64 s[6:7], 0
	s_mov_b64 s[88:89], -1
.LBB47_181:                             ;   in Loop: Header=BB47_32 Depth=1
	s_orn2_b64 s[0:1], s[10:11], exec
.LBB47_182:                             ;   in Loop: Header=BB47_32 Depth=1
	s_or_b64 exec, exec, s[36:37]
	s_mov_b64 s[2:3], 0
	s_and_saveexec_b64 s[90:91], s[0:1]
	s_cbranch_execz .LBB47_292
; %bb.183:                              ;   in Loop: Header=BB47_32 Depth=1
	v_mov_b32_e32 v8, 1
	s_xor_b64 s[0:1], s[40:41], -1
	v_mov_b32_e32 v38, 1
	v_mov_b32_e32 v9, 0
	s_and_saveexec_b64 s[10:11], s[0:1]
	s_cbranch_execz .LBB47_193
; %bb.184:                              ;   in Loop: Header=BB47_32 Depth=1
	v_cmp_le_i64_e32 vcc, v[12:13], v[10:11]
	s_and_saveexec_b64 s[0:1], vcc
	s_xor_b64 s[0:1], exec, s[0:1]
	s_cbranch_execz .LBB47_190
; %bb.185:                              ;   in Loop: Header=BB47_32 Depth=1
	s_lshl_b64 s[2:3], 1, s55
	v_and_b32_e32 v4, s86, v32
	v_or_b32_e32 v32, s2, v4
	ds_read_b64 v[4:5], v19 offset:5120
	v_and_b32_e32 v2, s87, v33
	v_or_b32_e32 v33, s3, v2
	v_or_b32_e32 v35, s15, v35
	;; [unrolled: 1-line block ×3, first 2 shown]
	s_waitcnt lgkmcnt(0)
	v_cmp_ne_u64_e32 vcc, 0, v[4:5]
	s_cbranch_vccnz .LBB47_189
; %bb.186:                              ;   in Loop: Header=BB47_32 Depth=1
	s_mov_b64 s[2:3], exec
	v_readlane_b32 s36, v59, 8
	v_readlane_b32 s37, v59, 9
	s_and_b64 s[36:37], s[2:3], s[36:37]
	s_mov_b64 exec, s[36:37]
; %bb.187:                              ;   in Loop: Header=BB47_32 Depth=1
	ds_write_b64 v19, v[10:11] offset:5128
; %bb.188:                              ;   in Loop: Header=BB47_32 Depth=1
	s_or_b64 exec, exec, s[2:3]
	s_waitcnt lgkmcnt(0)
	s_barrier
.LBB47_189:                             ;   in Loop: Header=BB47_32 Depth=1
                                        ; implicit-def: $vgpr8_vgpr9_vgpr10_vgpr11
.LBB47_190:                             ;   in Loop: Header=BB47_32 Depth=1
	s_or_saveexec_b64 s[0:1], s[0:1]
	s_mov_b64 s[2:3], 0
	v_mov_b32_e32 v38, 8
	s_xor_b64 exec, exec, s[0:1]
; %bb.191:                              ;   in Loop: Header=BB47_32 Depth=1
	v_sub_co_u32_e32 v12, vcc, v12, v10
	v_subb_co_u32_e32 v13, vcc, v13, v11, vcc
	v_mov_b32_e32 v38, 0
	s_mov_b64 s[2:3], exec
; %bb.192:                              ;   in Loop: Header=BB47_32 Depth=1
	s_or_b64 exec, exec, s[0:1]
	v_mov_b32_e32 v8, v12
	s_and_b64 s[2:3], s[2:3], exec
	v_mov_b32_e32 v9, v13
.LBB47_193:                             ;   in Loop: Header=BB47_32 Depth=1
	s_or_b64 exec, exec, s[10:11]
	s_mov_b64 s[0:1], -1
                                        ; implicit-def: $sgpr40_sgpr41
                                        ; implicit-def: $sgpr94_sgpr95
	s_and_saveexec_b64 s[92:93], s[2:3]
	s_cbranch_execz .LBB47_291
; %bb.194:                              ;   in Loop: Header=BB47_32 Depth=1
	s_cmp_eq_u64 s[84:85], 1
	v_cmp_eq_u64_e32 vcc, 1, v[8:9]
	s_cselect_b64 s[0:1], -1, 0
	s_and_b64 s[36:37], s[0:1], vcc
	s_mov_b64 s[0:1], -1
                                        ; implicit-def: $sgpr94_sgpr95
                                        ; implicit-def: $sgpr40_sgpr41
	s_and_saveexec_b64 s[42:43], s[36:37]
	s_cbranch_execz .LBB47_230
; %bb.195:                              ;   in Loop: Header=BB47_32 Depth=1
	ds_read_b64 v[4:5], v19 offset:5120
	s_waitcnt lgkmcnt(0)
	s_barrier
	v_readfirstlane_b32 s44, v4
	v_readfirstlane_b32 s45, v5
	s_mov_b64 s[0:1], exec
	v_readlane_b32 s2, v59, 10
	v_readlane_b32 s3, v59, 11
	s_and_b64 s[2:3], s[0:1], s[2:3]
	s_mov_b64 exec, s[2:3]
; %bb.196:                              ;   in Loop: Header=BB47_32 Depth=1
	v_mov_b32_e32 v18, v19
	ds_write_b64 v56, v[18:19]
; %bb.197:                              ;   in Loop: Header=BB47_32 Depth=1
	s_or_b64 exec, exec, s[0:1]
	s_lshl_b64 s[0:1], 2, s55
	v_and_b32_e32 v2, s87, v33
	v_and_b32_e32 v4, s86, v32
	v_or_b32_e32 v33, s1, v2
	v_or_b32_e32 v32, s0, v4
	v_cmp_gt_i64_e64 s[0:1], s[44:45], 0
	v_or_b32_e32 v35, s15, v35
	v_or_b32_e32 v34, s14, v34
	s_mov_b64 s[40:41], -1
	s_mov_b64 s[94:95], 0
	s_and_b64 vcc, exec, s[0:1]
	s_mov_b64 s[10:11], 0
	s_mov_b64 s[60:61], -1
	s_waitcnt lgkmcnt(0)
	s_barrier
                                        ; implicit-def: $vgpr6_vgpr7
	s_cbranch_vccnz .LBB47_214
; %bb.198:                              ;   in Loop: Header=BB47_32 Depth=1
	s_mov_b32 s56, s47
	s_cmp_lg_u64 s[56:57], 0
	s_cbranch_scc0 .LBB47_257
; %bb.199:                              ;   in Loop: Header=BB47_32 Depth=1
	s_add_u32 s0, s33, 0
	s_addc_u32 s1, 0, 0
	s_xor_b64 s[2:3], s[0:1], 0
	v_cvt_f32_u32_e32 v2, s2
	v_cvt_f32_u32_e32 v4, s3
	s_sub_u32 s10, 0, s2
	s_subb_u32 s11, 0, s3
	v_mac_f32_e32 v2, 0x4f800000, v4
	v_rcp_f32_e32 v2, v2
	v_mul_f32_e32 v2, 0x5f7ffffc, v2
	v_mul_f32_e32 v4, 0x2f800000, v2
	v_trunc_f32_e32 v4, v4
	v_mac_f32_e32 v2, 0xcf800000, v4
	v_cvt_u32_f32_e32 v4, v4
	v_cvt_u32_f32_e32 v2, v2
	v_readfirstlane_b32 s19, v4
	v_readfirstlane_b32 s0, v2
	s_mul_i32 s1, s10, s19
	s_mul_hi_u32 s56, s10, s0
	s_mul_i32 s46, s11, s0
	s_add_i32 s1, s56, s1
	s_mul_i32 s60, s10, s0
	s_add_i32 s1, s1, s46
	s_mul_i32 s56, s0, s1
	s_mul_hi_u32 s61, s0, s60
	s_mul_hi_u32 s46, s0, s1
	s_add_u32 s56, s61, s56
	s_addc_u32 s46, 0, s46
	s_mul_hi_u32 s62, s19, s60
	s_mul_i32 s60, s19, s60
	s_add_u32 s56, s56, s60
	s_mul_hi_u32 s61, s19, s1
	s_addc_u32 s46, s46, s62
	s_addc_u32 s56, s61, 0
	s_mul_i32 s1, s19, s1
	s_add_u32 s1, s46, s1
	s_addc_u32 s46, 0, s56
	s_add_u32 s56, s0, s1
	s_cselect_b64 s[0:1], -1, 0
	s_cmp_lg_u64 s[0:1], 0
	s_addc_u32 s19, s19, s46
	s_mul_i32 s0, s10, s19
	s_mul_hi_u32 s1, s10, s56
	s_add_i32 s0, s1, s0
	s_mul_i32 s11, s11, s56
	s_add_i32 s0, s0, s11
	s_mul_i32 s10, s10, s56
	s_mul_hi_u32 s11, s19, s10
	s_mul_i32 s46, s19, s10
	s_mul_i32 s61, s56, s0
	s_mul_hi_u32 s10, s56, s10
	s_mul_hi_u32 s60, s56, s0
	s_add_u32 s10, s10, s61
	s_addc_u32 s60, 0, s60
	s_add_u32 s10, s10, s46
	s_mul_hi_u32 s1, s19, s0
	s_addc_u32 s10, s60, s11
	s_addc_u32 s1, s1, 0
	s_mul_i32 s0, s19, s0
	s_add_u32 s0, s10, s0
	s_addc_u32 s10, 0, s1
	s_add_u32 s46, s56, s0
	s_cselect_b64 s[0:1], -1, 0
	s_cmp_lg_u64 s[0:1], 0
	s_addc_u32 s19, s19, s10
	s_ashr_i32 s10, s57, 31
	s_add_u32 s0, s8, s10
	s_mov_b32 s11, s10
	s_addc_u32 s1, s57, s10
	s_xor_b64 s[0:1], s[0:1], s[10:11]
	s_mul_i32 s60, s0, s19
	s_mul_hi_u32 s61, s0, s46
	s_mul_hi_u32 s56, s0, s19
	s_add_u32 s60, s61, s60
	s_addc_u32 s56, 0, s56
	s_mul_hi_u32 s62, s1, s46
	s_mul_i32 s46, s1, s46
	s_add_u32 s46, s60, s46
	s_mul_hi_u32 s61, s1, s19
	s_addc_u32 s46, s56, s62
	s_addc_u32 s56, s61, 0
	s_mul_i32 s19, s1, s19
	s_add_u32 s19, s46, s19
	s_addc_u32 s46, 0, s56
	s_mul_i32 s46, s2, s46
	s_mul_hi_u32 s56, s2, s19
	s_add_i32 s46, s56, s46
	s_mul_i32 s56, s3, s19
	s_add_i32 s46, s46, s56
	s_sub_i32 s56, s1, s46
	s_mul_i32 s19, s2, s19
	s_sub_u32 s0, s0, s19
	s_cselect_b64 s[60:61], -1, 0
	s_cmp_lg_u64 s[60:61], 0
	s_subb_u32 s19, s56, s3
	s_sub_u32 s56, s0, s2
	s_cselect_b64 s[62:63], -1, 0
	s_cmp_lg_u64 s[62:63], 0
	s_subb_u32 s64, s19, 0
	s_cmp_ge_u32 s64, s3
	s_cselect_b32 s65, -1, 0
	s_cmp_ge_u32 s56, s2
	s_cselect_b32 vcc_lo, -1, 0
	s_cmp_eq_u32 s64, s3
	s_cselect_b32 s65, vcc_lo, s65
	s_cmp_lg_u64 s[62:63], 0
	s_subb_u32 s19, s19, s3
	s_sub_u32 vcc_lo, s56, s2
	s_cselect_b64 s[62:63], -1, 0
	s_cmp_lg_u64 s[62:63], 0
	s_subb_u32 s19, s19, 0
	s_cmp_lg_u32 s65, 0
	s_cselect_b32 s56, vcc_lo, s56
	s_cselect_b32 s19, s19, s64
	s_cmp_lg_u64 s[60:61], 0
	s_subb_u32 s1, s1, s46
	s_cmp_ge_u32 s1, s3
	s_cselect_b32 s46, -1, 0
	s_cmp_ge_u32 s0, s2
	s_cselect_b32 s2, -1, 0
	s_cmp_eq_u32 s1, s3
	s_cselect_b32 s2, s2, s46
	s_cmp_lg_u32 s2, 0
	s_cselect_b32 s1, s19, s1
	s_cselect_b32 s0, s56, s0
	s_xor_b64 s[0:1], s[0:1], s[10:11]
	s_sub_u32 s0, s0, s10
	s_subb_u32 s1, s1, s10
	s_cbranch_execnz .LBB47_201
.LBB47_200:                             ;   in Loop: Header=BB47_32 Depth=1
	v_cvt_f32_u32_e32 v2, s33
	s_sub_i32 s0, 0, s33
	v_rcp_iflag_f32_e32 v2, v2
	v_mul_f32_e32 v2, 0x4f7ffffe, v2
	v_cvt_u32_f32_e32 v2, v2
	v_readfirstlane_b32 s1, v2
	s_mul_i32 s0, s0, s1
	s_mul_hi_u32 s0, s1, s0
	s_add_i32 s1, s1, s0
	s_mul_hi_u32 s0, s8, s1
	s_mul_i32 s0, s0, s33
	s_sub_i32 s0, s8, s0
	s_sub_i32 s1, s0, s33
	s_cmp_ge_u32 s0, s33
	s_cselect_b32 s0, s1, s0
	s_sub_i32 s1, s0, s33
	s_cmp_ge_u32 s0, s33
	s_cselect_b32 s46, s1, s0
	s_mov_b64 s[0:1], s[46:47]
.LBB47_201:                             ;   in Loop: Header=BB47_32 Depth=1
	s_sub_u32 s62, s8, s0
	s_subb_u32 s63, s57, s1
	v_cmp_gt_i64_e32 vcc, s[62:63], v[0:1]
	s_mov_b64 s[60:61], 0
	s_mov_b64 s[10:11], 0
                                        ; implicit-def: $vgpr6_vgpr7
	s_and_saveexec_b64 s[2:3], vcc
	s_cbranch_execz .LBB47_213
; %bb.202:                              ;   in Loop: Header=BB47_32 Depth=1
	v_mov_b32_e32 v10, v16
	v_mov_b32_e32 v13, v1
	;; [unrolled: 1-line block ×4, first 2 shown]
                                        ; implicit-def: $sgpr64_sgpr65
	s_branch .LBB47_206
.LBB47_203:                             ;   in Loop: Header=BB47_206 Depth=2
	s_or_b64 exec, exec, s[0:1]
	s_waitcnt lgkmcnt(0)
	s_barrier
	ds_read_b128 v[4:7], v19 offset:3072
	s_waitcnt lgkmcnt(0)
	s_barrier
	v_cmp_neq_f64_e32 vcc, 0, v[4:5]
	s_cbranch_vccnz .LBB47_209
; %bb.204:                              ;   in Loop: Header=BB47_206 Depth=2
	v_add_co_u32_e32 v12, vcc, s33, v12
	v_addc_co_u32_e32 v13, vcc, 0, v13, vcc
	v_mov_b32_e32 v2, s49
	v_add_co_u32_e32 v10, vcc, s48, v10
	v_addc_co_u32_e32 v11, vcc, v11, v2, vcc
	v_cmp_le_i64_e32 vcc, s[62:63], v[12:13]
	s_mov_b64 s[0:1], 0
	s_orn2_b64 vcc, vcc, exec
.LBB47_205:                             ;   in Loop: Header=BB47_206 Depth=2
	s_and_b64 vcc, exec, vcc
	s_or_b64 s[10:11], vcc, s[10:11]
	s_andn2_b64 s[64:65], s[64:65], exec
	s_and_b64 s[0:1], s[0:1], exec
	s_or_b64 s[64:65], s[64:65], s[0:1]
	s_andn2_b64 exec, exec, s[10:11]
	s_cbranch_execz .LBB47_212
.LBB47_206:                             ;   Parent Loop BB47_32 Depth=1
                                        ; =>  This Inner Loop Header: Depth=2
	v_cmp_gt_i64_e32 vcc, s[24:25], v[12:13]
	s_and_saveexec_b64 s[0:1], vcc
	s_cbranch_execz .LBB47_203
; %bb.207:                              ;   in Loop: Header=BB47_206 Depth=2
	global_load_dwordx2 v[4:5], v[10:11], off
	s_waitcnt vmcnt(0)
	v_cmp_o_f64_e32 vcc, v[4:5], v[4:5]
	v_ashrrev_i32_e32 v2, 31, v5
	v_or_b32_e32 v6, 0x80000000, v2
	v_xor_b32_e32 v6, v6, v5
	v_xor_b32_e32 v2, v2, v4
	v_cndmask_b32_e32 v6, -1, v6, vcc
	v_cndmask_b32_e32 v2, -1, v2, vcc
	v_and_b32_e32 v7, v6, v35
	v_and_b32_e32 v6, v2, v34
	v_cmp_eq_u64_e32 vcc, v[6:7], v[32:33]
	s_and_b64 exec, exec, vcc
	s_cbranch_execz .LBB47_203
; %bb.208:                              ;   in Loop: Header=BB47_206 Depth=2
	v_mov_b32_e32 v2, v19
	ds_write_b128 v19, v[2:5] offset:3072
	s_branch .LBB47_203
.LBB47_209:                             ;   in Loop: Header=BB47_206 Depth=2
	s_mov_b64 vcc, -1
                                        ; implicit-def: $vgpr12_vgpr13
                                        ; implicit-def: $vgpr10_vgpr11
	s_mov_b64 s[0:1], -1
	s_branch .LBB47_205
.LBB47_210:                             ;   in Loop: Header=BB47_32 Depth=1
                                        ; implicit-def: $sgpr0_sgpr1
	s_branch .LBB47_152
.LBB47_211:                             ;   in Loop: Header=BB47_32 Depth=1
                                        ; implicit-def: $sgpr0_sgpr1
	s_branch .LBB47_169
.LBB47_212:                             ;   in Loop: Header=BB47_32 Depth=1
	s_or_b64 exec, exec, s[10:11]
	s_and_b64 s[10:11], s[64:65], exec
.LBB47_213:                             ;   in Loop: Header=BB47_32 Depth=1
	s_or_b64 exec, exec, s[2:3]
.LBB47_214:                             ;   in Loop: Header=BB47_32 Depth=1
	s_and_b64 vcc, exec, s[60:61]
	s_cbranch_vccz .LBB47_229
; %bb.215:                              ;   in Loop: Header=BB47_32 Depth=1
	v_readlane_b32 s0, v59, 22
	s_add_u32 s19, s44, s0
	v_readlane_b32 s0, v59, 23
	s_addc_u32 s41, s45, s0
	s_mov_b32 s40, s47
	s_cmp_lg_u64 s[40:41], 0
	s_cbranch_scc0 .LBB47_258
; %bb.216:                              ;   in Loop: Header=BB47_32 Depth=1
	s_add_u32 s0, s33, 0
	s_addc_u32 s1, 0, 0
	s_xor_b64 s[2:3], s[0:1], 0
	v_cvt_f32_u32_e32 v2, s2
	v_cvt_f32_u32_e32 v4, s3
	s_sub_u32 s40, 0, s2
	s_subb_u32 s46, 0, s3
	v_mac_f32_e32 v2, 0x4f800000, v4
	v_rcp_f32_e32 v2, v2
	v_mul_f32_e32 v2, 0x5f7ffffc, v2
	v_mul_f32_e32 v4, 0x2f800000, v2
	v_trunc_f32_e32 v4, v4
	v_mac_f32_e32 v2, 0xcf800000, v4
	v_cvt_u32_f32_e32 v4, v4
	v_cvt_u32_f32_e32 v2, v2
	v_readfirstlane_b32 s56, v4
	v_readfirstlane_b32 s0, v2
	s_mul_i32 s1, s40, s56
	s_mul_hi_u32 s61, s40, s0
	s_mul_i32 s60, s46, s0
	s_add_i32 s1, s61, s1
	s_mul_i32 s62, s40, s0
	s_add_i32 s1, s1, s60
	s_mul_i32 s61, s0, s1
	s_mul_hi_u32 s63, s0, s62
	s_mul_hi_u32 s60, s0, s1
	s_add_u32 s61, s63, s61
	s_addc_u32 s60, 0, s60
	s_mul_hi_u32 s64, s56, s62
	s_mul_i32 s62, s56, s62
	s_add_u32 s61, s61, s62
	s_mul_hi_u32 s63, s56, s1
	s_addc_u32 s60, s60, s64
	s_addc_u32 s61, s63, 0
	s_mul_i32 s1, s56, s1
	s_add_u32 s1, s60, s1
	s_addc_u32 s60, 0, s61
	s_add_u32 s61, s0, s1
	s_cselect_b64 s[0:1], -1, 0
	s_cmp_lg_u64 s[0:1], 0
	s_addc_u32 s56, s56, s60
	s_mul_i32 s0, s40, s56
	s_mul_hi_u32 s1, s40, s61
	s_add_i32 s0, s1, s0
	s_mul_i32 s46, s46, s61
	s_add_i32 s0, s0, s46
	s_mul_i32 s40, s40, s61
	s_mul_hi_u32 s46, s56, s40
	s_mul_i32 s60, s56, s40
	s_mul_i32 s63, s61, s0
	s_mul_hi_u32 s40, s61, s40
	s_mul_hi_u32 s62, s61, s0
	s_add_u32 s40, s40, s63
	s_addc_u32 s62, 0, s62
	s_add_u32 s40, s40, s60
	s_mul_hi_u32 s1, s56, s0
	s_addc_u32 s40, s62, s46
	s_addc_u32 s1, s1, 0
	s_mul_i32 s0, s56, s0
	s_add_u32 s0, s40, s0
	s_addc_u32 s40, 0, s1
	s_add_u32 s46, s61, s0
	s_cselect_b64 s[0:1], -1, 0
	s_cmp_lg_u64 s[0:1], 0
	s_addc_u32 s40, s56, s40
	s_ashr_i32 s60, s41, 31
	s_add_u32 s0, s19, s60
	s_mov_b32 s61, s60
	s_addc_u32 s1, s41, s60
	s_xor_b64 s[0:1], s[0:1], s[60:61]
	s_mul_i32 s62, s0, s40
	s_mul_hi_u32 s63, s0, s46
	s_mul_hi_u32 s56, s0, s40
	s_add_u32 s62, s63, s62
	s_addc_u32 s56, 0, s56
	s_mul_hi_u32 s64, s1, s46
	s_mul_i32 s46, s1, s46
	s_add_u32 s46, s62, s46
	s_mul_hi_u32 s63, s1, s40
	s_addc_u32 s46, s56, s64
	s_addc_u32 s56, s63, 0
	s_mul_i32 s40, s1, s40
	s_add_u32 s40, s46, s40
	s_addc_u32 s46, 0, s56
	s_mul_i32 s46, s2, s46
	s_mul_hi_u32 s56, s2, s40
	s_add_i32 s46, s56, s46
	s_mul_i32 s56, s3, s40
	s_add_i32 s46, s46, s56
	s_sub_i32 s56, s1, s46
	s_mul_i32 s40, s2, s40
	s_sub_u32 s0, s0, s40
	s_cselect_b64 s[62:63], -1, 0
	s_cmp_lg_u64 s[62:63], 0
	s_subb_u32 s40, s56, s3
	s_sub_u32 s56, s0, s2
	s_cselect_b64 s[64:65], -1, 0
	s_cmp_lg_u64 s[64:65], 0
	s_subb_u32 s94, s40, 0
	s_cmp_ge_u32 s94, s3
	s_cselect_b32 s95, -1, 0
	s_cmp_ge_u32 s56, s2
	s_cselect_b32 vcc_lo, -1, 0
	s_cmp_eq_u32 s94, s3
	s_cselect_b32 s95, vcc_lo, s95
	s_cmp_lg_u64 s[64:65], 0
	s_subb_u32 s40, s40, s3
	s_sub_u32 vcc_lo, s56, s2
	s_cselect_b64 s[64:65], -1, 0
	s_cmp_lg_u64 s[64:65], 0
	s_subb_u32 s40, s40, 0
	s_cmp_lg_u32 s95, 0
	s_cselect_b32 s56, vcc_lo, s56
	s_cselect_b32 s40, s40, s94
	s_cmp_lg_u64 s[62:63], 0
	s_subb_u32 s1, s1, s46
	s_cmp_ge_u32 s1, s3
	s_cselect_b32 s46, -1, 0
	s_cmp_ge_u32 s0, s2
	s_cselect_b32 s2, -1, 0
	s_cmp_eq_u32 s1, s3
	s_cselect_b32 s2, s2, s46
	s_cmp_lg_u32 s2, 0
	s_cselect_b32 s1, s40, s1
	s_cselect_b32 s0, s56, s0
	s_xor_b64 s[0:1], s[0:1], s[60:61]
	s_sub_u32 s0, s0, s60
	s_subb_u32 s1, s1, s60
	s_cbranch_execnz .LBB47_218
.LBB47_217:                             ;   in Loop: Header=BB47_32 Depth=1
	v_cvt_f32_u32_e32 v2, s33
	s_sub_i32 s0, 0, s33
	v_rcp_iflag_f32_e32 v2, v2
	v_mul_f32_e32 v2, 0x4f7ffffe, v2
	v_cvt_u32_f32_e32 v2, v2
	v_readfirstlane_b32 s1, v2
	s_mul_i32 s0, s0, s1
	s_mul_hi_u32 s0, s1, s0
	s_add_i32 s1, s1, s0
	s_mul_hi_u32 s0, s19, s1
	s_mul_i32 s0, s0, s33
	s_sub_i32 s0, s19, s0
	s_sub_i32 s1, s0, s33
	s_cmp_ge_u32 s0, s33
	s_cselect_b32 s0, s1, s0
	s_sub_i32 s1, s0, s33
	s_cmp_ge_u32 s0, s33
	s_cselect_b32 s46, s1, s0
	s_mov_b64 s[0:1], s[46:47]
.LBB47_218:                             ;   in Loop: Header=BB47_32 Depth=1
	s_sub_u32 s40, s19, s0
	s_subb_u32 s41, s41, s1
	v_cmp_gt_i64_e32 vcc, s[40:41], v[0:1]
                                        ; implicit-def: $vgpr6_vgpr7
	s_and_saveexec_b64 s[2:3], vcc
	s_cbranch_execz .LBB47_228
; %bb.219:                              ;   in Loop: Header=BB47_32 Depth=1
	v_mov_b32_e32 v11, v1
	s_mov_b64 s[0:1], 0
	v_mov_b32_e32 v12, v47
	v_mov_b32_e32 v10, v0
                                        ; implicit-def: $sgpr60_sgpr61
	s_branch .LBB47_223
.LBB47_220:                             ;   in Loop: Header=BB47_223 Depth=2
	s_or_b64 exec, exec, s[62:63]
	s_waitcnt lgkmcnt(0)
	s_barrier
	ds_read_b128 v[4:7], v19 offset:3072
	s_waitcnt lgkmcnt(0)
	s_barrier
	v_cmp_eq_f64_e32 vcc, 0, v[4:5]
	s_cbranch_vccz .LBB47_226
; %bb.221:                              ;   in Loop: Header=BB47_223 Depth=2
	v_add_co_u32_e32 v10, vcc, s33, v10
	v_addc_co_u32_e32 v11, vcc, 0, v11, vcc
	v_cmp_le_i64_e32 vcc, s[40:41], v[10:11]
	v_add_u32_e32 v12, s54, v12
	s_mov_b64 s[62:63], 0
	s_orn2_b64 s[64:65], vcc, exec
.LBB47_222:                             ;   in Loop: Header=BB47_223 Depth=2
	s_and_b64 s[64:65], exec, s[64:65]
	s_or_b64 s[0:1], s[64:65], s[0:1]
	s_andn2_b64 s[60:61], s[60:61], exec
	s_and_b64 s[62:63], s[62:63], exec
	s_or_b64 s[60:61], s[60:61], s[62:63]
	s_andn2_b64 exec, exec, s[0:1]
	s_cbranch_execz .LBB47_227
.LBB47_223:                             ;   Parent Loop BB47_32 Depth=1
                                        ; =>  This Inner Loop Header: Depth=2
	v_cmp_gt_u64_e32 vcc, s[44:45], v[10:11]
	s_and_saveexec_b64 s[62:63], vcc
	s_cbranch_execz .LBB47_220
; %bb.224:                              ;   in Loop: Header=BB47_223 Depth=2
	ds_read_b64 v[4:5], v12
	s_waitcnt lgkmcnt(0)
	v_cmp_o_f64_e32 vcc, v[4:5], v[4:5]
	v_ashrrev_i32_e32 v2, 31, v5
	v_or_b32_e32 v6, 0x80000000, v2
	v_xor_b32_e32 v6, v6, v5
	v_xor_b32_e32 v2, v2, v4
	v_cndmask_b32_e32 v6, -1, v6, vcc
	v_cndmask_b32_e32 v2, -1, v2, vcc
	v_and_b32_e32 v7, v6, v35
	v_and_b32_e32 v6, v2, v34
	v_cmp_eq_u64_e32 vcc, v[6:7], v[32:33]
	s_and_b64 exec, exec, vcc
	s_cbranch_execz .LBB47_220
; %bb.225:                              ;   in Loop: Header=BB47_223 Depth=2
	v_mov_b32_e32 v2, v19
	ds_write_b128 v19, v[2:5] offset:3072
	s_branch .LBB47_220
.LBB47_226:                             ;   in Loop: Header=BB47_223 Depth=2
	s_mov_b64 s[64:65], -1
                                        ; implicit-def: $vgpr10_vgpr11
                                        ; implicit-def: $vgpr12
	s_mov_b64 s[62:63], -1
	s_branch .LBB47_222
.LBB47_227:                             ;   in Loop: Header=BB47_32 Depth=1
	s_or_b64 exec, exec, s[0:1]
	s_andn2_b64 s[0:1], s[10:11], exec
	s_and_b64 s[10:11], s[60:61], exec
	s_or_b64 s[10:11], s[0:1], s[10:11]
.LBB47_228:                             ;   in Loop: Header=BB47_32 Depth=1
	s_or_b64 exec, exec, s[2:3]
	s_mov_b64 s[40:41], 0
	s_mov_b64 s[94:95], -1
.LBB47_229:                             ;   in Loop: Header=BB47_32 Depth=1
	s_orn2_b64 s[0:1], s[10:11], exec
.LBB47_230:                             ;   in Loop: Header=BB47_32 Depth=1
	s_or_b64 exec, exec, s[42:43]
	s_mov_b64 s[2:3], 0
	s_and_saveexec_b64 s[42:43], s[0:1]
	s_cbranch_execz .LBB47_290
; %bb.231:                              ;   in Loop: Header=BB47_32 Depth=1
	v_mov_b32_e32 v10, 1
	s_xor_b64 s[0:1], s[36:37], -1
	v_mov_b32_e32 v38, 1
	v_mov_b32_e32 v11, 0
	s_and_saveexec_b64 s[10:11], s[0:1]
	s_cbranch_execz .LBB47_240
; %bb.232:                              ;   in Loop: Header=BB47_32 Depth=1
	v_cmp_ge_i64_e32 vcc, s[84:85], v[8:9]
	s_and_saveexec_b64 s[0:1], vcc
	s_xor_b64 s[0:1], exec, s[0:1]
	s_cbranch_execz .LBB47_237
; %bb.233:                              ;   in Loop: Header=BB47_32 Depth=1
	s_lshl_b64 s[2:3], 2, s55
	v_and_b32_e32 v4, s86, v32
	v_or_b32_e32 v32, s2, v4
	ds_read_b64 v[4:5], v19 offset:5120
	v_and_b32_e32 v2, s87, v33
	v_or_b32_e32 v33, s3, v2
	v_or_b32_e32 v35, s15, v35
	;; [unrolled: 1-line block ×3, first 2 shown]
	s_waitcnt lgkmcnt(0)
	v_cmp_ne_u64_e32 vcc, 0, v[4:5]
	s_cbranch_vccnz .LBB47_237
; %bb.234:                              ;   in Loop: Header=BB47_32 Depth=1
	s_mov_b64 s[2:3], exec
	v_readlane_b32 s36, v59, 8
	v_readlane_b32 s37, v59, 9
	s_and_b64 s[36:37], s[2:3], s[36:37]
	s_mov_b64 exec, s[36:37]
; %bb.235:                              ;   in Loop: Header=BB47_32 Depth=1
	v_mov_b32_e32 v4, s84
	v_mov_b32_e32 v5, s85
	ds_write_b64 v19, v[4:5] offset:5128
; %bb.236:                              ;   in Loop: Header=BB47_32 Depth=1
	s_or_b64 exec, exec, s[2:3]
	s_waitcnt lgkmcnt(0)
	s_barrier
.LBB47_237:                             ;   in Loop: Header=BB47_32 Depth=1
	s_or_saveexec_b64 s[0:1], s[0:1]
	s_mov_b64 s[2:3], 0
	v_mov_b32_e32 v38, 8
	s_xor_b64 exec, exec, s[0:1]
; %bb.238:                              ;   in Loop: Header=BB47_32 Depth=1
	v_subrev_co_u32_e32 v8, vcc, s84, v8
	v_mov_b32_e32 v2, s85
	v_subb_co_u32_e32 v9, vcc, v9, v2, vcc
	v_mov_b32_e32 v38, 0
	s_mov_b64 s[2:3], exec
; %bb.239:                              ;   in Loop: Header=BB47_32 Depth=1
	s_or_b64 exec, exec, s[0:1]
	v_mov_b32_e32 v11, v9
	s_and_b64 s[2:3], s[2:3], exec
	v_mov_b32_e32 v10, v8
.LBB47_240:                             ;   in Loop: Header=BB47_32 Depth=1
	s_or_b64 exec, exec, s[10:11]
	s_mov_b64 s[0:1], -1
                                        ; implicit-def: $sgpr60_sgpr61
                                        ; implicit-def: $sgpr10_sgpr11
	s_and_saveexec_b64 s[84:85], s[2:3]
	s_cbranch_execz .LBB47_289
; %bb.241:                              ;   in Loop: Header=BB47_32 Depth=1
	s_cmp_eq_u64 s[12:13], 1
	v_cmp_eq_u64_e32 vcc, 1, v[10:11]
	s_cselect_b64 s[0:1], -1, 0
	s_and_b64 s[86:87], s[0:1], vcc
	s_mov_b64 s[0:1], -1
                                        ; implicit-def: $sgpr60_sgpr61
                                        ; implicit-def: $sgpr10_sgpr11
	s_and_saveexec_b64 s[64:65], s[86:87]
	s_cbranch_execz .LBB47_277
; %bb.242:                              ;   in Loop: Header=BB47_32 Depth=1
	ds_read_b64 v[4:5], v19 offset:5120
	s_waitcnt lgkmcnt(0)
	s_barrier
	v_readfirstlane_b32 s44, v4
	v_readfirstlane_b32 s45, v5
	s_mov_b64 s[0:1], exec
	v_readlane_b32 s2, v59, 10
	v_readlane_b32 s3, v59, 11
	s_and_b64 s[2:3], s[0:1], s[2:3]
	s_mov_b64 exec, s[2:3]
; %bb.243:                              ;   in Loop: Header=BB47_32 Depth=1
	v_mov_b32_e32 v18, v19
	ds_write_b64 v56, v[18:19]
; %bb.244:                              ;   in Loop: Header=BB47_32 Depth=1
	s_or_b64 exec, exec, s[0:1]
	v_cmp_gt_i64_e64 s[0:1], s[44:45], 0
	v_or_b32_e32 v33, s15, v33
	v_or_b32_e32 v32, s14, v32
	;; [unrolled: 1-line block ×4, first 2 shown]
	s_mov_b64 s[10:11], -1
	s_mov_b64 s[60:61], 0
	s_and_b64 vcc, exec, s[0:1]
	s_mov_b64 s[62:63], 0
	s_mov_b64 s[2:3], -1
	v_writelane_b32 v59, s64, 31
	s_waitcnt lgkmcnt(0)
	s_barrier
                                        ; implicit-def: $vgpr6_vgpr7
	v_writelane_b32 v59, s65, 32
	s_cbranch_vccnz .LBB47_261
; %bb.245:                              ;   in Loop: Header=BB47_32 Depth=1
	s_mov_b32 s56, s47
	v_writelane_b32 v59, s86, 33
	s_cmp_lg_u64 s[56:57], 0
	v_writelane_b32 v59, s87, 34
	s_cbranch_scc0 .LBB47_296
; %bb.246:                              ;   in Loop: Header=BB47_32 Depth=1
	s_add_u32 s0, s33, 0
	s_addc_u32 s1, 0, 0
	s_xor_b64 s[2:3], s[0:1], 0
	v_cvt_f32_u32_e32 v2, s2
	v_cvt_f32_u32_e32 v4, s3
	s_sub_u32 s19, 0, s2
	s_subb_u32 s36, 0, s3
	v_mac_f32_e32 v2, 0x4f800000, v4
	v_rcp_f32_e32 v2, v2
	v_mul_f32_e32 v2, 0x5f7ffffc, v2
	v_mul_f32_e32 v4, 0x2f800000, v2
	v_trunc_f32_e32 v4, v4
	v_mac_f32_e32 v2, 0xcf800000, v4
	v_cvt_u32_f32_e32 v4, v4
	v_cvt_u32_f32_e32 v2, v2
	v_readfirstlane_b32 s37, v4
	v_readfirstlane_b32 s0, v2
	s_mul_i32 s1, s19, s37
	s_mul_hi_u32 s56, s19, s0
	s_mul_i32 s46, s36, s0
	s_add_i32 s1, s56, s1
	s_mul_i32 s62, s19, s0
	s_add_i32 s1, s1, s46
	s_mul_i32 s56, s0, s1
	s_mul_hi_u32 s63, s0, s62
	s_mul_hi_u32 s46, s0, s1
	s_add_u32 s56, s63, s56
	s_addc_u32 s46, 0, s46
	s_mul_hi_u32 s64, s37, s62
	s_mul_i32 s62, s37, s62
	s_add_u32 s56, s56, s62
	s_mul_hi_u32 s63, s37, s1
	s_addc_u32 s46, s46, s64
	s_addc_u32 s56, s63, 0
	s_mul_i32 s1, s37, s1
	s_add_u32 s1, s46, s1
	s_addc_u32 s46, 0, s56
	s_add_u32 s56, s0, s1
	s_cselect_b64 s[0:1], -1, 0
	s_cmp_lg_u64 s[0:1], 0
	s_addc_u32 s37, s37, s46
	s_mul_i32 s0, s19, s37
	s_mul_hi_u32 s1, s19, s56
	s_add_i32 s0, s1, s0
	s_mul_i32 s36, s36, s56
	s_add_i32 s0, s0, s36
	s_mul_i32 s19, s19, s56
	s_mul_hi_u32 s36, s37, s19
	s_mul_i32 s46, s37, s19
	s_mul_i32 s63, s56, s0
	s_mul_hi_u32 s19, s56, s19
	s_mul_hi_u32 s62, s56, s0
	s_add_u32 s19, s19, s63
	s_addc_u32 s62, 0, s62
	s_add_u32 s19, s19, s46
	s_mul_hi_u32 s1, s37, s0
	s_addc_u32 s19, s62, s36
	s_addc_u32 s1, s1, 0
	s_mul_i32 s0, s37, s0
	s_add_u32 s0, s19, s0
	s_addc_u32 s19, 0, s1
	s_add_u32 s46, s56, s0
	s_cselect_b64 s[0:1], -1, 0
	s_cmp_lg_u64 s[0:1], 0
	s_addc_u32 s19, s37, s19
	s_ashr_i32 s36, s57, 31
	s_add_u32 s0, s8, s36
	s_mov_b32 s37, s36
	s_addc_u32 s1, s57, s36
	s_xor_b64 s[0:1], s[0:1], s[36:37]
	s_mul_i32 s62, s0, s19
	s_mul_hi_u32 s63, s0, s46
	s_mul_hi_u32 s56, s0, s19
	s_add_u32 s62, s63, s62
	s_addc_u32 s56, 0, s56
	s_mul_hi_u32 s64, s1, s46
	s_mul_i32 s46, s1, s46
	s_add_u32 s46, s62, s46
	s_mul_hi_u32 s63, s1, s19
	s_addc_u32 s46, s56, s64
	s_addc_u32 s56, s63, 0
	s_mul_i32 s19, s1, s19
	s_add_u32 s19, s46, s19
	s_addc_u32 s46, 0, s56
	s_mul_i32 s46, s2, s46
	s_mul_hi_u32 s56, s2, s19
	s_add_i32 s46, s56, s46
	s_mul_i32 s56, s3, s19
	s_add_i32 s46, s46, s56
	s_sub_i32 s56, s1, s46
	s_mul_i32 s19, s2, s19
	s_sub_u32 s0, s0, s19
	s_cselect_b64 s[62:63], -1, 0
	s_cmp_lg_u64 s[62:63], 0
	s_subb_u32 s19, s56, s3
	s_sub_u32 s56, s0, s2
	s_cselect_b64 s[64:65], -1, 0
	s_cmp_lg_u64 s[64:65], 0
	s_subb_u32 s86, s19, 0
	s_cmp_ge_u32 s86, s3
	s_cselect_b32 s87, -1, 0
	s_cmp_ge_u32 s56, s2
	s_cselect_b32 vcc_lo, -1, 0
	s_cmp_eq_u32 s86, s3
	s_cselect_b32 s87, vcc_lo, s87
	s_cmp_lg_u64 s[64:65], 0
	s_subb_u32 s19, s19, s3
	s_sub_u32 vcc_lo, s56, s2
	s_cselect_b64 s[64:65], -1, 0
	s_cmp_lg_u64 s[64:65], 0
	s_subb_u32 s19, s19, 0
	s_cmp_lg_u32 s87, 0
	s_cselect_b32 s56, vcc_lo, s56
	s_cselect_b32 s19, s19, s86
	s_cmp_lg_u64 s[62:63], 0
	s_subb_u32 s1, s1, s46
	s_cmp_ge_u32 s1, s3
	s_cselect_b32 s46, -1, 0
	s_cmp_ge_u32 s0, s2
	s_cselect_b32 s2, -1, 0
	s_cmp_eq_u32 s1, s3
	s_cselect_b32 s2, s2, s46
	s_cmp_lg_u32 s2, 0
	s_cselect_b32 s1, s19, s1
	s_cselect_b32 s0, s56, s0
	s_xor_b64 s[0:1], s[0:1], s[36:37]
	s_sub_u32 s0, s0, s36
	s_subb_u32 s1, s1, s36
	s_cbranch_execnz .LBB47_248
.LBB47_247:                             ;   in Loop: Header=BB47_32 Depth=1
	v_cvt_f32_u32_e32 v2, s33
	s_sub_i32 s0, 0, s33
	v_rcp_iflag_f32_e32 v2, v2
	v_mul_f32_e32 v2, 0x4f7ffffe, v2
	v_cvt_u32_f32_e32 v2, v2
	v_readfirstlane_b32 s1, v2
	s_mul_i32 s0, s0, s1
	s_mul_hi_u32 s0, s1, s0
	s_add_i32 s1, s1, s0
	s_mul_hi_u32 s0, s8, s1
	s_mul_i32 s0, s0, s33
	s_sub_i32 s0, s8, s0
	s_sub_i32 s1, s0, s33
	s_cmp_ge_u32 s0, s33
	s_cselect_b32 s0, s1, s0
	s_sub_i32 s1, s0, s33
	s_cmp_ge_u32 s0, s33
	s_cselect_b32 s46, s1, s0
	s_mov_b64 s[0:1], s[46:47]
.LBB47_248:                             ;   in Loop: Header=BB47_32 Depth=1
	s_sub_u32 s64, s8, s0
	s_subb_u32 s65, s57, s1
	v_cmp_gt_i64_e32 vcc, s[64:65], v[0:1]
	s_mov_b64 s[2:3], 0
	s_mov_b64 s[62:63], 0
                                        ; implicit-def: $vgpr6_vgpr7
	s_and_saveexec_b64 s[36:37], vcc
	s_cbranch_execz .LBB47_260
; %bb.249:                              ;   in Loop: Header=BB47_32 Depth=1
	v_mov_b32_e32 v8, v16
	v_mov_b32_e32 v13, v1
	;; [unrolled: 1-line block ×4, first 2 shown]
                                        ; implicit-def: $sgpr0_sgpr1
	s_branch .LBB47_253
.LBB47_250:                             ;   in Loop: Header=BB47_253 Depth=2
	s_or_b64 exec, exec, s[86:87]
	s_waitcnt lgkmcnt(0)
	s_barrier
	ds_read_b128 v[4:7], v19 offset:3072
	s_waitcnt lgkmcnt(0)
	s_barrier
	v_cmp_neq_f64_e32 vcc, 0, v[4:5]
	s_cbranch_vccnz .LBB47_256
; %bb.251:                              ;   in Loop: Header=BB47_253 Depth=2
	v_add_co_u32_e32 v12, vcc, s33, v12
	v_addc_co_u32_e32 v13, vcc, 0, v13, vcc
	v_mov_b32_e32 v2, s49
	v_add_co_u32_e32 v8, vcc, s48, v8
	v_addc_co_u32_e32 v9, vcc, v9, v2, vcc
	v_cmp_le_i64_e32 vcc, s[64:65], v[12:13]
	s_mov_b64 s[86:87], 0
	s_orn2_b64 vcc, vcc, exec
.LBB47_252:                             ;   in Loop: Header=BB47_253 Depth=2
	s_and_b64 vcc, exec, vcc
	s_or_b64 s[62:63], vcc, s[62:63]
	s_andn2_b64 s[0:1], s[0:1], exec
	s_and_b64 s[86:87], s[86:87], exec
	s_or_b64 s[0:1], s[0:1], s[86:87]
	s_andn2_b64 exec, exec, s[62:63]
	s_cbranch_execz .LBB47_259
.LBB47_253:                             ;   Parent Loop BB47_32 Depth=1
                                        ; =>  This Inner Loop Header: Depth=2
	v_cmp_gt_i64_e32 vcc, s[24:25], v[12:13]
	s_and_saveexec_b64 s[86:87], vcc
	s_cbranch_execz .LBB47_250
; %bb.254:                              ;   in Loop: Header=BB47_253 Depth=2
	global_load_dwordx2 v[4:5], v[8:9], off
	s_waitcnt vmcnt(0)
	v_cmp_o_f64_e32 vcc, v[4:5], v[4:5]
	v_ashrrev_i32_e32 v2, 31, v5
	v_or_b32_e32 v6, 0x80000000, v2
	v_xor_b32_e32 v6, v6, v5
	v_xor_b32_e32 v2, v2, v4
	v_cndmask_b32_e32 v6, -1, v6, vcc
	v_cndmask_b32_e32 v2, -1, v2, vcc
	v_and_b32_e32 v7, v6, v35
	v_and_b32_e32 v6, v2, v34
	v_cmp_eq_u64_e32 vcc, v[6:7], v[32:33]
	s_and_b64 exec, exec, vcc
	s_cbranch_execz .LBB47_250
; %bb.255:                              ;   in Loop: Header=BB47_253 Depth=2
	v_mov_b32_e32 v2, v19
	ds_write_b128 v19, v[2:5] offset:3072
	s_branch .LBB47_250
.LBB47_256:                             ;   in Loop: Header=BB47_253 Depth=2
	s_mov_b64 vcc, -1
                                        ; implicit-def: $vgpr12_vgpr13
                                        ; implicit-def: $vgpr8_vgpr9
	s_mov_b64 s[86:87], -1
	s_branch .LBB47_252
.LBB47_257:                             ;   in Loop: Header=BB47_32 Depth=1
                                        ; implicit-def: $sgpr0_sgpr1
	s_branch .LBB47_200
.LBB47_258:                             ;   in Loop: Header=BB47_32 Depth=1
                                        ; implicit-def: $sgpr0_sgpr1
	s_branch .LBB47_217
.LBB47_259:                             ;   in Loop: Header=BB47_32 Depth=1
	s_or_b64 exec, exec, s[62:63]
	s_and_b64 s[62:63], s[0:1], exec
.LBB47_260:                             ;   in Loop: Header=BB47_32 Depth=1
	s_or_b64 exec, exec, s[36:37]
	v_readlane_b32 s86, v59, 33
	v_readlane_b32 s64, v59, 31
	;; [unrolled: 1-line block ×4, first 2 shown]
.LBB47_261:                             ;   in Loop: Header=BB47_32 Depth=1
	s_and_b64 vcc, exec, s[2:3]
	s_cbranch_vccz .LBB47_276
; %bb.262:                              ;   in Loop: Header=BB47_32 Depth=1
	v_readlane_b32 s0, v59, 22
	s_add_u32 s19, s44, s0
	v_readlane_b32 s0, v59, 23
	s_addc_u32 s11, s45, s0
	s_mov_b32 s10, s47
	s_cmp_lg_u64 s[10:11], 0
	s_cbranch_scc0 .LBB47_297
; %bb.263:                              ;   in Loop: Header=BB47_32 Depth=1
	s_add_u32 s0, s33, 0
	s_addc_u32 s1, 0, 0
	s_xor_b64 s[2:3], s[0:1], 0
	v_cvt_f32_u32_e32 v2, s2
	v_cvt_f32_u32_e32 v4, s3
	s_sub_u32 s10, 0, s2
	s_subb_u32 s36, 0, s3
	v_writelane_b32 v59, s52, 33
	v_mac_f32_e32 v2, 0x4f800000, v4
	v_rcp_f32_e32 v2, v2
	v_writelane_b32 v59, s53, 34
	s_mov_b64 s[52:53], s[84:85]
	s_mov_b64 s[84:85], s[68:69]
	v_mul_f32_e32 v2, 0x5f7ffffc, v2
	v_mul_f32_e32 v4, 0x2f800000, v2
	v_trunc_f32_e32 v4, v4
	v_mac_f32_e32 v2, 0xcf800000, v4
	v_cvt_u32_f32_e32 v4, v4
	v_cvt_u32_f32_e32 v2, v2
	s_mov_b64 s[68:69], s[62:63]
	s_mov_b64 s[62:63], s[86:87]
	v_readfirstlane_b32 s37, v4
	v_readfirstlane_b32 s0, v2
	s_mul_i32 s1, s10, s37
	s_mul_hi_u32 s56, s10, s0
	s_mul_i32 s46, s36, s0
	s_add_i32 s1, s56, s1
	s_mul_i32 s60, s10, s0
	s_add_i32 s1, s1, s46
	s_mul_i32 s56, s0, s1
	s_mul_hi_u32 s61, s0, s60
	s_mul_hi_u32 s46, s0, s1
	s_add_u32 s56, s61, s56
	s_addc_u32 s46, 0, s46
	s_mul_hi_u32 s64, s37, s60
	s_mul_i32 s60, s37, s60
	s_add_u32 s56, s56, s60
	s_mul_hi_u32 s61, s37, s1
	s_addc_u32 s46, s46, s64
	s_addc_u32 s56, s61, 0
	s_mul_i32 s1, s37, s1
	s_add_u32 s1, s46, s1
	s_addc_u32 s46, 0, s56
	s_add_u32 s56, s0, s1
	s_cselect_b64 s[0:1], -1, 0
	s_cmp_lg_u64 s[0:1], 0
	s_addc_u32 s37, s37, s46
	s_mul_i32 s0, s10, s37
	s_mul_hi_u32 s1, s10, s56
	s_add_i32 s0, s1, s0
	s_mul_i32 s36, s36, s56
	s_add_i32 s0, s0, s36
	s_mul_i32 s10, s10, s56
	s_mul_hi_u32 s36, s37, s10
	s_mul_i32 s46, s37, s10
	s_mul_i32 s61, s56, s0
	s_mul_hi_u32 s10, s56, s10
	s_mul_hi_u32 s60, s56, s0
	s_add_u32 s10, s10, s61
	s_addc_u32 s60, 0, s60
	s_add_u32 s10, s10, s46
	s_mul_hi_u32 s1, s37, s0
	s_addc_u32 s10, s60, s36
	s_addc_u32 s1, s1, 0
	s_mul_i32 s0, s37, s0
	s_add_u32 s0, s10, s0
	s_addc_u32 s10, 0, s1
	s_add_u32 s46, s56, s0
	s_cselect_b64 s[0:1], -1, 0
	s_cmp_lg_u64 s[0:1], 0
	s_addc_u32 s10, s37, s10
	s_ashr_i32 s36, s11, 31
	s_add_u32 s0, s19, s36
	s_mov_b32 s37, s36
	s_addc_u32 s1, s11, s36
	s_xor_b64 s[0:1], s[0:1], s[36:37]
	s_mul_i32 s60, s0, s10
	s_mul_hi_u32 s61, s0, s46
	s_mul_hi_u32 s56, s0, s10
	s_add_u32 s60, s61, s60
	s_addc_u32 s56, 0, s56
	s_mul_hi_u32 s64, s1, s46
	s_mul_i32 s46, s1, s46
	s_add_u32 s46, s60, s46
	s_mul_hi_u32 s61, s1, s10
	s_addc_u32 s46, s56, s64
	s_addc_u32 s56, s61, 0
	s_mul_i32 s10, s1, s10
	s_add_u32 s10, s46, s10
	s_addc_u32 s46, 0, s56
	s_mul_i32 s46, s2, s46
	s_mul_hi_u32 s56, s2, s10
	s_add_i32 s46, s56, s46
	s_mul_i32 s56, s3, s10
	s_add_i32 s46, s46, s56
	s_sub_i32 s56, s1, s46
	s_mul_i32 s10, s2, s10
	s_sub_u32 s0, s0, s10
	s_cselect_b64 s[60:61], -1, 0
	s_cmp_lg_u64 s[60:61], 0
	s_subb_u32 s10, s56, s3
	s_sub_u32 s56, s0, s2
	s_cselect_b64 s[64:65], -1, 0
	s_cmp_lg_u64 s[64:65], 0
	s_subb_u32 s86, s10, 0
	s_cmp_ge_u32 s86, s3
	s_cselect_b32 s87, -1, 0
	s_cmp_ge_u32 s56, s2
	s_cselect_b32 vcc_lo, -1, 0
	s_cmp_eq_u32 s86, s3
	s_cselect_b32 s87, vcc_lo, s87
	s_cmp_lg_u64 s[64:65], 0
	s_subb_u32 s10, s10, s3
	s_sub_u32 vcc_lo, s56, s2
	s_cselect_b64 s[64:65], -1, 0
	s_cmp_lg_u64 s[64:65], 0
	s_subb_u32 s10, s10, 0
	s_cmp_lg_u32 s87, 0
	s_cselect_b32 s56, vcc_lo, s56
	s_cselect_b32 s10, s10, s86
	s_cmp_lg_u64 s[60:61], 0
	s_subb_u32 s1, s1, s46
	s_cmp_ge_u32 s1, s3
	s_cselect_b32 s46, -1, 0
	s_cmp_ge_u32 s0, s2
	s_cselect_b32 s2, -1, 0
	s_cmp_eq_u32 s1, s3
	s_cselect_b32 s2, s2, s46
	s_cmp_lg_u32 s2, 0
	s_cselect_b32 s1, s10, s1
	s_cselect_b32 s0, s56, s0
	s_xor_b64 s[0:1], s[0:1], s[36:37]
	v_readlane_b32 s64, v59, 31
	s_mov_b64 s[86:87], s[62:63]
	s_mov_b64 s[62:63], s[68:69]
	;; [unrolled: 1-line block ×4, first 2 shown]
	v_readlane_b32 s52, v59, 33
	s_sub_u32 s0, s0, s36
	v_readlane_b32 s65, v59, 32
	v_readlane_b32 s53, v59, 34
	s_subb_u32 s1, s1, s36
	s_cbranch_execnz .LBB47_265
.LBB47_264:                             ;   in Loop: Header=BB47_32 Depth=1
	v_cvt_f32_u32_e32 v2, s33
	s_sub_i32 s0, 0, s33
	v_rcp_iflag_f32_e32 v2, v2
	v_mul_f32_e32 v2, 0x4f7ffffe, v2
	v_cvt_u32_f32_e32 v2, v2
	v_readfirstlane_b32 s1, v2
	s_mul_i32 s0, s0, s1
	s_mul_hi_u32 s0, s1, s0
	s_add_i32 s1, s1, s0
	s_mul_hi_u32 s0, s19, s1
	s_mul_i32 s0, s0, s33
	s_sub_i32 s0, s19, s0
	s_sub_i32 s1, s0, s33
	s_cmp_ge_u32 s0, s33
	s_cselect_b32 s0, s1, s0
	s_sub_i32 s1, s0, s33
	s_cmp_ge_u32 s0, s33
	s_cselect_b32 s46, s1, s0
	s_mov_b64 s[0:1], s[46:47]
.LBB47_265:                             ;   in Loop: Header=BB47_32 Depth=1
	s_sub_u32 s10, s19, s0
	s_subb_u32 s11, s11, s1
	v_cmp_gt_i64_e32 vcc, s[10:11], v[0:1]
                                        ; implicit-def: $vgpr6_vgpr7
	s_and_saveexec_b64 s[2:3], vcc
	s_cbranch_execz .LBB47_275
; %bb.266:                              ;   in Loop: Header=BB47_32 Depth=1
	v_mov_b32_e32 v9, v1
	s_mov_b64 s[0:1], 0
	v_mov_b32_e32 v12, v47
	v_mov_b32_e32 v8, v0
                                        ; implicit-def: $sgpr36_sgpr37
	s_branch .LBB47_270
.LBB47_267:                             ;   in Loop: Header=BB47_270 Depth=2
	s_or_b64 exec, exec, s[60:61]
	s_waitcnt lgkmcnt(0)
	s_barrier
	ds_read_b128 v[4:7], v19 offset:3072
	s_waitcnt lgkmcnt(0)
	s_barrier
	v_cmp_eq_f64_e32 vcc, 0, v[4:5]
	s_cbranch_vccz .LBB47_273
; %bb.268:                              ;   in Loop: Header=BB47_270 Depth=2
	v_add_co_u32_e32 v8, vcc, s33, v8
	v_addc_co_u32_e32 v9, vcc, 0, v9, vcc
	v_cmp_le_i64_e32 vcc, s[10:11], v[8:9]
	v_add_u32_e32 v12, s54, v12
	s_mov_b64 s[60:61], 0
	s_orn2_b64 s[64:65], vcc, exec
.LBB47_269:                             ;   in Loop: Header=BB47_270 Depth=2
	s_and_b64 s[64:65], exec, s[64:65]
	s_or_b64 s[0:1], s[64:65], s[0:1]
	s_andn2_b64 s[36:37], s[36:37], exec
	s_and_b64 s[60:61], s[60:61], exec
	s_or_b64 s[36:37], s[36:37], s[60:61]
	s_andn2_b64 exec, exec, s[0:1]
	s_cbranch_execz .LBB47_274
.LBB47_270:                             ;   Parent Loop BB47_32 Depth=1
                                        ; =>  This Inner Loop Header: Depth=2
	v_cmp_gt_u64_e32 vcc, s[44:45], v[8:9]
	s_and_saveexec_b64 s[60:61], vcc
	s_cbranch_execz .LBB47_267
; %bb.271:                              ;   in Loop: Header=BB47_270 Depth=2
	ds_read_b64 v[4:5], v12
	s_waitcnt lgkmcnt(0)
	v_cmp_o_f64_e32 vcc, v[4:5], v[4:5]
	v_ashrrev_i32_e32 v2, 31, v5
	v_or_b32_e32 v6, 0x80000000, v2
	v_xor_b32_e32 v6, v6, v5
	v_xor_b32_e32 v2, v2, v4
	v_cndmask_b32_e32 v6, -1, v6, vcc
	v_cndmask_b32_e32 v2, -1, v2, vcc
	v_and_b32_e32 v7, v6, v35
	v_and_b32_e32 v6, v2, v34
	v_cmp_eq_u64_e32 vcc, v[6:7], v[32:33]
	s_and_b64 exec, exec, vcc
	s_cbranch_execz .LBB47_267
; %bb.272:                              ;   in Loop: Header=BB47_270 Depth=2
	v_mov_b32_e32 v2, v19
	ds_write_b128 v19, v[2:5] offset:3072
	s_branch .LBB47_267
.LBB47_273:                             ;   in Loop: Header=BB47_270 Depth=2
	s_mov_b64 s[64:65], -1
                                        ; implicit-def: $vgpr8_vgpr9
                                        ; implicit-def: $vgpr12
	s_mov_b64 s[60:61], -1
	s_branch .LBB47_269
.LBB47_274:                             ;   in Loop: Header=BB47_32 Depth=1
	s_or_b64 exec, exec, s[0:1]
	s_andn2_b64 s[0:1], s[62:63], exec
	s_and_b64 s[10:11], s[36:37], exec
	v_readlane_b32 s64, v59, 31
	s_or_b64 s[62:63], s[0:1], s[10:11]
	v_readlane_b32 s65, v59, 32
.LBB47_275:                             ;   in Loop: Header=BB47_32 Depth=1
	s_or_b64 exec, exec, s[2:3]
	s_mov_b64 s[10:11], 0
	s_mov_b64 s[60:61], -1
.LBB47_276:                             ;   in Loop: Header=BB47_32 Depth=1
	s_orn2_b64 s[0:1], s[62:63], exec
.LBB47_277:                             ;   in Loop: Header=BB47_32 Depth=1
	s_or_b64 exec, exec, s[64:65]
	s_mov_b64 s[2:3], 0
	s_and_saveexec_b64 s[44:45], s[0:1]
	s_cbranch_execz .LBB47_288
; %bb.278:                              ;   in Loop: Header=BB47_32 Depth=1
	v_mov_b32_e32 v4, 1
	s_xor_b64 s[0:1], s[86:87], -1
	v_mov_b32_e32 v5, 0
	v_mov_b32_e32 v38, 1
	s_and_saveexec_b64 s[2:3], s[0:1]
	s_cbranch_execz .LBB47_287
; %bb.279:                              ;   in Loop: Header=BB47_32 Depth=1
	v_cmp_ge_i64_e32 vcc, s[12:13], v[10:11]
	s_and_saveexec_b64 s[0:1], vcc
	s_xor_b64 s[0:1], exec, s[0:1]
	s_cbranch_execz .LBB47_284
; %bb.280:                              ;   in Loop: Header=BB47_32 Depth=1
	ds_read_b64 v[4:5], v19 offset:5120
	v_or_b32_e32 v33, s15, v33
	v_or_b32_e32 v32, s14, v32
	;; [unrolled: 1-line block ×4, first 2 shown]
	s_waitcnt lgkmcnt(0)
	v_cmp_ne_u64_e32 vcc, 0, v[4:5]
	s_cbranch_vccnz .LBB47_284
; %bb.281:                              ;   in Loop: Header=BB47_32 Depth=1
	s_mov_b64 s[14:15], exec
	v_readlane_b32 s36, v59, 8
	v_readlane_b32 s37, v59, 9
	s_and_b64 s[36:37], s[14:15], s[36:37]
	s_mov_b64 exec, s[36:37]
; %bb.282:                              ;   in Loop: Header=BB47_32 Depth=1
	v_mov_b32_e32 v4, s12
	v_mov_b32_e32 v5, s13
	ds_write_b64 v19, v[4:5] offset:5128
; %bb.283:                              ;   in Loop: Header=BB47_32 Depth=1
	s_or_b64 exec, exec, s[14:15]
	s_waitcnt lgkmcnt(0)
	s_barrier
.LBB47_284:                             ;   in Loop: Header=BB47_32 Depth=1
	s_andn2_saveexec_b64 s[0:1], s[0:1]
; %bb.285:                              ;   in Loop: Header=BB47_32 Depth=1
	v_mov_b32_e32 v2, s13
	v_subrev_co_u32_e32 v10, vcc, s12, v10
	v_subb_co_u32_e32 v11, vcc, v11, v2, vcc
; %bb.286:                              ;   in Loop: Header=BB47_32 Depth=1
	s_or_b64 exec, exec, s[0:1]
	v_mov_b32_e32 v4, v10
	v_mov_b32_e32 v38, 8
	;; [unrolled: 1-line block ×3, first 2 shown]
.LBB47_287:                             ;   in Loop: Header=BB47_32 Depth=1
	s_or_b64 exec, exec, s[2:3]
	v_mov_b32_e32 v11, v5
	s_mov_b64 s[2:3], exec
	v_mov_b32_e32 v10, v4
.LBB47_288:                             ;   in Loop: Header=BB47_32 Depth=1
	s_or_b64 exec, exec, s[44:45]
	s_orn2_b64 s[0:1], s[2:3], exec
.LBB47_289:                             ;   in Loop: Header=BB47_32 Depth=1
	s_or_b64 exec, exec, s[84:85]
	s_andn2_b64 s[2:3], s[94:95], exec
	s_and_b64 s[12:13], s[60:61], exec
	s_or_b64 s[94:95], s[2:3], s[12:13]
	s_andn2_b64 s[2:3], s[40:41], exec
	s_and_b64 s[10:11], s[10:11], exec
	v_mov_b32_e32 v8, v10
	s_or_b64 s[40:41], s[2:3], s[10:11]
	s_and_b64 s[2:3], s[0:1], exec
	v_mov_b32_e32 v9, v11
.LBB47_290:                             ;   in Loop: Header=BB47_32 Depth=1
	s_or_b64 exec, exec, s[42:43]
	s_orn2_b64 s[0:1], s[2:3], exec
.LBB47_291:                             ;   in Loop: Header=BB47_32 Depth=1
	s_or_b64 exec, exec, s[92:93]
	s_andn2_b64 s[2:3], s[88:89], exec
	s_and_b64 s[10:11], s[94:95], exec
	s_or_b64 s[88:89], s[2:3], s[10:11]
	s_andn2_b64 s[2:3], s[6:7], exec
	s_and_b64 s[6:7], s[40:41], exec
	v_mov_b32_e32 v13, v9
	s_or_b64 s[6:7], s[2:3], s[6:7]
	s_and_b64 s[2:3], s[0:1], exec
	v_mov_b32_e32 v12, v8
.LBB47_292:                             ;   in Loop: Header=BB47_32 Depth=1
	s_or_b64 exec, exec, s[90:91]
	s_orn2_b64 s[0:1], s[2:3], exec
.LBB47_293:                             ;   in Loop: Header=BB47_32 Depth=1
	s_or_b64 exec, exec, s[26:27]
	s_mov_b64 s[2:3], 0
	s_and_saveexec_b64 s[10:11], s[0:1]
	s_xor_b64 s[0:1], exec, s[10:11]
	s_cbranch_execz .LBB47_30
; %bb.294:                              ;   in Loop: Header=BB47_32 Depth=1
	v_and_b32_e32 v2, 7, v38
	v_cmp_eq_u32_e32 vcc, 0, v2
	s_mov_b64 s[10:11], -1
	s_mov_b64 s[2:3], -1
	s_and_saveexec_b64 s[12:13], vcc
	s_cbranch_execz .LBB47_29
; %bb.295:                              ;   in Loop: Header=BB47_32 Depth=1
	s_xor_b32 s18, s18, 1
	s_add_i32 s14, s55, -2
	s_cmp_eq_u32 s55, 0
	s_cselect_b64 s[10:11], -1, 0
	s_xor_b64 s[2:3], exec, -1
	s_orn2_b64 s[10:11], s[10:11], exec
	s_mov_b32 s55, s14
	s_branch .LBB47_29
.LBB47_296:                             ;   in Loop: Header=BB47_32 Depth=1
                                        ; implicit-def: $sgpr0_sgpr1
	s_andn2_b64 vcc, exec, s[2:3]
	s_cbranch_vccz .LBB47_247
	s_branch .LBB47_248
.LBB47_297:                             ;   in Loop: Header=BB47_32 Depth=1
                                        ; implicit-def: $sgpr0_sgpr1
	s_branch .LBB47_264
.LBB47_298:
	s_or_b64 exec, exec, s[70:71]
	s_xor_b64 s[6:7], s[76:77], -1
	s_xor_b64 s[4:5], s[72:73], -1
	;; [unrolled: 1-line block ×3, first 2 shown]
	s_mov_b64 s[0:1], 0
	s_and_saveexec_b64 s[8:9], s[4:5]
	s_xor_b64 s[4:5], exec, s[8:9]
	s_cbranch_execnz .LBB47_303
; %bb.299:
	s_andn2_saveexec_b64 s[2:3], s[4:5]
	s_cbranch_execnz .LBB47_325
.LBB47_300:
	s_or_b64 exec, exec, s[2:3]
	s_and_saveexec_b64 s[2:3], s[0:1]
.LBB47_301:
	; divergent unreachable
.LBB47_302:
	s_endpgm
.LBB47_303:
	s_and_saveexec_b64 s[0:1], s[6:7]
	s_xor_b64 s[6:7], exec, s[0:1]
	s_cbranch_execz .LBB47_323
; %bb.304:
	s_and_saveexec_b64 s[0:1], s[2:3]
	s_xor_b64 s[0:1], exec, s[0:1]
; %bb.305:
	v_lshrrev_b32_e32 v2, 31, v33
	v_add_co_u32_e32 v2, vcc, -1, v2
	v_addc_co_u32_e64 v3, s[2:3], 0, -1, vcc
	v_or_b32_e32 v3, 0x80000000, v3
	v_xor_b32_e32 v7, v3, v33
	v_xor_b32_e32 v6, v2, v32
; %bb.306:
	s_or_b64 exec, exec, s[0:1]
	s_mov_b64 s[0:1], exec
	v_readlane_b32 s2, v59, 8
	v_readlane_b32 s3, v59, 9
	s_and_b64 s[2:3], s[0:1], s[2:3]
	s_mov_b64 exec, s[2:3]
; %bb.307:
	v_mov_b32_e32 v2, 0
	v_mov_b32_e32 v3, s24
	ds_write_b32 v2, v3 offset:5140
; %bb.308:
	s_or_b64 exec, exec, s[0:1]
	s_waitcnt lgkmcnt(0)
	s_barrier
	s_mov_b64 s[8:9], exec
	v_readlane_b32 s0, v59, 18
	v_readlane_b32 s1, v59, 19
	s_and_b64 s[0:1], s[8:9], s[0:1]
	s_mov_b64 exec, s[0:1]
	s_cbranch_execz .LBB47_320
; %bb.309:
	v_cmp_u_f64_e32 vcc, v[6:7], v[6:7]
	v_mov_b32_e32 v2, 0
	ds_read_b32 v4, v2 offset:5140
	s_mov_b64 s[0:1], 0
                                        ; implicit-def: $sgpr12_sgpr13
                                        ; implicit-def: $sgpr14_sgpr15
                                        ; implicit-def: $sgpr16_sgpr17
	s_waitcnt lgkmcnt(0)
	v_ashrrev_i32_e32 v5, 31, v4
	s_xor_b64 s[10:11], vcc, -1
	s_branch .LBB47_312
.LBB47_310:                             ;   in Loop: Header=BB47_312 Depth=1
	s_or_b64 exec, exec, s[30:31]
	s_andn2_b64 s[2:3], s[16:17], exec
	s_and_b64 s[16:17], s[20:21], exec
	s_or_b64 s[16:17], s[2:3], s[16:17]
	s_andn2_b64 s[2:3], s[14:15], exec
	s_and_b64 s[14:15], s[26:27], exec
	s_or_b64 s[14:15], s[2:3], s[14:15]
.LBB47_311:                             ;   in Loop: Header=BB47_312 Depth=1
	s_or_b64 exec, exec, s[18:19]
	s_and_b64 s[2:3], exec, s[14:15]
	s_or_b64 s[0:1], s[2:3], s[0:1]
	s_andn2_b64 s[2:3], s[12:13], exec
	s_and_b64 s[12:13], s[16:17], exec
	s_or_b64 s[12:13], s[2:3], s[12:13]
	s_andn2_b64 exec, exec, s[0:1]
	s_cbranch_execz .LBB47_315
.LBB47_312:                             ; =>This Inner Loop Header: Depth=1
	v_mov_b32_e32 v3, v1
	v_mov_b32_e32 v2, v0
	v_cmp_lt_i64_e32 vcc, v[2:3], v[4:5]
	s_or_b64 s[16:17], s[16:17], exec
	s_or_b64 s[14:15], s[14:15], exec
                                        ; implicit-def: $vgpr0_vgpr1
	s_and_saveexec_b64 s[18:19], vcc
	s_cbranch_execz .LBB47_311
; %bb.313:                              ;   in Loop: Header=BB47_312 Depth=1
	global_load_dwordx2 v[0:1], v[16:17], off
	s_mov_b64 s[26:27], -1
	s_waitcnt vmcnt(0)
	v_cmp_o_f64_e32 vcc, v[0:1], v[0:1]
	v_cmp_neq_f64_e64 s[2:3], v[0:1], v[6:7]
                                        ; implicit-def: $vgpr0_vgpr1
	s_or_b64 s[20:21], vcc, s[10:11]
	s_and_b64 s[2:3], s[2:3], s[20:21]
	s_mov_b64 s[20:21], 0
	s_and_saveexec_b64 s[30:31], s[2:3]
	s_cbranch_execz .LBB47_310
; %bb.314:                              ;   in Loop: Header=BB47_312 Depth=1
	v_add_co_u32_e32 v0, vcc, s33, v2
	v_addc_co_u32_e32 v1, vcc, 0, v3, vcc
	v_cmp_le_i64_e32 vcc, s[24:25], v[0:1]
	v_mov_b32_e32 v3, s49
	v_add_co_u32_e64 v16, s[2:3], s48, v16
	s_mov_b64 s[20:21], exec
	v_addc_co_u32_e64 v17, s[2:3], v17, v3, s[2:3]
	s_orn2_b64 s[26:27], vcc, exec
	s_branch .LBB47_310
.LBB47_315:
	s_or_b64 exec, exec, s[0:1]
	s_xor_b64 s[0:1], s[12:13], -1
	s_and_saveexec_b64 s[2:3], s[0:1]
	s_xor_b64 s[2:3], exec, s[2:3]
	s_cbranch_execz .LBB47_320
; %bb.316:
	s_mov_b64 s[0:1], exec
	s_brev_b32 s2, -2
.LBB47_317:                             ; =>This Inner Loop Header: Depth=1
	s_ff1_i32_b64 s3, s[0:1]
	v_readlane_b32 s12, v2, s3
	s_lshl_b64 s[10:11], 1, s3
	s_min_i32 s2, s2, s12
	s_andn2_b64 s[0:1], s[0:1], s[10:11]
	s_cmp_lg_u64 s[0:1], 0
	s_cbranch_scc1 .LBB47_317
; %bb.318:
	v_mbcnt_lo_u32_b32 v0, exec_lo, 0
	v_mbcnt_hi_u32_b32 v0, exec_hi, v0
	v_cmp_eq_u32_e32 vcc, 0, v0
	s_and_saveexec_b64 s[0:1], vcc
	s_xor_b64 s[0:1], exec, s[0:1]
; %bb.319:
	v_mov_b32_e32 v0, 0
	v_mov_b32_e32 v1, s2
	ds_min_i32 v0, v1 offset:5140
.LBB47_320:
	s_or_b64 exec, exec, s[8:9]
	s_waitcnt lgkmcnt(0)
	s_barrier
	s_mov_b64 s[0:1], exec
	v_readlane_b32 s2, v59, 8
	v_readlane_b32 s3, v59, 9
	s_and_b64 s[2:3], s[0:1], s[2:3]
	s_mov_b64 exec, s[2:3]
	s_cbranch_execz .LBB47_322
; %bb.321:
	v_readlane_b32 s8, v59, 0
	v_readlane_b32 s9, v59, 1
	s_mul_i32 s2, s8, s29
	s_mul_hi_u32 s3, s8, s28
	s_add_i32 s2, s3, s2
	s_mul_i32 s3, s9, s28
	v_readlane_b32 s10, v59, 2
	s_add_i32 s3, s2, s3
	s_mul_i32 s2, s8, s28
	v_readlane_b32 s11, v59, 3
	s_mul_i32 s8, s10, s39
	s_mul_hi_u32 s9, s10, s38
	s_add_i32 s8, s9, s8
	s_mul_i32 s9, s11, s38
	s_add_i32 s9, s8, s9
	s_mul_i32 s8, s10, s38
	s_lshl_b64 s[2:3], s[2:3], 3
	v_readlane_b32 s10, v59, 4
	v_readlane_b32 s11, v59, 5
	s_add_u32 s10, s10, s2
	s_addc_u32 s11, s11, s3
	s_lshl_b64 s[2:3], s[22:23], 3
	v_mov_b32_e32 v2, 0
	s_add_u32 s2, s10, s2
	ds_read_b32 v0, v2 offset:5140
	s_addc_u32 s3, s11, s3
	s_lshl_b64 s[8:9], s[8:9], 3
	v_readlane_b32 s10, v59, 6
	v_readlane_b32 s11, v59, 7
	s_add_u32 s10, s10, s8
	s_addc_u32 s11, s11, s9
	s_lshl_b64 s[8:9], s[34:35], 3
	s_add_u32 s8, s10, s8
	s_addc_u32 s9, s11, s9
	s_waitcnt lgkmcnt(0)
	v_ashrrev_i32_e32 v1, 31, v0
	global_store_dwordx2 v2, v[0:1], s[8:9]
	global_store_dwordx2 v2, v[6:7], s[2:3]
.LBB47_322:
	s_or_b64 exec, exec, s[0:1]
.LBB47_323:
	s_or_saveexec_b64 s[0:1], s[6:7]
	s_mov_b64 s[2:3], 0
	s_xor_b64 exec, exec, s[0:1]
	s_cbranch_execnz .LBB47_326
.LBB47_324:
	s_or_b64 exec, exec, s[0:1]
	s_and_b64 s[0:1], s[2:3], exec
	s_andn2_saveexec_b64 s[2:3], s[4:5]
	s_cbranch_execz .LBB47_300
.LBB47_325:
	s_or_b64 s[0:1], s[0:1], exec
	s_trap 2
	s_or_b64 exec, exec, s[2:3]
	s_and_saveexec_b64 s[2:3], s[0:1]
	s_cbranch_execnz .LBB47_301
	s_branch .LBB47_302
.LBB47_326:
	s_mov_b64 s[2:3], exec
	s_trap 2
	s_branch .LBB47_324
	.section	.rodata,"a",@progbits
	.p2align	6, 0x0
	.amdhsa_kernel _ZN2at6native12_GLOBAL__N_114gatherKthValueIdlLin1EEEvNS_4cuda6detail10TensorInfoIKT_T0_EES8_S8_S8_S8_NS5_IS6_S8_EENS5_IlS8_EE
		.amdhsa_group_segment_fixed_size 5144
		.amdhsa_private_segment_fixed_size 0
		.amdhsa_kernarg_size 1536
		.amdhsa_user_sgpr_count 6
		.amdhsa_user_sgpr_private_segment_buffer 1
		.amdhsa_user_sgpr_dispatch_ptr 0
		.amdhsa_user_sgpr_queue_ptr 0
		.amdhsa_user_sgpr_kernarg_segment_ptr 1
		.amdhsa_user_sgpr_dispatch_id 0
		.amdhsa_user_sgpr_flat_scratch_init 0
		.amdhsa_user_sgpr_private_segment_size 0
		.amdhsa_uses_dynamic_stack 0
		.amdhsa_system_sgpr_private_segment_wavefront_offset 0
		.amdhsa_system_sgpr_workgroup_id_x 1
		.amdhsa_system_sgpr_workgroup_id_y 1
		.amdhsa_system_sgpr_workgroup_id_z 1
		.amdhsa_system_sgpr_workgroup_info 0
		.amdhsa_system_vgpr_workitem_id 0
		.amdhsa_next_free_vgpr 60
		.amdhsa_next_free_sgpr 96
		.amdhsa_reserve_vcc 1
		.amdhsa_reserve_flat_scratch 0
		.amdhsa_float_round_mode_32 0
		.amdhsa_float_round_mode_16_64 0
		.amdhsa_float_denorm_mode_32 3
		.amdhsa_float_denorm_mode_16_64 3
		.amdhsa_dx10_clamp 1
		.amdhsa_ieee_mode 1
		.amdhsa_fp16_overflow 0
		.amdhsa_exception_fp_ieee_invalid_op 0
		.amdhsa_exception_fp_denorm_src 0
		.amdhsa_exception_fp_ieee_div_zero 0
		.amdhsa_exception_fp_ieee_overflow 0
		.amdhsa_exception_fp_ieee_underflow 0
		.amdhsa_exception_fp_ieee_inexact 0
		.amdhsa_exception_int_div_zero 0
	.end_amdhsa_kernel
	.section	.text._ZN2at6native12_GLOBAL__N_114gatherKthValueIdlLin1EEEvNS_4cuda6detail10TensorInfoIKT_T0_EES8_S8_S8_S8_NS5_IS6_S8_EENS5_IlS8_EE,"axG",@progbits,_ZN2at6native12_GLOBAL__N_114gatherKthValueIdlLin1EEEvNS_4cuda6detail10TensorInfoIKT_T0_EES8_S8_S8_S8_NS5_IS6_S8_EENS5_IlS8_EE,comdat
.Lfunc_end47:
	.size	_ZN2at6native12_GLOBAL__N_114gatherKthValueIdlLin1EEEvNS_4cuda6detail10TensorInfoIKT_T0_EES8_S8_S8_S8_NS5_IS6_S8_EENS5_IlS8_EE, .Lfunc_end47-_ZN2at6native12_GLOBAL__N_114gatherKthValueIdlLin1EEEvNS_4cuda6detail10TensorInfoIKT_T0_EES8_S8_S8_S8_NS5_IS6_S8_EENS5_IlS8_EE
                                        ; -- End function
	.set _ZN2at6native12_GLOBAL__N_114gatherKthValueIdlLin1EEEvNS_4cuda6detail10TensorInfoIKT_T0_EES8_S8_S8_S8_NS5_IS6_S8_EENS5_IlS8_EE.num_vgpr, 60
	.set _ZN2at6native12_GLOBAL__N_114gatherKthValueIdlLin1EEEvNS_4cuda6detail10TensorInfoIKT_T0_EES8_S8_S8_S8_NS5_IS6_S8_EENS5_IlS8_EE.num_agpr, 0
	.set _ZN2at6native12_GLOBAL__N_114gatherKthValueIdlLin1EEEvNS_4cuda6detail10TensorInfoIKT_T0_EES8_S8_S8_S8_NS5_IS6_S8_EENS5_IlS8_EE.numbered_sgpr, 96
	.set _ZN2at6native12_GLOBAL__N_114gatherKthValueIdlLin1EEEvNS_4cuda6detail10TensorInfoIKT_T0_EES8_S8_S8_S8_NS5_IS6_S8_EENS5_IlS8_EE.num_named_barrier, 0
	.set _ZN2at6native12_GLOBAL__N_114gatherKthValueIdlLin1EEEvNS_4cuda6detail10TensorInfoIKT_T0_EES8_S8_S8_S8_NS5_IS6_S8_EENS5_IlS8_EE.private_seg_size, 0
	.set _ZN2at6native12_GLOBAL__N_114gatherKthValueIdlLin1EEEvNS_4cuda6detail10TensorInfoIKT_T0_EES8_S8_S8_S8_NS5_IS6_S8_EENS5_IlS8_EE.uses_vcc, 1
	.set _ZN2at6native12_GLOBAL__N_114gatherKthValueIdlLin1EEEvNS_4cuda6detail10TensorInfoIKT_T0_EES8_S8_S8_S8_NS5_IS6_S8_EENS5_IlS8_EE.uses_flat_scratch, 0
	.set _ZN2at6native12_GLOBAL__N_114gatherKthValueIdlLin1EEEvNS_4cuda6detail10TensorInfoIKT_T0_EES8_S8_S8_S8_NS5_IS6_S8_EENS5_IlS8_EE.has_dyn_sized_stack, 0
	.set _ZN2at6native12_GLOBAL__N_114gatherKthValueIdlLin1EEEvNS_4cuda6detail10TensorInfoIKT_T0_EES8_S8_S8_S8_NS5_IS6_S8_EENS5_IlS8_EE.has_recursion, 0
	.set _ZN2at6native12_GLOBAL__N_114gatherKthValueIdlLin1EEEvNS_4cuda6detail10TensorInfoIKT_T0_EES8_S8_S8_S8_NS5_IS6_S8_EENS5_IlS8_EE.has_indirect_call, 0
	.section	.AMDGPU.csdata,"",@progbits
; Kernel info:
; codeLenInByte = 19116
; TotalNumSgprs: 100
; NumVgprs: 60
; ScratchSize: 0
; MemoryBound: 0
; FloatMode: 240
; IeeeMode: 1
; LDSByteSize: 5144 bytes/workgroup (compile time only)
; SGPRBlocks: 12
; VGPRBlocks: 14
; NumSGPRsForWavesPerEU: 100
; NumVGPRsForWavesPerEU: 60
; Occupancy: 4
; WaveLimiterHint : 1
; COMPUTE_PGM_RSRC2:SCRATCH_EN: 0
; COMPUTE_PGM_RSRC2:USER_SGPR: 6
; COMPUTE_PGM_RSRC2:TRAP_HANDLER: 0
; COMPUTE_PGM_RSRC2:TGID_X_EN: 1
; COMPUTE_PGM_RSRC2:TGID_Y_EN: 1
; COMPUTE_PGM_RSRC2:TGID_Z_EN: 1
; COMPUTE_PGM_RSRC2:TIDIG_COMP_CNT: 0
	.section	.text._ZN2at6native12_GLOBAL__N_114gatherKthValueIfiLi1EEEvNS_4cuda6detail10TensorInfoIKT_T0_EES8_S8_S8_S8_NS5_IS6_S8_EENS5_IlS8_EE,"axG",@progbits,_ZN2at6native12_GLOBAL__N_114gatherKthValueIfiLi1EEEvNS_4cuda6detail10TensorInfoIKT_T0_EES8_S8_S8_S8_NS5_IS6_S8_EENS5_IlS8_EE,comdat
	.globl	_ZN2at6native12_GLOBAL__N_114gatherKthValueIfiLi1EEEvNS_4cuda6detail10TensorInfoIKT_T0_EES8_S8_S8_S8_NS5_IS6_S8_EENS5_IlS8_EE ; -- Begin function _ZN2at6native12_GLOBAL__N_114gatherKthValueIfiLi1EEEvNS_4cuda6detail10TensorInfoIKT_T0_EES8_S8_S8_S8_NS5_IS6_S8_EENS5_IlS8_EE
	.p2align	8
	.type	_ZN2at6native12_GLOBAL__N_114gatherKthValueIfiLi1EEEvNS_4cuda6detail10TensorInfoIKT_T0_EES8_S8_S8_S8_NS5_IS6_S8_EENS5_IlS8_EE,@function
_ZN2at6native12_GLOBAL__N_114gatherKthValueIfiLi1EEEvNS_4cuda6detail10TensorInfoIKT_T0_EES8_S8_S8_S8_NS5_IS6_S8_EENS5_IlS8_EE: ; @_ZN2at6native12_GLOBAL__N_114gatherKthValueIfiLi1EEEvNS_4cuda6detail10TensorInfoIKT_T0_EES8_S8_S8_S8_NS5_IS6_S8_EENS5_IlS8_EE
; %bb.0:
	s_load_dwordx2 s[12:13], s[4:5], 0x298
	s_load_dwordx4 s[60:63], s[4:5], 0xd8
	s_add_u32 s10, s4, 0x298
	s_addc_u32 s11, s5, 0
	s_waitcnt lgkmcnt(0)
	s_mul_i32 s0, s13, s8
	s_add_i32 s0, s0, s7
	s_mul_i32 s0, s0, s12
	s_add_i32 s7, s0, s6
	s_cmp_ge_i32 s7, s62
	s_cbranch_scc1 .LBB48_243
; %bb.1:
	s_load_dwordx2 s[0:1], s[4:5], 0x1c0
                                        ; implicit-def: $vgpr48 : SGPR spill to VGPR lane
	s_mov_b32 s74, 0
	v_cmp_eq_u32_e64 s[14:15], 0, v0
	s_waitcnt lgkmcnt(0)
	v_writelane_b32 v48, s0, 0
	v_writelane_b32 v48, s1, 1
	s_load_dwordx2 s[0:1], s[4:5], 0xe8
	s_waitcnt lgkmcnt(0)
	v_writelane_b32 v48, s0, 2
	v_writelane_b32 v48, s1, 3
	s_load_dword s0, s[4:5], 0x6c
	s_load_dwordx2 s[2:3], s[4:5], 0x0
	s_mov_b64 s[8:9], exec
	v_writelane_b32 v48, s14, 4
	v_writelane_b32 v48, s15, 5
	s_and_b64 s[14:15], s[8:9], s[14:15]
	s_mov_b64 exec, s[14:15]
; %bb.2:
	v_mov_b32_e32 v1, 0
	v_mov_b32_e32 v2, s60
	;; [unrolled: 1-line block ×3, first 2 shown]
	ds_write_b96 v1, v[1:3] offset:4096
; %bb.3:
	s_or_b64 exec, exec, s[8:9]
	s_load_dword s1, s[4:5], 0x22c
                                        ; kill: killed $sgpr4 killed $sgpr5
	s_waitcnt lgkmcnt(0)
	s_barrier
	v_mul_lo_u32 v5, s63, v0
	v_writelane_b32 v48, s1, 6
	s_load_dword s1, s[4:5], 0x154
	s_mul_i32 s0, s0, s7
	s_load_dword s4, s[10:11], 0xc
	v_mov_b32_e32 v7, 0
	v_mbcnt_lo_u32_b32 v1, -1, 0
	s_waitcnt lgkmcnt(0)
	v_writelane_b32 v48, s1, 7
	s_ashr_i32 s1, s0, 31
	s_lshl_b64 s[0:1], s[0:1], 2
	v_mov_b32_e32 v6, v7
	s_add_u32 s62, s2, s0
	v_mbcnt_hi_u32_b32 v20, -1, v1
	v_lshlrev_b64 v[1:2], 2, v[5:6]
	s_addc_u32 s67, s3, s1
	s_and_b32 s66, s4, 0xffff
	s_bfe_u32 s0, s4, 0xa0006
	v_cmp_gt_u32_e32 vcc, 64, v0
	v_cmp_gt_i32_e64 s[4:5], 4, v20
	s_and_b64 s[68:69], vcc, s[4:5]
	v_mov_b32_e32 v22, s67
	v_add_co_u32_e32 v8, vcc, s62, v1
	v_addc_co_u32_e32 v9, vcc, v22, v2, vcc
	v_lshlrev_b64 v[2:3], v20, -1
	s_add_i32 s1, s66, -1
	s_lshl_b32 s8, s66, 2
	s_add_i32 s79, s1, s60
	v_not_b32_e32 v25, v2
	v_lshrrev_b32_e32 v2, 2, v0
	v_writelane_b32 v48, s7, 8
	s_cmpk_gt_i32 s60, 0x300
	v_and_b32_e32 v2, 0xf0, v2
	v_writelane_b32 v48, s1, 9
	s_cselect_b64 s[70:71], -1, 0
	v_cmp_gt_u32_e64 s[14:15], s60, v0
	s_cmp_gt_u32 s66, 63
	v_or_b32_e32 v26, 0xc00, v2
	v_cvt_f32_u32_e32 v2, s8
	v_writelane_b32 v48, s14, 10
	s_cselect_b64 s[72:73], -1, 0
	s_cmp_lt_u32 s6, s12
	v_writelane_b32 v48, s15, 11
	v_cmp_gt_i32_e64 s[14:15], s60, v0
	s_cselect_b32 s1, 12, 18
	v_writelane_b32 v48, s14, 12
	s_add_u32 s6, s10, s1
	v_writelane_b32 v48, s15, 13
	s_addc_u32 s7, s11, 0
	v_rcp_iflag_f32_e32 v2, v2
	v_writelane_b32 v48, s6, 14
	s_add_i32 s1, s0, -1
	v_writelane_b32 v48, s7, 15
	s_bfe_u32 s6, s66, 0x30006
	s_and_b32 s1, s1, 0xffff
	s_cmp_gt_u32 s1, 6
	s_cselect_b64 s[10:11], -1, 0
	v_mul_f32_e32 v2, 0x4f7ffffe, v2
	v_writelane_b32 v48, s10, 16
	s_and_b32 s75, s0, 0x3f8
	v_cvt_u32_f32_e32 v2, v2
	v_writelane_b32 v48, s11, 17
	s_cmp_lg_u32 s6, 0
	v_writelane_b32 v48, s6, 18
	s_cselect_b64 s[0:1], -1, 0
	v_writelane_b32 v48, s0, 19
	v_writelane_b32 v48, s1, 20
	s_sub_i32 s0, 0, s8
	v_readfirstlane_b32 s1, v2
	s_mul_i32 s0, s0, s1
	s_mul_hi_u32 s0, s1, s0
	s_add_i32 s76, s1, s0
	s_mul_hi_u32 s0, s60, s76
	s_mul_i32 s0, s0, s8
	s_sub_i32 s0, s60, s0
	s_sub_i32 s1, s0, s8
	s_cmp_ge_u32 s0, s8
	s_cselect_b32 s0, s1, s0
	s_sub_i32 s1, s0, s8
	s_cmp_ge_u32 s0, s8
	s_cselect_b32 s0, s1, s0
	s_sub_i32 s77, s60, s0
	v_add_u32_e32 v27, s77, v0
	v_cvt_f32_u32_e32 v4, s66
	v_mul_lo_u32 v2, v27, s63
	v_not_b32_e32 v24, v3
	s_sub_i32 s7, 0, s66
	v_rcp_iflag_f32_e32 v4, v4
	v_ashrrev_i32_e32 v3, 31, v2
	v_lshlrev_b64 v[2:3], 2, v[2:3]
	s_abs_i32 s6, s79
	v_add_co_u32_e32 v10, vcc, s62, v2
	v_mul_f32_e32 v2, 0x4f7ffffe, v4
	v_cvt_u32_f32_e32 v2, v2
	s_ashr_i32 s1, s79, 31
	v_lshlrev_b32_e32 v19, 2, v0
	v_lshlrev_b32_e32 v1, 2, v20
	v_readfirstlane_b32 s9, v2
	s_mul_i32 s7, s7, s9
	s_mul_hi_u32 s7, s9, s7
	s_add_i32 s7, s9, s7
	v_writelane_b32 v48, s7, 21
	s_mul_hi_u32 s7, s6, s7
	s_mul_i32 s7, s7, s66
	s_sub_i32 s6, s6, s7
	s_sub_i32 s7, s6, s66
	s_cmp_ge_u32 s6, s66
	s_cselect_b32 s6, s7, s6
	s_sub_i32 s7, s6, s66
	v_mul_lo_u32 v2, s63, v19
	s_cmp_ge_u32 s6, s66
	s_cselect_b32 s6, s7, s6
	s_xor_b32 s6, s6, s1
	s_sub_i32 s1, s1, s6
	v_add_u32_e32 v28, s63, v2
	v_or_b32_e32 v2, 2, v19
	s_add_i32 s79, s79, s1
	v_mul_lo_u32 v30, s63, v2
	v_or_b32_e32 v2, 3, v19
	s_add_i32 s1, s66, s60
	v_mul_lo_u32 v31, s63, v2
	v_add_u32_e32 v2, s1, v0
	v_subrev_u32_e32 v2, s0, v2
	v_mul_lo_u32 v33, s63, v2
	v_mov_b32_e32 v6, s67
	v_cmp_gt_i32_e64 s[6:7], s79, v0
	s_mul_i32 s33, s63, s66
	v_cmp_eq_u32_e64 s[2:3], 0, v20
	v_cmp_gt_u32_e64 s[4:5], 2, v0
	v_add_u32_e32 v21, 0xc00, v19
	v_and_b32_e32 v23, 0x100, v1
	v_cmp_gt_i32_e64 s[10:11], s77, v19
	v_cmp_gt_u32_e64 s[12:13], s60, v27
	v_addc_co_u32_e32 v11, vcc, v6, v3, vcc
	v_cmp_gt_i32_e64 s[14:15], s60, v27
	v_writelane_b32 v48, s6, 22
	s_lshl_b32 s16, s33, 2
	v_lshlrev_b32_e32 v32, 2, v5
	v_lshlrev_b32_e32 v34, 4, v0
	s_lshl_b32 s17, s66, 4
	v_or_b32_e32 v35, 0xc00, v1
	s_mov_b64 s[80:81], 0
	v_mov_b32_e32 v37, 30
	v_mov_b32_e32 v39, s61
	v_bfrev_b32_e32 v36, 1
	v_mov_b32_e32 v29, 0
	v_mov_b32_e32 v38, 0
	v_mov_b32_e32 v12, 1.0
	v_mov_b32_e32 v14, 0
	v_writelane_b32 v48, s7, 23
                                        ; implicit-def: $sgpr82_sgpr83
                                        ; implicit-def: $sgpr86_sgpr87
                                        ; implicit-def: $sgpr84_sgpr85
                                        ; implicit-def: $sgpr90_sgpr91
                                        ; implicit-def: $sgpr92_sgpr93
                                        ; implicit-def: $sgpr88_sgpr89
	s_branch .LBB48_7
.LBB48_4:                               ;   in Loop: Header=BB48_7 Depth=1
	s_or_b64 exec, exec, s[30:31]
	s_and_b64 s[30:31], s[28:29], exec
	s_andn2_b64 s[26:27], s[26:27], exec
	s_andn2_b64 s[24:25], s[24:25], exec
	s_orn2_b64 s[20:21], s[20:21], exec
.LBB48_5:                               ;   in Loop: Header=BB48_7 Depth=1
	s_or_b64 exec, exec, s[22:23]
	s_andn2_b64 s[18:19], s[88:89], exec
	s_and_b64 s[22:23], s[30:31], exec
	s_or_b64 s[88:89], s[18:19], s[22:23]
	s_andn2_b64 s[18:19], s[92:93], exec
	s_and_b64 s[22:23], s[26:27], exec
	s_or_b64 s[92:93], s[18:19], s[22:23]
	;; [unrolled: 3-line block ×3, first 2 shown]
	s_orn2_b64 s[20:21], s[20:21], exec
.LBB48_6:                               ;   in Loop: Header=BB48_7 Depth=1
	s_or_b64 exec, exec, s[6:7]
	s_and_b64 s[6:7], exec, s[20:21]
	s_or_b64 s[80:81], s[6:7], s[80:81]
	s_andn2_b64 s[6:7], s[84:85], exec
	s_and_b64 s[18:19], s[88:89], exec
	s_or_b64 s[84:85], s[6:7], s[18:19]
	s_andn2_b64 s[6:7], s[86:87], exec
	s_and_b64 s[18:19], s[92:93], exec
	s_or_b64 s[86:87], s[6:7], s[18:19]
	s_andn2_b64 s[6:7], s[82:83], exec
	s_and_b64 s[18:19], s[90:91], exec
	s_or_b64 s[82:83], s[6:7], s[18:19]
	s_mov_b32 s74, s0
	v_mov_b32_e32 v39, v15
	s_andn2_b64 exec, exec, s[80:81]
	s_cbranch_execz .LBB48_239
.LBB48_7:                               ; =>This Loop Header: Depth=1
                                        ;     Child Loop BB48_13 Depth 2
                                        ;     Child Loop BB48_28 Depth 2
	;; [unrolled: 1-line block ×16, first 2 shown]
	ds_read_b64 v[1:2], v7 offset:4096
	s_waitcnt lgkmcnt(0)
	v_readfirstlane_b32 s61, v1
	s_cmp_gt_i32 s61, 0
	s_cbranch_scc1 .LBB48_35
; %bb.8:                                ;   in Loop: Header=BB48_7 Depth=1
	s_and_b64 vcc, exec, s[70:71]
	s_cbranch_vccz .LBB48_21
; %bb.9:                                ;   in Loop: Header=BB48_7 Depth=1
	s_movk_i32 s0, 0x301
	v_cmp_gt_i32_e32 vcc, s0, v2
	s_mov_b64 s[20:21], 0
	s_mov_b64 s[6:7], 0
	s_cbranch_vccz .LBB48_22
; %bb.10:                               ;   in Loop: Header=BB48_7 Depth=1
	s_mov_b64 s[22:23], exec
	v_readlane_b32 s0, v48, 10
	v_readlane_b32 s1, v48, 11
	s_and_b64 s[0:1], s[22:23], s[0:1]
	s_mov_b64 exec, s[0:1]
	s_cbranch_execz .LBB48_67
; %bb.11:                               ;   in Loop: Header=BB48_7 Depth=1
	v_readlane_b32 s0, v48, 14
	v_readlane_b32 s1, v48, 15
	s_nop 4
	global_load_ushort v1, v7, s[0:1]
	global_load_dword v3, v[8:9], off
	s_mov_b64 s[24:25], 0
	v_mov_b32_e32 v4, v0
	s_waitcnt vmcnt(1)
	v_add_u32_e32 v2, v0, v1
	v_mul_lo_u32 v6, s63, v2
	v_mul_lo_u32 v2, s63, v1
	s_branch .LBB48_13
.LBB48_12:                              ;   in Loop: Header=BB48_13 Depth=2
	s_or_b64 exec, exec, s[6:7]
	v_cmp_le_i32_e32 vcc, s60, v4
	v_add_u32_e32 v6, v6, v2
	s_or_b64 s[24:25], vcc, s[24:25]
	v_mov_b32_e32 v3, v13
	s_andn2_b64 exec, exec, s[24:25]
	s_cbranch_execz .LBB48_67
.LBB48_13:                              ;   Parent Loop BB48_7 Depth=1
                                        ; =>  This Inner Loop Header: Depth=2
	v_add_u32_e32 v4, v4, v1
	v_cmp_gt_u32_e32 vcc, s60, v4
	s_waitcnt lgkmcnt(0)
	v_mov_b32_e32 v15, 0
	v_mov_b32_e32 v13, 0
	s_and_saveexec_b64 s[6:7], vcc
	s_cbranch_execz .LBB48_15
; %bb.14:                               ;   in Loop: Header=BB48_13 Depth=2
	v_lshlrev_b64 v[16:17], 2, v[6:7]
	v_add_co_u32_e32 v16, vcc, s62, v16
	v_addc_co_u32_e32 v17, vcc, v22, v17, vcc
	global_load_dword v13, v[16:17], off
.LBB48_15:                              ;   in Loop: Header=BB48_13 Depth=2
	s_or_b64 exec, exec, s[6:7]
	s_waitcnt vmcnt(0)
	v_cmp_lt_i32_e32 vcc, -1, v3
	v_cndmask_b32_e32 v16, -1, v36, vcc
	v_xor_b32_e32 v16, v16, v3
	v_cmp_o_f32_e32 vcc, v3, v3
	v_cndmask_b32_e32 v16, -1, v16, vcc
	v_and_b32_e32 v16, v16, v38
	v_cmp_eq_u32_e32 vcc, v16, v29
	s_cmp_lg_u64 vcc, 0
	s_cselect_b64 s[0:1], -1, 0
	s_and_b64 s[0:1], s[2:3], s[0:1]
	s_and_saveexec_b64 s[26:27], s[0:1]
	s_cbranch_execz .LBB48_19
; %bb.16:                               ;   in Loop: Header=BB48_13 Depth=2
	s_mov_b64 s[30:31], exec
	v_mbcnt_lo_u32_b32 v15, s30, 0
	v_mbcnt_hi_u32_b32 v15, s31, v15
	s_bcnt1_i32_b64 s0, vcc
	v_cmp_eq_u32_e64 s[6:7], 0, v15
                                        ; implicit-def: $vgpr16
	s_and_saveexec_b64 s[28:29], s[6:7]
; %bb.17:                               ;   in Loop: Header=BB48_13 Depth=2
	s_bcnt1_i32_b64 s1, s[30:31]
	s_mul_i32 s1, s0, s1
	v_mov_b32_e32 v16, s1
	ds_add_rtn_u32 v16, v7, v16 offset:4104
; %bb.18:                               ;   in Loop: Header=BB48_13 Depth=2
	s_or_b64 exec, exec, s[28:29]
	s_waitcnt lgkmcnt(0)
	v_readfirstlane_b32 s1, v16
	v_mov_b32_e32 v16, s1
	v_mad_u32_u24 v15, s0, v15, v16
.LBB48_19:                              ;   in Loop: Header=BB48_13 Depth=2
	s_or_b64 exec, exec, s[26:27]
	ds_bpermute_b32 v15, v23, v15
	s_and_saveexec_b64 s[6:7], vcc
	s_cbranch_execz .LBB48_12
; %bb.20:                               ;   in Loop: Header=BB48_13 Depth=2
	v_and_b32_e32 v17, vcc_lo, v25
	v_and_b32_e32 v16, vcc_hi, v24
	v_bcnt_u32_b32 v17, v17, 0
	v_bcnt_u32_b32 v16, v16, v17
	v_lshlrev_b32_e32 v16, 2, v16
	s_waitcnt lgkmcnt(0)
	v_lshl_add_u32 v15, v15, 2, v16
	ds_write_b32 v15, v3
	s_branch .LBB48_12
.LBB48_21:                              ;   in Loop: Header=BB48_7 Depth=1
	s_mov_b64 s[20:21], -1
	s_mov_b64 s[6:7], 0
.LBB48_22:                              ;   in Loop: Header=BB48_7 Depth=1
	s_and_b64 vcc, exec, s[20:21]
	s_cbranch_vccz .LBB48_33
.LBB48_23:                              ;   in Loop: Header=BB48_7 Depth=1
	v_mov_b32_e32 v1, 0
	s_mov_b64 s[6:7], exec
	v_readlane_b32 s0, v48, 10
	v_readlane_b32 s1, v48, 11
	s_and_b64 s[0:1], s[6:7], s[0:1]
	s_mov_b64 exec, s[0:1]
	s_cbranch_execz .LBB48_25
; %bb.24:                               ;   in Loop: Header=BB48_7 Depth=1
	global_load_dword v1, v[8:9], off
.LBB48_25:                              ;   in Loop: Header=BB48_7 Depth=1
	s_or_b64 exec, exec, s[6:7]
	s_mov_b64 s[6:7], exec
	v_readlane_b32 s0, v48, 12
	v_readlane_b32 s1, v48, 13
	s_and_b64 s[0:1], s[6:7], s[0:1]
	s_mov_b64 exec, s[0:1]
	s_cbranch_execz .LBB48_30
; %bb.26:                               ;   in Loop: Header=BB48_7 Depth=1
	v_readlane_b32 s0, v48, 14
	v_readlane_b32 s1, v48, 15
	s_mov_b64 s[20:21], 0
	v_mov_b32_e32 v13, v19
	v_mov_b32_e32 v15, v0
	s_nop 1
	global_load_ushort v2, v7, s[0:1]
	s_waitcnt vmcnt(0)
	v_add_u32_e32 v4, v0, v2
	v_mul_lo_u32 v6, s63, v4
	v_mul_lo_u32 v4, s63, v2
	v_lshlrev_b32_e32 v3, 2, v2
	s_branch .LBB48_28
.LBB48_27:                              ;   in Loop: Header=BB48_28 Depth=2
	s_or_b64 exec, exec, s[22:23]
	v_cmp_le_i32_e32 vcc, s60, v15
	ds_write_b32 v13, v1
	v_add_u32_e32 v13, v13, v3
	v_add_u32_e32 v6, v6, v4
	s_or_b64 s[20:21], vcc, s[20:21]
	s_waitcnt vmcnt(0)
	v_mov_b32_e32 v1, v16
	s_andn2_b64 exec, exec, s[20:21]
	s_cbranch_execz .LBB48_30
.LBB48_28:                              ;   Parent Loop BB48_7 Depth=1
                                        ; =>  This Inner Loop Header: Depth=2
	v_add_u32_e32 v15, v15, v2
	v_cmp_gt_u32_e32 vcc, s60, v15
	v_mov_b32_e32 v16, 0
	s_and_saveexec_b64 s[22:23], vcc
	s_cbranch_execz .LBB48_27
; %bb.29:                               ;   in Loop: Header=BB48_28 Depth=2
	v_lshlrev_b64 v[16:17], 2, v[6:7]
	v_mov_b32_e32 v18, s67
	v_add_co_u32_e32 v16, vcc, s62, v16
	v_addc_co_u32_e32 v17, vcc, v18, v17, vcc
	global_load_dword v16, v[16:17], off
	s_branch .LBB48_27
.LBB48_30:                              ;   in Loop: Header=BB48_7 Depth=1
	s_or_b64 exec, exec, s[6:7]
	s_waitcnt vmcnt(0) lgkmcnt(0)
	s_barrier
	s_mov_b64 s[6:7], exec
	v_readlane_b32 s0, v48, 4
	v_readlane_b32 s1, v48, 5
	s_and_b64 s[0:1], s[6:7], s[0:1]
	s_mov_b64 exec, s[0:1]
; %bb.31:                               ;   in Loop: Header=BB48_7 Depth=1
	v_mov_b32_e32 v1, s60
	ds_write_b32 v7, v1 offset:4096
; %bb.32:                               ;   in Loop: Header=BB48_7 Depth=1
	s_or_b64 exec, exec, s[6:7]
	s_mov_b64 s[6:7], -1
	s_waitcnt lgkmcnt(0)
	s_barrier
.LBB48_33:                              ;   in Loop: Header=BB48_7 Depth=1
	s_and_b64 vcc, exec, s[6:7]
	s_cbranch_vccz .LBB48_35
; %bb.34:                               ;   in Loop: Header=BB48_7 Depth=1
	ds_read_b32 v1, v7 offset:4096
	s_waitcnt lgkmcnt(0)
	v_readfirstlane_b32 s61, v1
.LBB48_35:                              ;   in Loop: Header=BB48_7 Depth=1
	s_cmp_lt_i32 s61, 1
	s_mov_b64 s[6:7], -1
                                        ; implicit-def: $vgpr1
	s_cbranch_scc1 .LBB48_45
; %bb.36:                               ;   in Loop: Header=BB48_7 Depth=1
	s_and_b64 vcc, exec, s[6:7]
	s_cbranch_vccnz .LBB48_58
.LBB48_37:                              ;   in Loop: Header=BB48_7 Depth=1
	s_lshl_b32 s0, s74, 6
	s_and_saveexec_b64 s[6:7], s[2:3]
.LBB48_38:                              ;   in Loop: Header=BB48_7 Depth=1
	v_lshl_add_u32 v6, s0, 2, v26
	ds_write_b128 v6, v[1:4]
.LBB48_39:                              ;   in Loop: Header=BB48_7 Depth=1
	s_or_b64 exec, exec, s[6:7]
	s_waitcnt vmcnt(0) lgkmcnt(0)
	s_barrier
	s_and_saveexec_b64 s[6:7], s[68:69]
	s_cbranch_execz .LBB48_75
; %bb.40:                               ;   in Loop: Header=BB48_7 Depth=1
	s_andn2_b64 vcc, exec, s[72:73]
	v_mov_b32_e32 v1, 0
	s_cbranch_vccnz .LBB48_74
; %bb.41:                               ;   in Loop: Header=BB48_7 Depth=1
	v_readlane_b32 s18, v48, 16
	v_readlane_b32 s19, v48, 17
	s_andn2_b64 vcc, exec, s[18:19]
	s_cbranch_vccnz .LBB48_70
; %bb.42:                               ;   in Loop: Header=BB48_7 Depth=1
	v_lshl_add_u32 v2, s74, 8, v35
	s_mov_b32 s1, 0
	v_mov_b32_e32 v1, 0
.LBB48_43:                              ;   Parent Loop BB48_7 Depth=1
                                        ; =>  This Inner Loop Header: Depth=2
	ds_read2_b32 v[3:4], v2 offset1:4
	ds_read2_b32 v[15:16], v2 offset0:8 offset1:12
	ds_read2_b32 v[17:18], v2 offset0:16 offset1:20
	;; [unrolled: 1-line block ×3, first 2 shown]
	s_add_i32 s1, s1, 8
	s_waitcnt lgkmcnt(3)
	v_add3_u32 v1, v3, v1, v4
	s_waitcnt lgkmcnt(2)
	v_add3_u32 v1, v15, v1, v16
	;; [unrolled: 2-line block ×3, first 2 shown]
	v_add_u32_e32 v2, 0x80, v2
	s_cmp_eq_u32 s75, s1
	s_waitcnt lgkmcnt(0)
	v_add3_u32 v1, v40, v1, v41
	s_cbranch_scc0 .LBB48_43
; %bb.44:                               ;   in Loop: Header=BB48_7 Depth=1
	s_mov_b32 s1, s75
	s_branch .LBB48_71
.LBB48_45:                              ;   in Loop: Header=BB48_7 Depth=1
	v_mov_b32_e32 v1, 0
	v_mov_b32_e32 v2, 0
	;; [unrolled: 1-line block ×4, first 2 shown]
	s_and_saveexec_b64 s[94:95], s[10:11]
	s_cbranch_execnz .LBB48_48
; %bb.46:                               ;   in Loop: Header=BB48_7 Depth=1
	s_or_b64 exec, exec, s[94:95]
	v_mov_b32_e32 v13, 0
	s_and_saveexec_b64 s[6:7], s[12:13]
	s_cbranch_execnz .LBB48_51
.LBB48_47:                              ;   in Loop: Header=BB48_7 Depth=1
	s_or_b64 exec, exec, s[6:7]
	s_and_saveexec_b64 s[20:21], s[14:15]
	s_cbranch_execnz .LBB48_52
	s_branch .LBB48_57
.LBB48_48:                              ;   in Loop: Header=BB48_7 Depth=1
	s_mov_b32 s9, 0
	s_mov_b64 s[64:65], 0
	s_mov_b32 s78, 0
	s_mov_b32 s18, 0
	;; [unrolled: 1-line block ×4, first 2 shown]
	v_mov_b32_e32 v6, v19
.LBB48_49:                              ;   Parent Loop BB48_7 Depth=1
                                        ; =>  This Inner Loop Header: Depth=2
	v_add_u32_e32 v1, s9, v32
	v_ashrrev_i32_e32 v2, 31, v1
	v_add_u32_e32 v3, s9, v28
	v_lshlrev_b64 v[1:2], 2, v[1:2]
	v_ashrrev_i32_e32 v4, 31, v3
	v_mov_b32_e32 v13, s67
	v_add_u32_e32 v15, s9, v30
	v_lshlrev_b64 v[3:4], 2, v[3:4]
	v_add_co_u32_e64 v1, s[6:7], s62, v1
	v_ashrrev_i32_e32 v16, 31, v15
	v_addc_co_u32_e64 v2, s[6:7], v13, v2, s[6:7]
	v_add_u32_e32 v17, s9, v31
	v_lshlrev_b64 v[15:16], 2, v[15:16]
	v_add_co_u32_e64 v3, s[6:7], s62, v3
	v_ashrrev_i32_e32 v18, 31, v17
	v_addc_co_u32_e64 v4, s[6:7], v13, v4, s[6:7]
	v_lshlrev_b64 v[17:18], 2, v[17:18]
	v_add_co_u32_e64 v15, s[6:7], s62, v15
	v_addc_co_u32_e64 v16, s[6:7], v13, v16, s[6:7]
	v_add_co_u32_e64 v17, s[6:7], s62, v17
	v_addc_co_u32_e64 v18, s[6:7], v13, v18, s[6:7]
	global_load_dword v1, v[1:2], off
	s_nop 0
	global_load_dword v2, v[3:4], off
	s_nop 0
	global_load_dword v3, v[15:16], off
	global_load_dword v4, v[17:18], off
	v_add_u32_e32 v6, s8, v6
	s_add_i32 s9, s9, s16
	v_cmp_le_i32_e32 vcc, s77, v6
	s_waitcnt vmcnt(3)
	v_cmp_lt_i32_e64 s[6:7], -1, v1
	v_cndmask_b32_e64 v13, -1, v36, s[6:7]
	s_waitcnt vmcnt(2)
	v_cmp_lt_i32_e64 s[6:7], -1, v2
	v_cndmask_b32_e64 v15, -1, v36, s[6:7]
	;; [unrolled: 3-line block ×4, first 2 shown]
	v_xor_b32_e32 v15, v15, v2
	v_cmp_o_f32_e64 s[6:7], v2, v2
	v_xor_b32_e32 v2, v16, v3
	v_cmp_o_f32_e64 s[20:21], v3, v3
	;; [unrolled: 2-line block ×4, first 2 shown]
	v_cndmask_b32_e64 v1, -1, v4, s[24:25]
	v_cndmask_b32_e64 v4, -1, v15, s[6:7]
	v_and_b32_e32 v13, v1, v38
	v_bfe_u32 v1, v1, v37, 2
	v_cndmask_b32_e64 v2, -1, v2, s[20:21]
	v_and_b32_e32 v15, v4, v38
	v_bfe_u32 v4, v4, v37, 2
	v_cmp_eq_u32_e64 s[6:7], v13, v29
	v_cmp_eq_u32_e64 s[26:27], 0, v1
	v_cndmask_b32_e64 v3, -1, v3, s[22:23]
	v_and_b32_e32 v16, v2, v38
	v_bfe_u32 v2, v2, v37, 2
	v_cmp_eq_u32_e64 s[20:21], v15, v29
	v_cmp_eq_u32_e64 s[28:29], 0, v4
	s_and_b64 s[26:27], s[6:7], s[26:27]
	v_and_b32_e32 v17, v3, v38
	v_bfe_u32 v3, v3, v37, 2
	v_cmp_eq_u32_e64 s[22:23], v16, v29
	v_cmp_eq_u32_e64 s[30:31], 0, v2
	;; [unrolled: 1-line block ×5, first 2 shown]
	v_cndmask_b32_e64 v1, 0, 1, s[26:27]
	s_and_b64 s[26:27], s[20:21], s[28:29]
	v_cmp_eq_u32_e64 s[24:25], v17, v29
	v_cmp_eq_u32_e64 s[34:35], 0, v3
	;; [unrolled: 1-line block ×5, first 2 shown]
	v_cndmask_b32_e64 v2, 0, 1, s[26:27]
	s_and_b64 s[26:27], s[22:23], s[30:31]
	v_cmp_eq_u32_e64 s[42:43], 1, v3
	v_cmp_eq_u32_e64 s[50:51], 2, v3
	v_cmp_eq_u32_e64 s[58:59], 3, v3
	v_cndmask_b32_e64 v3, 0, 1, s[26:27]
	s_and_b64 s[26:27], s[24:25], s[34:35]
	v_cmp_eq_u32_e64 s[38:39], 1, v4
	v_cmp_eq_u32_e64 s[46:47], 2, v4
	;; [unrolled: 1-line block ×3, first 2 shown]
	v_cndmask_b32_e64 v4, 0, 1, s[26:27]
	s_and_b64 s[26:27], s[6:7], s[36:37]
	v_cndmask_b32_e64 v13, 0, 1, s[26:27]
	s_and_b64 s[26:27], s[20:21], s[38:39]
	;; [unrolled: 2-line block ×5, first 2 shown]
	s_and_b64 s[6:7], s[6:7], s[52:53]
	v_cndmask_b32_e64 v18, 0, 1, s[26:27]
	s_and_b64 s[26:27], s[20:21], s[46:47]
	v_cndmask_b32_e64 v43, 0, 1, s[6:7]
	;; [unrolled: 2-line block ×7, first 2 shown]
	v_cndmask_b32_e64 v46, 0, 1, s[6:7]
	v_cmp_ne_u32_e64 s[6:7], 0, v1
	v_cmp_ne_u32_e64 s[20:21], 0, v2
	;; [unrolled: 1-line block ×11, first 2 shown]
	s_bcnt1_i32_b64 s1, s[6:7]
	s_bcnt1_i32_b64 s6, s[20:21]
	s_bcnt1_i32_b64 s7, s[22:23]
	s_bcnt1_i32_b64 s20, s[24:25]
	s_bcnt1_i32_b64 s21, s[26:27]
	s_bcnt1_i32_b64 s22, s[28:29]
	s_bcnt1_i32_b64 s25, s[36:37]
	s_bcnt1_i32_b64 s29, s[44:45]
	v_cmp_ne_u32_e64 s[40:41], 0, v41
	v_cmp_ne_u32_e64 s[48:49], 0, v45
	s_bcnt1_i32_b64 s23, s[30:31]
	s_bcnt1_i32_b64 s26, s[38:39]
	;; [unrolled: 1-line block ×3, first 2 shown]
	s_add_i32 s0, s0, s1
	s_add_i32 s1, s19, s21
	;; [unrolled: 1-line block ×4, first 2 shown]
	v_cmp_ne_u32_e64 s[34:35], 0, v17
	v_cmp_ne_u32_e64 s[42:43], 0, v42
	;; [unrolled: 1-line block ×3, first 2 shown]
	s_bcnt1_i32_b64 s27, s[40:41]
	s_bcnt1_i32_b64 s31, s[48:49]
	s_add_i32 s0, s0, s6
	s_add_i32 s1, s1, s22
	;; [unrolled: 1-line block ×4, first 2 shown]
	s_bcnt1_i32_b64 s24, s[34:35]
	s_bcnt1_i32_b64 s28, s[42:43]
	;; [unrolled: 1-line block ×3, first 2 shown]
	s_add_i32 s0, s0, s7
	s_add_i32 s1, s1, s23
	;; [unrolled: 1-line block ×8, first 2 shown]
	s_or_b64 s[64:65], vcc, s[64:65]
	v_mov_b32_e32 v1, s0
	v_mov_b32_e32 v2, s19
	;; [unrolled: 1-line block ×4, first 2 shown]
	s_andn2_b64 exec, exec, s[64:65]
	s_cbranch_execnz .LBB48_49
; %bb.50:                               ;   in Loop: Header=BB48_7 Depth=1
	s_or_b64 exec, exec, s[64:65]
	s_or_b64 exec, exec, s[94:95]
	v_mov_b32_e32 v13, 0
	s_and_saveexec_b64 s[6:7], s[12:13]
	s_cbranch_execz .LBB48_47
.LBB48_51:                              ;   in Loop: Header=BB48_7 Depth=1
	global_load_dword v13, v[10:11], off
	s_or_b64 exec, exec, s[6:7]
	s_and_saveexec_b64 s[20:21], s[14:15]
	s_cbranch_execz .LBB48_57
.LBB48_52:                              ;   in Loop: Header=BB48_7 Depth=1
	s_mov_b64 s[22:23], 0
	v_mov_b32_e32 v15, v33
	v_mov_b32_e32 v6, v27
	s_branch .LBB48_54
.LBB48_53:                              ;   in Loop: Header=BB48_54 Depth=2
	s_or_b64 exec, exec, s[6:7]
	s_waitcnt vmcnt(0)
	v_cmp_lt_i32_e32 vcc, -1, v13
	v_cndmask_b32_e32 v17, -1, v36, vcc
	v_xor_b32_e32 v17, v17, v13
	v_cmp_o_f32_e32 vcc, v13, v13
	v_cndmask_b32_e32 v13, -1, v17, vcc
	v_and_b32_e32 v17, v13, v38
	v_bfe_u32 v13, v13, v37, 2
	v_cmp_eq_u32_e32 vcc, v17, v29
	v_cmp_eq_u32_e64 s[6:7], 0, v13
	s_and_b64 s[0:1], vcc, s[6:7]
	v_cndmask_b32_e64 v17, 0, 1, s[0:1]
	v_cmp_ne_u32_e64 s[6:7], 0, v17
	s_bcnt1_i32_b64 s0, s[6:7]
	v_cmp_eq_u32_e64 s[6:7], 1, v13
	v_add_u32_e32 v1, s0, v1
	s_and_b64 s[0:1], vcc, s[6:7]
	v_cndmask_b32_e64 v17, 0, 1, s[0:1]
	v_cmp_ne_u32_e64 s[6:7], 0, v17
	s_bcnt1_i32_b64 s0, s[6:7]
	v_cmp_eq_u32_e64 s[6:7], 2, v13
	v_add_u32_e32 v2, s0, v2
	;; [unrolled: 6-line block ×3, first 2 shown]
	s_and_b64 s[0:1], vcc, s[6:7]
	v_cndmask_b32_e64 v13, 0, 1, s[0:1]
	v_cmp_ne_u32_e32 vcc, 0, v13
	s_bcnt1_i32_b64 s0, vcc
	v_cmp_le_i32_e32 vcc, s60, v6
	v_add_u32_e32 v4, s0, v4
	v_add_u32_e32 v15, s33, v15
	s_or_b64 s[22:23], vcc, s[22:23]
	v_mov_b32_e32 v13, v16
	s_andn2_b64 exec, exec, s[22:23]
	s_cbranch_execz .LBB48_56
.LBB48_54:                              ;   Parent Loop BB48_7 Depth=1
                                        ; =>  This Inner Loop Header: Depth=2
	v_add_u32_e32 v6, s66, v6
	v_cmp_gt_u32_e32 vcc, s60, v6
	v_mov_b32_e32 v16, 0
	s_and_saveexec_b64 s[6:7], vcc
	s_cbranch_execz .LBB48_53
; %bb.55:                               ;   in Loop: Header=BB48_54 Depth=2
	v_ashrrev_i32_e32 v16, 31, v15
	v_lshlrev_b64 v[16:17], 2, v[15:16]
	v_mov_b32_e32 v18, s67
	v_add_co_u32_e32 v16, vcc, s62, v16
	v_addc_co_u32_e32 v17, vcc, v18, v17, vcc
	global_load_dword v16, v[16:17], off
	s_branch .LBB48_53
.LBB48_56:                              ;   in Loop: Header=BB48_7 Depth=1
	s_or_b64 exec, exec, s[22:23]
.LBB48_57:                              ;   in Loop: Header=BB48_7 Depth=1
	s_or_b64 exec, exec, s[20:21]
	s_branch .LBB48_37
.LBB48_58:                              ;   in Loop: Header=BB48_7 Depth=1
	s_mul_hi_u32 s0, s61, s76
	s_mul_i32 s0, s0, s8
	s_sub_i32 s0, s61, s0
	s_sub_i32 s1, s0, s8
	s_cmp_ge_u32 s0, s8
	s_cselect_b32 s0, s1, s0
	s_sub_i32 s1, s0, s8
	s_cmp_ge_u32 s0, s8
	s_cselect_b32 s0, s1, s0
	s_sub_i32 s0, s61, s0
	v_cmp_gt_u32_e32 vcc, s0, v19
	v_mov_b32_e32 v1, 0
	v_mov_b32_e32 v2, 0
	;; [unrolled: 1-line block ×4, first 2 shown]
	s_and_saveexec_b64 s[64:65], vcc
	s_cbranch_execz .LBB48_62
; %bb.59:                               ;   in Loop: Header=BB48_7 Depth=1
	s_mov_b32 s1, 0
	s_mov_b64 s[94:95], 0
	v_mov_b32_e32 v6, v34
	s_mov_b32 s9, 0
	s_mov_b32 s18, 0
	;; [unrolled: 1-line block ×3, first 2 shown]
	s_waitcnt vmcnt(0)
	v_mov_b32_e32 v13, v19
.LBB48_60:                              ;   Parent Loop BB48_7 Depth=1
                                        ; =>  This Inner Loop Header: Depth=2
	ds_read_b128 v[1:4], v6
	v_add_u32_e32 v13, s8, v13
	v_cmp_le_i32_e32 vcc, s0, v13
	v_add_u32_e32 v6, s17, v6
	s_waitcnt lgkmcnt(0)
	v_cmp_lt_i32_e64 s[6:7], -1, v1
	v_cndmask_b32_e64 v15, -1, v36, s[6:7]
	v_cmp_lt_i32_e64 s[6:7], -1, v2
	v_cndmask_b32_e64 v16, -1, v36, s[6:7]
	;; [unrolled: 2-line block ×4, first 2 shown]
	v_xor_b32_e32 v16, v16, v2
	v_cmp_o_f32_e64 s[6:7], v2, v2
	v_xor_b32_e32 v2, v17, v3
	v_cmp_o_f32_e64 s[20:21], v3, v3
	;; [unrolled: 2-line block ×4, first 2 shown]
	v_cndmask_b32_e64 v1, -1, v4, s[24:25]
	v_cndmask_b32_e64 v4, -1, v16, s[6:7]
	v_and_b32_e32 v15, v1, v38
	v_bfe_u32 v1, v1, v37, 2
	v_cndmask_b32_e64 v2, -1, v2, s[20:21]
	v_and_b32_e32 v16, v4, v38
	v_bfe_u32 v4, v4, v37, 2
	v_cmp_eq_u32_e64 s[6:7], v15, v29
	v_cmp_eq_u32_e64 s[26:27], 0, v1
	v_cndmask_b32_e64 v3, -1, v3, s[22:23]
	v_and_b32_e32 v17, v2, v38
	v_bfe_u32 v2, v2, v37, 2
	v_cmp_eq_u32_e64 s[20:21], v16, v29
	v_cmp_eq_u32_e64 s[28:29], 0, v4
	s_and_b64 s[26:27], s[6:7], s[26:27]
	v_and_b32_e32 v18, v3, v38
	v_bfe_u32 v3, v3, v37, 2
	v_cmp_eq_u32_e64 s[22:23], v17, v29
	v_cmp_eq_u32_e64 s[30:31], 0, v2
	;; [unrolled: 1-line block ×5, first 2 shown]
	v_cndmask_b32_e64 v1, 0, 1, s[26:27]
	s_and_b64 s[26:27], s[20:21], s[28:29]
	v_cmp_eq_u32_e64 s[24:25], v18, v29
	v_cmp_eq_u32_e64 s[34:35], 0, v3
	v_cmp_eq_u32_e64 s[40:41], 1, v2
	v_cmp_eq_u32_e64 s[48:49], 2, v2
	v_cmp_eq_u32_e64 s[56:57], 3, v2
	v_cndmask_b32_e64 v2, 0, 1, s[26:27]
	s_and_b64 s[26:27], s[22:23], s[30:31]
	v_cmp_eq_u32_e64 s[42:43], 1, v3
	v_cmp_eq_u32_e64 s[50:51], 2, v3
	;; [unrolled: 1-line block ×3, first 2 shown]
	v_cndmask_b32_e64 v3, 0, 1, s[26:27]
	s_and_b64 s[26:27], s[24:25], s[34:35]
	v_cmp_eq_u32_e64 s[38:39], 1, v4
	v_cmp_eq_u32_e64 s[46:47], 2, v4
	;; [unrolled: 1-line block ×3, first 2 shown]
	v_cndmask_b32_e64 v4, 0, 1, s[26:27]
	s_and_b64 s[26:27], s[6:7], s[36:37]
	v_cndmask_b32_e64 v15, 0, 1, s[26:27]
	s_and_b64 s[26:27], s[20:21], s[38:39]
	;; [unrolled: 2-line block ×5, first 2 shown]
	s_and_b64 s[6:7], s[6:7], s[52:53]
	v_cndmask_b32_e64 v40, 0, 1, s[26:27]
	s_and_b64 s[26:27], s[20:21], s[46:47]
	v_cndmask_b32_e64 v44, 0, 1, s[6:7]
	;; [unrolled: 2-line block ×7, first 2 shown]
	v_cndmask_b32_e64 v47, 0, 1, s[6:7]
	v_cmp_ne_u32_e64 s[6:7], 0, v1
	v_cmp_ne_u32_e64 s[20:21], 0, v2
	;; [unrolled: 1-line block ×11, first 2 shown]
	s_bcnt1_i32_b64 s6, s[6:7]
	s_bcnt1_i32_b64 s7, s[20:21]
	;; [unrolled: 1-line block ×8, first 2 shown]
	v_cmp_ne_u32_e64 s[34:35], 0, v18
	v_cmp_ne_u32_e64 s[40:41], 0, v42
	;; [unrolled: 1-line block ×3, first 2 shown]
	s_bcnt1_i32_b64 s23, s[28:29]
	s_bcnt1_i32_b64 s27, s[38:39]
	;; [unrolled: 1-line block ×3, first 2 shown]
	s_add_i32 s6, s19, s6
	s_add_i32 s18, s18, s22
	;; [unrolled: 1-line block ×4, first 2 shown]
	v_cmp_ne_u32_e64 s[42:43], 0, v43
	v_cmp_ne_u32_e64 s[50:51], 0, v47
	s_bcnt1_i32_b64 s25, s[34:35]
	s_bcnt1_i32_b64 s28, s[40:41]
	;; [unrolled: 1-line block ×3, first 2 shown]
	s_add_i32 s6, s6, s7
	s_add_i32 s7, s18, s23
	;; [unrolled: 1-line block ×4, first 2 shown]
	s_bcnt1_i32_b64 s29, s[42:43]
	s_bcnt1_i32_b64 s35, s[50:51]
	s_add_i32 s6, s6, s20
	s_add_i32 s7, s7, s24
	;; [unrolled: 1-line block ×8, first 2 shown]
	s_or_b64 s[94:95], vcc, s[94:95]
	v_mov_b32_e32 v1, s19
	v_mov_b32_e32 v2, s18
	;; [unrolled: 1-line block ×4, first 2 shown]
	s_andn2_b64 exec, exec, s[94:95]
	s_cbranch_execnz .LBB48_60
; %bb.61:                               ;   in Loop: Header=BB48_7 Depth=1
	s_or_b64 exec, exec, s[94:95]
.LBB48_62:                              ;   in Loop: Header=BB48_7 Depth=1
	s_or_b64 exec, exec, s[64:65]
	v_add_u32_e32 v6, s0, v0
	v_cmp_gt_i32_e32 vcc, s61, v6
	s_and_saveexec_b64 s[28:29], vcc
	s_cbranch_execz .LBB48_66
; %bb.63:                               ;   in Loop: Header=BB48_7 Depth=1
	s_waitcnt vmcnt(0)
	v_lshlrev_b32_e32 v13, 2, v6
	s_mov_b64 s[30:31], 0
.LBB48_64:                              ;   Parent Loop BB48_7 Depth=1
                                        ; =>  This Inner Loop Header: Depth=2
	ds_read_b32 v15, v13
	v_add_u32_e32 v6, s66, v6
	v_cmp_le_i32_e32 vcc, s61, v6
	v_add_u32_e32 v13, s8, v13
	s_waitcnt lgkmcnt(0)
	v_cmp_lt_i32_e64 s[6:7], -1, v15
	v_cndmask_b32_e64 v16, -1, v36, s[6:7]
	v_xor_b32_e32 v16, v16, v15
	v_cmp_o_f32_e64 s[6:7], v15, v15
	v_cndmask_b32_e64 v15, -1, v16, s[6:7]
	v_and_b32_e32 v16, v15, v38
	v_bfe_u32 v15, v15, v37, 2
	v_cmp_eq_u32_e64 s[6:7], v16, v29
	v_cmp_eq_u32_e64 s[20:21], 0, v15
	;; [unrolled: 1-line block ×3, first 2 shown]
	s_and_b64 s[0:1], s[6:7], s[20:21]
	v_cmp_eq_u32_e64 s[24:25], 2, v15
	v_cmp_eq_u32_e64 s[26:27], 3, v15
	v_cndmask_b32_e64 v15, 0, 1, s[0:1]
	s_and_b64 s[0:1], s[6:7], s[22:23]
	v_cndmask_b32_e64 v16, 0, 1, s[0:1]
	s_and_b64 s[0:1], s[6:7], s[24:25]
	;; [unrolled: 2-line block ×3, first 2 shown]
	v_cndmask_b32_e64 v18, 0, 1, s[0:1]
	v_cmp_ne_u32_e64 s[6:7], 0, v15
	v_cmp_ne_u32_e64 s[20:21], 0, v16
	;; [unrolled: 1-line block ×4, first 2 shown]
	s_bcnt1_i32_b64 s0, s[6:7]
	s_bcnt1_i32_b64 s1, s[20:21]
	s_bcnt1_i32_b64 s6, s[22:23]
	s_bcnt1_i32_b64 s7, s[24:25]
	v_add_u32_e32 v1, s0, v1
	v_add_u32_e32 v2, s1, v2
	v_add_u32_e32 v3, s6, v3
	s_or_b64 s[30:31], vcc, s[30:31]
	v_add_u32_e32 v4, s7, v4
	s_andn2_b64 exec, exec, s[30:31]
	s_cbranch_execnz .LBB48_64
; %bb.65:                               ;   in Loop: Header=BB48_7 Depth=1
	s_or_b64 exec, exec, s[30:31]
.LBB48_66:                              ;   in Loop: Header=BB48_7 Depth=1
	s_or_b64 exec, exec, s[28:29]
	s_lshl_b32 s0, s74, 6
	s_and_saveexec_b64 s[6:7], s[2:3]
	s_cbranch_execnz .LBB48_38
	s_branch .LBB48_39
.LBB48_67:                              ;   in Loop: Header=BB48_7 Depth=1
	s_or_b64 exec, exec, s[22:23]
	s_waitcnt lgkmcnt(0)
	s_barrier
	s_mov_b64 s[6:7], exec
	v_readlane_b32 s0, v48, 4
	v_readlane_b32 s1, v48, 5
	s_and_b64 s[0:1], s[6:7], s[0:1]
	s_mov_b64 exec, s[0:1]
	s_cbranch_execz .LBB48_69
; %bb.68:                               ;   in Loop: Header=BB48_7 Depth=1
	ds_read_b32 v1, v7 offset:4104
	s_waitcnt lgkmcnt(0)
	ds_write_b32 v7, v1 offset:4096
.LBB48_69:                              ;   in Loop: Header=BB48_7 Depth=1
	s_or_b64 exec, exec, s[6:7]
	s_waitcnt lgkmcnt(0)
	s_barrier
	s_mov_b64 s[6:7], -1
	s_and_b64 vcc, exec, s[20:21]
	s_cbranch_vccnz .LBB48_23
	s_branch .LBB48_33
.LBB48_70:                              ;   in Loop: Header=BB48_7 Depth=1
	v_mov_b32_e32 v1, 0
	s_mov_b32 s1, 0
.LBB48_71:                              ;   in Loop: Header=BB48_7 Depth=1
	v_readlane_b32 s18, v48, 19
	v_readlane_b32 s19, v48, 20
	s_andn2_b64 vcc, exec, s[18:19]
	s_cbranch_vccnz .LBB48_74
; %bb.72:                               ;   in Loop: Header=BB48_7 Depth=1
	s_lshl_b32 s9, s74, 8
	s_lshl_b32 s1, s1, 4
	s_add_i32 s9, s9, s1
	v_add_u32_e32 v2, s9, v35
	v_readlane_b32 s1, v48, 18
.LBB48_73:                              ;   Parent Loop BB48_7 Depth=1
                                        ; =>  This Inner Loop Header: Depth=2
	ds_read_b32 v3, v2
	s_add_i32 s1, s1, -1
	v_add_u32_e32 v2, 16, v2
	s_cmp_lg_u32 s1, 0
	s_waitcnt lgkmcnt(0)
	v_add_u32_e32 v1, v3, v1
	s_cbranch_scc1 .LBB48_73
.LBB48_74:                              ;   in Loop: Header=BB48_7 Depth=1
	v_add_lshl_u32 v2, s0, v20, 2
	ds_write_b32 v2, v1 offset:3072
.LBB48_75:                              ;   in Loop: Header=BB48_7 Depth=1
	s_or_b64 exec, exec, s[6:7]
	s_lshl_b32 s0, s0, 2
	v_mov_b32_e32 v1, s0
	s_waitcnt lgkmcnt(0)
	s_barrier
	ds_read_b128 v[1:4], v1 offset:3072
	v_cmp_eq_u32_e32 vcc, 1, v39
	s_mov_b64 s[20:21], -1
	s_mov_b64 s[28:29], -1
                                        ; implicit-def: $sgpr26_sgpr27
                                        ; implicit-def: $sgpr24_sgpr25
	s_waitcnt lgkmcnt(0)
	v_readfirstlane_b32 s42, v1
	s_cmp_eq_u32 s42, 1
	v_readfirstlane_b32 s54, v3
	v_lshlrev_b32_e64 v3, v37, 3
	s_cselect_b64 s[0:1], -1, 0
	v_readfirstlane_b32 s46, v2
	v_readfirstlane_b32 s61, v4
	v_not_b32_e32 v6, v3
	s_and_b64 s[22:23], s[0:1], vcc
	s_and_saveexec_b64 s[6:7], s[22:23]
	s_cbranch_execz .LBB48_103
; %bb.76:                               ;   in Loop: Header=BB48_7 Depth=1
	ds_read_b32 v1, v7 offset:4096
	s_waitcnt lgkmcnt(0)
	s_barrier
	v_readfirstlane_b32 s0, v1
	s_and_saveexec_b64 s[24:25], s[4:5]
; %bb.77:                               ;   in Loop: Header=BB48_7 Depth=1
	ds_write_b32 v21, v7
; %bb.78:                               ;   in Loop: Header=BB48_7 Depth=1
	s_or_b64 exec, exec, s[24:25]
	v_and_b32_e32 v29, v29, v6
	v_or_b32_e32 v38, v38, v3
	s_mov_b64 s[24:25], -1
	s_mov_b64 s[26:27], 0
	s_cmp_lt_i32 s0, 1
	s_mov_b64 s[28:29], 0
	s_mov_b64 s[30:31], -1
	s_waitcnt lgkmcnt(0)
	s_barrier
                                        ; implicit-def: $vgpr14
	s_cbranch_scc0 .LBB48_90
; %bb.79:                               ;   in Loop: Header=BB48_7 Depth=1
	s_mov_b64 s[30:31], 0
                                        ; implicit-def: $vgpr14
	s_mov_b64 s[34:35], exec
	v_readlane_b32 s18, v48, 22
	v_readlane_b32 s19, v48, 23
	s_and_b64 s[18:19], s[34:35], s[18:19]
	s_mov_b64 exec, s[18:19]
	s_cbranch_execz .LBB48_89
; %bb.80:                               ;   in Loop: Header=BB48_7 Depth=1
	v_mov_b32_e32 v1, v5
	v_mov_b32_e32 v4, v0
                                        ; implicit-def: $sgpr36_sgpr37
	s_branch .LBB48_84
.LBB48_81:                              ;   in Loop: Header=BB48_84 Depth=2
	s_or_b64 exec, exec, s[38:39]
	s_waitcnt lgkmcnt(0)
	s_barrier
	ds_read_b64 v[13:14], v7 offset:3072
	s_waitcnt lgkmcnt(0)
	s_barrier
	v_cmp_neq_f32_e32 vcc, 0, v13
	s_cbranch_vccnz .LBB48_87
; %bb.82:                               ;   in Loop: Header=BB48_84 Depth=2
	v_add_u32_e32 v4, s66, v4
	v_cmp_le_i32_e32 vcc, s79, v4
	v_add_u32_e32 v1, s33, v1
	s_mov_b64 s[38:39], 0
	s_orn2_b64 s[40:41], vcc, exec
.LBB48_83:                              ;   in Loop: Header=BB48_84 Depth=2
	s_and_b64 s[18:19], exec, s[40:41]
	s_or_b64 s[28:29], s[18:19], s[28:29]
	s_andn2_b64 s[18:19], s[36:37], exec
	s_and_b64 s[36:37], s[38:39], exec
	s_or_b64 s[36:37], s[18:19], s[36:37]
	s_andn2_b64 exec, exec, s[28:29]
	s_cbranch_execz .LBB48_88
.LBB48_84:                              ;   Parent Loop BB48_7 Depth=1
                                        ; =>  This Inner Loop Header: Depth=2
	v_cmp_gt_i32_e32 vcc, s60, v4
	s_and_saveexec_b64 s[38:39], vcc
	s_cbranch_execz .LBB48_81
; %bb.85:                               ;   in Loop: Header=BB48_84 Depth=2
	v_ashrrev_i32_e32 v2, 31, v1
	v_lshlrev_b64 v[13:14], 2, v[1:2]
	v_mov_b32_e32 v2, s67
	v_add_co_u32_e32 v13, vcc, s62, v13
	v_addc_co_u32_e32 v14, vcc, v2, v14, vcc
	global_load_dword v13, v[13:14], off
	s_waitcnt vmcnt(0)
	v_cmp_lt_i32_e32 vcc, -1, v13
	v_cndmask_b32_e32 v2, -1, v36, vcc
	v_xor_b32_e32 v2, v2, v13
	v_cmp_o_f32_e32 vcc, v13, v13
	v_cndmask_b32_e32 v2, -1, v2, vcc
	v_and_b32_e32 v2, v2, v38
	v_cmp_eq_u32_e32 vcc, v2, v29
	s_and_b64 exec, exec, vcc
	s_cbranch_execz .LBB48_81
; %bb.86:                               ;   in Loop: Header=BB48_84 Depth=2
	ds_write_b64 v7, v[12:13] offset:3072
	s_branch .LBB48_81
.LBB48_87:                              ;   in Loop: Header=BB48_84 Depth=2
	s_mov_b64 s[40:41], -1
                                        ; implicit-def: $vgpr4
                                        ; implicit-def: $vgpr1
	s_mov_b64 s[38:39], -1
	s_branch .LBB48_83
.LBB48_88:                              ;   in Loop: Header=BB48_7 Depth=1
	s_or_b64 exec, exec, s[28:29]
	s_and_b64 s[28:29], s[36:37], exec
.LBB48_89:                              ;   in Loop: Header=BB48_7 Depth=1
	s_or_b64 exec, exec, s[34:35]
.LBB48_90:                              ;   in Loop: Header=BB48_7 Depth=1
	s_and_b64 vcc, exec, s[30:31]
	s_cbranch_vccz .LBB48_102
; %bb.91:                               ;   in Loop: Header=BB48_7 Depth=1
	v_readlane_b32 s1, v48, 9
	s_add_i32 s1, s0, s1
	s_abs_i32 s18, s1
	v_readlane_b32 s19, v48, 21
	s_mul_hi_u32 s19, s18, s19
	s_mul_i32 s19, s19, s66
	s_sub_i32 s18, s18, s19
	s_ashr_i32 s9, s1, 31
	s_sub_i32 s19, s18, s66
	s_cmp_ge_u32 s18, s66
	s_cselect_b32 s18, s19, s18
	s_sub_i32 s19, s18, s66
	s_cmp_ge_u32 s18, s66
	s_cselect_b32 s18, s19, s18
	s_xor_b32 s18, s18, s9
	s_sub_i32 s9, s9, s18
	s_add_i32 s1, s1, s9
	v_cmp_gt_i32_e32 vcc, s1, v0
                                        ; implicit-def: $vgpr14
	s_and_saveexec_b64 s[24:25], vcc
	s_cbranch_execz .LBB48_101
; %bb.92:                               ;   in Loop: Header=BB48_7 Depth=1
	s_mov_b64 s[26:27], 0
	v_mov_b32_e32 v1, v19
	v_mov_b32_e32 v2, v0
                                        ; implicit-def: $sgpr30_sgpr31
	s_branch .LBB48_96
.LBB48_93:                              ;   in Loop: Header=BB48_96 Depth=2
	s_or_b64 exec, exec, s[34:35]
	s_waitcnt lgkmcnt(0)
	s_barrier
	ds_read_b64 v[13:14], v7 offset:3072
	s_waitcnt lgkmcnt(0)
	s_barrier
	v_cmp_neq_f32_e32 vcc, 0, v13
	s_cbranch_vccnz .LBB48_99
; %bb.94:                               ;   in Loop: Header=BB48_96 Depth=2
	v_add_u32_e32 v2, s66, v2
	v_cmp_le_i32_e32 vcc, s1, v2
	v_add_u32_e32 v1, s8, v1
	s_mov_b64 s[34:35], 0
	s_orn2_b64 s[36:37], vcc, exec
.LBB48_95:                              ;   in Loop: Header=BB48_96 Depth=2
	s_and_b64 s[18:19], exec, s[36:37]
	s_or_b64 s[26:27], s[18:19], s[26:27]
	s_andn2_b64 s[18:19], s[30:31], exec
	s_and_b64 s[30:31], s[34:35], exec
	s_or_b64 s[30:31], s[18:19], s[30:31]
	s_andn2_b64 exec, exec, s[26:27]
	s_cbranch_execz .LBB48_100
.LBB48_96:                              ;   Parent Loop BB48_7 Depth=1
                                        ; =>  This Inner Loop Header: Depth=2
	v_cmp_gt_i32_e32 vcc, s0, v2
	s_and_saveexec_b64 s[34:35], vcc
	s_cbranch_execz .LBB48_93
; %bb.97:                               ;   in Loop: Header=BB48_96 Depth=2
	ds_read_b32 v13, v1
	s_waitcnt lgkmcnt(0)
	v_cmp_lt_i32_e32 vcc, -1, v13
	v_cndmask_b32_e32 v4, -1, v36, vcc
	v_xor_b32_e32 v4, v4, v13
	v_cmp_o_f32_e32 vcc, v13, v13
	v_cndmask_b32_e32 v4, -1, v4, vcc
	v_and_b32_e32 v4, v4, v38
	v_cmp_eq_u32_e32 vcc, v4, v29
	s_and_b64 exec, exec, vcc
	s_cbranch_execz .LBB48_93
; %bb.98:                               ;   in Loop: Header=BB48_96 Depth=2
	ds_write_b64 v7, v[12:13] offset:3072
	s_branch .LBB48_93
.LBB48_99:                              ;   in Loop: Header=BB48_96 Depth=2
	s_mov_b64 s[36:37], -1
                                        ; implicit-def: $vgpr2
                                        ; implicit-def: $vgpr1
	s_mov_b64 s[34:35], -1
	s_branch .LBB48_95
.LBB48_100:                             ;   in Loop: Header=BB48_7 Depth=1
	s_or_b64 exec, exec, s[26:27]
	s_andn2_b64 s[0:1], s[28:29], exec
	s_and_b64 s[18:19], s[30:31], exec
	s_or_b64 s[28:29], s[0:1], s[18:19]
.LBB48_101:                             ;   in Loop: Header=BB48_7 Depth=1
	s_or_b64 exec, exec, s[24:25]
	s_mov_b64 s[24:25], 0
	s_mov_b64 s[26:27], -1
.LBB48_102:                             ;   in Loop: Header=BB48_7 Depth=1
	s_orn2_b64 s[28:29], s[28:29], exec
.LBB48_103:                             ;   in Loop: Header=BB48_7 Depth=1
	s_or_b64 exec, exec, s[6:7]
	s_andn2_b64 s[6:7], s[92:93], exec
	s_and_b64 s[18:19], s[26:27], exec
	s_or_b64 s[92:93], s[6:7], s[18:19]
	s_andn2_b64 s[6:7], s[90:91], exec
	s_and_b64 s[18:19], s[24:25], exec
	v_readfirstlane_b32 s0, v0
	s_andn2_b64 s[88:89], s[88:89], exec
	s_or_b64 s[90:91], s[6:7], s[18:19]
                                        ; implicit-def: $vgpr15
	s_and_saveexec_b64 s[6:7], s[28:29]
	s_cbranch_execz .LBB48_6
; %bb.104:                              ;   in Loop: Header=BB48_7 Depth=1
	s_xor_b64 s[0:1], s[22:23], -1
	s_mov_b64 s[22:23], 0
	v_mov_b32_e32 v15, 1
	v_mov_b32_e32 v4, 1
	s_and_saveexec_b64 s[20:21], s[0:1]
	s_cbranch_execz .LBB48_113
; %bb.105:                              ;   in Loop: Header=BB48_7 Depth=1
	v_cmp_ge_i32_e32 vcc, s42, v39
	s_and_saveexec_b64 s[0:1], vcc
	s_xor_b64 s[22:23], exec, s[0:1]
	s_cbranch_execz .LBB48_110
; %bb.106:                              ;   in Loop: Header=BB48_7 Depth=1
	ds_read_b32 v1, v7 offset:4096
	v_and_b32_e32 v29, v29, v6
	v_or_b32_e32 v38, v38, v3
	s_waitcnt lgkmcnt(0)
	v_cmp_ne_u32_e32 vcc, 0, v1
	s_cbranch_vccnz .LBB48_110
; %bb.107:                              ;   in Loop: Header=BB48_7 Depth=1
	s_mov_b64 s[24:25], exec
	v_readlane_b32 s0, v48, 4
	v_readlane_b32 s1, v48, 5
	s_and_b64 s[0:1], s[24:25], s[0:1]
	s_mov_b64 exec, s[0:1]
; %bb.108:                              ;   in Loop: Header=BB48_7 Depth=1
	v_mov_b32_e32 v1, s42
	ds_write_b32 v7, v1 offset:4100
; %bb.109:                              ;   in Loop: Header=BB48_7 Depth=1
	s_or_b64 exec, exec, s[24:25]
	s_waitcnt lgkmcnt(0)
	s_barrier
.LBB48_110:                             ;   in Loop: Header=BB48_7 Depth=1
	s_or_saveexec_b64 s[22:23], s[22:23]
	s_mov_b64 s[24:25], 0
	v_mov_b32_e32 v4, 8
	s_xor_b64 exec, exec, s[22:23]
; %bb.111:                              ;   in Loop: Header=BB48_7 Depth=1
	s_mov_b64 s[24:25], exec
	v_subrev_u32_e32 v39, s42, v39
	v_mov_b32_e32 v4, 0
; %bb.112:                              ;   in Loop: Header=BB48_7 Depth=1
	s_or_b64 exec, exec, s[22:23]
	s_and_b64 s[22:23], s[24:25], exec
	v_mov_b32_e32 v15, v39
.LBB48_113:                             ;   in Loop: Header=BB48_7 Depth=1
	s_or_b64 exec, exec, s[20:21]
	s_mov_b64 s[20:21], -1
	s_mov_b64 s[28:29], -1
                                        ; implicit-def: $sgpr24_sgpr25
                                        ; implicit-def: $sgpr26_sgpr27
	s_and_saveexec_b64 s[0:1], s[22:23]
	s_xor_b64 s[22:23], exec, s[0:1]
	s_cbranch_execz .LBB48_236
; %bb.114:                              ;   in Loop: Header=BB48_7 Depth=1
	s_cmp_eq_u32 s46, 1
	s_cselect_b64 s[0:1], -1, 0
	v_cmp_eq_u32_e32 vcc, 1, v15
	s_and_b64 s[30:31], s[0:1], vcc
	s_mov_b64 s[34:35], -1
                                        ; implicit-def: $sgpr26_sgpr27
                                        ; implicit-def: $sgpr24_sgpr25
	s_and_saveexec_b64 s[28:29], s[30:31]
	s_cbranch_execz .LBB48_142
; %bb.115:                              ;   in Loop: Header=BB48_7 Depth=1
	ds_read_b32 v1, v7 offset:4096
	s_waitcnt lgkmcnt(0)
	s_barrier
	v_readfirstlane_b32 s0, v1
	s_and_saveexec_b64 s[24:25], s[4:5]
; %bb.116:                              ;   in Loop: Header=BB48_7 Depth=1
	ds_write_b32 v21, v7
; %bb.117:                              ;   in Loop: Header=BB48_7 Depth=1
	s_or_b64 exec, exec, s[24:25]
	v_and_b32_e32 v1, v29, v6
	v_lshl_or_b32 v29, 1, v37, v1
	v_or_b32_e32 v38, v38, v3
	s_mov_b64 s[24:25], -1
	s_mov_b64 s[26:27], 0
	s_cmp_gt_i32 s0, 0
	s_mov_b64 s[34:35], 0
	s_mov_b64 s[36:37], -1
	s_waitcnt lgkmcnt(0)
	s_barrier
                                        ; implicit-def: $vgpr14
	s_cbranch_scc1 .LBB48_129
; %bb.118:                              ;   in Loop: Header=BB48_7 Depth=1
	s_mov_b64 s[36:37], 0
                                        ; implicit-def: $vgpr14
	s_mov_b64 s[38:39], exec
	v_readlane_b32 s18, v48, 22
	v_readlane_b32 s19, v48, 23
	s_and_b64 s[18:19], s[38:39], s[18:19]
	s_mov_b64 exec, s[18:19]
	s_cbranch_execz .LBB48_128
; %bb.119:                              ;   in Loop: Header=BB48_7 Depth=1
	v_mov_b32_e32 v1, v5
	v_mov_b32_e32 v16, v0
                                        ; implicit-def: $sgpr40_sgpr41
	s_branch .LBB48_123
.LBB48_120:                             ;   in Loop: Header=BB48_123 Depth=2
	s_or_b64 exec, exec, s[42:43]
	s_waitcnt lgkmcnt(0)
	s_barrier
	ds_read_b64 v[13:14], v7 offset:3072
	s_waitcnt lgkmcnt(0)
	s_barrier
	v_cmp_neq_f32_e32 vcc, 0, v13
	s_cbranch_vccnz .LBB48_126
; %bb.121:                              ;   in Loop: Header=BB48_123 Depth=2
	v_add_u32_e32 v16, s66, v16
	v_cmp_le_i32_e32 vcc, s79, v16
	v_add_u32_e32 v1, s33, v1
	s_mov_b64 s[42:43], 0
	s_orn2_b64 s[44:45], vcc, exec
.LBB48_122:                             ;   in Loop: Header=BB48_123 Depth=2
	s_and_b64 s[18:19], exec, s[44:45]
	s_or_b64 s[34:35], s[18:19], s[34:35]
	s_andn2_b64 s[18:19], s[40:41], exec
	s_and_b64 s[40:41], s[42:43], exec
	s_or_b64 s[40:41], s[18:19], s[40:41]
	s_andn2_b64 exec, exec, s[34:35]
	s_cbranch_execz .LBB48_127
.LBB48_123:                             ;   Parent Loop BB48_7 Depth=1
                                        ; =>  This Inner Loop Header: Depth=2
	v_cmp_gt_i32_e32 vcc, s60, v16
	s_and_saveexec_b64 s[42:43], vcc
	s_cbranch_execz .LBB48_120
; %bb.124:                              ;   in Loop: Header=BB48_123 Depth=2
	v_ashrrev_i32_e32 v2, 31, v1
	v_lshlrev_b64 v[13:14], 2, v[1:2]
	v_mov_b32_e32 v2, s67
	v_add_co_u32_e32 v13, vcc, s62, v13
	v_addc_co_u32_e32 v14, vcc, v2, v14, vcc
	global_load_dword v13, v[13:14], off
	s_waitcnt vmcnt(0)
	v_cmp_lt_i32_e32 vcc, -1, v13
	v_cndmask_b32_e32 v2, -1, v36, vcc
	v_xor_b32_e32 v2, v2, v13
	v_cmp_o_f32_e32 vcc, v13, v13
	v_cndmask_b32_e32 v2, -1, v2, vcc
	v_and_b32_e32 v2, v2, v38
	v_cmp_eq_u32_e32 vcc, v2, v29
	s_and_b64 exec, exec, vcc
	s_cbranch_execz .LBB48_120
; %bb.125:                              ;   in Loop: Header=BB48_123 Depth=2
	ds_write_b64 v7, v[12:13] offset:3072
	s_branch .LBB48_120
.LBB48_126:                             ;   in Loop: Header=BB48_123 Depth=2
	s_mov_b64 s[44:45], -1
                                        ; implicit-def: $vgpr16
                                        ; implicit-def: $vgpr1
	s_mov_b64 s[42:43], -1
	s_branch .LBB48_122
.LBB48_127:                             ;   in Loop: Header=BB48_7 Depth=1
	s_or_b64 exec, exec, s[34:35]
	s_and_b64 s[34:35], s[40:41], exec
.LBB48_128:                             ;   in Loop: Header=BB48_7 Depth=1
	s_or_b64 exec, exec, s[38:39]
.LBB48_129:                             ;   in Loop: Header=BB48_7 Depth=1
	s_and_b64 vcc, exec, s[36:37]
	s_cbranch_vccz .LBB48_141
; %bb.130:                              ;   in Loop: Header=BB48_7 Depth=1
	v_readlane_b32 s1, v48, 9
	s_add_i32 s1, s0, s1
	s_abs_i32 s18, s1
	v_readlane_b32 s19, v48, 21
	s_mul_hi_u32 s19, s18, s19
	s_mul_i32 s19, s19, s66
	s_sub_i32 s18, s18, s19
	s_ashr_i32 s9, s1, 31
	s_sub_i32 s19, s18, s66
	s_cmp_ge_u32 s18, s66
	s_cselect_b32 s18, s19, s18
	s_sub_i32 s19, s18, s66
	s_cmp_ge_u32 s18, s66
	s_cselect_b32 s18, s19, s18
	s_xor_b32 s18, s18, s9
	s_sub_i32 s9, s9, s18
	s_add_i32 s1, s1, s9
	v_cmp_gt_i32_e32 vcc, s1, v0
                                        ; implicit-def: $vgpr14
	s_and_saveexec_b64 s[24:25], vcc
	s_cbranch_execz .LBB48_140
; %bb.131:                              ;   in Loop: Header=BB48_7 Depth=1
	s_mov_b64 s[26:27], 0
	v_mov_b32_e32 v1, v19
	v_mov_b32_e32 v2, v0
                                        ; implicit-def: $sgpr36_sgpr37
	s_branch .LBB48_135
.LBB48_132:                             ;   in Loop: Header=BB48_135 Depth=2
	s_or_b64 exec, exec, s[38:39]
	s_waitcnt lgkmcnt(0)
	s_barrier
	ds_read_b64 v[13:14], v7 offset:3072
	s_waitcnt lgkmcnt(0)
	s_barrier
	v_cmp_eq_f32_e32 vcc, 0, v13
	s_cbranch_vccz .LBB48_138
; %bb.133:                              ;   in Loop: Header=BB48_135 Depth=2
	v_add_u32_e32 v2, s66, v2
	v_cmp_le_i32_e32 vcc, s1, v2
	v_add_u32_e32 v1, s8, v1
	s_mov_b64 s[38:39], 0
	s_orn2_b64 s[40:41], vcc, exec
.LBB48_134:                             ;   in Loop: Header=BB48_135 Depth=2
	s_and_b64 s[18:19], exec, s[40:41]
	s_or_b64 s[26:27], s[18:19], s[26:27]
	s_andn2_b64 s[18:19], s[36:37], exec
	s_and_b64 s[36:37], s[38:39], exec
	s_or_b64 s[36:37], s[18:19], s[36:37]
	s_andn2_b64 exec, exec, s[26:27]
	s_cbranch_execz .LBB48_139
.LBB48_135:                             ;   Parent Loop BB48_7 Depth=1
                                        ; =>  This Inner Loop Header: Depth=2
	v_cmp_gt_i32_e32 vcc, s0, v2
	s_and_saveexec_b64 s[38:39], vcc
	s_cbranch_execz .LBB48_132
; %bb.136:                              ;   in Loop: Header=BB48_135 Depth=2
	ds_read_b32 v13, v1
	s_waitcnt lgkmcnt(0)
	v_cmp_lt_i32_e32 vcc, -1, v13
	v_cndmask_b32_e32 v14, -1, v36, vcc
	v_xor_b32_e32 v14, v14, v13
	v_cmp_o_f32_e32 vcc, v13, v13
	v_cndmask_b32_e32 v14, -1, v14, vcc
	v_and_b32_e32 v14, v14, v38
	v_cmp_eq_u32_e32 vcc, v14, v29
	s_and_b64 exec, exec, vcc
	s_cbranch_execz .LBB48_132
; %bb.137:                              ;   in Loop: Header=BB48_135 Depth=2
	ds_write_b64 v7, v[12:13] offset:3072
	s_branch .LBB48_132
.LBB48_138:                             ;   in Loop: Header=BB48_135 Depth=2
	s_mov_b64 s[40:41], -1
                                        ; implicit-def: $vgpr2
                                        ; implicit-def: $vgpr1
	s_mov_b64 s[38:39], -1
	s_branch .LBB48_134
.LBB48_139:                             ;   in Loop: Header=BB48_7 Depth=1
	s_or_b64 exec, exec, s[26:27]
	s_andn2_b64 s[0:1], s[34:35], exec
	s_and_b64 s[18:19], s[36:37], exec
	s_or_b64 s[34:35], s[0:1], s[18:19]
.LBB48_140:                             ;   in Loop: Header=BB48_7 Depth=1
	s_or_b64 exec, exec, s[24:25]
	s_mov_b64 s[24:25], 0
	s_mov_b64 s[26:27], -1
.LBB48_141:                             ;   in Loop: Header=BB48_7 Depth=1
	s_orn2_b64 s[34:35], s[34:35], exec
.LBB48_142:                             ;   in Loop: Header=BB48_7 Depth=1
	s_or_b64 exec, exec, s[28:29]
	s_mov_b64 s[36:37], 0
	s_and_saveexec_b64 s[28:29], s[34:35]
	s_cbranch_execz .LBB48_235
; %bb.143:                              ;   in Loop: Header=BB48_7 Depth=1
	s_xor_b64 s[0:1], s[30:31], -1
	s_mov_b64 s[40:41], 0
	v_mov_b32_e32 v16, 1
	v_mov_b32_e32 v4, 1
	s_and_saveexec_b64 s[30:31], s[0:1]
	s_cbranch_execz .LBB48_152
; %bb.144:                              ;   in Loop: Header=BB48_7 Depth=1
	v_cmp_ge_i32_e32 vcc, s46, v15
	s_and_saveexec_b64 s[0:1], vcc
	s_xor_b64 s[34:35], exec, s[0:1]
	s_cbranch_execz .LBB48_149
; %bb.145:                              ;   in Loop: Header=BB48_7 Depth=1
	ds_read_b32 v1, v7 offset:4096
	v_and_b32_e32 v2, v29, v6
	v_lshl_or_b32 v29, 1, v37, v2
	v_or_b32_e32 v38, v38, v3
	s_waitcnt lgkmcnt(0)
	v_cmp_ne_u32_e32 vcc, 0, v1
	s_cbranch_vccnz .LBB48_149
; %bb.146:                              ;   in Loop: Header=BB48_7 Depth=1
	s_mov_b64 s[36:37], exec
	v_readlane_b32 s0, v48, 4
	v_readlane_b32 s1, v48, 5
	s_and_b64 s[0:1], s[36:37], s[0:1]
	s_mov_b64 exec, s[0:1]
; %bb.147:                              ;   in Loop: Header=BB48_7 Depth=1
	v_mov_b32_e32 v1, s46
	ds_write_b32 v7, v1 offset:4100
; %bb.148:                              ;   in Loop: Header=BB48_7 Depth=1
	s_or_b64 exec, exec, s[36:37]
	s_waitcnt lgkmcnt(0)
	s_barrier
.LBB48_149:                             ;   in Loop: Header=BB48_7 Depth=1
	s_or_saveexec_b64 s[34:35], s[34:35]
	s_mov_b64 s[36:37], 0
	v_mov_b32_e32 v4, 8
	s_xor_b64 exec, exec, s[34:35]
; %bb.150:                              ;   in Loop: Header=BB48_7 Depth=1
	s_mov_b64 s[36:37], exec
	v_subrev_u32_e32 v15, s46, v15
	v_mov_b32_e32 v4, 0
; %bb.151:                              ;   in Loop: Header=BB48_7 Depth=1
	s_or_b64 exec, exec, s[34:35]
	s_and_b64 s[40:41], s[36:37], exec
	v_mov_b32_e32 v16, v15
.LBB48_152:                             ;   in Loop: Header=BB48_7 Depth=1
	s_or_b64 exec, exec, s[30:31]
	s_mov_b64 s[38:39], -1
                                        ; implicit-def: $sgpr34_sgpr35
                                        ; implicit-def: $sgpr36_sgpr37
	s_and_saveexec_b64 s[30:31], s[40:41]
	s_cbranch_execz .LBB48_234
; %bb.153:                              ;   in Loop: Header=BB48_7 Depth=1
	s_cmp_eq_u32 s54, 1
	s_cselect_b64 s[0:1], -1, 0
	v_cmp_eq_u32_e32 vcc, 1, v16
	s_and_b64 s[40:41], s[0:1], vcc
	s_mov_b64 s[42:43], -1
                                        ; implicit-def: $sgpr36_sgpr37
                                        ; implicit-def: $sgpr34_sgpr35
	s_and_saveexec_b64 s[38:39], s[40:41]
	s_cbranch_execz .LBB48_181
; %bb.154:                              ;   in Loop: Header=BB48_7 Depth=1
	ds_read_b32 v1, v7 offset:4096
	s_waitcnt lgkmcnt(0)
	s_barrier
	v_readfirstlane_b32 s0, v1
	s_and_saveexec_b64 s[34:35], s[4:5]
; %bb.155:                              ;   in Loop: Header=BB48_7 Depth=1
	ds_write_b32 v21, v7
; %bb.156:                              ;   in Loop: Header=BB48_7 Depth=1
	s_or_b64 exec, exec, s[34:35]
	v_and_b32_e32 v1, v29, v6
	v_lshl_or_b32 v29, 2, v37, v1
	v_or_b32_e32 v38, v38, v3
	s_mov_b64 s[34:35], -1
	s_mov_b64 s[36:37], 0
	s_cmp_gt_i32 s0, 0
	s_mov_b64 s[42:43], 0
	s_mov_b64 s[44:45], -1
	s_waitcnt lgkmcnt(0)
	s_barrier
                                        ; implicit-def: $vgpr14
	s_cbranch_scc1 .LBB48_168
; %bb.157:                              ;   in Loop: Header=BB48_7 Depth=1
	s_mov_b64 s[44:45], 0
                                        ; implicit-def: $vgpr14
	s_mov_b64 s[46:47], exec
	v_readlane_b32 s18, v48, 22
	v_readlane_b32 s19, v48, 23
	s_and_b64 s[18:19], s[46:47], s[18:19]
	s_mov_b64 exec, s[18:19]
	s_cbranch_execz .LBB48_167
; %bb.158:                              ;   in Loop: Header=BB48_7 Depth=1
	v_mov_b32_e32 v1, v5
	v_mov_b32_e32 v15, v0
                                        ; implicit-def: $sgpr48_sgpr49
	s_branch .LBB48_162
.LBB48_159:                             ;   in Loop: Header=BB48_162 Depth=2
	s_or_b64 exec, exec, s[50:51]
	s_waitcnt lgkmcnt(0)
	s_barrier
	ds_read_b64 v[13:14], v7 offset:3072
	s_waitcnt lgkmcnt(0)
	s_barrier
	v_cmp_neq_f32_e32 vcc, 0, v13
	s_cbranch_vccnz .LBB48_165
; %bb.160:                              ;   in Loop: Header=BB48_162 Depth=2
	v_add_u32_e32 v15, s66, v15
	v_cmp_le_i32_e32 vcc, s79, v15
	v_add_u32_e32 v1, s33, v1
	s_mov_b64 s[50:51], 0
	s_orn2_b64 s[52:53], vcc, exec
.LBB48_161:                             ;   in Loop: Header=BB48_162 Depth=2
	s_and_b64 s[18:19], exec, s[52:53]
	s_or_b64 s[42:43], s[18:19], s[42:43]
	s_andn2_b64 s[18:19], s[48:49], exec
	s_and_b64 s[48:49], s[50:51], exec
	s_or_b64 s[48:49], s[18:19], s[48:49]
	s_andn2_b64 exec, exec, s[42:43]
	s_cbranch_execz .LBB48_166
.LBB48_162:                             ;   Parent Loop BB48_7 Depth=1
                                        ; =>  This Inner Loop Header: Depth=2
	v_cmp_gt_i32_e32 vcc, s60, v15
	s_and_saveexec_b64 s[50:51], vcc
	s_cbranch_execz .LBB48_159
; %bb.163:                              ;   in Loop: Header=BB48_162 Depth=2
	v_ashrrev_i32_e32 v2, 31, v1
	v_lshlrev_b64 v[13:14], 2, v[1:2]
	v_mov_b32_e32 v2, s67
	v_add_co_u32_e32 v13, vcc, s62, v13
	v_addc_co_u32_e32 v14, vcc, v2, v14, vcc
	global_load_dword v13, v[13:14], off
	s_waitcnt vmcnt(0)
	v_cmp_lt_i32_e32 vcc, -1, v13
	v_cndmask_b32_e32 v2, -1, v36, vcc
	v_xor_b32_e32 v2, v2, v13
	v_cmp_o_f32_e32 vcc, v13, v13
	v_cndmask_b32_e32 v2, -1, v2, vcc
	v_and_b32_e32 v2, v2, v38
	v_cmp_eq_u32_e32 vcc, v2, v29
	s_and_b64 exec, exec, vcc
	s_cbranch_execz .LBB48_159
; %bb.164:                              ;   in Loop: Header=BB48_162 Depth=2
	ds_write_b64 v7, v[12:13] offset:3072
	s_branch .LBB48_159
.LBB48_165:                             ;   in Loop: Header=BB48_162 Depth=2
	s_mov_b64 s[52:53], -1
                                        ; implicit-def: $vgpr15
                                        ; implicit-def: $vgpr1
	s_mov_b64 s[50:51], -1
	s_branch .LBB48_161
.LBB48_166:                             ;   in Loop: Header=BB48_7 Depth=1
	s_or_b64 exec, exec, s[42:43]
	s_and_b64 s[42:43], s[48:49], exec
.LBB48_167:                             ;   in Loop: Header=BB48_7 Depth=1
	s_or_b64 exec, exec, s[46:47]
.LBB48_168:                             ;   in Loop: Header=BB48_7 Depth=1
	s_and_b64 vcc, exec, s[44:45]
	s_cbranch_vccz .LBB48_180
; %bb.169:                              ;   in Loop: Header=BB48_7 Depth=1
	v_readlane_b32 s1, v48, 9
	s_add_i32 s1, s0, s1
	s_abs_i32 s18, s1
	v_readlane_b32 s19, v48, 21
	s_mul_hi_u32 s19, s18, s19
	s_mul_i32 s19, s19, s66
	s_sub_i32 s18, s18, s19
	s_ashr_i32 s9, s1, 31
	s_sub_i32 s19, s18, s66
	s_cmp_ge_u32 s18, s66
	s_cselect_b32 s18, s19, s18
	s_sub_i32 s19, s18, s66
	s_cmp_ge_u32 s18, s66
	s_cselect_b32 s18, s19, s18
	s_xor_b32 s18, s18, s9
	s_sub_i32 s9, s9, s18
	s_add_i32 s1, s1, s9
	v_cmp_gt_i32_e32 vcc, s1, v0
                                        ; implicit-def: $vgpr14
	s_and_saveexec_b64 s[34:35], vcc
	s_cbranch_execz .LBB48_179
; %bb.170:                              ;   in Loop: Header=BB48_7 Depth=1
	s_mov_b64 s[36:37], 0
	v_mov_b32_e32 v1, v19
	v_mov_b32_e32 v2, v0
                                        ; implicit-def: $sgpr44_sgpr45
	s_branch .LBB48_174
.LBB48_171:                             ;   in Loop: Header=BB48_174 Depth=2
	s_or_b64 exec, exec, s[46:47]
	s_waitcnt lgkmcnt(0)
	s_barrier
	ds_read_b64 v[13:14], v7 offset:3072
	s_waitcnt lgkmcnt(0)
	s_barrier
	v_cmp_eq_f32_e32 vcc, 0, v13
	s_cbranch_vccz .LBB48_177
; %bb.172:                              ;   in Loop: Header=BB48_174 Depth=2
	v_add_u32_e32 v2, s66, v2
	v_cmp_le_i32_e32 vcc, s1, v2
	v_add_u32_e32 v1, s8, v1
	s_mov_b64 s[46:47], 0
	s_orn2_b64 s[48:49], vcc, exec
.LBB48_173:                             ;   in Loop: Header=BB48_174 Depth=2
	s_and_b64 s[18:19], exec, s[48:49]
	s_or_b64 s[36:37], s[18:19], s[36:37]
	s_andn2_b64 s[18:19], s[44:45], exec
	s_and_b64 s[44:45], s[46:47], exec
	s_or_b64 s[44:45], s[18:19], s[44:45]
	s_andn2_b64 exec, exec, s[36:37]
	s_cbranch_execz .LBB48_178
.LBB48_174:                             ;   Parent Loop BB48_7 Depth=1
                                        ; =>  This Inner Loop Header: Depth=2
	v_cmp_gt_i32_e32 vcc, s0, v2
	s_and_saveexec_b64 s[46:47], vcc
	s_cbranch_execz .LBB48_171
; %bb.175:                              ;   in Loop: Header=BB48_174 Depth=2
	ds_read_b32 v13, v1
	s_waitcnt lgkmcnt(0)
	v_cmp_lt_i32_e32 vcc, -1, v13
	v_cndmask_b32_e32 v14, -1, v36, vcc
	v_xor_b32_e32 v14, v14, v13
	v_cmp_o_f32_e32 vcc, v13, v13
	v_cndmask_b32_e32 v14, -1, v14, vcc
	v_and_b32_e32 v14, v14, v38
	v_cmp_eq_u32_e32 vcc, v14, v29
	s_and_b64 exec, exec, vcc
	s_cbranch_execz .LBB48_171
; %bb.176:                              ;   in Loop: Header=BB48_174 Depth=2
	ds_write_b64 v7, v[12:13] offset:3072
	s_branch .LBB48_171
.LBB48_177:                             ;   in Loop: Header=BB48_174 Depth=2
	s_mov_b64 s[48:49], -1
                                        ; implicit-def: $vgpr2
                                        ; implicit-def: $vgpr1
	s_mov_b64 s[46:47], -1
	s_branch .LBB48_173
.LBB48_178:                             ;   in Loop: Header=BB48_7 Depth=1
	s_or_b64 exec, exec, s[36:37]
	s_andn2_b64 s[0:1], s[42:43], exec
	s_and_b64 s[18:19], s[44:45], exec
	s_or_b64 s[42:43], s[0:1], s[18:19]
.LBB48_179:                             ;   in Loop: Header=BB48_7 Depth=1
	s_or_b64 exec, exec, s[34:35]
	s_mov_b64 s[34:35], 0
	s_mov_b64 s[36:37], -1
.LBB48_180:                             ;   in Loop: Header=BB48_7 Depth=1
	s_orn2_b64 s[42:43], s[42:43], exec
.LBB48_181:                             ;   in Loop: Header=BB48_7 Depth=1
	s_or_b64 exec, exec, s[38:39]
	s_mov_b64 s[44:45], 0
	s_and_saveexec_b64 s[38:39], s[42:43]
	s_cbranch_execz .LBB48_233
; %bb.182:                              ;   in Loop: Header=BB48_7 Depth=1
	s_xor_b64 s[0:1], s[40:41], -1
	s_mov_b64 s[48:49], 0
	v_mov_b32_e32 v15, 1
	v_mov_b32_e32 v4, 1
	s_and_saveexec_b64 s[40:41], s[0:1]
	s_cbranch_execz .LBB48_191
; %bb.183:                              ;   in Loop: Header=BB48_7 Depth=1
	v_cmp_ge_i32_e32 vcc, s54, v16
	s_and_saveexec_b64 s[0:1], vcc
	s_xor_b64 s[42:43], exec, s[0:1]
	s_cbranch_execz .LBB48_188
; %bb.184:                              ;   in Loop: Header=BB48_7 Depth=1
	ds_read_b32 v1, v7 offset:4096
	v_and_b32_e32 v2, v29, v6
	v_lshl_or_b32 v29, 2, v37, v2
	v_or_b32_e32 v38, v38, v3
	s_waitcnt lgkmcnt(0)
	v_cmp_ne_u32_e32 vcc, 0, v1
	s_cbranch_vccnz .LBB48_188
; %bb.185:                              ;   in Loop: Header=BB48_7 Depth=1
	s_mov_b64 s[44:45], exec
	v_readlane_b32 s0, v48, 4
	v_readlane_b32 s1, v48, 5
	s_and_b64 s[0:1], s[44:45], s[0:1]
	s_mov_b64 exec, s[0:1]
; %bb.186:                              ;   in Loop: Header=BB48_7 Depth=1
	v_mov_b32_e32 v1, s54
	ds_write_b32 v7, v1 offset:4100
; %bb.187:                              ;   in Loop: Header=BB48_7 Depth=1
	s_or_b64 exec, exec, s[44:45]
	s_waitcnt lgkmcnt(0)
	s_barrier
.LBB48_188:                             ;   in Loop: Header=BB48_7 Depth=1
	s_or_saveexec_b64 s[42:43], s[42:43]
	s_mov_b64 s[44:45], 0
	v_mov_b32_e32 v4, 8
	s_xor_b64 exec, exec, s[42:43]
; %bb.189:                              ;   in Loop: Header=BB48_7 Depth=1
	s_mov_b64 s[44:45], exec
	v_subrev_u32_e32 v16, s54, v16
	v_mov_b32_e32 v4, 0
; %bb.190:                              ;   in Loop: Header=BB48_7 Depth=1
	s_or_b64 exec, exec, s[42:43]
	s_and_b64 s[48:49], s[44:45], exec
	v_mov_b32_e32 v15, v16
.LBB48_191:                             ;   in Loop: Header=BB48_7 Depth=1
	s_or_b64 exec, exec, s[40:41]
	s_mov_b64 s[42:43], -1
                                        ; implicit-def: $sgpr46_sgpr47
                                        ; implicit-def: $sgpr44_sgpr45
	s_and_saveexec_b64 s[40:41], s[48:49]
	s_cbranch_execz .LBB48_232
; %bb.192:                              ;   in Loop: Header=BB48_7 Depth=1
	s_cmp_eq_u32 s61, 1
	s_cselect_b64 s[0:1], -1, 0
	v_cmp_eq_u32_e32 vcc, 1, v15
	s_and_b64 s[42:43], s[0:1], vcc
	s_mov_b64 s[50:51], -1
                                        ; implicit-def: $sgpr46_sgpr47
                                        ; implicit-def: $sgpr44_sgpr45
	s_and_saveexec_b64 s[48:49], s[42:43]
	s_cbranch_execz .LBB48_220
; %bb.193:                              ;   in Loop: Header=BB48_7 Depth=1
	ds_read_b32 v1, v7 offset:4096
	s_waitcnt lgkmcnt(0)
	s_barrier
	v_readfirstlane_b32 s0, v1
	s_and_saveexec_b64 s[44:45], s[4:5]
; %bb.194:                              ;   in Loop: Header=BB48_7 Depth=1
	ds_write_b32 v21, v7
; %bb.195:                              ;   in Loop: Header=BB48_7 Depth=1
	s_or_b64 exec, exec, s[44:45]
	v_or_b32_e32 v29, v29, v3
	v_or_b32_e32 v38, v38, v3
	s_mov_b64 s[44:45], -1
	s_mov_b64 s[46:47], 0
	s_cmp_gt_i32 s0, 0
	s_mov_b64 s[50:51], 0
	s_mov_b64 s[52:53], -1
	s_waitcnt lgkmcnt(0)
	s_barrier
                                        ; implicit-def: $vgpr14
	s_cbranch_scc1 .LBB48_207
; %bb.196:                              ;   in Loop: Header=BB48_7 Depth=1
	s_mov_b64 s[52:53], 0
                                        ; implicit-def: $vgpr14
	s_mov_b64 s[54:55], exec
	v_readlane_b32 s18, v48, 22
	v_readlane_b32 s19, v48, 23
	s_and_b64 s[18:19], s[54:55], s[18:19]
	s_mov_b64 exec, s[18:19]
	s_cbranch_execz .LBB48_206
; %bb.197:                              ;   in Loop: Header=BB48_7 Depth=1
	v_mov_b32_e32 v1, v5
	v_mov_b32_e32 v6, v0
                                        ; implicit-def: $sgpr56_sgpr57
	s_branch .LBB48_201
.LBB48_198:                             ;   in Loop: Header=BB48_201 Depth=2
	s_or_b64 exec, exec, s[58:59]
	s_waitcnt lgkmcnt(0)
	s_barrier
	ds_read_b64 v[13:14], v7 offset:3072
	s_waitcnt lgkmcnt(0)
	s_barrier
	v_cmp_neq_f32_e32 vcc, 0, v13
	s_cbranch_vccnz .LBB48_204
; %bb.199:                              ;   in Loop: Header=BB48_201 Depth=2
	v_add_u32_e32 v6, s66, v6
	v_cmp_le_i32_e32 vcc, s79, v6
	v_add_u32_e32 v1, s33, v1
	s_mov_b64 s[58:59], 0
	s_orn2_b64 s[64:65], vcc, exec
.LBB48_200:                             ;   in Loop: Header=BB48_201 Depth=2
	s_and_b64 s[18:19], exec, s[64:65]
	s_or_b64 s[50:51], s[18:19], s[50:51]
	s_andn2_b64 s[18:19], s[56:57], exec
	s_and_b64 s[56:57], s[58:59], exec
	s_or_b64 s[56:57], s[18:19], s[56:57]
	s_andn2_b64 exec, exec, s[50:51]
	s_cbranch_execz .LBB48_205
.LBB48_201:                             ;   Parent Loop BB48_7 Depth=1
                                        ; =>  This Inner Loop Header: Depth=2
	v_cmp_gt_i32_e32 vcc, s60, v6
	s_and_saveexec_b64 s[58:59], vcc
	s_cbranch_execz .LBB48_198
; %bb.202:                              ;   in Loop: Header=BB48_201 Depth=2
	v_ashrrev_i32_e32 v2, 31, v1
	v_lshlrev_b64 v[13:14], 2, v[1:2]
	v_mov_b32_e32 v2, s67
	v_add_co_u32_e32 v13, vcc, s62, v13
	v_addc_co_u32_e32 v14, vcc, v2, v14, vcc
	global_load_dword v13, v[13:14], off
	s_waitcnt vmcnt(0)
	v_cmp_lt_i32_e32 vcc, -1, v13
	v_cndmask_b32_e32 v2, -1, v36, vcc
	v_xor_b32_e32 v2, v2, v13
	v_cmp_o_f32_e32 vcc, v13, v13
	v_cndmask_b32_e32 v2, -1, v2, vcc
	v_and_b32_e32 v2, v2, v38
	v_cmp_eq_u32_e32 vcc, v2, v29
	s_and_b64 exec, exec, vcc
	s_cbranch_execz .LBB48_198
; %bb.203:                              ;   in Loop: Header=BB48_201 Depth=2
	ds_write_b64 v7, v[12:13] offset:3072
	s_branch .LBB48_198
.LBB48_204:                             ;   in Loop: Header=BB48_201 Depth=2
	s_mov_b64 s[64:65], -1
                                        ; implicit-def: $vgpr6
                                        ; implicit-def: $vgpr1
	s_mov_b64 s[58:59], -1
	s_branch .LBB48_200
.LBB48_205:                             ;   in Loop: Header=BB48_7 Depth=1
	s_or_b64 exec, exec, s[50:51]
	s_and_b64 s[50:51], s[56:57], exec
.LBB48_206:                             ;   in Loop: Header=BB48_7 Depth=1
	s_or_b64 exec, exec, s[54:55]
.LBB48_207:                             ;   in Loop: Header=BB48_7 Depth=1
	s_and_b64 vcc, exec, s[52:53]
	s_cbranch_vccz .LBB48_219
; %bb.208:                              ;   in Loop: Header=BB48_7 Depth=1
	v_readlane_b32 s1, v48, 9
	s_add_i32 s1, s0, s1
	s_abs_i32 s18, s1
	v_readlane_b32 s19, v48, 21
	s_mul_hi_u32 s19, s18, s19
	s_mul_i32 s19, s19, s66
	s_sub_i32 s18, s18, s19
	s_ashr_i32 s9, s1, 31
	s_sub_i32 s19, s18, s66
	s_cmp_ge_u32 s18, s66
	s_cselect_b32 s18, s19, s18
	s_sub_i32 s19, s18, s66
	s_cmp_ge_u32 s18, s66
	s_cselect_b32 s18, s19, s18
	s_xor_b32 s18, s18, s9
	s_sub_i32 s9, s9, s18
	s_add_i32 s1, s1, s9
	v_cmp_gt_i32_e32 vcc, s1, v0
                                        ; implicit-def: $vgpr14
	s_and_saveexec_b64 s[44:45], vcc
	s_cbranch_execz .LBB48_218
; %bb.209:                              ;   in Loop: Header=BB48_7 Depth=1
	s_mov_b64 s[46:47], 0
	v_mov_b32_e32 v1, v19
	v_mov_b32_e32 v2, v0
                                        ; implicit-def: $sgpr52_sgpr53
	s_branch .LBB48_213
.LBB48_210:                             ;   in Loop: Header=BB48_213 Depth=2
	s_or_b64 exec, exec, s[54:55]
	s_waitcnt lgkmcnt(0)
	s_barrier
	ds_read_b64 v[13:14], v7 offset:3072
	s_waitcnt lgkmcnt(0)
	s_barrier
	v_cmp_eq_f32_e32 vcc, 0, v13
	s_cbranch_vccz .LBB48_216
; %bb.211:                              ;   in Loop: Header=BB48_213 Depth=2
	v_add_u32_e32 v2, s66, v2
	v_cmp_le_i32_e32 vcc, s1, v2
	v_add_u32_e32 v1, s8, v1
	s_mov_b64 s[54:55], 0
	s_orn2_b64 s[56:57], vcc, exec
.LBB48_212:                             ;   in Loop: Header=BB48_213 Depth=2
	s_and_b64 s[18:19], exec, s[56:57]
	s_or_b64 s[46:47], s[18:19], s[46:47]
	s_andn2_b64 s[18:19], s[52:53], exec
	s_and_b64 s[52:53], s[54:55], exec
	s_or_b64 s[52:53], s[18:19], s[52:53]
	s_andn2_b64 exec, exec, s[46:47]
	s_cbranch_execz .LBB48_217
.LBB48_213:                             ;   Parent Loop BB48_7 Depth=1
                                        ; =>  This Inner Loop Header: Depth=2
	v_cmp_gt_i32_e32 vcc, s0, v2
	s_and_saveexec_b64 s[54:55], vcc
	s_cbranch_execz .LBB48_210
; %bb.214:                              ;   in Loop: Header=BB48_213 Depth=2
	ds_read_b32 v13, v1
	s_waitcnt lgkmcnt(0)
	v_cmp_lt_i32_e32 vcc, -1, v13
	v_cndmask_b32_e32 v6, -1, v36, vcc
	v_xor_b32_e32 v6, v6, v13
	v_cmp_o_f32_e32 vcc, v13, v13
	v_cndmask_b32_e32 v6, -1, v6, vcc
	v_and_b32_e32 v6, v6, v38
	v_cmp_eq_u32_e32 vcc, v6, v29
	s_and_b64 exec, exec, vcc
	s_cbranch_execz .LBB48_210
; %bb.215:                              ;   in Loop: Header=BB48_213 Depth=2
	ds_write_b64 v7, v[12:13] offset:3072
	s_branch .LBB48_210
.LBB48_216:                             ;   in Loop: Header=BB48_213 Depth=2
	s_mov_b64 s[56:57], -1
                                        ; implicit-def: $vgpr2
                                        ; implicit-def: $vgpr1
	s_mov_b64 s[54:55], -1
	s_branch .LBB48_212
.LBB48_217:                             ;   in Loop: Header=BB48_7 Depth=1
	s_or_b64 exec, exec, s[46:47]
	s_andn2_b64 s[0:1], s[50:51], exec
	s_and_b64 s[18:19], s[52:53], exec
	s_or_b64 s[50:51], s[0:1], s[18:19]
.LBB48_218:                             ;   in Loop: Header=BB48_7 Depth=1
	s_or_b64 exec, exec, s[44:45]
	s_mov_b64 s[44:45], 0
	s_mov_b64 s[46:47], -1
.LBB48_219:                             ;   in Loop: Header=BB48_7 Depth=1
	s_orn2_b64 s[50:51], s[50:51], exec
.LBB48_220:                             ;   in Loop: Header=BB48_7 Depth=1
	s_or_b64 exec, exec, s[48:49]
	s_mov_b64 s[52:53], 0
	s_and_saveexec_b64 s[48:49], s[50:51]
	s_cbranch_execz .LBB48_231
; %bb.221:                              ;   in Loop: Header=BB48_7 Depth=1
	s_xor_b64 s[0:1], s[42:43], -1
	v_mov_b32_e32 v4, 1
	v_mov_b32_e32 v1, 1
	s_and_saveexec_b64 s[42:43], s[0:1]
	s_cbranch_execz .LBB48_230
; %bb.222:                              ;   in Loop: Header=BB48_7 Depth=1
	v_cmp_ge_i32_e32 vcc, s61, v15
	s_and_saveexec_b64 s[0:1], vcc
	s_xor_b64 s[50:51], exec, s[0:1]
	s_cbranch_execz .LBB48_227
; %bb.223:                              ;   in Loop: Header=BB48_7 Depth=1
	ds_read_b32 v1, v7 offset:4096
	v_or_b32_e32 v29, v29, v3
	v_or_b32_e32 v38, v38, v3
	s_waitcnt lgkmcnt(0)
	v_cmp_ne_u32_e32 vcc, 0, v1
	s_cbranch_vccnz .LBB48_227
; %bb.224:                              ;   in Loop: Header=BB48_7 Depth=1
	s_mov_b64 s[52:53], exec
	v_readlane_b32 s0, v48, 4
	v_readlane_b32 s1, v48, 5
	s_and_b64 s[0:1], s[52:53], s[0:1]
	s_mov_b64 exec, s[0:1]
; %bb.225:                              ;   in Loop: Header=BB48_7 Depth=1
	v_mov_b32_e32 v1, s61
	ds_write_b32 v7, v1 offset:4100
; %bb.226:                              ;   in Loop: Header=BB48_7 Depth=1
	s_or_b64 exec, exec, s[52:53]
	s_waitcnt lgkmcnt(0)
	s_barrier
.LBB48_227:                             ;   in Loop: Header=BB48_7 Depth=1
	s_andn2_saveexec_b64 s[50:51], s[50:51]
; %bb.228:                              ;   in Loop: Header=BB48_7 Depth=1
	v_subrev_u32_e32 v15, s61, v15
; %bb.229:                              ;   in Loop: Header=BB48_7 Depth=1
	s_or_b64 exec, exec, s[50:51]
	v_mov_b32_e32 v4, 8
	v_mov_b32_e32 v1, v15
.LBB48_230:                             ;   in Loop: Header=BB48_7 Depth=1
	s_or_b64 exec, exec, s[42:43]
	s_mov_b64 s[52:53], exec
	v_mov_b32_e32 v15, v1
.LBB48_231:                             ;   in Loop: Header=BB48_7 Depth=1
	s_or_b64 exec, exec, s[48:49]
	s_orn2_b64 s[42:43], s[52:53], exec
.LBB48_232:                             ;   in Loop: Header=BB48_7 Depth=1
	s_or_b64 exec, exec, s[40:41]
	s_andn2_b64 s[0:1], s[36:37], exec
	s_and_b64 s[18:19], s[46:47], exec
	s_or_b64 s[36:37], s[0:1], s[18:19]
	s_andn2_b64 s[0:1], s[34:35], exec
	s_and_b64 s[18:19], s[44:45], exec
	s_or_b64 s[34:35], s[0:1], s[18:19]
	s_and_b64 s[44:45], s[42:43], exec
	v_mov_b32_e32 v16, v15
.LBB48_233:                             ;   in Loop: Header=BB48_7 Depth=1
	s_or_b64 exec, exec, s[38:39]
	s_orn2_b64 s[38:39], s[44:45], exec
.LBB48_234:                             ;   in Loop: Header=BB48_7 Depth=1
	s_or_b64 exec, exec, s[30:31]
	s_andn2_b64 s[0:1], s[26:27], exec
	s_and_b64 s[18:19], s[36:37], exec
	s_or_b64 s[26:27], s[0:1], s[18:19]
	s_andn2_b64 s[0:1], s[24:25], exec
	s_and_b64 s[18:19], s[34:35], exec
	s_or_b64 s[24:25], s[0:1], s[18:19]
	s_and_b64 s[36:37], s[38:39], exec
	v_mov_b32_e32 v15, v16
.LBB48_235:                             ;   in Loop: Header=BB48_7 Depth=1
	s_or_b64 exec, exec, s[28:29]
	s_orn2_b64 s[28:29], s[36:37], exec
.LBB48_236:                             ;   in Loop: Header=BB48_7 Depth=1
	s_or_b64 exec, exec, s[22:23]
	s_mov_b64 s[30:31], 0
                                        ; implicit-def: $sgpr0
	s_and_saveexec_b64 s[18:19], s[28:29]
	s_xor_b64 s[22:23], exec, s[18:19]
	s_cbranch_execz .LBB48_5
; %bb.237:                              ;   in Loop: Header=BB48_7 Depth=1
	v_and_b32_e32 v1, 7, v4
	v_cmp_eq_u32_e32 vcc, 0, v1
	s_mov_b64 s[20:21], -1
	s_mov_b64 s[28:29], -1
                                        ; implicit-def: $sgpr0
	s_and_saveexec_b64 s[30:31], vcc
	s_cbranch_execz .LBB48_4
; %bb.238:                              ;   in Loop: Header=BB48_7 Depth=1
	v_add_u32_e32 v1, -2, v37
	v_cmp_eq_u32_e32 vcc, 0, v37
	s_xor_b32 s0, s74, 1
	s_xor_b64 s[28:29], exec, -1
	s_orn2_b64 s[20:21], vcc, exec
	v_mov_b32_e32 v37, v1
	s_branch .LBB48_4
.LBB48_239:
	s_or_b64 exec, exec, s[80:81]
	s_xor_b64 s[6:7], s[86:87], -1
	s_xor_b64 s[0:1], s[82:83], -1
	;; [unrolled: 1-line block ×3, first 2 shown]
	s_mov_b64 s[2:3], 0
	s_and_saveexec_b64 s[4:5], s[0:1]
	s_xor_b64 s[4:5], exec, s[4:5]
	s_cbranch_execnz .LBB48_244
; %bb.240:
	s_andn2_saveexec_b64 s[0:1], s[4:5]
	s_cbranch_execnz .LBB48_264
.LBB48_241:
	s_or_b64 exec, exec, s[0:1]
	s_and_saveexec_b64 s[0:1], s[2:3]
.LBB48_242:
	; divergent unreachable
.LBB48_243:
	s_endpgm
.LBB48_244:
	s_and_saveexec_b64 s[0:1], s[6:7]
	s_xor_b64 s[6:7], exec, s[0:1]
	s_cbranch_execz .LBB48_262
; %bb.245:
	s_and_saveexec_b64 s[0:1], s[8:9]
	s_xor_b64 s[2:3], exec, s[0:1]
; %bb.246:
	v_bfrev_b32_e32 v1, 1
	v_cmp_lt_i32_e32 vcc, -1, v29
	v_cndmask_b32_e64 v1, v1, -1, vcc
	v_xor_b32_e32 v14, v1, v29
; %bb.247:
	s_or_b64 exec, exec, s[2:3]
	s_mov_b64 s[2:3], exec
	v_readlane_b32 s0, v48, 4
	v_readlane_b32 s1, v48, 5
	s_and_b64 s[0:1], s[2:3], s[0:1]
	s_mov_b64 exec, s[0:1]
; %bb.248:
	v_mov_b32_e32 v1, 0
	v_mov_b32_e32 v2, s60
	ds_write_b32 v1, v2 offset:4108
; %bb.249:
	s_or_b64 exec, exec, s[2:3]
	v_mov_b32_e32 v1, 0
	s_waitcnt lgkmcnt(0)
	s_barrier
	ds_read_b32 v1, v1 offset:4108
	s_waitcnt lgkmcnt(0)
	v_min_i32_e32 v1, s60, v1
	v_cmp_lt_i32_e32 vcc, v0, v1
	s_and_saveexec_b64 s[8:9], vcc
	s_cbranch_execz .LBB48_259
; %bb.250:
	v_cmp_u_f32_e32 vcc, v14, v14
	s_mov_b64 s[10:11], 0
	v_mov_b32_e32 v3, s67
	s_xor_b64 s[14:15], vcc, -1
                                        ; implicit-def: $sgpr12_sgpr13
                                        ; implicit-def: $sgpr18_sgpr19
                                        ; implicit-def: $sgpr16_sgpr17
	s_branch .LBB48_252
.LBB48_251:                             ;   in Loop: Header=BB48_252 Depth=1
	s_or_b64 exec, exec, s[2:3]
	s_and_b64 s[0:1], exec, s[18:19]
	s_or_b64 s[10:11], s[0:1], s[10:11]
	s_andn2_b64 s[0:1], s[12:13], exec
	s_and_b64 s[2:3], s[16:17], exec
	s_or_b64 s[12:13], s[0:1], s[2:3]
	s_andn2_b64 exec, exec, s[10:11]
	s_cbranch_execz .LBB48_254
.LBB48_252:                             ; =>This Inner Loop Header: Depth=1
	v_ashrrev_i32_e32 v6, 31, v5
	v_lshlrev_b64 v[6:7], 2, v[5:6]
	v_mov_b32_e32 v2, v0
	v_add_co_u32_e32 v6, vcc, s62, v6
	v_addc_co_u32_e32 v7, vcc, v3, v7, vcc
	global_load_dword v4, v[6:7], off
	s_or_b64 s[16:17], s[16:17], exec
	s_or_b64 s[18:19], s[18:19], exec
                                        ; implicit-def: $vgpr0
	s_waitcnt vmcnt(0)
	v_cmp_o_f32_e64 s[2:3], v4, v4
	v_cmp_neq_f32_e32 vcc, v4, v14
	s_or_b64 s[0:1], s[2:3], s[14:15]
	s_and_b64 s[0:1], vcc, s[0:1]
	s_and_saveexec_b64 s[2:3], s[0:1]
	s_cbranch_execz .LBB48_251
; %bb.253:                              ;   in Loop: Header=BB48_252 Depth=1
	v_add_u32_e32 v0, s66, v2
	v_cmp_ge_i32_e32 vcc, v0, v1
	s_andn2_b64 s[0:1], s[18:19], exec
	s_and_b64 s[18:19], vcc, exec
	v_add_u32_e32 v5, s33, v5
	s_andn2_b64 s[16:17], s[16:17], exec
	s_or_b64 s[18:19], s[0:1], s[18:19]
	s_branch .LBB48_251
.LBB48_254:
	s_or_b64 exec, exec, s[10:11]
	s_and_saveexec_b64 s[0:1], s[12:13]
	s_xor_b64 s[0:1], exec, s[0:1]
	s_cbranch_execz .LBB48_259
; %bb.255:
	s_mov_b64 s[2:3], exec
	s_brev_b32 s0, -2
.LBB48_256:                             ; =>This Inner Loop Header: Depth=1
	s_ff1_i32_b64 s1, s[2:3]
	v_readlane_b32 s12, v2, s1
	s_lshl_b64 s[10:11], 1, s1
	s_min_i32 s0, s0, s12
	s_andn2_b64 s[2:3], s[2:3], s[10:11]
	s_cmp_lg_u64 s[2:3], 0
	s_cbranch_scc1 .LBB48_256
; %bb.257:
	v_mbcnt_lo_u32_b32 v0, exec_lo, 0
	v_mbcnt_hi_u32_b32 v0, exec_hi, v0
	v_cmp_eq_u32_e32 vcc, 0, v0
	s_and_saveexec_b64 s[2:3], vcc
	s_xor_b64 s[2:3], exec, s[2:3]
; %bb.258:
	v_mov_b32_e32 v0, 0
	v_mov_b32_e32 v1, s0
	ds_min_i32 v0, v1 offset:4108
.LBB48_259:
	s_or_b64 exec, exec, s[8:9]
	s_waitcnt lgkmcnt(0)
	s_barrier
	s_mov_b64 s[2:3], exec
	v_readlane_b32 s0, v48, 4
	v_readlane_b32 s1, v48, 5
	s_and_b64 s[0:1], s[2:3], s[0:1]
	s_mov_b64 exec, s[0:1]
	s_cbranch_execz .LBB48_261
; %bb.260:
	v_readlane_b32 s1, v48, 8
	v_readlane_b32 s0, v48, 7
	s_mul_i32 s0, s0, s1
	v_readlane_b32 s8, v48, 6
	s_mul_i32 s8, s8, s1
	s_ashr_i32 s1, s0, 31
	v_mov_b32_e32 v2, 0
	s_lshl_b64 s[0:1], s[0:1], 2
	v_readlane_b32 s10, v48, 2
	ds_read_b32 v0, v2 offset:4108
	v_readlane_b32 s11, v48, 3
	s_add_u32 s0, s10, s0
	s_addc_u32 s1, s11, s1
	s_ashr_i32 s9, s8, 31
	s_lshl_b64 s[8:9], s[8:9], 3
	v_readlane_b32 s10, v48, 0
	v_readlane_b32 s11, v48, 1
	s_add_u32 s8, s10, s8
	s_addc_u32 s9, s11, s9
	s_waitcnt lgkmcnt(0)
	v_ashrrev_i32_e32 v1, 31, v0
	global_store_dwordx2 v2, v[0:1], s[8:9]
	global_store_dword v2, v14, s[0:1]
.LBB48_261:
	s_or_b64 exec, exec, s[2:3]
.LBB48_262:
	s_or_saveexec_b64 s[0:1], s[6:7]
	s_mov_b64 s[2:3], 0
	s_xor_b64 exec, exec, s[0:1]
	s_cbranch_execnz .LBB48_265
.LBB48_263:
	s_or_b64 exec, exec, s[0:1]
	s_and_b64 s[2:3], s[2:3], exec
	s_andn2_saveexec_b64 s[0:1], s[4:5]
	s_cbranch_execz .LBB48_241
.LBB48_264:
	s_or_b64 s[2:3], s[2:3], exec
	s_trap 2
	s_or_b64 exec, exec, s[0:1]
	s_and_saveexec_b64 s[0:1], s[2:3]
	s_cbranch_execnz .LBB48_242
	s_branch .LBB48_243
.LBB48_265:
	s_mov_b64 s[2:3], exec
	s_trap 2
	s_branch .LBB48_263
	.section	.rodata,"a",@progbits
	.p2align	6, 0x0
	.amdhsa_kernel _ZN2at6native12_GLOBAL__N_114gatherKthValueIfiLi1EEEvNS_4cuda6detail10TensorInfoIKT_T0_EES8_S8_S8_S8_NS5_IS6_S8_EENS5_IlS8_EE
		.amdhsa_group_segment_fixed_size 4112
		.amdhsa_private_segment_fixed_size 0
		.amdhsa_kernarg_size 920
		.amdhsa_user_sgpr_count 6
		.amdhsa_user_sgpr_private_segment_buffer 1
		.amdhsa_user_sgpr_dispatch_ptr 0
		.amdhsa_user_sgpr_queue_ptr 0
		.amdhsa_user_sgpr_kernarg_segment_ptr 1
		.amdhsa_user_sgpr_dispatch_id 0
		.amdhsa_user_sgpr_flat_scratch_init 0
		.amdhsa_user_sgpr_private_segment_size 0
		.amdhsa_uses_dynamic_stack 0
		.amdhsa_system_sgpr_private_segment_wavefront_offset 0
		.amdhsa_system_sgpr_workgroup_id_x 1
		.amdhsa_system_sgpr_workgroup_id_y 1
		.amdhsa_system_sgpr_workgroup_id_z 1
		.amdhsa_system_sgpr_workgroup_info 0
		.amdhsa_system_vgpr_workitem_id 0
		.amdhsa_next_free_vgpr 49
		.amdhsa_next_free_sgpr 96
		.amdhsa_reserve_vcc 1
		.amdhsa_reserve_flat_scratch 0
		.amdhsa_float_round_mode_32 0
		.amdhsa_float_round_mode_16_64 0
		.amdhsa_float_denorm_mode_32 3
		.amdhsa_float_denorm_mode_16_64 3
		.amdhsa_dx10_clamp 1
		.amdhsa_ieee_mode 1
		.amdhsa_fp16_overflow 0
		.amdhsa_exception_fp_ieee_invalid_op 0
		.amdhsa_exception_fp_denorm_src 0
		.amdhsa_exception_fp_ieee_div_zero 0
		.amdhsa_exception_fp_ieee_overflow 0
		.amdhsa_exception_fp_ieee_underflow 0
		.amdhsa_exception_fp_ieee_inexact 0
		.amdhsa_exception_int_div_zero 0
	.end_amdhsa_kernel
	.section	.text._ZN2at6native12_GLOBAL__N_114gatherKthValueIfiLi1EEEvNS_4cuda6detail10TensorInfoIKT_T0_EES8_S8_S8_S8_NS5_IS6_S8_EENS5_IlS8_EE,"axG",@progbits,_ZN2at6native12_GLOBAL__N_114gatherKthValueIfiLi1EEEvNS_4cuda6detail10TensorInfoIKT_T0_EES8_S8_S8_S8_NS5_IS6_S8_EENS5_IlS8_EE,comdat
.Lfunc_end48:
	.size	_ZN2at6native12_GLOBAL__N_114gatherKthValueIfiLi1EEEvNS_4cuda6detail10TensorInfoIKT_T0_EES8_S8_S8_S8_NS5_IS6_S8_EENS5_IlS8_EE, .Lfunc_end48-_ZN2at6native12_GLOBAL__N_114gatherKthValueIfiLi1EEEvNS_4cuda6detail10TensorInfoIKT_T0_EES8_S8_S8_S8_NS5_IS6_S8_EENS5_IlS8_EE
                                        ; -- End function
	.set _ZN2at6native12_GLOBAL__N_114gatherKthValueIfiLi1EEEvNS_4cuda6detail10TensorInfoIKT_T0_EES8_S8_S8_S8_NS5_IS6_S8_EENS5_IlS8_EE.num_vgpr, 49
	.set _ZN2at6native12_GLOBAL__N_114gatherKthValueIfiLi1EEEvNS_4cuda6detail10TensorInfoIKT_T0_EES8_S8_S8_S8_NS5_IS6_S8_EENS5_IlS8_EE.num_agpr, 0
	.set _ZN2at6native12_GLOBAL__N_114gatherKthValueIfiLi1EEEvNS_4cuda6detail10TensorInfoIKT_T0_EES8_S8_S8_S8_NS5_IS6_S8_EENS5_IlS8_EE.numbered_sgpr, 96
	.set _ZN2at6native12_GLOBAL__N_114gatherKthValueIfiLi1EEEvNS_4cuda6detail10TensorInfoIKT_T0_EES8_S8_S8_S8_NS5_IS6_S8_EENS5_IlS8_EE.num_named_barrier, 0
	.set _ZN2at6native12_GLOBAL__N_114gatherKthValueIfiLi1EEEvNS_4cuda6detail10TensorInfoIKT_T0_EES8_S8_S8_S8_NS5_IS6_S8_EENS5_IlS8_EE.private_seg_size, 0
	.set _ZN2at6native12_GLOBAL__N_114gatherKthValueIfiLi1EEEvNS_4cuda6detail10TensorInfoIKT_T0_EES8_S8_S8_S8_NS5_IS6_S8_EENS5_IlS8_EE.uses_vcc, 1
	.set _ZN2at6native12_GLOBAL__N_114gatherKthValueIfiLi1EEEvNS_4cuda6detail10TensorInfoIKT_T0_EES8_S8_S8_S8_NS5_IS6_S8_EENS5_IlS8_EE.uses_flat_scratch, 0
	.set _ZN2at6native12_GLOBAL__N_114gatherKthValueIfiLi1EEEvNS_4cuda6detail10TensorInfoIKT_T0_EES8_S8_S8_S8_NS5_IS6_S8_EENS5_IlS8_EE.has_dyn_sized_stack, 0
	.set _ZN2at6native12_GLOBAL__N_114gatherKthValueIfiLi1EEEvNS_4cuda6detail10TensorInfoIKT_T0_EES8_S8_S8_S8_NS5_IS6_S8_EENS5_IlS8_EE.has_recursion, 0
	.set _ZN2at6native12_GLOBAL__N_114gatherKthValueIfiLi1EEEvNS_4cuda6detail10TensorInfoIKT_T0_EES8_S8_S8_S8_NS5_IS6_S8_EENS5_IlS8_EE.has_indirect_call, 0
	.section	.AMDGPU.csdata,"",@progbits
; Kernel info:
; codeLenInByte = 9460
; TotalNumSgprs: 100
; NumVgprs: 49
; ScratchSize: 0
; MemoryBound: 0
; FloatMode: 240
; IeeeMode: 1
; LDSByteSize: 4112 bytes/workgroup (compile time only)
; SGPRBlocks: 12
; VGPRBlocks: 12
; NumSGPRsForWavesPerEU: 100
; NumVGPRsForWavesPerEU: 49
; Occupancy: 4
; WaveLimiterHint : 1
; COMPUTE_PGM_RSRC2:SCRATCH_EN: 0
; COMPUTE_PGM_RSRC2:USER_SGPR: 6
; COMPUTE_PGM_RSRC2:TRAP_HANDLER: 0
; COMPUTE_PGM_RSRC2:TGID_X_EN: 1
; COMPUTE_PGM_RSRC2:TGID_Y_EN: 1
; COMPUTE_PGM_RSRC2:TGID_Z_EN: 1
; COMPUTE_PGM_RSRC2:TIDIG_COMP_CNT: 0
	.section	.text._ZN2at6native12_GLOBAL__N_114gatherKthValueIfiLi2EEEvNS_4cuda6detail10TensorInfoIKT_T0_EES8_S8_S8_S8_NS5_IS6_S8_EENS5_IlS8_EE,"axG",@progbits,_ZN2at6native12_GLOBAL__N_114gatherKthValueIfiLi2EEEvNS_4cuda6detail10TensorInfoIKT_T0_EES8_S8_S8_S8_NS5_IS6_S8_EENS5_IlS8_EE,comdat
	.globl	_ZN2at6native12_GLOBAL__N_114gatherKthValueIfiLi2EEEvNS_4cuda6detail10TensorInfoIKT_T0_EES8_S8_S8_S8_NS5_IS6_S8_EENS5_IlS8_EE ; -- Begin function _ZN2at6native12_GLOBAL__N_114gatherKthValueIfiLi2EEEvNS_4cuda6detail10TensorInfoIKT_T0_EES8_S8_S8_S8_NS5_IS6_S8_EENS5_IlS8_EE
	.p2align	8
	.type	_ZN2at6native12_GLOBAL__N_114gatherKthValueIfiLi2EEEvNS_4cuda6detail10TensorInfoIKT_T0_EES8_S8_S8_S8_NS5_IS6_S8_EENS5_IlS8_EE,@function
_ZN2at6native12_GLOBAL__N_114gatherKthValueIfiLi2EEEvNS_4cuda6detail10TensorInfoIKT_T0_EES8_S8_S8_S8_NS5_IS6_S8_EENS5_IlS8_EE: ; @_ZN2at6native12_GLOBAL__N_114gatherKthValueIfiLi2EEEvNS_4cuda6detail10TensorInfoIKT_T0_EES8_S8_S8_S8_NS5_IS6_S8_EENS5_IlS8_EE
; %bb.0:
	s_load_dwordx2 s[12:13], s[4:5], 0x298
	s_load_dwordx4 s[60:63], s[4:5], 0xd8
	s_add_u32 s10, s4, 0x298
	s_addc_u32 s11, s5, 0
	s_waitcnt lgkmcnt(0)
	s_mul_i32 s0, s13, s8
	s_add_i32 s0, s0, s7
	s_mul_i32 s0, s0, s12
	s_add_i32 s16, s0, s6
	s_cmp_ge_i32 s16, s62
	s_cbranch_scc1 .LBB49_243
; %bb.1:
	s_load_dword s0, s[4:5], 0xc
	s_load_dwordx2 s[2:3], s[4:5], 0xe8
                                        ; implicit-def: $vgpr48 : SGPR spill to VGPR lane
                                        ; kill: killed $sgpr4 killed $sgpr5
	s_abs_i32 s19, s16
	s_ashr_i32 s18, s16, 31
	s_mov_b32 s78, 0
	s_waitcnt lgkmcnt(0)
	s_abs_i32 s1, s0
	v_writelane_b32 v48, s2, 0
	v_writelane_b32 v48, s3, 1
	s_load_dwordx2 s[8:9], s[4:5], 0x6c
	s_load_dwordx2 s[2:3], s[4:5], 0x0
	;; [unrolled: 1-line block ×3, first 2 shown]
	v_cvt_f32_u32_e32 v1, s1
	s_ashr_i32 s7, s0, 31
	s_load_dword s20, s[4:5], 0xf4
	s_waitcnt lgkmcnt(0)
	v_writelane_b32 v48, s14, 2
	v_writelane_b32 v48, s15, 3
	s_load_dword s17, s[4:5], 0x1cc
	s_load_dwordx2 s[14:15], s[4:5], 0x1c0
	v_rcp_iflag_f32_e32 v1, v1
	s_waitcnt lgkmcnt(0)
	v_writelane_b32 v48, s14, 4
	v_writelane_b32 v48, s15, 5
	s_load_dwordx2 s[14:15], s[4:5], 0x154
	v_mul_f32_e32 v1, 0x4f7ffffe, v1
	v_cvt_u32_f32_e32 v1, v1
	s_sub_i32 s4, 0, s1
	s_waitcnt lgkmcnt(0)
	v_writelane_b32 v48, s14, 6
	v_writelane_b32 v48, s15, 7
	s_abs_i32 s15, s20
	v_cvt_f32_u32_e32 v2, s15
	v_readfirstlane_b32 s5, v1
	s_abs_i32 s14, s17
	s_mul_i32 s4, s4, s5
	v_rcp_iflag_f32_e32 v1, v2
	v_cvt_f32_u32_e32 v2, s14
	s_mul_hi_u32 s4, s5, s4
	s_add_i32 s5, s5, s4
	v_mul_f32_e32 v1, 0x4f7ffffe, v1
	v_cvt_u32_f32_e32 v1, v1
	v_rcp_iflag_f32_e32 v2, v2
	s_mul_hi_u32 s13, s19, s5
	s_sub_i32 s4, 0, s15
	v_readfirstlane_b32 s5, v1
	v_mul_f32_e32 v1, 0x4f7ffffe, v2
	s_mul_i32 s4, s4, s5
	v_cvt_u32_f32_e32 v1, v1
	s_mul_hi_u32 s4, s5, s4
	s_add_i32 s5, s5, s4
	v_writelane_b32 v48, s15, 8
	s_mul_hi_u32 s4, s19, s5
	v_writelane_b32 v48, s4, 9
	s_sub_i32 s4, 0, s14
	v_readfirstlane_b32 s5, v1
	s_mul_i32 s4, s4, s5
	s_mul_hi_u32 s4, s5, s4
	s_add_i32 s5, s5, s4
	v_writelane_b32 v48, s14, 10
	s_mul_hi_u32 s4, s19, s5
	v_writelane_b32 v48, s4, 11
	v_cmp_eq_u32_e64 s[14:15], 0, v0
	s_mov_b64 s[4:5], exec
	v_writelane_b32 v48, s14, 12
	v_writelane_b32 v48, s15, 13
	s_and_b64 s[14:15], s[4:5], s[14:15]
	s_mov_b64 exec, s[14:15]
; %bb.2:
	v_mov_b32_e32 v1, 0
	v_mov_b32_e32 v2, s60
	;; [unrolled: 1-line block ×3, first 2 shown]
	ds_write_b96 v1, v[1:3] offset:4096
; %bb.3:
	s_or_b64 exec, exec, s[4:5]
	v_writelane_b32 v48, s20, 14
	s_ashr_i32 s4, s20, 31
	v_writelane_b32 v48, s4, 15
	s_mul_i32 s5, s13, s1
	v_writelane_b32 v48, s17, 16
	s_ashr_i32 s4, s17, 31
	s_sub_i32 s5, s19, s5
	v_writelane_b32 v48, s4, 17
	s_xor_b32 s4, s18, s7
	s_add_i32 s7, s13, 1
	s_sub_i32 s14, s5, s1
	s_cmp_ge_u32 s5, s1
	s_cselect_b32 s7, s7, s13
	s_cselect_b32 s5, s14, s5
	s_add_i32 s13, s7, 1
	s_cmp_ge_u32 s5, s1
	s_cselect_b32 s1, s13, s7
	s_xor_b32 s1, s1, s4
	s_sub_i32 s1, s1, s4
	s_mul_i32 s0, s1, s0
	s_sub_i32 s0, s16, s0
	s_mul_i32 s0, s0, s9
	s_mul_i32 s1, s1, s8
	s_waitcnt lgkmcnt(0)
	s_barrier
	s_load_dword s4, s[10:11], 0xc
	v_mul_lo_u32 v5, s63, v0
	s_add_i32 s0, s1, s0
	s_ashr_i32 s1, s0, 31
	v_mov_b32_e32 v7, 0
	s_lshl_b64 s[0:1], s[0:1], 2
	v_mbcnt_lo_u32_b32 v1, -1, 0
	v_mov_b32_e32 v6, v7
	s_add_u32 s62, s2, s0
	v_mbcnt_hi_u32_b32 v20, -1, v1
	v_lshlrev_b64 v[1:2], 2, v[5:6]
	s_addc_u32 s71, s3, s1
	s_waitcnt lgkmcnt(0)
	s_and_b32 s70, s4, 0xffff
	s_bfe_u32 s0, s4, 0xa0006
	v_cmp_gt_u32_e32 vcc, 64, v0
	v_cmp_gt_i32_e64 s[4:5], 4, v20
	s_and_b64 s[72:73], vcc, s[4:5]
	v_mov_b32_e32 v22, s71
	v_add_co_u32_e32 v8, vcc, s62, v1
	v_addc_co_u32_e32 v9, vcc, v22, v2, vcc
	v_lshlrev_b64 v[2:3], v20, -1
	v_writelane_b32 v48, s18, 18
	s_add_i32 s1, s70, -1
	v_writelane_b32 v48, s19, 19
	s_lshl_b32 s8, s70, 2
	s_add_i32 s83, s1, s60
	v_not_b32_e32 v25, v2
	v_lshrrev_b32_e32 v2, 2, v0
	v_writelane_b32 v48, s16, 20
	s_cmpk_gt_i32 s60, 0x300
	v_and_b32_e32 v2, 0xf0, v2
	v_writelane_b32 v48, s1, 21
	s_cselect_b64 s[74:75], -1, 0
	v_cmp_gt_u32_e64 s[14:15], s60, v0
	s_cmp_gt_u32 s70, 63
	v_or_b32_e32 v26, 0xc00, v2
	v_cvt_f32_u32_e32 v2, s8
	v_writelane_b32 v48, s14, 22
	s_cselect_b64 s[76:77], -1, 0
	s_cmp_lt_u32 s6, s12
	v_writelane_b32 v48, s15, 23
	v_cmp_gt_i32_e64 s[14:15], s60, v0
	s_cselect_b32 s1, 12, 18
	v_writelane_b32 v48, s14, 24
	s_add_u32 s6, s10, s1
	v_writelane_b32 v48, s15, 25
	s_addc_u32 s7, s11, 0
	v_rcp_iflag_f32_e32 v2, v2
	v_writelane_b32 v48, s6, 26
	s_add_i32 s1, s0, -1
	v_writelane_b32 v48, s7, 27
	s_bfe_u32 s6, s70, 0x30006
	s_and_b32 s1, s1, 0xffff
	s_cmp_gt_u32 s1, 6
	s_cselect_b64 s[10:11], -1, 0
	v_mul_f32_e32 v2, 0x4f7ffffe, v2
	v_writelane_b32 v48, s10, 28
	s_and_b32 s79, s0, 0x3f8
	v_cvt_u32_f32_e32 v2, v2
	v_writelane_b32 v48, s11, 29
	s_cmp_lg_u32 s6, 0
	v_writelane_b32 v48, s6, 30
	s_cselect_b64 s[0:1], -1, 0
	v_writelane_b32 v48, s0, 31
	v_writelane_b32 v48, s1, 32
	s_sub_i32 s0, 0, s8
	v_readfirstlane_b32 s1, v2
	s_mul_i32 s0, s0, s1
	s_mul_hi_u32 s0, s1, s0
	s_add_i32 s80, s1, s0
	s_mul_hi_u32 s0, s60, s80
	s_mul_i32 s0, s0, s8
	s_sub_i32 s0, s60, s0
	s_sub_i32 s1, s0, s8
	s_cmp_ge_u32 s0, s8
	s_cselect_b32 s0, s1, s0
	s_sub_i32 s1, s0, s8
	s_cmp_ge_u32 s0, s8
	s_cselect_b32 s0, s1, s0
	s_sub_i32 s81, s60, s0
	v_add_u32_e32 v27, s81, v0
	v_cvt_f32_u32_e32 v4, s70
	v_mul_lo_u32 v2, v27, s63
	v_not_b32_e32 v24, v3
	s_sub_i32 s7, 0, s70
	v_rcp_iflag_f32_e32 v4, v4
	v_ashrrev_i32_e32 v3, 31, v2
	v_lshlrev_b64 v[2:3], 2, v[2:3]
	s_abs_i32 s6, s83
	v_add_co_u32_e32 v10, vcc, s62, v2
	v_mul_f32_e32 v2, 0x4f7ffffe, v4
	v_cvt_u32_f32_e32 v2, v2
	s_ashr_i32 s1, s83, 31
	v_lshlrev_b32_e32 v19, 2, v0
	v_lshlrev_b32_e32 v1, 2, v20
	v_readfirstlane_b32 s9, v2
	s_mul_i32 s7, s7, s9
	s_mul_hi_u32 s7, s9, s7
	s_add_i32 s7, s9, s7
	v_writelane_b32 v48, s7, 33
	s_mul_hi_u32 s7, s6, s7
	s_mul_i32 s7, s7, s70
	s_sub_i32 s6, s6, s7
	s_sub_i32 s7, s6, s70
	s_cmp_ge_u32 s6, s70
	s_cselect_b32 s6, s7, s6
	s_sub_i32 s7, s6, s70
	v_mul_lo_u32 v2, s63, v19
	s_cmp_ge_u32 s6, s70
	s_cselect_b32 s6, s7, s6
	s_xor_b32 s6, s6, s1
	s_sub_i32 s1, s1, s6
	v_add_u32_e32 v28, s63, v2
	v_or_b32_e32 v2, 2, v19
	s_add_i32 s83, s83, s1
	v_mul_lo_u32 v30, s63, v2
	v_or_b32_e32 v2, 3, v19
	s_add_i32 s1, s70, s60
	v_mul_lo_u32 v31, s63, v2
	v_add_u32_e32 v2, s1, v0
	v_subrev_u32_e32 v2, s0, v2
	v_mul_lo_u32 v33, s63, v2
	v_mov_b32_e32 v6, s71
	v_cmp_gt_i32_e64 s[6:7], s83, v0
	s_mul_i32 s33, s63, s70
	v_cmp_eq_u32_e64 s[2:3], 0, v20
	v_cmp_gt_u32_e64 s[4:5], 2, v0
	v_add_u32_e32 v21, 0xc00, v19
	v_and_b32_e32 v23, 0x100, v1
	v_cmp_gt_i32_e64 s[10:11], s81, v19
	v_cmp_gt_u32_e64 s[12:13], s60, v27
	v_addc_co_u32_e32 v11, vcc, v6, v3, vcc
	v_cmp_gt_i32_e64 s[14:15], s60, v27
	v_writelane_b32 v48, s6, 34
	s_lshl_b32 s16, s33, 2
	v_lshlrev_b32_e32 v32, 2, v5
	v_lshlrev_b32_e32 v34, 4, v0
	s_lshl_b32 s17, s70, 4
	v_or_b32_e32 v35, 0xc00, v1
	s_mov_b64 s[84:85], 0
	v_mov_b32_e32 v37, 30
	v_mov_b32_e32 v39, s61
	v_bfrev_b32_e32 v36, 1
	v_mov_b32_e32 v29, 0
	v_mov_b32_e32 v38, 0
	v_mov_b32_e32 v12, 1.0
	v_mov_b32_e32 v14, 0
	v_writelane_b32 v48, s7, 35
                                        ; implicit-def: $sgpr86_sgpr87
                                        ; implicit-def: $sgpr90_sgpr91
                                        ; implicit-def: $sgpr88_sgpr89
                                        ; implicit-def: $sgpr94_sgpr95
                                        ; implicit-def: $sgpr64_sgpr65
                                        ; implicit-def: $sgpr92_sgpr93
	s_branch .LBB49_7
.LBB49_4:                               ;   in Loop: Header=BB49_7 Depth=1
	s_or_b64 exec, exec, s[30:31]
	s_and_b64 s[30:31], s[28:29], exec
	s_andn2_b64 s[26:27], s[26:27], exec
	s_andn2_b64 s[24:25], s[24:25], exec
	s_orn2_b64 s[20:21], s[20:21], exec
.LBB49_5:                               ;   in Loop: Header=BB49_7 Depth=1
	s_or_b64 exec, exec, s[22:23]
	s_andn2_b64 s[18:19], s[92:93], exec
	s_and_b64 s[22:23], s[30:31], exec
	s_or_b64 s[92:93], s[18:19], s[22:23]
	s_andn2_b64 s[18:19], s[64:65], exec
	s_and_b64 s[22:23], s[26:27], exec
	s_or_b64 s[64:65], s[18:19], s[22:23]
	;; [unrolled: 3-line block ×3, first 2 shown]
	s_orn2_b64 s[20:21], s[20:21], exec
.LBB49_6:                               ;   in Loop: Header=BB49_7 Depth=1
	s_or_b64 exec, exec, s[6:7]
	s_and_b64 s[6:7], exec, s[20:21]
	s_or_b64 s[84:85], s[6:7], s[84:85]
	s_andn2_b64 s[6:7], s[88:89], exec
	s_and_b64 s[18:19], s[92:93], exec
	s_or_b64 s[88:89], s[6:7], s[18:19]
	s_andn2_b64 s[6:7], s[90:91], exec
	s_and_b64 s[18:19], s[64:65], exec
	;; [unrolled: 3-line block ×3, first 2 shown]
	s_or_b64 s[86:87], s[6:7], s[18:19]
	s_mov_b32 s78, s0
	v_mov_b32_e32 v39, v15
	s_andn2_b64 exec, exec, s[84:85]
	s_cbranch_execz .LBB49_239
.LBB49_7:                               ; =>This Loop Header: Depth=1
                                        ;     Child Loop BB49_13 Depth 2
                                        ;     Child Loop BB49_28 Depth 2
	;; [unrolled: 1-line block ×16, first 2 shown]
	ds_read_b64 v[1:2], v7 offset:4096
	s_waitcnt lgkmcnt(0)
	v_readfirstlane_b32 s61, v1
	s_cmp_gt_i32 s61, 0
	s_cbranch_scc1 .LBB49_35
; %bb.8:                                ;   in Loop: Header=BB49_7 Depth=1
	s_and_b64 vcc, exec, s[74:75]
	s_cbranch_vccz .LBB49_21
; %bb.9:                                ;   in Loop: Header=BB49_7 Depth=1
	s_movk_i32 s0, 0x301
	v_cmp_gt_i32_e32 vcc, s0, v2
	s_mov_b64 s[20:21], 0
	s_mov_b64 s[6:7], 0
	s_cbranch_vccz .LBB49_22
; %bb.10:                               ;   in Loop: Header=BB49_7 Depth=1
	s_mov_b64 s[22:23], exec
	v_readlane_b32 s0, v48, 22
	v_readlane_b32 s1, v48, 23
	s_and_b64 s[0:1], s[22:23], s[0:1]
	s_mov_b64 exec, s[0:1]
	s_cbranch_execz .LBB49_67
; %bb.11:                               ;   in Loop: Header=BB49_7 Depth=1
	v_readlane_b32 s0, v48, 26
	v_readlane_b32 s1, v48, 27
	s_nop 4
	global_load_ushort v1, v7, s[0:1]
	global_load_dword v3, v[8:9], off
	s_mov_b64 s[24:25], 0
	v_mov_b32_e32 v4, v0
	s_waitcnt vmcnt(1)
	v_add_u32_e32 v2, v0, v1
	v_mul_lo_u32 v6, s63, v2
	v_mul_lo_u32 v2, s63, v1
	s_branch .LBB49_13
.LBB49_12:                              ;   in Loop: Header=BB49_13 Depth=2
	s_or_b64 exec, exec, s[6:7]
	v_cmp_le_i32_e32 vcc, s60, v4
	v_add_u32_e32 v6, v6, v2
	s_or_b64 s[24:25], vcc, s[24:25]
	v_mov_b32_e32 v3, v13
	s_andn2_b64 exec, exec, s[24:25]
	s_cbranch_execz .LBB49_67
.LBB49_13:                              ;   Parent Loop BB49_7 Depth=1
                                        ; =>  This Inner Loop Header: Depth=2
	v_add_u32_e32 v4, v4, v1
	v_cmp_gt_u32_e32 vcc, s60, v4
	s_waitcnt lgkmcnt(0)
	v_mov_b32_e32 v15, 0
	v_mov_b32_e32 v13, 0
	s_and_saveexec_b64 s[6:7], vcc
	s_cbranch_execz .LBB49_15
; %bb.14:                               ;   in Loop: Header=BB49_13 Depth=2
	v_lshlrev_b64 v[16:17], 2, v[6:7]
	v_add_co_u32_e32 v16, vcc, s62, v16
	v_addc_co_u32_e32 v17, vcc, v22, v17, vcc
	global_load_dword v13, v[16:17], off
.LBB49_15:                              ;   in Loop: Header=BB49_13 Depth=2
	s_or_b64 exec, exec, s[6:7]
	s_waitcnt vmcnt(0)
	v_cmp_lt_i32_e32 vcc, -1, v3
	v_cndmask_b32_e32 v16, -1, v36, vcc
	v_xor_b32_e32 v16, v16, v3
	v_cmp_o_f32_e32 vcc, v3, v3
	v_cndmask_b32_e32 v16, -1, v16, vcc
	v_and_b32_e32 v16, v16, v38
	v_cmp_eq_u32_e32 vcc, v16, v29
	s_cmp_lg_u64 vcc, 0
	s_cselect_b64 s[0:1], -1, 0
	s_and_b64 s[0:1], s[2:3], s[0:1]
	s_and_saveexec_b64 s[26:27], s[0:1]
	s_cbranch_execz .LBB49_19
; %bb.16:                               ;   in Loop: Header=BB49_13 Depth=2
	s_mov_b64 s[30:31], exec
	v_mbcnt_lo_u32_b32 v15, s30, 0
	v_mbcnt_hi_u32_b32 v15, s31, v15
	s_bcnt1_i32_b64 s0, vcc
	v_cmp_eq_u32_e64 s[6:7], 0, v15
                                        ; implicit-def: $vgpr16
	s_and_saveexec_b64 s[28:29], s[6:7]
; %bb.17:                               ;   in Loop: Header=BB49_13 Depth=2
	s_bcnt1_i32_b64 s1, s[30:31]
	s_mul_i32 s1, s0, s1
	v_mov_b32_e32 v16, s1
	ds_add_rtn_u32 v16, v7, v16 offset:4104
; %bb.18:                               ;   in Loop: Header=BB49_13 Depth=2
	s_or_b64 exec, exec, s[28:29]
	s_waitcnt lgkmcnt(0)
	v_readfirstlane_b32 s1, v16
	v_mov_b32_e32 v16, s1
	v_mad_u32_u24 v15, s0, v15, v16
.LBB49_19:                              ;   in Loop: Header=BB49_13 Depth=2
	s_or_b64 exec, exec, s[26:27]
	ds_bpermute_b32 v15, v23, v15
	s_and_saveexec_b64 s[6:7], vcc
	s_cbranch_execz .LBB49_12
; %bb.20:                               ;   in Loop: Header=BB49_13 Depth=2
	v_and_b32_e32 v17, vcc_lo, v25
	v_and_b32_e32 v16, vcc_hi, v24
	v_bcnt_u32_b32 v17, v17, 0
	v_bcnt_u32_b32 v16, v16, v17
	v_lshlrev_b32_e32 v16, 2, v16
	s_waitcnt lgkmcnt(0)
	v_lshl_add_u32 v15, v15, 2, v16
	ds_write_b32 v15, v3
	s_branch .LBB49_12
.LBB49_21:                              ;   in Loop: Header=BB49_7 Depth=1
	s_mov_b64 s[20:21], -1
	s_mov_b64 s[6:7], 0
.LBB49_22:                              ;   in Loop: Header=BB49_7 Depth=1
	s_and_b64 vcc, exec, s[20:21]
	s_cbranch_vccz .LBB49_33
.LBB49_23:                              ;   in Loop: Header=BB49_7 Depth=1
	v_mov_b32_e32 v1, 0
	s_mov_b64 s[6:7], exec
	v_readlane_b32 s0, v48, 22
	v_readlane_b32 s1, v48, 23
	s_and_b64 s[0:1], s[6:7], s[0:1]
	s_mov_b64 exec, s[0:1]
	s_cbranch_execz .LBB49_25
; %bb.24:                               ;   in Loop: Header=BB49_7 Depth=1
	global_load_dword v1, v[8:9], off
.LBB49_25:                              ;   in Loop: Header=BB49_7 Depth=1
	s_or_b64 exec, exec, s[6:7]
	s_mov_b64 s[6:7], exec
	v_readlane_b32 s0, v48, 24
	v_readlane_b32 s1, v48, 25
	s_and_b64 s[0:1], s[6:7], s[0:1]
	s_mov_b64 exec, s[0:1]
	s_cbranch_execz .LBB49_30
; %bb.26:                               ;   in Loop: Header=BB49_7 Depth=1
	v_readlane_b32 s0, v48, 26
	v_readlane_b32 s1, v48, 27
	s_mov_b64 s[20:21], 0
	v_mov_b32_e32 v13, v19
	v_mov_b32_e32 v15, v0
	s_nop 1
	global_load_ushort v2, v7, s[0:1]
	s_waitcnt vmcnt(0)
	v_add_u32_e32 v4, v0, v2
	v_mul_lo_u32 v6, s63, v4
	v_mul_lo_u32 v4, s63, v2
	v_lshlrev_b32_e32 v3, 2, v2
	s_branch .LBB49_28
.LBB49_27:                              ;   in Loop: Header=BB49_28 Depth=2
	s_or_b64 exec, exec, s[22:23]
	v_cmp_le_i32_e32 vcc, s60, v15
	ds_write_b32 v13, v1
	v_add_u32_e32 v13, v13, v3
	v_add_u32_e32 v6, v6, v4
	s_or_b64 s[20:21], vcc, s[20:21]
	s_waitcnt vmcnt(0)
	v_mov_b32_e32 v1, v16
	s_andn2_b64 exec, exec, s[20:21]
	s_cbranch_execz .LBB49_30
.LBB49_28:                              ;   Parent Loop BB49_7 Depth=1
                                        ; =>  This Inner Loop Header: Depth=2
	v_add_u32_e32 v15, v15, v2
	v_cmp_gt_u32_e32 vcc, s60, v15
	v_mov_b32_e32 v16, 0
	s_and_saveexec_b64 s[22:23], vcc
	s_cbranch_execz .LBB49_27
; %bb.29:                               ;   in Loop: Header=BB49_28 Depth=2
	v_lshlrev_b64 v[16:17], 2, v[6:7]
	v_mov_b32_e32 v18, s71
	v_add_co_u32_e32 v16, vcc, s62, v16
	v_addc_co_u32_e32 v17, vcc, v18, v17, vcc
	global_load_dword v16, v[16:17], off
	s_branch .LBB49_27
.LBB49_30:                              ;   in Loop: Header=BB49_7 Depth=1
	s_or_b64 exec, exec, s[6:7]
	s_waitcnt vmcnt(0) lgkmcnt(0)
	s_barrier
	s_mov_b64 s[6:7], exec
	v_readlane_b32 s0, v48, 12
	v_readlane_b32 s1, v48, 13
	s_and_b64 s[0:1], s[6:7], s[0:1]
	s_mov_b64 exec, s[0:1]
; %bb.31:                               ;   in Loop: Header=BB49_7 Depth=1
	v_mov_b32_e32 v1, s60
	ds_write_b32 v7, v1 offset:4096
; %bb.32:                               ;   in Loop: Header=BB49_7 Depth=1
	s_or_b64 exec, exec, s[6:7]
	s_mov_b64 s[6:7], -1
	s_waitcnt lgkmcnt(0)
	s_barrier
.LBB49_33:                              ;   in Loop: Header=BB49_7 Depth=1
	s_and_b64 vcc, exec, s[6:7]
	s_cbranch_vccz .LBB49_35
; %bb.34:                               ;   in Loop: Header=BB49_7 Depth=1
	ds_read_b32 v1, v7 offset:4096
	s_waitcnt lgkmcnt(0)
	v_readfirstlane_b32 s61, v1
.LBB49_35:                              ;   in Loop: Header=BB49_7 Depth=1
	s_cmp_lt_i32 s61, 1
	s_mov_b64 s[6:7], -1
                                        ; implicit-def: $vgpr1
	s_cbranch_scc1 .LBB49_45
; %bb.36:                               ;   in Loop: Header=BB49_7 Depth=1
	s_and_b64 vcc, exec, s[6:7]
	s_cbranch_vccnz .LBB49_58
.LBB49_37:                              ;   in Loop: Header=BB49_7 Depth=1
	s_lshl_b32 s0, s78, 6
	s_and_saveexec_b64 s[6:7], s[2:3]
.LBB49_38:                              ;   in Loop: Header=BB49_7 Depth=1
	v_lshl_add_u32 v6, s0, 2, v26
	ds_write_b128 v6, v[1:4]
.LBB49_39:                              ;   in Loop: Header=BB49_7 Depth=1
	s_or_b64 exec, exec, s[6:7]
	s_waitcnt vmcnt(0) lgkmcnt(0)
	s_barrier
	s_and_saveexec_b64 s[6:7], s[72:73]
	s_cbranch_execz .LBB49_75
; %bb.40:                               ;   in Loop: Header=BB49_7 Depth=1
	s_andn2_b64 vcc, exec, s[76:77]
	v_mov_b32_e32 v1, 0
	s_cbranch_vccnz .LBB49_74
; %bb.41:                               ;   in Loop: Header=BB49_7 Depth=1
	v_readlane_b32 s18, v48, 28
	v_readlane_b32 s19, v48, 29
	s_andn2_b64 vcc, exec, s[18:19]
	s_cbranch_vccnz .LBB49_70
; %bb.42:                               ;   in Loop: Header=BB49_7 Depth=1
	v_lshl_add_u32 v2, s78, 8, v35
	s_mov_b32 s1, 0
	v_mov_b32_e32 v1, 0
.LBB49_43:                              ;   Parent Loop BB49_7 Depth=1
                                        ; =>  This Inner Loop Header: Depth=2
	ds_read2_b32 v[3:4], v2 offset1:4
	ds_read2_b32 v[15:16], v2 offset0:8 offset1:12
	ds_read2_b32 v[17:18], v2 offset0:16 offset1:20
	ds_read2_b32 v[40:41], v2 offset0:24 offset1:28
	s_add_i32 s1, s1, 8
	s_waitcnt lgkmcnt(3)
	v_add3_u32 v1, v3, v1, v4
	s_waitcnt lgkmcnt(2)
	v_add3_u32 v1, v15, v1, v16
	;; [unrolled: 2-line block ×3, first 2 shown]
	v_add_u32_e32 v2, 0x80, v2
	s_cmp_eq_u32 s79, s1
	s_waitcnt lgkmcnt(0)
	v_add3_u32 v1, v40, v1, v41
	s_cbranch_scc0 .LBB49_43
; %bb.44:                               ;   in Loop: Header=BB49_7 Depth=1
	s_mov_b32 s1, s79
	s_branch .LBB49_71
.LBB49_45:                              ;   in Loop: Header=BB49_7 Depth=1
	v_mov_b32_e32 v1, 0
	v_mov_b32_e32 v2, 0
	;; [unrolled: 1-line block ×4, first 2 shown]
	s_and_saveexec_b64 s[66:67], s[10:11]
	s_cbranch_execnz .LBB49_48
; %bb.46:                               ;   in Loop: Header=BB49_7 Depth=1
	s_or_b64 exec, exec, s[66:67]
	v_mov_b32_e32 v13, 0
	s_and_saveexec_b64 s[6:7], s[12:13]
	s_cbranch_execnz .LBB49_51
.LBB49_47:                              ;   in Loop: Header=BB49_7 Depth=1
	s_or_b64 exec, exec, s[6:7]
	s_and_saveexec_b64 s[20:21], s[14:15]
	s_cbranch_execnz .LBB49_52
	s_branch .LBB49_57
.LBB49_48:                              ;   in Loop: Header=BB49_7 Depth=1
	s_mov_b32 s9, 0
	s_mov_b64 s[68:69], 0
	s_mov_b32 s82, 0
	s_mov_b32 s18, 0
	;; [unrolled: 1-line block ×4, first 2 shown]
	v_mov_b32_e32 v6, v19
.LBB49_49:                              ;   Parent Loop BB49_7 Depth=1
                                        ; =>  This Inner Loop Header: Depth=2
	v_add_u32_e32 v1, s9, v32
	v_ashrrev_i32_e32 v2, 31, v1
	v_add_u32_e32 v3, s9, v28
	v_lshlrev_b64 v[1:2], 2, v[1:2]
	v_ashrrev_i32_e32 v4, 31, v3
	v_mov_b32_e32 v13, s71
	v_add_u32_e32 v15, s9, v30
	v_lshlrev_b64 v[3:4], 2, v[3:4]
	v_add_co_u32_e64 v1, s[6:7], s62, v1
	v_ashrrev_i32_e32 v16, 31, v15
	v_addc_co_u32_e64 v2, s[6:7], v13, v2, s[6:7]
	v_add_u32_e32 v17, s9, v31
	v_lshlrev_b64 v[15:16], 2, v[15:16]
	v_add_co_u32_e64 v3, s[6:7], s62, v3
	v_ashrrev_i32_e32 v18, 31, v17
	v_addc_co_u32_e64 v4, s[6:7], v13, v4, s[6:7]
	v_lshlrev_b64 v[17:18], 2, v[17:18]
	v_add_co_u32_e64 v15, s[6:7], s62, v15
	v_addc_co_u32_e64 v16, s[6:7], v13, v16, s[6:7]
	v_add_co_u32_e64 v17, s[6:7], s62, v17
	v_addc_co_u32_e64 v18, s[6:7], v13, v18, s[6:7]
	global_load_dword v1, v[1:2], off
	s_nop 0
	global_load_dword v2, v[3:4], off
	s_nop 0
	global_load_dword v3, v[15:16], off
	global_load_dword v4, v[17:18], off
	v_add_u32_e32 v6, s8, v6
	s_add_i32 s9, s9, s16
	v_cmp_le_i32_e32 vcc, s81, v6
	s_waitcnt vmcnt(3)
	v_cmp_lt_i32_e64 s[6:7], -1, v1
	v_cndmask_b32_e64 v13, -1, v36, s[6:7]
	s_waitcnt vmcnt(2)
	v_cmp_lt_i32_e64 s[6:7], -1, v2
	v_cndmask_b32_e64 v15, -1, v36, s[6:7]
	;; [unrolled: 3-line block ×4, first 2 shown]
	v_xor_b32_e32 v15, v15, v2
	v_cmp_o_f32_e64 s[6:7], v2, v2
	v_xor_b32_e32 v2, v16, v3
	v_cmp_o_f32_e64 s[20:21], v3, v3
	;; [unrolled: 2-line block ×4, first 2 shown]
	v_cndmask_b32_e64 v1, -1, v4, s[24:25]
	v_cndmask_b32_e64 v4, -1, v15, s[6:7]
	v_and_b32_e32 v13, v1, v38
	v_bfe_u32 v1, v1, v37, 2
	v_cndmask_b32_e64 v2, -1, v2, s[20:21]
	v_and_b32_e32 v15, v4, v38
	v_bfe_u32 v4, v4, v37, 2
	v_cmp_eq_u32_e64 s[6:7], v13, v29
	v_cmp_eq_u32_e64 s[26:27], 0, v1
	v_cndmask_b32_e64 v3, -1, v3, s[22:23]
	v_and_b32_e32 v16, v2, v38
	v_bfe_u32 v2, v2, v37, 2
	v_cmp_eq_u32_e64 s[20:21], v15, v29
	v_cmp_eq_u32_e64 s[28:29], 0, v4
	s_and_b64 s[26:27], s[6:7], s[26:27]
	v_and_b32_e32 v17, v3, v38
	v_bfe_u32 v3, v3, v37, 2
	v_cmp_eq_u32_e64 s[22:23], v16, v29
	v_cmp_eq_u32_e64 s[30:31], 0, v2
	;; [unrolled: 1-line block ×5, first 2 shown]
	v_cndmask_b32_e64 v1, 0, 1, s[26:27]
	s_and_b64 s[26:27], s[20:21], s[28:29]
	v_cmp_eq_u32_e64 s[24:25], v17, v29
	v_cmp_eq_u32_e64 s[34:35], 0, v3
	;; [unrolled: 1-line block ×5, first 2 shown]
	v_cndmask_b32_e64 v2, 0, 1, s[26:27]
	s_and_b64 s[26:27], s[22:23], s[30:31]
	v_cmp_eq_u32_e64 s[42:43], 1, v3
	v_cmp_eq_u32_e64 s[50:51], 2, v3
	;; [unrolled: 1-line block ×3, first 2 shown]
	v_cndmask_b32_e64 v3, 0, 1, s[26:27]
	s_and_b64 s[26:27], s[24:25], s[34:35]
	v_cmp_eq_u32_e64 s[38:39], 1, v4
	v_cmp_eq_u32_e64 s[46:47], 2, v4
	;; [unrolled: 1-line block ×3, first 2 shown]
	v_cndmask_b32_e64 v4, 0, 1, s[26:27]
	s_and_b64 s[26:27], s[6:7], s[36:37]
	v_cndmask_b32_e64 v13, 0, 1, s[26:27]
	s_and_b64 s[26:27], s[20:21], s[38:39]
	v_cndmask_b32_e64 v15, 0, 1, s[26:27]
	s_and_b64 s[26:27], s[22:23], s[40:41]
	v_cndmask_b32_e64 v16, 0, 1, s[26:27]
	s_and_b64 s[26:27], s[24:25], s[42:43]
	v_cndmask_b32_e64 v17, 0, 1, s[26:27]
	s_and_b64 s[26:27], s[6:7], s[44:45]
	s_and_b64 s[6:7], s[6:7], s[52:53]
	v_cndmask_b32_e64 v18, 0, 1, s[26:27]
	s_and_b64 s[26:27], s[20:21], s[46:47]
	v_cndmask_b32_e64 v43, 0, 1, s[6:7]
	s_and_b64 s[6:7], s[20:21], s[54:55]
	v_cndmask_b32_e64 v40, 0, 1, s[26:27]
	s_and_b64 s[26:27], s[22:23], s[48:49]
	v_cndmask_b32_e64 v44, 0, 1, s[6:7]
	s_and_b64 s[6:7], s[22:23], s[56:57]
	v_cndmask_b32_e64 v41, 0, 1, s[26:27]
	s_and_b64 s[26:27], s[24:25], s[50:51]
	v_cndmask_b32_e64 v45, 0, 1, s[6:7]
	s_and_b64 s[6:7], s[24:25], s[58:59]
	v_cndmask_b32_e64 v42, 0, 1, s[26:27]
	v_cndmask_b32_e64 v46, 0, 1, s[6:7]
	v_cmp_ne_u32_e64 s[6:7], 0, v1
	v_cmp_ne_u32_e64 s[20:21], 0, v2
	;; [unrolled: 1-line block ×11, first 2 shown]
	s_bcnt1_i32_b64 s1, s[6:7]
	s_bcnt1_i32_b64 s6, s[20:21]
	;; [unrolled: 1-line block ×8, first 2 shown]
	v_cmp_ne_u32_e64 s[40:41], 0, v41
	v_cmp_ne_u32_e64 s[48:49], 0, v45
	s_bcnt1_i32_b64 s23, s[30:31]
	s_bcnt1_i32_b64 s26, s[38:39]
	s_bcnt1_i32_b64 s30, s[46:47]
	s_add_i32 s0, s0, s1
	s_add_i32 s1, s19, s21
	;; [unrolled: 1-line block ×4, first 2 shown]
	v_cmp_ne_u32_e64 s[34:35], 0, v17
	v_cmp_ne_u32_e64 s[42:43], 0, v42
	;; [unrolled: 1-line block ×3, first 2 shown]
	s_bcnt1_i32_b64 s27, s[40:41]
	s_bcnt1_i32_b64 s31, s[48:49]
	s_add_i32 s0, s0, s6
	s_add_i32 s1, s1, s22
	;; [unrolled: 1-line block ×4, first 2 shown]
	s_bcnt1_i32_b64 s24, s[34:35]
	s_bcnt1_i32_b64 s28, s[42:43]
	s_bcnt1_i32_b64 s34, s[50:51]
	s_add_i32 s0, s0, s7
	s_add_i32 s1, s1, s23
	;; [unrolled: 1-line block ×8, first 2 shown]
	s_or_b64 s[68:69], vcc, s[68:69]
	v_mov_b32_e32 v1, s0
	v_mov_b32_e32 v2, s19
	;; [unrolled: 1-line block ×4, first 2 shown]
	s_andn2_b64 exec, exec, s[68:69]
	s_cbranch_execnz .LBB49_49
; %bb.50:                               ;   in Loop: Header=BB49_7 Depth=1
	s_or_b64 exec, exec, s[68:69]
	s_or_b64 exec, exec, s[66:67]
	v_mov_b32_e32 v13, 0
	s_and_saveexec_b64 s[6:7], s[12:13]
	s_cbranch_execz .LBB49_47
.LBB49_51:                              ;   in Loop: Header=BB49_7 Depth=1
	global_load_dword v13, v[10:11], off
	s_or_b64 exec, exec, s[6:7]
	s_and_saveexec_b64 s[20:21], s[14:15]
	s_cbranch_execz .LBB49_57
.LBB49_52:                              ;   in Loop: Header=BB49_7 Depth=1
	s_mov_b64 s[22:23], 0
	v_mov_b32_e32 v15, v33
	v_mov_b32_e32 v6, v27
	s_branch .LBB49_54
.LBB49_53:                              ;   in Loop: Header=BB49_54 Depth=2
	s_or_b64 exec, exec, s[6:7]
	s_waitcnt vmcnt(0)
	v_cmp_lt_i32_e32 vcc, -1, v13
	v_cndmask_b32_e32 v17, -1, v36, vcc
	v_xor_b32_e32 v17, v17, v13
	v_cmp_o_f32_e32 vcc, v13, v13
	v_cndmask_b32_e32 v13, -1, v17, vcc
	v_and_b32_e32 v17, v13, v38
	v_bfe_u32 v13, v13, v37, 2
	v_cmp_eq_u32_e32 vcc, v17, v29
	v_cmp_eq_u32_e64 s[6:7], 0, v13
	s_and_b64 s[0:1], vcc, s[6:7]
	v_cndmask_b32_e64 v17, 0, 1, s[0:1]
	v_cmp_ne_u32_e64 s[6:7], 0, v17
	s_bcnt1_i32_b64 s0, s[6:7]
	v_cmp_eq_u32_e64 s[6:7], 1, v13
	v_add_u32_e32 v1, s0, v1
	s_and_b64 s[0:1], vcc, s[6:7]
	v_cndmask_b32_e64 v17, 0, 1, s[0:1]
	v_cmp_ne_u32_e64 s[6:7], 0, v17
	s_bcnt1_i32_b64 s0, s[6:7]
	v_cmp_eq_u32_e64 s[6:7], 2, v13
	v_add_u32_e32 v2, s0, v2
	;; [unrolled: 6-line block ×3, first 2 shown]
	s_and_b64 s[0:1], vcc, s[6:7]
	v_cndmask_b32_e64 v13, 0, 1, s[0:1]
	v_cmp_ne_u32_e32 vcc, 0, v13
	s_bcnt1_i32_b64 s0, vcc
	v_cmp_le_i32_e32 vcc, s60, v6
	v_add_u32_e32 v4, s0, v4
	v_add_u32_e32 v15, s33, v15
	s_or_b64 s[22:23], vcc, s[22:23]
	v_mov_b32_e32 v13, v16
	s_andn2_b64 exec, exec, s[22:23]
	s_cbranch_execz .LBB49_56
.LBB49_54:                              ;   Parent Loop BB49_7 Depth=1
                                        ; =>  This Inner Loop Header: Depth=2
	v_add_u32_e32 v6, s70, v6
	v_cmp_gt_u32_e32 vcc, s60, v6
	v_mov_b32_e32 v16, 0
	s_and_saveexec_b64 s[6:7], vcc
	s_cbranch_execz .LBB49_53
; %bb.55:                               ;   in Loop: Header=BB49_54 Depth=2
	v_ashrrev_i32_e32 v16, 31, v15
	v_lshlrev_b64 v[16:17], 2, v[15:16]
	v_mov_b32_e32 v18, s71
	v_add_co_u32_e32 v16, vcc, s62, v16
	v_addc_co_u32_e32 v17, vcc, v18, v17, vcc
	global_load_dword v16, v[16:17], off
	s_branch .LBB49_53
.LBB49_56:                              ;   in Loop: Header=BB49_7 Depth=1
	s_or_b64 exec, exec, s[22:23]
.LBB49_57:                              ;   in Loop: Header=BB49_7 Depth=1
	s_or_b64 exec, exec, s[20:21]
	s_branch .LBB49_37
.LBB49_58:                              ;   in Loop: Header=BB49_7 Depth=1
	s_mul_hi_u32 s0, s61, s80
	s_mul_i32 s0, s0, s8
	s_sub_i32 s0, s61, s0
	s_sub_i32 s1, s0, s8
	s_cmp_ge_u32 s0, s8
	s_cselect_b32 s0, s1, s0
	s_sub_i32 s1, s0, s8
	s_cmp_ge_u32 s0, s8
	s_cselect_b32 s0, s1, s0
	s_sub_i32 s0, s61, s0
	v_cmp_gt_u32_e32 vcc, s0, v19
	v_mov_b32_e32 v1, 0
	v_mov_b32_e32 v2, 0
	;; [unrolled: 1-line block ×4, first 2 shown]
	s_and_saveexec_b64 s[66:67], vcc
	s_cbranch_execz .LBB49_62
; %bb.59:                               ;   in Loop: Header=BB49_7 Depth=1
	s_mov_b32 s1, 0
	s_mov_b64 s[68:69], 0
	v_mov_b32_e32 v6, v34
	s_mov_b32 s9, 0
	s_mov_b32 s18, 0
	;; [unrolled: 1-line block ×3, first 2 shown]
	s_waitcnt vmcnt(0)
	v_mov_b32_e32 v13, v19
.LBB49_60:                              ;   Parent Loop BB49_7 Depth=1
                                        ; =>  This Inner Loop Header: Depth=2
	ds_read_b128 v[1:4], v6
	v_add_u32_e32 v13, s8, v13
	v_cmp_le_i32_e32 vcc, s0, v13
	v_add_u32_e32 v6, s17, v6
	s_waitcnt lgkmcnt(0)
	v_cmp_lt_i32_e64 s[6:7], -1, v1
	v_cndmask_b32_e64 v15, -1, v36, s[6:7]
	v_cmp_lt_i32_e64 s[6:7], -1, v2
	v_cndmask_b32_e64 v16, -1, v36, s[6:7]
	;; [unrolled: 2-line block ×4, first 2 shown]
	v_xor_b32_e32 v16, v16, v2
	v_cmp_o_f32_e64 s[6:7], v2, v2
	v_xor_b32_e32 v2, v17, v3
	v_cmp_o_f32_e64 s[20:21], v3, v3
	;; [unrolled: 2-line block ×4, first 2 shown]
	v_cndmask_b32_e64 v1, -1, v4, s[24:25]
	v_cndmask_b32_e64 v4, -1, v16, s[6:7]
	v_and_b32_e32 v15, v1, v38
	v_bfe_u32 v1, v1, v37, 2
	v_cndmask_b32_e64 v2, -1, v2, s[20:21]
	v_and_b32_e32 v16, v4, v38
	v_bfe_u32 v4, v4, v37, 2
	v_cmp_eq_u32_e64 s[6:7], v15, v29
	v_cmp_eq_u32_e64 s[26:27], 0, v1
	v_cndmask_b32_e64 v3, -1, v3, s[22:23]
	v_and_b32_e32 v17, v2, v38
	v_bfe_u32 v2, v2, v37, 2
	v_cmp_eq_u32_e64 s[20:21], v16, v29
	v_cmp_eq_u32_e64 s[28:29], 0, v4
	s_and_b64 s[26:27], s[6:7], s[26:27]
	v_and_b32_e32 v18, v3, v38
	v_bfe_u32 v3, v3, v37, 2
	v_cmp_eq_u32_e64 s[22:23], v17, v29
	v_cmp_eq_u32_e64 s[30:31], 0, v2
	;; [unrolled: 1-line block ×5, first 2 shown]
	v_cndmask_b32_e64 v1, 0, 1, s[26:27]
	s_and_b64 s[26:27], s[20:21], s[28:29]
	v_cmp_eq_u32_e64 s[24:25], v18, v29
	v_cmp_eq_u32_e64 s[34:35], 0, v3
	;; [unrolled: 1-line block ×5, first 2 shown]
	v_cndmask_b32_e64 v2, 0, 1, s[26:27]
	s_and_b64 s[26:27], s[22:23], s[30:31]
	v_cmp_eq_u32_e64 s[42:43], 1, v3
	v_cmp_eq_u32_e64 s[50:51], 2, v3
	;; [unrolled: 1-line block ×3, first 2 shown]
	v_cndmask_b32_e64 v3, 0, 1, s[26:27]
	s_and_b64 s[26:27], s[24:25], s[34:35]
	v_cmp_eq_u32_e64 s[38:39], 1, v4
	v_cmp_eq_u32_e64 s[46:47], 2, v4
	;; [unrolled: 1-line block ×3, first 2 shown]
	v_cndmask_b32_e64 v4, 0, 1, s[26:27]
	s_and_b64 s[26:27], s[6:7], s[36:37]
	v_cndmask_b32_e64 v15, 0, 1, s[26:27]
	s_and_b64 s[26:27], s[20:21], s[38:39]
	;; [unrolled: 2-line block ×5, first 2 shown]
	s_and_b64 s[6:7], s[6:7], s[52:53]
	v_cndmask_b32_e64 v40, 0, 1, s[26:27]
	s_and_b64 s[26:27], s[20:21], s[46:47]
	v_cndmask_b32_e64 v44, 0, 1, s[6:7]
	;; [unrolled: 2-line block ×7, first 2 shown]
	v_cndmask_b32_e64 v47, 0, 1, s[6:7]
	v_cmp_ne_u32_e64 s[6:7], 0, v1
	v_cmp_ne_u32_e64 s[20:21], 0, v2
	;; [unrolled: 1-line block ×11, first 2 shown]
	s_bcnt1_i32_b64 s6, s[6:7]
	s_bcnt1_i32_b64 s7, s[20:21]
	;; [unrolled: 1-line block ×8, first 2 shown]
	v_cmp_ne_u32_e64 s[34:35], 0, v18
	v_cmp_ne_u32_e64 s[40:41], 0, v42
	;; [unrolled: 1-line block ×3, first 2 shown]
	s_bcnt1_i32_b64 s23, s[28:29]
	s_bcnt1_i32_b64 s27, s[38:39]
	;; [unrolled: 1-line block ×3, first 2 shown]
	s_add_i32 s6, s19, s6
	s_add_i32 s18, s18, s22
	;; [unrolled: 1-line block ×4, first 2 shown]
	v_cmp_ne_u32_e64 s[42:43], 0, v43
	v_cmp_ne_u32_e64 s[50:51], 0, v47
	s_bcnt1_i32_b64 s25, s[34:35]
	s_bcnt1_i32_b64 s28, s[40:41]
	;; [unrolled: 1-line block ×3, first 2 shown]
	s_add_i32 s6, s6, s7
	s_add_i32 s7, s18, s23
	;; [unrolled: 1-line block ×4, first 2 shown]
	s_bcnt1_i32_b64 s29, s[42:43]
	s_bcnt1_i32_b64 s35, s[50:51]
	s_add_i32 s6, s6, s20
	s_add_i32 s7, s7, s24
	;; [unrolled: 1-line block ×8, first 2 shown]
	s_or_b64 s[68:69], vcc, s[68:69]
	v_mov_b32_e32 v1, s19
	v_mov_b32_e32 v2, s18
	;; [unrolled: 1-line block ×4, first 2 shown]
	s_andn2_b64 exec, exec, s[68:69]
	s_cbranch_execnz .LBB49_60
; %bb.61:                               ;   in Loop: Header=BB49_7 Depth=1
	s_or_b64 exec, exec, s[68:69]
.LBB49_62:                              ;   in Loop: Header=BB49_7 Depth=1
	s_or_b64 exec, exec, s[66:67]
	v_add_u32_e32 v6, s0, v0
	v_cmp_gt_i32_e32 vcc, s61, v6
	s_and_saveexec_b64 s[28:29], vcc
	s_cbranch_execz .LBB49_66
; %bb.63:                               ;   in Loop: Header=BB49_7 Depth=1
	s_waitcnt vmcnt(0)
	v_lshlrev_b32_e32 v13, 2, v6
	s_mov_b64 s[30:31], 0
.LBB49_64:                              ;   Parent Loop BB49_7 Depth=1
                                        ; =>  This Inner Loop Header: Depth=2
	ds_read_b32 v15, v13
	v_add_u32_e32 v6, s70, v6
	v_cmp_le_i32_e32 vcc, s61, v6
	v_add_u32_e32 v13, s8, v13
	s_waitcnt lgkmcnt(0)
	v_cmp_lt_i32_e64 s[6:7], -1, v15
	v_cndmask_b32_e64 v16, -1, v36, s[6:7]
	v_xor_b32_e32 v16, v16, v15
	v_cmp_o_f32_e64 s[6:7], v15, v15
	v_cndmask_b32_e64 v15, -1, v16, s[6:7]
	v_and_b32_e32 v16, v15, v38
	v_bfe_u32 v15, v15, v37, 2
	v_cmp_eq_u32_e64 s[6:7], v16, v29
	v_cmp_eq_u32_e64 s[20:21], 0, v15
	;; [unrolled: 1-line block ×3, first 2 shown]
	s_and_b64 s[0:1], s[6:7], s[20:21]
	v_cmp_eq_u32_e64 s[24:25], 2, v15
	v_cmp_eq_u32_e64 s[26:27], 3, v15
	v_cndmask_b32_e64 v15, 0, 1, s[0:1]
	s_and_b64 s[0:1], s[6:7], s[22:23]
	v_cndmask_b32_e64 v16, 0, 1, s[0:1]
	s_and_b64 s[0:1], s[6:7], s[24:25]
	;; [unrolled: 2-line block ×3, first 2 shown]
	v_cndmask_b32_e64 v18, 0, 1, s[0:1]
	v_cmp_ne_u32_e64 s[6:7], 0, v15
	v_cmp_ne_u32_e64 s[20:21], 0, v16
	v_cmp_ne_u32_e64 s[22:23], 0, v17
	v_cmp_ne_u32_e64 s[24:25], 0, v18
	s_bcnt1_i32_b64 s0, s[6:7]
	s_bcnt1_i32_b64 s1, s[20:21]
	;; [unrolled: 1-line block ×4, first 2 shown]
	v_add_u32_e32 v1, s0, v1
	v_add_u32_e32 v2, s1, v2
	;; [unrolled: 1-line block ×3, first 2 shown]
	s_or_b64 s[30:31], vcc, s[30:31]
	v_add_u32_e32 v4, s7, v4
	s_andn2_b64 exec, exec, s[30:31]
	s_cbranch_execnz .LBB49_64
; %bb.65:                               ;   in Loop: Header=BB49_7 Depth=1
	s_or_b64 exec, exec, s[30:31]
.LBB49_66:                              ;   in Loop: Header=BB49_7 Depth=1
	s_or_b64 exec, exec, s[28:29]
	s_lshl_b32 s0, s78, 6
	s_and_saveexec_b64 s[6:7], s[2:3]
	s_cbranch_execnz .LBB49_38
	s_branch .LBB49_39
.LBB49_67:                              ;   in Loop: Header=BB49_7 Depth=1
	s_or_b64 exec, exec, s[22:23]
	s_waitcnt lgkmcnt(0)
	s_barrier
	s_mov_b64 s[6:7], exec
	v_readlane_b32 s0, v48, 12
	v_readlane_b32 s1, v48, 13
	s_and_b64 s[0:1], s[6:7], s[0:1]
	s_mov_b64 exec, s[0:1]
	s_cbranch_execz .LBB49_69
; %bb.68:                               ;   in Loop: Header=BB49_7 Depth=1
	ds_read_b32 v1, v7 offset:4104
	s_waitcnt lgkmcnt(0)
	ds_write_b32 v7, v1 offset:4096
.LBB49_69:                              ;   in Loop: Header=BB49_7 Depth=1
	s_or_b64 exec, exec, s[6:7]
	s_waitcnt lgkmcnt(0)
	s_barrier
	s_mov_b64 s[6:7], -1
	s_and_b64 vcc, exec, s[20:21]
	s_cbranch_vccnz .LBB49_23
	s_branch .LBB49_33
.LBB49_70:                              ;   in Loop: Header=BB49_7 Depth=1
	v_mov_b32_e32 v1, 0
	s_mov_b32 s1, 0
.LBB49_71:                              ;   in Loop: Header=BB49_7 Depth=1
	v_readlane_b32 s18, v48, 31
	v_readlane_b32 s19, v48, 32
	s_andn2_b64 vcc, exec, s[18:19]
	s_cbranch_vccnz .LBB49_74
; %bb.72:                               ;   in Loop: Header=BB49_7 Depth=1
	s_lshl_b32 s9, s78, 8
	s_lshl_b32 s1, s1, 4
	s_add_i32 s9, s9, s1
	v_add_u32_e32 v2, s9, v35
	v_readlane_b32 s1, v48, 30
.LBB49_73:                              ;   Parent Loop BB49_7 Depth=1
                                        ; =>  This Inner Loop Header: Depth=2
	ds_read_b32 v3, v2
	s_add_i32 s1, s1, -1
	v_add_u32_e32 v2, 16, v2
	s_cmp_lg_u32 s1, 0
	s_waitcnt lgkmcnt(0)
	v_add_u32_e32 v1, v3, v1
	s_cbranch_scc1 .LBB49_73
.LBB49_74:                              ;   in Loop: Header=BB49_7 Depth=1
	v_add_lshl_u32 v2, s0, v20, 2
	ds_write_b32 v2, v1 offset:3072
.LBB49_75:                              ;   in Loop: Header=BB49_7 Depth=1
	s_or_b64 exec, exec, s[6:7]
	s_lshl_b32 s0, s0, 2
	v_mov_b32_e32 v1, s0
	s_waitcnt lgkmcnt(0)
	s_barrier
	ds_read_b128 v[1:4], v1 offset:3072
	v_cmp_eq_u32_e32 vcc, 1, v39
	s_mov_b64 s[20:21], -1
	s_mov_b64 s[28:29], -1
                                        ; implicit-def: $sgpr26_sgpr27
                                        ; implicit-def: $sgpr24_sgpr25
	s_waitcnt lgkmcnt(0)
	v_readfirstlane_b32 s42, v1
	s_cmp_eq_u32 s42, 1
	v_readfirstlane_b32 s54, v3
	v_lshlrev_b32_e64 v3, v37, 3
	s_cselect_b64 s[0:1], -1, 0
	v_readfirstlane_b32 s46, v2
	v_readfirstlane_b32 s61, v4
	v_not_b32_e32 v6, v3
	s_and_b64 s[22:23], s[0:1], vcc
	s_and_saveexec_b64 s[6:7], s[22:23]
	s_cbranch_execz .LBB49_103
; %bb.76:                               ;   in Loop: Header=BB49_7 Depth=1
	ds_read_b32 v1, v7 offset:4096
	s_waitcnt lgkmcnt(0)
	s_barrier
	v_readfirstlane_b32 s0, v1
	s_and_saveexec_b64 s[24:25], s[4:5]
; %bb.77:                               ;   in Loop: Header=BB49_7 Depth=1
	ds_write_b32 v21, v7
; %bb.78:                               ;   in Loop: Header=BB49_7 Depth=1
	s_or_b64 exec, exec, s[24:25]
	v_and_b32_e32 v29, v29, v6
	v_or_b32_e32 v38, v38, v3
	s_mov_b64 s[24:25], -1
	s_mov_b64 s[26:27], 0
	s_cmp_lt_i32 s0, 1
	s_mov_b64 s[28:29], 0
	s_mov_b64 s[30:31], -1
	s_waitcnt lgkmcnt(0)
	s_barrier
                                        ; implicit-def: $vgpr14
	s_cbranch_scc0 .LBB49_90
; %bb.79:                               ;   in Loop: Header=BB49_7 Depth=1
	s_mov_b64 s[30:31], 0
                                        ; implicit-def: $vgpr14
	s_mov_b64 s[34:35], exec
	v_readlane_b32 s18, v48, 34
	v_readlane_b32 s19, v48, 35
	s_and_b64 s[18:19], s[34:35], s[18:19]
	s_mov_b64 exec, s[18:19]
	s_cbranch_execz .LBB49_89
; %bb.80:                               ;   in Loop: Header=BB49_7 Depth=1
	v_mov_b32_e32 v1, v5
	v_mov_b32_e32 v4, v0
                                        ; implicit-def: $sgpr36_sgpr37
	s_branch .LBB49_84
.LBB49_81:                              ;   in Loop: Header=BB49_84 Depth=2
	s_or_b64 exec, exec, s[38:39]
	s_waitcnt lgkmcnt(0)
	s_barrier
	ds_read_b64 v[13:14], v7 offset:3072
	s_waitcnt lgkmcnt(0)
	s_barrier
	v_cmp_neq_f32_e32 vcc, 0, v13
	s_cbranch_vccnz .LBB49_87
; %bb.82:                               ;   in Loop: Header=BB49_84 Depth=2
	v_add_u32_e32 v4, s70, v4
	v_cmp_le_i32_e32 vcc, s83, v4
	v_add_u32_e32 v1, s33, v1
	s_mov_b64 s[38:39], 0
	s_orn2_b64 s[40:41], vcc, exec
.LBB49_83:                              ;   in Loop: Header=BB49_84 Depth=2
	s_and_b64 s[18:19], exec, s[40:41]
	s_or_b64 s[28:29], s[18:19], s[28:29]
	s_andn2_b64 s[18:19], s[36:37], exec
	s_and_b64 s[36:37], s[38:39], exec
	s_or_b64 s[36:37], s[18:19], s[36:37]
	s_andn2_b64 exec, exec, s[28:29]
	s_cbranch_execz .LBB49_88
.LBB49_84:                              ;   Parent Loop BB49_7 Depth=1
                                        ; =>  This Inner Loop Header: Depth=2
	v_cmp_gt_i32_e32 vcc, s60, v4
	s_and_saveexec_b64 s[38:39], vcc
	s_cbranch_execz .LBB49_81
; %bb.85:                               ;   in Loop: Header=BB49_84 Depth=2
	v_ashrrev_i32_e32 v2, 31, v1
	v_lshlrev_b64 v[13:14], 2, v[1:2]
	v_mov_b32_e32 v2, s71
	v_add_co_u32_e32 v13, vcc, s62, v13
	v_addc_co_u32_e32 v14, vcc, v2, v14, vcc
	global_load_dword v13, v[13:14], off
	s_waitcnt vmcnt(0)
	v_cmp_lt_i32_e32 vcc, -1, v13
	v_cndmask_b32_e32 v2, -1, v36, vcc
	v_xor_b32_e32 v2, v2, v13
	v_cmp_o_f32_e32 vcc, v13, v13
	v_cndmask_b32_e32 v2, -1, v2, vcc
	v_and_b32_e32 v2, v2, v38
	v_cmp_eq_u32_e32 vcc, v2, v29
	s_and_b64 exec, exec, vcc
	s_cbranch_execz .LBB49_81
; %bb.86:                               ;   in Loop: Header=BB49_84 Depth=2
	ds_write_b64 v7, v[12:13] offset:3072
	s_branch .LBB49_81
.LBB49_87:                              ;   in Loop: Header=BB49_84 Depth=2
	s_mov_b64 s[40:41], -1
                                        ; implicit-def: $vgpr4
                                        ; implicit-def: $vgpr1
	s_mov_b64 s[38:39], -1
	s_branch .LBB49_83
.LBB49_88:                              ;   in Loop: Header=BB49_7 Depth=1
	s_or_b64 exec, exec, s[28:29]
	s_and_b64 s[28:29], s[36:37], exec
.LBB49_89:                              ;   in Loop: Header=BB49_7 Depth=1
	s_or_b64 exec, exec, s[34:35]
.LBB49_90:                              ;   in Loop: Header=BB49_7 Depth=1
	s_and_b64 vcc, exec, s[30:31]
	s_cbranch_vccz .LBB49_102
; %bb.91:                               ;   in Loop: Header=BB49_7 Depth=1
	v_readlane_b32 s1, v48, 21
	s_add_i32 s1, s0, s1
	s_abs_i32 s18, s1
	v_readlane_b32 s19, v48, 33
	s_mul_hi_u32 s19, s18, s19
	s_mul_i32 s19, s19, s70
	s_sub_i32 s18, s18, s19
	s_ashr_i32 s9, s1, 31
	s_sub_i32 s19, s18, s70
	s_cmp_ge_u32 s18, s70
	s_cselect_b32 s18, s19, s18
	s_sub_i32 s19, s18, s70
	s_cmp_ge_u32 s18, s70
	s_cselect_b32 s18, s19, s18
	s_xor_b32 s18, s18, s9
	s_sub_i32 s9, s9, s18
	s_add_i32 s1, s1, s9
	v_cmp_gt_i32_e32 vcc, s1, v0
                                        ; implicit-def: $vgpr14
	s_and_saveexec_b64 s[24:25], vcc
	s_cbranch_execz .LBB49_101
; %bb.92:                               ;   in Loop: Header=BB49_7 Depth=1
	s_mov_b64 s[26:27], 0
	v_mov_b32_e32 v1, v19
	v_mov_b32_e32 v2, v0
                                        ; implicit-def: $sgpr30_sgpr31
	s_branch .LBB49_96
.LBB49_93:                              ;   in Loop: Header=BB49_96 Depth=2
	s_or_b64 exec, exec, s[34:35]
	s_waitcnt lgkmcnt(0)
	s_barrier
	ds_read_b64 v[13:14], v7 offset:3072
	s_waitcnt lgkmcnt(0)
	s_barrier
	v_cmp_neq_f32_e32 vcc, 0, v13
	s_cbranch_vccnz .LBB49_99
; %bb.94:                               ;   in Loop: Header=BB49_96 Depth=2
	v_add_u32_e32 v2, s70, v2
	v_cmp_le_i32_e32 vcc, s1, v2
	v_add_u32_e32 v1, s8, v1
	s_mov_b64 s[34:35], 0
	s_orn2_b64 s[36:37], vcc, exec
.LBB49_95:                              ;   in Loop: Header=BB49_96 Depth=2
	s_and_b64 s[18:19], exec, s[36:37]
	s_or_b64 s[26:27], s[18:19], s[26:27]
	s_andn2_b64 s[18:19], s[30:31], exec
	s_and_b64 s[30:31], s[34:35], exec
	s_or_b64 s[30:31], s[18:19], s[30:31]
	s_andn2_b64 exec, exec, s[26:27]
	s_cbranch_execz .LBB49_100
.LBB49_96:                              ;   Parent Loop BB49_7 Depth=1
                                        ; =>  This Inner Loop Header: Depth=2
	v_cmp_gt_i32_e32 vcc, s0, v2
	s_and_saveexec_b64 s[34:35], vcc
	s_cbranch_execz .LBB49_93
; %bb.97:                               ;   in Loop: Header=BB49_96 Depth=2
	ds_read_b32 v13, v1
	s_waitcnt lgkmcnt(0)
	v_cmp_lt_i32_e32 vcc, -1, v13
	v_cndmask_b32_e32 v4, -1, v36, vcc
	v_xor_b32_e32 v4, v4, v13
	v_cmp_o_f32_e32 vcc, v13, v13
	v_cndmask_b32_e32 v4, -1, v4, vcc
	v_and_b32_e32 v4, v4, v38
	v_cmp_eq_u32_e32 vcc, v4, v29
	s_and_b64 exec, exec, vcc
	s_cbranch_execz .LBB49_93
; %bb.98:                               ;   in Loop: Header=BB49_96 Depth=2
	ds_write_b64 v7, v[12:13] offset:3072
	s_branch .LBB49_93
.LBB49_99:                              ;   in Loop: Header=BB49_96 Depth=2
	s_mov_b64 s[36:37], -1
                                        ; implicit-def: $vgpr2
                                        ; implicit-def: $vgpr1
	s_mov_b64 s[34:35], -1
	s_branch .LBB49_95
.LBB49_100:                             ;   in Loop: Header=BB49_7 Depth=1
	s_or_b64 exec, exec, s[26:27]
	s_andn2_b64 s[0:1], s[28:29], exec
	s_and_b64 s[18:19], s[30:31], exec
	s_or_b64 s[28:29], s[0:1], s[18:19]
.LBB49_101:                             ;   in Loop: Header=BB49_7 Depth=1
	s_or_b64 exec, exec, s[24:25]
	s_mov_b64 s[24:25], 0
	s_mov_b64 s[26:27], -1
.LBB49_102:                             ;   in Loop: Header=BB49_7 Depth=1
	s_orn2_b64 s[28:29], s[28:29], exec
.LBB49_103:                             ;   in Loop: Header=BB49_7 Depth=1
	s_or_b64 exec, exec, s[6:7]
	s_andn2_b64 s[6:7], s[64:65], exec
	s_and_b64 s[18:19], s[26:27], exec
	s_or_b64 s[64:65], s[6:7], s[18:19]
	s_andn2_b64 s[6:7], s[94:95], exec
	s_and_b64 s[18:19], s[24:25], exec
	v_readfirstlane_b32 s0, v0
	s_andn2_b64 s[92:93], s[92:93], exec
	s_or_b64 s[94:95], s[6:7], s[18:19]
                                        ; implicit-def: $vgpr15
	s_and_saveexec_b64 s[6:7], s[28:29]
	s_cbranch_execz .LBB49_6
; %bb.104:                              ;   in Loop: Header=BB49_7 Depth=1
	s_xor_b64 s[0:1], s[22:23], -1
	s_mov_b64 s[22:23], 0
	v_mov_b32_e32 v15, 1
	v_mov_b32_e32 v4, 1
	s_and_saveexec_b64 s[20:21], s[0:1]
	s_cbranch_execz .LBB49_113
; %bb.105:                              ;   in Loop: Header=BB49_7 Depth=1
	v_cmp_ge_i32_e32 vcc, s42, v39
	s_and_saveexec_b64 s[0:1], vcc
	s_xor_b64 s[22:23], exec, s[0:1]
	s_cbranch_execz .LBB49_110
; %bb.106:                              ;   in Loop: Header=BB49_7 Depth=1
	ds_read_b32 v1, v7 offset:4096
	v_and_b32_e32 v29, v29, v6
	v_or_b32_e32 v38, v38, v3
	s_waitcnt lgkmcnt(0)
	v_cmp_ne_u32_e32 vcc, 0, v1
	s_cbranch_vccnz .LBB49_110
; %bb.107:                              ;   in Loop: Header=BB49_7 Depth=1
	s_mov_b64 s[24:25], exec
	v_readlane_b32 s0, v48, 12
	v_readlane_b32 s1, v48, 13
	s_and_b64 s[0:1], s[24:25], s[0:1]
	s_mov_b64 exec, s[0:1]
; %bb.108:                              ;   in Loop: Header=BB49_7 Depth=1
	v_mov_b32_e32 v1, s42
	ds_write_b32 v7, v1 offset:4100
; %bb.109:                              ;   in Loop: Header=BB49_7 Depth=1
	s_or_b64 exec, exec, s[24:25]
	s_waitcnt lgkmcnt(0)
	s_barrier
.LBB49_110:                             ;   in Loop: Header=BB49_7 Depth=1
	s_or_saveexec_b64 s[22:23], s[22:23]
	s_mov_b64 s[24:25], 0
	v_mov_b32_e32 v4, 8
	s_xor_b64 exec, exec, s[22:23]
; %bb.111:                              ;   in Loop: Header=BB49_7 Depth=1
	s_mov_b64 s[24:25], exec
	v_subrev_u32_e32 v39, s42, v39
	v_mov_b32_e32 v4, 0
; %bb.112:                              ;   in Loop: Header=BB49_7 Depth=1
	s_or_b64 exec, exec, s[22:23]
	s_and_b64 s[22:23], s[24:25], exec
	v_mov_b32_e32 v15, v39
.LBB49_113:                             ;   in Loop: Header=BB49_7 Depth=1
	s_or_b64 exec, exec, s[20:21]
	s_mov_b64 s[20:21], -1
	s_mov_b64 s[28:29], -1
                                        ; implicit-def: $sgpr24_sgpr25
                                        ; implicit-def: $sgpr26_sgpr27
	s_and_saveexec_b64 s[0:1], s[22:23]
	s_xor_b64 s[22:23], exec, s[0:1]
	s_cbranch_execz .LBB49_236
; %bb.114:                              ;   in Loop: Header=BB49_7 Depth=1
	s_cmp_eq_u32 s46, 1
	s_cselect_b64 s[0:1], -1, 0
	v_cmp_eq_u32_e32 vcc, 1, v15
	s_and_b64 s[30:31], s[0:1], vcc
	s_mov_b64 s[34:35], -1
                                        ; implicit-def: $sgpr26_sgpr27
                                        ; implicit-def: $sgpr24_sgpr25
	s_and_saveexec_b64 s[28:29], s[30:31]
	s_cbranch_execz .LBB49_142
; %bb.115:                              ;   in Loop: Header=BB49_7 Depth=1
	ds_read_b32 v1, v7 offset:4096
	s_waitcnt lgkmcnt(0)
	s_barrier
	v_readfirstlane_b32 s0, v1
	s_and_saveexec_b64 s[24:25], s[4:5]
; %bb.116:                              ;   in Loop: Header=BB49_7 Depth=1
	ds_write_b32 v21, v7
; %bb.117:                              ;   in Loop: Header=BB49_7 Depth=1
	s_or_b64 exec, exec, s[24:25]
	v_and_b32_e32 v1, v29, v6
	v_lshl_or_b32 v29, 1, v37, v1
	v_or_b32_e32 v38, v38, v3
	s_mov_b64 s[24:25], -1
	s_mov_b64 s[26:27], 0
	s_cmp_gt_i32 s0, 0
	s_mov_b64 s[34:35], 0
	s_mov_b64 s[36:37], -1
	s_waitcnt lgkmcnt(0)
	s_barrier
                                        ; implicit-def: $vgpr14
	s_cbranch_scc1 .LBB49_129
; %bb.118:                              ;   in Loop: Header=BB49_7 Depth=1
	s_mov_b64 s[36:37], 0
                                        ; implicit-def: $vgpr14
	s_mov_b64 s[38:39], exec
	v_readlane_b32 s18, v48, 34
	v_readlane_b32 s19, v48, 35
	s_and_b64 s[18:19], s[38:39], s[18:19]
	s_mov_b64 exec, s[18:19]
	s_cbranch_execz .LBB49_128
; %bb.119:                              ;   in Loop: Header=BB49_7 Depth=1
	v_mov_b32_e32 v1, v5
	v_mov_b32_e32 v16, v0
                                        ; implicit-def: $sgpr40_sgpr41
	s_branch .LBB49_123
.LBB49_120:                             ;   in Loop: Header=BB49_123 Depth=2
	s_or_b64 exec, exec, s[42:43]
	s_waitcnt lgkmcnt(0)
	s_barrier
	ds_read_b64 v[13:14], v7 offset:3072
	s_waitcnt lgkmcnt(0)
	s_barrier
	v_cmp_neq_f32_e32 vcc, 0, v13
	s_cbranch_vccnz .LBB49_126
; %bb.121:                              ;   in Loop: Header=BB49_123 Depth=2
	v_add_u32_e32 v16, s70, v16
	v_cmp_le_i32_e32 vcc, s83, v16
	v_add_u32_e32 v1, s33, v1
	s_mov_b64 s[42:43], 0
	s_orn2_b64 s[44:45], vcc, exec
.LBB49_122:                             ;   in Loop: Header=BB49_123 Depth=2
	s_and_b64 s[18:19], exec, s[44:45]
	s_or_b64 s[34:35], s[18:19], s[34:35]
	s_andn2_b64 s[18:19], s[40:41], exec
	s_and_b64 s[40:41], s[42:43], exec
	s_or_b64 s[40:41], s[18:19], s[40:41]
	s_andn2_b64 exec, exec, s[34:35]
	s_cbranch_execz .LBB49_127
.LBB49_123:                             ;   Parent Loop BB49_7 Depth=1
                                        ; =>  This Inner Loop Header: Depth=2
	v_cmp_gt_i32_e32 vcc, s60, v16
	s_and_saveexec_b64 s[42:43], vcc
	s_cbranch_execz .LBB49_120
; %bb.124:                              ;   in Loop: Header=BB49_123 Depth=2
	v_ashrrev_i32_e32 v2, 31, v1
	v_lshlrev_b64 v[13:14], 2, v[1:2]
	v_mov_b32_e32 v2, s71
	v_add_co_u32_e32 v13, vcc, s62, v13
	v_addc_co_u32_e32 v14, vcc, v2, v14, vcc
	global_load_dword v13, v[13:14], off
	s_waitcnt vmcnt(0)
	v_cmp_lt_i32_e32 vcc, -1, v13
	v_cndmask_b32_e32 v2, -1, v36, vcc
	v_xor_b32_e32 v2, v2, v13
	v_cmp_o_f32_e32 vcc, v13, v13
	v_cndmask_b32_e32 v2, -1, v2, vcc
	v_and_b32_e32 v2, v2, v38
	v_cmp_eq_u32_e32 vcc, v2, v29
	s_and_b64 exec, exec, vcc
	s_cbranch_execz .LBB49_120
; %bb.125:                              ;   in Loop: Header=BB49_123 Depth=2
	ds_write_b64 v7, v[12:13] offset:3072
	s_branch .LBB49_120
.LBB49_126:                             ;   in Loop: Header=BB49_123 Depth=2
	s_mov_b64 s[44:45], -1
                                        ; implicit-def: $vgpr16
                                        ; implicit-def: $vgpr1
	s_mov_b64 s[42:43], -1
	s_branch .LBB49_122
.LBB49_127:                             ;   in Loop: Header=BB49_7 Depth=1
	s_or_b64 exec, exec, s[34:35]
	s_and_b64 s[34:35], s[40:41], exec
.LBB49_128:                             ;   in Loop: Header=BB49_7 Depth=1
	s_or_b64 exec, exec, s[38:39]
.LBB49_129:                             ;   in Loop: Header=BB49_7 Depth=1
	s_and_b64 vcc, exec, s[36:37]
	s_cbranch_vccz .LBB49_141
; %bb.130:                              ;   in Loop: Header=BB49_7 Depth=1
	v_readlane_b32 s1, v48, 21
	s_add_i32 s1, s0, s1
	s_abs_i32 s18, s1
	v_readlane_b32 s19, v48, 33
	s_mul_hi_u32 s19, s18, s19
	s_mul_i32 s19, s19, s70
	s_sub_i32 s18, s18, s19
	s_ashr_i32 s9, s1, 31
	s_sub_i32 s19, s18, s70
	s_cmp_ge_u32 s18, s70
	s_cselect_b32 s18, s19, s18
	s_sub_i32 s19, s18, s70
	s_cmp_ge_u32 s18, s70
	s_cselect_b32 s18, s19, s18
	s_xor_b32 s18, s18, s9
	s_sub_i32 s9, s9, s18
	s_add_i32 s1, s1, s9
	v_cmp_gt_i32_e32 vcc, s1, v0
                                        ; implicit-def: $vgpr14
	s_and_saveexec_b64 s[24:25], vcc
	s_cbranch_execz .LBB49_140
; %bb.131:                              ;   in Loop: Header=BB49_7 Depth=1
	s_mov_b64 s[26:27], 0
	v_mov_b32_e32 v1, v19
	v_mov_b32_e32 v2, v0
                                        ; implicit-def: $sgpr36_sgpr37
	s_branch .LBB49_135
.LBB49_132:                             ;   in Loop: Header=BB49_135 Depth=2
	s_or_b64 exec, exec, s[38:39]
	s_waitcnt lgkmcnt(0)
	s_barrier
	ds_read_b64 v[13:14], v7 offset:3072
	s_waitcnt lgkmcnt(0)
	s_barrier
	v_cmp_eq_f32_e32 vcc, 0, v13
	s_cbranch_vccz .LBB49_138
; %bb.133:                              ;   in Loop: Header=BB49_135 Depth=2
	v_add_u32_e32 v2, s70, v2
	v_cmp_le_i32_e32 vcc, s1, v2
	v_add_u32_e32 v1, s8, v1
	s_mov_b64 s[38:39], 0
	s_orn2_b64 s[40:41], vcc, exec
.LBB49_134:                             ;   in Loop: Header=BB49_135 Depth=2
	s_and_b64 s[18:19], exec, s[40:41]
	s_or_b64 s[26:27], s[18:19], s[26:27]
	s_andn2_b64 s[18:19], s[36:37], exec
	s_and_b64 s[36:37], s[38:39], exec
	s_or_b64 s[36:37], s[18:19], s[36:37]
	s_andn2_b64 exec, exec, s[26:27]
	s_cbranch_execz .LBB49_139
.LBB49_135:                             ;   Parent Loop BB49_7 Depth=1
                                        ; =>  This Inner Loop Header: Depth=2
	v_cmp_gt_i32_e32 vcc, s0, v2
	s_and_saveexec_b64 s[38:39], vcc
	s_cbranch_execz .LBB49_132
; %bb.136:                              ;   in Loop: Header=BB49_135 Depth=2
	ds_read_b32 v13, v1
	s_waitcnt lgkmcnt(0)
	v_cmp_lt_i32_e32 vcc, -1, v13
	v_cndmask_b32_e32 v14, -1, v36, vcc
	v_xor_b32_e32 v14, v14, v13
	v_cmp_o_f32_e32 vcc, v13, v13
	v_cndmask_b32_e32 v14, -1, v14, vcc
	v_and_b32_e32 v14, v14, v38
	v_cmp_eq_u32_e32 vcc, v14, v29
	s_and_b64 exec, exec, vcc
	s_cbranch_execz .LBB49_132
; %bb.137:                              ;   in Loop: Header=BB49_135 Depth=2
	ds_write_b64 v7, v[12:13] offset:3072
	s_branch .LBB49_132
.LBB49_138:                             ;   in Loop: Header=BB49_135 Depth=2
	s_mov_b64 s[40:41], -1
                                        ; implicit-def: $vgpr2
                                        ; implicit-def: $vgpr1
	s_mov_b64 s[38:39], -1
	s_branch .LBB49_134
.LBB49_139:                             ;   in Loop: Header=BB49_7 Depth=1
	s_or_b64 exec, exec, s[26:27]
	s_andn2_b64 s[0:1], s[34:35], exec
	s_and_b64 s[18:19], s[36:37], exec
	s_or_b64 s[34:35], s[0:1], s[18:19]
.LBB49_140:                             ;   in Loop: Header=BB49_7 Depth=1
	s_or_b64 exec, exec, s[24:25]
	s_mov_b64 s[24:25], 0
	s_mov_b64 s[26:27], -1
.LBB49_141:                             ;   in Loop: Header=BB49_7 Depth=1
	s_orn2_b64 s[34:35], s[34:35], exec
.LBB49_142:                             ;   in Loop: Header=BB49_7 Depth=1
	s_or_b64 exec, exec, s[28:29]
	s_mov_b64 s[36:37], 0
	s_and_saveexec_b64 s[28:29], s[34:35]
	s_cbranch_execz .LBB49_235
; %bb.143:                              ;   in Loop: Header=BB49_7 Depth=1
	s_xor_b64 s[0:1], s[30:31], -1
	s_mov_b64 s[40:41], 0
	v_mov_b32_e32 v16, 1
	v_mov_b32_e32 v4, 1
	s_and_saveexec_b64 s[30:31], s[0:1]
	s_cbranch_execz .LBB49_152
; %bb.144:                              ;   in Loop: Header=BB49_7 Depth=1
	v_cmp_ge_i32_e32 vcc, s46, v15
	s_and_saveexec_b64 s[0:1], vcc
	s_xor_b64 s[34:35], exec, s[0:1]
	s_cbranch_execz .LBB49_149
; %bb.145:                              ;   in Loop: Header=BB49_7 Depth=1
	ds_read_b32 v1, v7 offset:4096
	v_and_b32_e32 v2, v29, v6
	v_lshl_or_b32 v29, 1, v37, v2
	v_or_b32_e32 v38, v38, v3
	s_waitcnt lgkmcnt(0)
	v_cmp_ne_u32_e32 vcc, 0, v1
	s_cbranch_vccnz .LBB49_149
; %bb.146:                              ;   in Loop: Header=BB49_7 Depth=1
	s_mov_b64 s[36:37], exec
	v_readlane_b32 s0, v48, 12
	v_readlane_b32 s1, v48, 13
	s_and_b64 s[0:1], s[36:37], s[0:1]
	s_mov_b64 exec, s[0:1]
; %bb.147:                              ;   in Loop: Header=BB49_7 Depth=1
	v_mov_b32_e32 v1, s46
	ds_write_b32 v7, v1 offset:4100
; %bb.148:                              ;   in Loop: Header=BB49_7 Depth=1
	s_or_b64 exec, exec, s[36:37]
	s_waitcnt lgkmcnt(0)
	s_barrier
.LBB49_149:                             ;   in Loop: Header=BB49_7 Depth=1
	s_or_saveexec_b64 s[34:35], s[34:35]
	s_mov_b64 s[36:37], 0
	v_mov_b32_e32 v4, 8
	s_xor_b64 exec, exec, s[34:35]
; %bb.150:                              ;   in Loop: Header=BB49_7 Depth=1
	s_mov_b64 s[36:37], exec
	v_subrev_u32_e32 v15, s46, v15
	v_mov_b32_e32 v4, 0
; %bb.151:                              ;   in Loop: Header=BB49_7 Depth=1
	s_or_b64 exec, exec, s[34:35]
	s_and_b64 s[40:41], s[36:37], exec
	v_mov_b32_e32 v16, v15
.LBB49_152:                             ;   in Loop: Header=BB49_7 Depth=1
	s_or_b64 exec, exec, s[30:31]
	s_mov_b64 s[38:39], -1
                                        ; implicit-def: $sgpr34_sgpr35
                                        ; implicit-def: $sgpr36_sgpr37
	s_and_saveexec_b64 s[30:31], s[40:41]
	s_cbranch_execz .LBB49_234
; %bb.153:                              ;   in Loop: Header=BB49_7 Depth=1
	s_cmp_eq_u32 s54, 1
	s_cselect_b64 s[0:1], -1, 0
	v_cmp_eq_u32_e32 vcc, 1, v16
	s_and_b64 s[40:41], s[0:1], vcc
	s_mov_b64 s[42:43], -1
                                        ; implicit-def: $sgpr36_sgpr37
                                        ; implicit-def: $sgpr34_sgpr35
	s_and_saveexec_b64 s[38:39], s[40:41]
	s_cbranch_execz .LBB49_181
; %bb.154:                              ;   in Loop: Header=BB49_7 Depth=1
	ds_read_b32 v1, v7 offset:4096
	s_waitcnt lgkmcnt(0)
	s_barrier
	v_readfirstlane_b32 s0, v1
	s_and_saveexec_b64 s[34:35], s[4:5]
; %bb.155:                              ;   in Loop: Header=BB49_7 Depth=1
	ds_write_b32 v21, v7
; %bb.156:                              ;   in Loop: Header=BB49_7 Depth=1
	s_or_b64 exec, exec, s[34:35]
	v_and_b32_e32 v1, v29, v6
	v_lshl_or_b32 v29, 2, v37, v1
	v_or_b32_e32 v38, v38, v3
	s_mov_b64 s[34:35], -1
	s_mov_b64 s[36:37], 0
	s_cmp_gt_i32 s0, 0
	s_mov_b64 s[42:43], 0
	s_mov_b64 s[44:45], -1
	s_waitcnt lgkmcnt(0)
	s_barrier
                                        ; implicit-def: $vgpr14
	s_cbranch_scc1 .LBB49_168
; %bb.157:                              ;   in Loop: Header=BB49_7 Depth=1
	s_mov_b64 s[44:45], 0
                                        ; implicit-def: $vgpr14
	s_mov_b64 s[46:47], exec
	v_readlane_b32 s18, v48, 34
	v_readlane_b32 s19, v48, 35
	s_and_b64 s[18:19], s[46:47], s[18:19]
	s_mov_b64 exec, s[18:19]
	s_cbranch_execz .LBB49_167
; %bb.158:                              ;   in Loop: Header=BB49_7 Depth=1
	v_mov_b32_e32 v1, v5
	v_mov_b32_e32 v15, v0
                                        ; implicit-def: $sgpr48_sgpr49
	s_branch .LBB49_162
.LBB49_159:                             ;   in Loop: Header=BB49_162 Depth=2
	s_or_b64 exec, exec, s[50:51]
	s_waitcnt lgkmcnt(0)
	s_barrier
	ds_read_b64 v[13:14], v7 offset:3072
	s_waitcnt lgkmcnt(0)
	s_barrier
	v_cmp_neq_f32_e32 vcc, 0, v13
	s_cbranch_vccnz .LBB49_165
; %bb.160:                              ;   in Loop: Header=BB49_162 Depth=2
	v_add_u32_e32 v15, s70, v15
	v_cmp_le_i32_e32 vcc, s83, v15
	v_add_u32_e32 v1, s33, v1
	s_mov_b64 s[50:51], 0
	s_orn2_b64 s[52:53], vcc, exec
.LBB49_161:                             ;   in Loop: Header=BB49_162 Depth=2
	s_and_b64 s[18:19], exec, s[52:53]
	s_or_b64 s[42:43], s[18:19], s[42:43]
	s_andn2_b64 s[18:19], s[48:49], exec
	s_and_b64 s[48:49], s[50:51], exec
	s_or_b64 s[48:49], s[18:19], s[48:49]
	s_andn2_b64 exec, exec, s[42:43]
	s_cbranch_execz .LBB49_166
.LBB49_162:                             ;   Parent Loop BB49_7 Depth=1
                                        ; =>  This Inner Loop Header: Depth=2
	v_cmp_gt_i32_e32 vcc, s60, v15
	s_and_saveexec_b64 s[50:51], vcc
	s_cbranch_execz .LBB49_159
; %bb.163:                              ;   in Loop: Header=BB49_162 Depth=2
	v_ashrrev_i32_e32 v2, 31, v1
	v_lshlrev_b64 v[13:14], 2, v[1:2]
	v_mov_b32_e32 v2, s71
	v_add_co_u32_e32 v13, vcc, s62, v13
	v_addc_co_u32_e32 v14, vcc, v2, v14, vcc
	global_load_dword v13, v[13:14], off
	s_waitcnt vmcnt(0)
	v_cmp_lt_i32_e32 vcc, -1, v13
	v_cndmask_b32_e32 v2, -1, v36, vcc
	v_xor_b32_e32 v2, v2, v13
	v_cmp_o_f32_e32 vcc, v13, v13
	v_cndmask_b32_e32 v2, -1, v2, vcc
	v_and_b32_e32 v2, v2, v38
	v_cmp_eq_u32_e32 vcc, v2, v29
	s_and_b64 exec, exec, vcc
	s_cbranch_execz .LBB49_159
; %bb.164:                              ;   in Loop: Header=BB49_162 Depth=2
	ds_write_b64 v7, v[12:13] offset:3072
	s_branch .LBB49_159
.LBB49_165:                             ;   in Loop: Header=BB49_162 Depth=2
	s_mov_b64 s[52:53], -1
                                        ; implicit-def: $vgpr15
                                        ; implicit-def: $vgpr1
	s_mov_b64 s[50:51], -1
	s_branch .LBB49_161
.LBB49_166:                             ;   in Loop: Header=BB49_7 Depth=1
	s_or_b64 exec, exec, s[42:43]
	s_and_b64 s[42:43], s[48:49], exec
.LBB49_167:                             ;   in Loop: Header=BB49_7 Depth=1
	s_or_b64 exec, exec, s[46:47]
.LBB49_168:                             ;   in Loop: Header=BB49_7 Depth=1
	s_and_b64 vcc, exec, s[44:45]
	s_cbranch_vccz .LBB49_180
; %bb.169:                              ;   in Loop: Header=BB49_7 Depth=1
	v_readlane_b32 s1, v48, 21
	s_add_i32 s1, s0, s1
	s_abs_i32 s18, s1
	v_readlane_b32 s19, v48, 33
	s_mul_hi_u32 s19, s18, s19
	s_mul_i32 s19, s19, s70
	s_sub_i32 s18, s18, s19
	s_ashr_i32 s9, s1, 31
	s_sub_i32 s19, s18, s70
	s_cmp_ge_u32 s18, s70
	s_cselect_b32 s18, s19, s18
	s_sub_i32 s19, s18, s70
	s_cmp_ge_u32 s18, s70
	s_cselect_b32 s18, s19, s18
	s_xor_b32 s18, s18, s9
	s_sub_i32 s9, s9, s18
	s_add_i32 s1, s1, s9
	v_cmp_gt_i32_e32 vcc, s1, v0
                                        ; implicit-def: $vgpr14
	s_and_saveexec_b64 s[34:35], vcc
	s_cbranch_execz .LBB49_179
; %bb.170:                              ;   in Loop: Header=BB49_7 Depth=1
	s_mov_b64 s[36:37], 0
	v_mov_b32_e32 v1, v19
	v_mov_b32_e32 v2, v0
                                        ; implicit-def: $sgpr44_sgpr45
	s_branch .LBB49_174
.LBB49_171:                             ;   in Loop: Header=BB49_174 Depth=2
	s_or_b64 exec, exec, s[46:47]
	s_waitcnt lgkmcnt(0)
	s_barrier
	ds_read_b64 v[13:14], v7 offset:3072
	s_waitcnt lgkmcnt(0)
	s_barrier
	v_cmp_eq_f32_e32 vcc, 0, v13
	s_cbranch_vccz .LBB49_177
; %bb.172:                              ;   in Loop: Header=BB49_174 Depth=2
	v_add_u32_e32 v2, s70, v2
	v_cmp_le_i32_e32 vcc, s1, v2
	v_add_u32_e32 v1, s8, v1
	s_mov_b64 s[46:47], 0
	s_orn2_b64 s[48:49], vcc, exec
.LBB49_173:                             ;   in Loop: Header=BB49_174 Depth=2
	s_and_b64 s[18:19], exec, s[48:49]
	s_or_b64 s[36:37], s[18:19], s[36:37]
	s_andn2_b64 s[18:19], s[44:45], exec
	s_and_b64 s[44:45], s[46:47], exec
	s_or_b64 s[44:45], s[18:19], s[44:45]
	s_andn2_b64 exec, exec, s[36:37]
	s_cbranch_execz .LBB49_178
.LBB49_174:                             ;   Parent Loop BB49_7 Depth=1
                                        ; =>  This Inner Loop Header: Depth=2
	v_cmp_gt_i32_e32 vcc, s0, v2
	s_and_saveexec_b64 s[46:47], vcc
	s_cbranch_execz .LBB49_171
; %bb.175:                              ;   in Loop: Header=BB49_174 Depth=2
	ds_read_b32 v13, v1
	s_waitcnt lgkmcnt(0)
	v_cmp_lt_i32_e32 vcc, -1, v13
	v_cndmask_b32_e32 v14, -1, v36, vcc
	v_xor_b32_e32 v14, v14, v13
	v_cmp_o_f32_e32 vcc, v13, v13
	v_cndmask_b32_e32 v14, -1, v14, vcc
	v_and_b32_e32 v14, v14, v38
	v_cmp_eq_u32_e32 vcc, v14, v29
	s_and_b64 exec, exec, vcc
	s_cbranch_execz .LBB49_171
; %bb.176:                              ;   in Loop: Header=BB49_174 Depth=2
	ds_write_b64 v7, v[12:13] offset:3072
	s_branch .LBB49_171
.LBB49_177:                             ;   in Loop: Header=BB49_174 Depth=2
	s_mov_b64 s[48:49], -1
                                        ; implicit-def: $vgpr2
                                        ; implicit-def: $vgpr1
	s_mov_b64 s[46:47], -1
	s_branch .LBB49_173
.LBB49_178:                             ;   in Loop: Header=BB49_7 Depth=1
	s_or_b64 exec, exec, s[36:37]
	s_andn2_b64 s[0:1], s[42:43], exec
	s_and_b64 s[18:19], s[44:45], exec
	s_or_b64 s[42:43], s[0:1], s[18:19]
.LBB49_179:                             ;   in Loop: Header=BB49_7 Depth=1
	s_or_b64 exec, exec, s[34:35]
	s_mov_b64 s[34:35], 0
	s_mov_b64 s[36:37], -1
.LBB49_180:                             ;   in Loop: Header=BB49_7 Depth=1
	s_orn2_b64 s[42:43], s[42:43], exec
.LBB49_181:                             ;   in Loop: Header=BB49_7 Depth=1
	s_or_b64 exec, exec, s[38:39]
	s_mov_b64 s[44:45], 0
	s_and_saveexec_b64 s[38:39], s[42:43]
	s_cbranch_execz .LBB49_233
; %bb.182:                              ;   in Loop: Header=BB49_7 Depth=1
	s_xor_b64 s[0:1], s[40:41], -1
	s_mov_b64 s[48:49], 0
	v_mov_b32_e32 v15, 1
	v_mov_b32_e32 v4, 1
	s_and_saveexec_b64 s[40:41], s[0:1]
	s_cbranch_execz .LBB49_191
; %bb.183:                              ;   in Loop: Header=BB49_7 Depth=1
	v_cmp_ge_i32_e32 vcc, s54, v16
	s_and_saveexec_b64 s[0:1], vcc
	s_xor_b64 s[42:43], exec, s[0:1]
	s_cbranch_execz .LBB49_188
; %bb.184:                              ;   in Loop: Header=BB49_7 Depth=1
	ds_read_b32 v1, v7 offset:4096
	v_and_b32_e32 v2, v29, v6
	v_lshl_or_b32 v29, 2, v37, v2
	v_or_b32_e32 v38, v38, v3
	s_waitcnt lgkmcnt(0)
	v_cmp_ne_u32_e32 vcc, 0, v1
	s_cbranch_vccnz .LBB49_188
; %bb.185:                              ;   in Loop: Header=BB49_7 Depth=1
	s_mov_b64 s[44:45], exec
	v_readlane_b32 s0, v48, 12
	v_readlane_b32 s1, v48, 13
	s_and_b64 s[0:1], s[44:45], s[0:1]
	s_mov_b64 exec, s[0:1]
; %bb.186:                              ;   in Loop: Header=BB49_7 Depth=1
	v_mov_b32_e32 v1, s54
	ds_write_b32 v7, v1 offset:4100
; %bb.187:                              ;   in Loop: Header=BB49_7 Depth=1
	s_or_b64 exec, exec, s[44:45]
	s_waitcnt lgkmcnt(0)
	s_barrier
.LBB49_188:                             ;   in Loop: Header=BB49_7 Depth=1
	s_or_saveexec_b64 s[42:43], s[42:43]
	s_mov_b64 s[44:45], 0
	v_mov_b32_e32 v4, 8
	s_xor_b64 exec, exec, s[42:43]
; %bb.189:                              ;   in Loop: Header=BB49_7 Depth=1
	s_mov_b64 s[44:45], exec
	v_subrev_u32_e32 v16, s54, v16
	v_mov_b32_e32 v4, 0
; %bb.190:                              ;   in Loop: Header=BB49_7 Depth=1
	s_or_b64 exec, exec, s[42:43]
	s_and_b64 s[48:49], s[44:45], exec
	v_mov_b32_e32 v15, v16
.LBB49_191:                             ;   in Loop: Header=BB49_7 Depth=1
	s_or_b64 exec, exec, s[40:41]
	s_mov_b64 s[42:43], -1
                                        ; implicit-def: $sgpr46_sgpr47
                                        ; implicit-def: $sgpr44_sgpr45
	s_and_saveexec_b64 s[40:41], s[48:49]
	s_cbranch_execz .LBB49_232
; %bb.192:                              ;   in Loop: Header=BB49_7 Depth=1
	s_cmp_eq_u32 s61, 1
	s_cselect_b64 s[0:1], -1, 0
	v_cmp_eq_u32_e32 vcc, 1, v15
	s_and_b64 s[42:43], s[0:1], vcc
	s_mov_b64 s[50:51], -1
                                        ; implicit-def: $sgpr46_sgpr47
                                        ; implicit-def: $sgpr44_sgpr45
	s_and_saveexec_b64 s[48:49], s[42:43]
	s_cbranch_execz .LBB49_220
; %bb.193:                              ;   in Loop: Header=BB49_7 Depth=1
	ds_read_b32 v1, v7 offset:4096
	s_waitcnt lgkmcnt(0)
	s_barrier
	v_readfirstlane_b32 s0, v1
	s_and_saveexec_b64 s[44:45], s[4:5]
; %bb.194:                              ;   in Loop: Header=BB49_7 Depth=1
	ds_write_b32 v21, v7
; %bb.195:                              ;   in Loop: Header=BB49_7 Depth=1
	s_or_b64 exec, exec, s[44:45]
	v_or_b32_e32 v29, v29, v3
	v_or_b32_e32 v38, v38, v3
	s_mov_b64 s[44:45], -1
	s_mov_b64 s[46:47], 0
	s_cmp_gt_i32 s0, 0
	s_mov_b64 s[50:51], 0
	s_mov_b64 s[52:53], -1
	s_waitcnt lgkmcnt(0)
	s_barrier
                                        ; implicit-def: $vgpr14
	s_cbranch_scc1 .LBB49_207
; %bb.196:                              ;   in Loop: Header=BB49_7 Depth=1
	s_mov_b64 s[52:53], 0
                                        ; implicit-def: $vgpr14
	s_mov_b64 s[54:55], exec
	v_readlane_b32 s18, v48, 34
	v_readlane_b32 s19, v48, 35
	s_and_b64 s[18:19], s[54:55], s[18:19]
	s_mov_b64 exec, s[18:19]
	s_cbranch_execz .LBB49_206
; %bb.197:                              ;   in Loop: Header=BB49_7 Depth=1
	v_mov_b32_e32 v1, v5
	v_mov_b32_e32 v6, v0
                                        ; implicit-def: $sgpr56_sgpr57
	s_branch .LBB49_201
.LBB49_198:                             ;   in Loop: Header=BB49_201 Depth=2
	s_or_b64 exec, exec, s[58:59]
	s_waitcnt lgkmcnt(0)
	s_barrier
	ds_read_b64 v[13:14], v7 offset:3072
	s_waitcnt lgkmcnt(0)
	s_barrier
	v_cmp_neq_f32_e32 vcc, 0, v13
	s_cbranch_vccnz .LBB49_204
; %bb.199:                              ;   in Loop: Header=BB49_201 Depth=2
	v_add_u32_e32 v6, s70, v6
	v_cmp_le_i32_e32 vcc, s83, v6
	v_add_u32_e32 v1, s33, v1
	s_mov_b64 s[58:59], 0
	s_orn2_b64 s[66:67], vcc, exec
.LBB49_200:                             ;   in Loop: Header=BB49_201 Depth=2
	s_and_b64 s[18:19], exec, s[66:67]
	s_or_b64 s[50:51], s[18:19], s[50:51]
	s_andn2_b64 s[18:19], s[56:57], exec
	s_and_b64 s[56:57], s[58:59], exec
	s_or_b64 s[56:57], s[18:19], s[56:57]
	s_andn2_b64 exec, exec, s[50:51]
	s_cbranch_execz .LBB49_205
.LBB49_201:                             ;   Parent Loop BB49_7 Depth=1
                                        ; =>  This Inner Loop Header: Depth=2
	v_cmp_gt_i32_e32 vcc, s60, v6
	s_and_saveexec_b64 s[58:59], vcc
	s_cbranch_execz .LBB49_198
; %bb.202:                              ;   in Loop: Header=BB49_201 Depth=2
	v_ashrrev_i32_e32 v2, 31, v1
	v_lshlrev_b64 v[13:14], 2, v[1:2]
	v_mov_b32_e32 v2, s71
	v_add_co_u32_e32 v13, vcc, s62, v13
	v_addc_co_u32_e32 v14, vcc, v2, v14, vcc
	global_load_dword v13, v[13:14], off
	s_waitcnt vmcnt(0)
	v_cmp_lt_i32_e32 vcc, -1, v13
	v_cndmask_b32_e32 v2, -1, v36, vcc
	v_xor_b32_e32 v2, v2, v13
	v_cmp_o_f32_e32 vcc, v13, v13
	v_cndmask_b32_e32 v2, -1, v2, vcc
	v_and_b32_e32 v2, v2, v38
	v_cmp_eq_u32_e32 vcc, v2, v29
	s_and_b64 exec, exec, vcc
	s_cbranch_execz .LBB49_198
; %bb.203:                              ;   in Loop: Header=BB49_201 Depth=2
	ds_write_b64 v7, v[12:13] offset:3072
	s_branch .LBB49_198
.LBB49_204:                             ;   in Loop: Header=BB49_201 Depth=2
	s_mov_b64 s[66:67], -1
                                        ; implicit-def: $vgpr6
                                        ; implicit-def: $vgpr1
	s_mov_b64 s[58:59], -1
	s_branch .LBB49_200
.LBB49_205:                             ;   in Loop: Header=BB49_7 Depth=1
	s_or_b64 exec, exec, s[50:51]
	s_and_b64 s[50:51], s[56:57], exec
.LBB49_206:                             ;   in Loop: Header=BB49_7 Depth=1
	s_or_b64 exec, exec, s[54:55]
.LBB49_207:                             ;   in Loop: Header=BB49_7 Depth=1
	s_and_b64 vcc, exec, s[52:53]
	s_cbranch_vccz .LBB49_219
; %bb.208:                              ;   in Loop: Header=BB49_7 Depth=1
	v_readlane_b32 s1, v48, 21
	s_add_i32 s1, s0, s1
	s_abs_i32 s18, s1
	v_readlane_b32 s19, v48, 33
	s_mul_hi_u32 s19, s18, s19
	s_mul_i32 s19, s19, s70
	s_sub_i32 s18, s18, s19
	s_ashr_i32 s9, s1, 31
	s_sub_i32 s19, s18, s70
	s_cmp_ge_u32 s18, s70
	s_cselect_b32 s18, s19, s18
	s_sub_i32 s19, s18, s70
	s_cmp_ge_u32 s18, s70
	s_cselect_b32 s18, s19, s18
	s_xor_b32 s18, s18, s9
	s_sub_i32 s9, s9, s18
	s_add_i32 s1, s1, s9
	v_cmp_gt_i32_e32 vcc, s1, v0
                                        ; implicit-def: $vgpr14
	s_and_saveexec_b64 s[44:45], vcc
	s_cbranch_execz .LBB49_218
; %bb.209:                              ;   in Loop: Header=BB49_7 Depth=1
	s_mov_b64 s[46:47], 0
	v_mov_b32_e32 v1, v19
	v_mov_b32_e32 v2, v0
                                        ; implicit-def: $sgpr52_sgpr53
	s_branch .LBB49_213
.LBB49_210:                             ;   in Loop: Header=BB49_213 Depth=2
	s_or_b64 exec, exec, s[54:55]
	s_waitcnt lgkmcnt(0)
	s_barrier
	ds_read_b64 v[13:14], v7 offset:3072
	s_waitcnt lgkmcnt(0)
	s_barrier
	v_cmp_eq_f32_e32 vcc, 0, v13
	s_cbranch_vccz .LBB49_216
; %bb.211:                              ;   in Loop: Header=BB49_213 Depth=2
	v_add_u32_e32 v2, s70, v2
	v_cmp_le_i32_e32 vcc, s1, v2
	v_add_u32_e32 v1, s8, v1
	s_mov_b64 s[54:55], 0
	s_orn2_b64 s[56:57], vcc, exec
.LBB49_212:                             ;   in Loop: Header=BB49_213 Depth=2
	s_and_b64 s[18:19], exec, s[56:57]
	s_or_b64 s[46:47], s[18:19], s[46:47]
	s_andn2_b64 s[18:19], s[52:53], exec
	s_and_b64 s[52:53], s[54:55], exec
	s_or_b64 s[52:53], s[18:19], s[52:53]
	s_andn2_b64 exec, exec, s[46:47]
	s_cbranch_execz .LBB49_217
.LBB49_213:                             ;   Parent Loop BB49_7 Depth=1
                                        ; =>  This Inner Loop Header: Depth=2
	v_cmp_gt_i32_e32 vcc, s0, v2
	s_and_saveexec_b64 s[54:55], vcc
	s_cbranch_execz .LBB49_210
; %bb.214:                              ;   in Loop: Header=BB49_213 Depth=2
	ds_read_b32 v13, v1
	s_waitcnt lgkmcnt(0)
	v_cmp_lt_i32_e32 vcc, -1, v13
	v_cndmask_b32_e32 v6, -1, v36, vcc
	v_xor_b32_e32 v6, v6, v13
	v_cmp_o_f32_e32 vcc, v13, v13
	v_cndmask_b32_e32 v6, -1, v6, vcc
	v_and_b32_e32 v6, v6, v38
	v_cmp_eq_u32_e32 vcc, v6, v29
	s_and_b64 exec, exec, vcc
	s_cbranch_execz .LBB49_210
; %bb.215:                              ;   in Loop: Header=BB49_213 Depth=2
	ds_write_b64 v7, v[12:13] offset:3072
	s_branch .LBB49_210
.LBB49_216:                             ;   in Loop: Header=BB49_213 Depth=2
	s_mov_b64 s[56:57], -1
                                        ; implicit-def: $vgpr2
                                        ; implicit-def: $vgpr1
	s_mov_b64 s[54:55], -1
	s_branch .LBB49_212
.LBB49_217:                             ;   in Loop: Header=BB49_7 Depth=1
	s_or_b64 exec, exec, s[46:47]
	s_andn2_b64 s[0:1], s[50:51], exec
	s_and_b64 s[18:19], s[52:53], exec
	s_or_b64 s[50:51], s[0:1], s[18:19]
.LBB49_218:                             ;   in Loop: Header=BB49_7 Depth=1
	s_or_b64 exec, exec, s[44:45]
	s_mov_b64 s[44:45], 0
	s_mov_b64 s[46:47], -1
.LBB49_219:                             ;   in Loop: Header=BB49_7 Depth=1
	s_orn2_b64 s[50:51], s[50:51], exec
.LBB49_220:                             ;   in Loop: Header=BB49_7 Depth=1
	s_or_b64 exec, exec, s[48:49]
	s_mov_b64 s[52:53], 0
	s_and_saveexec_b64 s[48:49], s[50:51]
	s_cbranch_execz .LBB49_231
; %bb.221:                              ;   in Loop: Header=BB49_7 Depth=1
	s_xor_b64 s[0:1], s[42:43], -1
	v_mov_b32_e32 v4, 1
	v_mov_b32_e32 v1, 1
	s_and_saveexec_b64 s[42:43], s[0:1]
	s_cbranch_execz .LBB49_230
; %bb.222:                              ;   in Loop: Header=BB49_7 Depth=1
	v_cmp_ge_i32_e32 vcc, s61, v15
	s_and_saveexec_b64 s[0:1], vcc
	s_xor_b64 s[50:51], exec, s[0:1]
	s_cbranch_execz .LBB49_227
; %bb.223:                              ;   in Loop: Header=BB49_7 Depth=1
	ds_read_b32 v1, v7 offset:4096
	v_or_b32_e32 v29, v29, v3
	v_or_b32_e32 v38, v38, v3
	s_waitcnt lgkmcnt(0)
	v_cmp_ne_u32_e32 vcc, 0, v1
	s_cbranch_vccnz .LBB49_227
; %bb.224:                              ;   in Loop: Header=BB49_7 Depth=1
	s_mov_b64 s[52:53], exec
	v_readlane_b32 s0, v48, 12
	v_readlane_b32 s1, v48, 13
	s_and_b64 s[0:1], s[52:53], s[0:1]
	s_mov_b64 exec, s[0:1]
; %bb.225:                              ;   in Loop: Header=BB49_7 Depth=1
	v_mov_b32_e32 v1, s61
	ds_write_b32 v7, v1 offset:4100
; %bb.226:                              ;   in Loop: Header=BB49_7 Depth=1
	s_or_b64 exec, exec, s[52:53]
	s_waitcnt lgkmcnt(0)
	s_barrier
.LBB49_227:                             ;   in Loop: Header=BB49_7 Depth=1
	s_andn2_saveexec_b64 s[50:51], s[50:51]
; %bb.228:                              ;   in Loop: Header=BB49_7 Depth=1
	v_subrev_u32_e32 v15, s61, v15
; %bb.229:                              ;   in Loop: Header=BB49_7 Depth=1
	s_or_b64 exec, exec, s[50:51]
	v_mov_b32_e32 v4, 8
	v_mov_b32_e32 v1, v15
.LBB49_230:                             ;   in Loop: Header=BB49_7 Depth=1
	s_or_b64 exec, exec, s[42:43]
	s_mov_b64 s[52:53], exec
	v_mov_b32_e32 v15, v1
.LBB49_231:                             ;   in Loop: Header=BB49_7 Depth=1
	s_or_b64 exec, exec, s[48:49]
	s_orn2_b64 s[42:43], s[52:53], exec
.LBB49_232:                             ;   in Loop: Header=BB49_7 Depth=1
	s_or_b64 exec, exec, s[40:41]
	s_andn2_b64 s[0:1], s[36:37], exec
	s_and_b64 s[18:19], s[46:47], exec
	s_or_b64 s[36:37], s[0:1], s[18:19]
	s_andn2_b64 s[0:1], s[34:35], exec
	s_and_b64 s[18:19], s[44:45], exec
	s_or_b64 s[34:35], s[0:1], s[18:19]
	s_and_b64 s[44:45], s[42:43], exec
	v_mov_b32_e32 v16, v15
.LBB49_233:                             ;   in Loop: Header=BB49_7 Depth=1
	s_or_b64 exec, exec, s[38:39]
	s_orn2_b64 s[38:39], s[44:45], exec
.LBB49_234:                             ;   in Loop: Header=BB49_7 Depth=1
	s_or_b64 exec, exec, s[30:31]
	s_andn2_b64 s[0:1], s[26:27], exec
	s_and_b64 s[18:19], s[36:37], exec
	s_or_b64 s[26:27], s[0:1], s[18:19]
	s_andn2_b64 s[0:1], s[24:25], exec
	s_and_b64 s[18:19], s[34:35], exec
	s_or_b64 s[24:25], s[0:1], s[18:19]
	s_and_b64 s[36:37], s[38:39], exec
	v_mov_b32_e32 v15, v16
.LBB49_235:                             ;   in Loop: Header=BB49_7 Depth=1
	s_or_b64 exec, exec, s[28:29]
	s_orn2_b64 s[28:29], s[36:37], exec
.LBB49_236:                             ;   in Loop: Header=BB49_7 Depth=1
	s_or_b64 exec, exec, s[22:23]
	s_mov_b64 s[30:31], 0
                                        ; implicit-def: $sgpr0
	s_and_saveexec_b64 s[18:19], s[28:29]
	s_xor_b64 s[22:23], exec, s[18:19]
	s_cbranch_execz .LBB49_5
; %bb.237:                              ;   in Loop: Header=BB49_7 Depth=1
	v_and_b32_e32 v1, 7, v4
	v_cmp_eq_u32_e32 vcc, 0, v1
	s_mov_b64 s[20:21], -1
	s_mov_b64 s[28:29], -1
                                        ; implicit-def: $sgpr0
	s_and_saveexec_b64 s[30:31], vcc
	s_cbranch_execz .LBB49_4
; %bb.238:                              ;   in Loop: Header=BB49_7 Depth=1
	v_add_u32_e32 v1, -2, v37
	v_cmp_eq_u32_e32 vcc, 0, v37
	s_xor_b32 s0, s78, 1
	s_xor_b64 s[28:29], exec, -1
	s_orn2_b64 s[20:21], vcc, exec
	v_mov_b32_e32 v37, v1
	s_branch .LBB49_4
.LBB49_239:
	s_or_b64 exec, exec, s[84:85]
	s_xor_b64 s[6:7], s[90:91], -1
	s_xor_b64 s[0:1], s[86:87], -1
	;; [unrolled: 1-line block ×3, first 2 shown]
	s_mov_b64 s[2:3], 0
	s_and_saveexec_b64 s[4:5], s[0:1]
	s_xor_b64 s[4:5], exec, s[4:5]
	s_cbranch_execnz .LBB49_244
; %bb.240:
	s_andn2_saveexec_b64 s[0:1], s[4:5]
	s_cbranch_execnz .LBB49_264
.LBB49_241:
	s_or_b64 exec, exec, s[0:1]
	s_and_saveexec_b64 s[0:1], s[2:3]
.LBB49_242:
	; divergent unreachable
.LBB49_243:
	s_endpgm
.LBB49_244:
	s_and_saveexec_b64 s[0:1], s[6:7]
	s_xor_b64 s[6:7], exec, s[0:1]
	s_cbranch_execz .LBB49_262
; %bb.245:
	s_and_saveexec_b64 s[0:1], s[8:9]
	s_xor_b64 s[2:3], exec, s[0:1]
; %bb.246:
	v_bfrev_b32_e32 v1, 1
	v_cmp_lt_i32_e32 vcc, -1, v29
	v_cndmask_b32_e64 v1, v1, -1, vcc
	v_xor_b32_e32 v14, v1, v29
; %bb.247:
	s_or_b64 exec, exec, s[2:3]
	s_mov_b64 s[2:3], exec
	v_readlane_b32 s0, v48, 12
	v_readlane_b32 s1, v48, 13
	s_and_b64 s[0:1], s[2:3], s[0:1]
	v_readlane_b32 s20, v48, 20
	v_readlane_b32 s21, v48, 16
	;; [unrolled: 1-line block ×5, first 2 shown]
	s_mov_b64 exec, s[0:1]
; %bb.248:
	v_mov_b32_e32 v1, 0
	v_mov_b32_e32 v2, s60
	ds_write_b32 v1, v2 offset:4108
; %bb.249:
	s_or_b64 exec, exec, s[2:3]
	v_mov_b32_e32 v1, 0
	s_waitcnt lgkmcnt(0)
	s_barrier
	ds_read_b32 v1, v1 offset:4108
	s_waitcnt lgkmcnt(0)
	v_min_i32_e32 v1, s60, v1
	v_cmp_lt_i32_e32 vcc, v0, v1
	s_and_saveexec_b64 s[8:9], vcc
	s_cbranch_execz .LBB49_259
; %bb.250:
	v_cmp_u_f32_e32 vcc, v14, v14
	s_mov_b64 s[10:11], 0
	v_mov_b32_e32 v3, s71
	s_xor_b64 s[14:15], vcc, -1
                                        ; implicit-def: $sgpr12_sgpr13
                                        ; implicit-def: $sgpr18_sgpr19
                                        ; implicit-def: $sgpr16_sgpr17
	s_branch .LBB49_252
.LBB49_251:                             ;   in Loop: Header=BB49_252 Depth=1
	s_or_b64 exec, exec, s[2:3]
	s_and_b64 s[0:1], exec, s[18:19]
	s_or_b64 s[10:11], s[0:1], s[10:11]
	s_andn2_b64 s[0:1], s[12:13], exec
	s_and_b64 s[2:3], s[16:17], exec
	s_or_b64 s[12:13], s[0:1], s[2:3]
	s_andn2_b64 exec, exec, s[10:11]
	s_cbranch_execz .LBB49_254
.LBB49_252:                             ; =>This Inner Loop Header: Depth=1
	v_ashrrev_i32_e32 v6, 31, v5
	v_lshlrev_b64 v[6:7], 2, v[5:6]
	v_mov_b32_e32 v2, v0
	v_add_co_u32_e32 v6, vcc, s62, v6
	v_addc_co_u32_e32 v7, vcc, v3, v7, vcc
	global_load_dword v4, v[6:7], off
	s_or_b64 s[16:17], s[16:17], exec
	s_or_b64 s[18:19], s[18:19], exec
                                        ; implicit-def: $vgpr0
	s_waitcnt vmcnt(0)
	v_cmp_o_f32_e64 s[2:3], v4, v4
	v_cmp_neq_f32_e32 vcc, v4, v14
	s_or_b64 s[0:1], s[2:3], s[14:15]
	s_and_b64 s[0:1], vcc, s[0:1]
	s_and_saveexec_b64 s[2:3], s[0:1]
	s_cbranch_execz .LBB49_251
; %bb.253:                              ;   in Loop: Header=BB49_252 Depth=1
	v_add_u32_e32 v0, s70, v2
	v_cmp_ge_i32_e32 vcc, v0, v1
	s_andn2_b64 s[0:1], s[18:19], exec
	s_and_b64 s[18:19], vcc, exec
	v_add_u32_e32 v5, s33, v5
	s_andn2_b64 s[16:17], s[16:17], exec
	s_or_b64 s[18:19], s[0:1], s[18:19]
	s_branch .LBB49_251
.LBB49_254:
	s_or_b64 exec, exec, s[10:11]
	s_and_saveexec_b64 s[0:1], s[12:13]
	s_xor_b64 s[0:1], exec, s[0:1]
	s_cbranch_execz .LBB49_259
; %bb.255:
	s_mov_b64 s[2:3], exec
	s_brev_b32 s0, -2
.LBB49_256:                             ; =>This Inner Loop Header: Depth=1
	s_ff1_i32_b64 s1, s[2:3]
	v_readlane_b32 s12, v2, s1
	s_lshl_b64 s[10:11], 1, s1
	s_min_i32 s0, s0, s12
	s_andn2_b64 s[2:3], s[2:3], s[10:11]
	s_cmp_lg_u64 s[2:3], 0
	s_cbranch_scc1 .LBB49_256
; %bb.257:
	v_mbcnt_lo_u32_b32 v0, exec_lo, 0
	v_mbcnt_hi_u32_b32 v0, exec_hi, v0
	v_cmp_eq_u32_e32 vcc, 0, v0
	s_and_saveexec_b64 s[2:3], vcc
	s_xor_b64 s[2:3], exec, s[2:3]
; %bb.258:
	v_mov_b32_e32 v0, 0
	v_mov_b32_e32 v1, s0
	ds_min_i32 v0, v1 offset:4108
.LBB49_259:
	s_or_b64 exec, exec, s[8:9]
	s_waitcnt lgkmcnt(0)
	s_barrier
	s_mov_b64 s[2:3], exec
	v_readlane_b32 s0, v48, 12
	v_readlane_b32 s1, v48, 13
	s_and_b64 s[0:1], s[2:3], s[0:1]
	s_mov_b64 exec, s[0:1]
	s_cbranch_execz .LBB49_261
; %bb.260:
	v_readlane_b32 s10, v48, 8
	v_readlane_b32 s11, v48, 9
	s_mul_i32 s1, s11, s10
	v_readlane_b32 s0, v48, 15
	s_sub_i32 s1, s23, s1
	s_xor_b32 s0, s22, s0
	s_add_i32 s8, s11, 1
	s_sub_i32 s9, s1, s10
	s_cmp_ge_u32 s1, s10
	s_cselect_b32 s8, s8, s11
	s_cselect_b32 s1, s9, s1
	s_add_i32 s9, s8, 1
	s_cmp_ge_u32 s1, s10
	s_cselect_b32 s1, s9, s8
	s_xor_b32 s1, s1, s0
	s_sub_i32 s0, s1, s0
	s_mul_i32 s1, s0, s24
	v_readlane_b32 s8, v48, 6
	s_sub_i32 s1, s20, s1
	v_readlane_b32 s9, v48, 7
	v_readlane_b32 s11, v48, 10
	;; [unrolled: 1-line block ×3, first 2 shown]
	s_mul_i32 s1, s1, s9
	s_mul_i32 s0, s0, s8
	;; [unrolled: 1-line block ×3, first 2 shown]
	s_add_i32 s0, s0, s1
	v_readlane_b32 s1, v48, 17
	s_sub_i32 s8, s23, s8
	s_xor_b32 s1, s22, s1
	s_add_i32 s9, s12, 1
	s_sub_i32 s10, s8, s11
	s_cmp_ge_u32 s8, s11
	s_cselect_b32 s9, s9, s12
	s_cselect_b32 s8, s10, s8
	s_add_i32 s10, s9, 1
	s_cmp_ge_u32 s8, s11
	s_cselect_b32 s8, s10, s9
	s_xor_b32 s8, s8, s1
	s_sub_i32 s1, s8, s1
	s_mul_i32 s8, s1, s21
	v_readlane_b32 s10, v48, 2
	s_sub_i32 s8, s20, s8
	v_readlane_b32 s11, v48, 3
	s_mul_i32 s8, s8, s11
	s_mul_i32 s1, s1, s10
	s_add_i32 s8, s1, s8
	s_ashr_i32 s1, s0, 31
	v_mov_b32_e32 v2, 0
	s_lshl_b64 s[0:1], s[0:1], 2
	v_readlane_b32 s10, v48, 0
	ds_read_b32 v0, v2 offset:4108
	v_readlane_b32 s11, v48, 1
	s_add_u32 s0, s10, s0
	s_addc_u32 s1, s11, s1
	s_ashr_i32 s9, s8, 31
	s_lshl_b64 s[8:9], s[8:9], 3
	v_readlane_b32 s10, v48, 4
	v_readlane_b32 s11, v48, 5
	s_add_u32 s8, s10, s8
	s_addc_u32 s9, s11, s9
	s_waitcnt lgkmcnt(0)
	v_ashrrev_i32_e32 v1, 31, v0
	global_store_dwordx2 v2, v[0:1], s[8:9]
	global_store_dword v2, v14, s[0:1]
.LBB49_261:
	s_or_b64 exec, exec, s[2:3]
.LBB49_262:
	s_or_saveexec_b64 s[0:1], s[6:7]
	s_mov_b64 s[2:3], 0
	s_xor_b64 exec, exec, s[0:1]
	s_cbranch_execnz .LBB49_265
.LBB49_263:
	s_or_b64 exec, exec, s[0:1]
	s_and_b64 s[2:3], s[2:3], exec
	s_andn2_saveexec_b64 s[0:1], s[4:5]
	s_cbranch_execz .LBB49_241
.LBB49_264:
	s_or_b64 s[2:3], s[2:3], exec
	s_trap 2
	s_or_b64 exec, exec, s[0:1]
	s_and_saveexec_b64 s[0:1], s[2:3]
	s_cbranch_execnz .LBB49_242
	s_branch .LBB49_243
.LBB49_265:
	s_mov_b64 s[2:3], exec
	s_trap 2
	s_branch .LBB49_263
	.section	.rodata,"a",@progbits
	.p2align	6, 0x0
	.amdhsa_kernel _ZN2at6native12_GLOBAL__N_114gatherKthValueIfiLi2EEEvNS_4cuda6detail10TensorInfoIKT_T0_EES8_S8_S8_S8_NS5_IS6_S8_EENS5_IlS8_EE
		.amdhsa_group_segment_fixed_size 4112
		.amdhsa_private_segment_fixed_size 0
		.amdhsa_kernarg_size 920
		.amdhsa_user_sgpr_count 6
		.amdhsa_user_sgpr_private_segment_buffer 1
		.amdhsa_user_sgpr_dispatch_ptr 0
		.amdhsa_user_sgpr_queue_ptr 0
		.amdhsa_user_sgpr_kernarg_segment_ptr 1
		.amdhsa_user_sgpr_dispatch_id 0
		.amdhsa_user_sgpr_flat_scratch_init 0
		.amdhsa_user_sgpr_private_segment_size 0
		.amdhsa_uses_dynamic_stack 0
		.amdhsa_system_sgpr_private_segment_wavefront_offset 0
		.amdhsa_system_sgpr_workgroup_id_x 1
		.amdhsa_system_sgpr_workgroup_id_y 1
		.amdhsa_system_sgpr_workgroup_id_z 1
		.amdhsa_system_sgpr_workgroup_info 0
		.amdhsa_system_vgpr_workitem_id 0
		.amdhsa_next_free_vgpr 49
		.amdhsa_next_free_sgpr 96
		.amdhsa_reserve_vcc 1
		.amdhsa_reserve_flat_scratch 0
		.amdhsa_float_round_mode_32 0
		.amdhsa_float_round_mode_16_64 0
		.amdhsa_float_denorm_mode_32 3
		.amdhsa_float_denorm_mode_16_64 3
		.amdhsa_dx10_clamp 1
		.amdhsa_ieee_mode 1
		.amdhsa_fp16_overflow 0
		.amdhsa_exception_fp_ieee_invalid_op 0
		.amdhsa_exception_fp_denorm_src 0
		.amdhsa_exception_fp_ieee_div_zero 0
		.amdhsa_exception_fp_ieee_overflow 0
		.amdhsa_exception_fp_ieee_underflow 0
		.amdhsa_exception_fp_ieee_inexact 0
		.amdhsa_exception_int_div_zero 0
	.end_amdhsa_kernel
	.section	.text._ZN2at6native12_GLOBAL__N_114gatherKthValueIfiLi2EEEvNS_4cuda6detail10TensorInfoIKT_T0_EES8_S8_S8_S8_NS5_IS6_S8_EENS5_IlS8_EE,"axG",@progbits,_ZN2at6native12_GLOBAL__N_114gatherKthValueIfiLi2EEEvNS_4cuda6detail10TensorInfoIKT_T0_EES8_S8_S8_S8_NS5_IS6_S8_EENS5_IlS8_EE,comdat
.Lfunc_end49:
	.size	_ZN2at6native12_GLOBAL__N_114gatherKthValueIfiLi2EEEvNS_4cuda6detail10TensorInfoIKT_T0_EES8_S8_S8_S8_NS5_IS6_S8_EENS5_IlS8_EE, .Lfunc_end49-_ZN2at6native12_GLOBAL__N_114gatherKthValueIfiLi2EEEvNS_4cuda6detail10TensorInfoIKT_T0_EES8_S8_S8_S8_NS5_IS6_S8_EENS5_IlS8_EE
                                        ; -- End function
	.set _ZN2at6native12_GLOBAL__N_114gatherKthValueIfiLi2EEEvNS_4cuda6detail10TensorInfoIKT_T0_EES8_S8_S8_S8_NS5_IS6_S8_EENS5_IlS8_EE.num_vgpr, 49
	.set _ZN2at6native12_GLOBAL__N_114gatherKthValueIfiLi2EEEvNS_4cuda6detail10TensorInfoIKT_T0_EES8_S8_S8_S8_NS5_IS6_S8_EENS5_IlS8_EE.num_agpr, 0
	.set _ZN2at6native12_GLOBAL__N_114gatherKthValueIfiLi2EEEvNS_4cuda6detail10TensorInfoIKT_T0_EES8_S8_S8_S8_NS5_IS6_S8_EENS5_IlS8_EE.numbered_sgpr, 96
	.set _ZN2at6native12_GLOBAL__N_114gatherKthValueIfiLi2EEEvNS_4cuda6detail10TensorInfoIKT_T0_EES8_S8_S8_S8_NS5_IS6_S8_EENS5_IlS8_EE.num_named_barrier, 0
	.set _ZN2at6native12_GLOBAL__N_114gatherKthValueIfiLi2EEEvNS_4cuda6detail10TensorInfoIKT_T0_EES8_S8_S8_S8_NS5_IS6_S8_EENS5_IlS8_EE.private_seg_size, 0
	.set _ZN2at6native12_GLOBAL__N_114gatherKthValueIfiLi2EEEvNS_4cuda6detail10TensorInfoIKT_T0_EES8_S8_S8_S8_NS5_IS6_S8_EENS5_IlS8_EE.uses_vcc, 1
	.set _ZN2at6native12_GLOBAL__N_114gatherKthValueIfiLi2EEEvNS_4cuda6detail10TensorInfoIKT_T0_EES8_S8_S8_S8_NS5_IS6_S8_EENS5_IlS8_EE.uses_flat_scratch, 0
	.set _ZN2at6native12_GLOBAL__N_114gatherKthValueIfiLi2EEEvNS_4cuda6detail10TensorInfoIKT_T0_EES8_S8_S8_S8_NS5_IS6_S8_EENS5_IlS8_EE.has_dyn_sized_stack, 0
	.set _ZN2at6native12_GLOBAL__N_114gatherKthValueIfiLi2EEEvNS_4cuda6detail10TensorInfoIKT_T0_EES8_S8_S8_S8_NS5_IS6_S8_EENS5_IlS8_EE.has_recursion, 0
	.set _ZN2at6native12_GLOBAL__N_114gatherKthValueIfiLi2EEEvNS_4cuda6detail10TensorInfoIKT_T0_EES8_S8_S8_S8_NS5_IS6_S8_EENS5_IlS8_EE.has_indirect_call, 0
	.section	.AMDGPU.csdata,"",@progbits
; Kernel info:
; codeLenInByte = 10052
; TotalNumSgprs: 100
; NumVgprs: 49
; ScratchSize: 0
; MemoryBound: 0
; FloatMode: 240
; IeeeMode: 1
; LDSByteSize: 4112 bytes/workgroup (compile time only)
; SGPRBlocks: 12
; VGPRBlocks: 12
; NumSGPRsForWavesPerEU: 100
; NumVGPRsForWavesPerEU: 49
; Occupancy: 4
; WaveLimiterHint : 1
; COMPUTE_PGM_RSRC2:SCRATCH_EN: 0
; COMPUTE_PGM_RSRC2:USER_SGPR: 6
; COMPUTE_PGM_RSRC2:TRAP_HANDLER: 0
; COMPUTE_PGM_RSRC2:TGID_X_EN: 1
; COMPUTE_PGM_RSRC2:TGID_Y_EN: 1
; COMPUTE_PGM_RSRC2:TGID_Z_EN: 1
; COMPUTE_PGM_RSRC2:TIDIG_COMP_CNT: 0
	.section	.text._ZN2at6native12_GLOBAL__N_114gatherKthValueIfiLi3EEEvNS_4cuda6detail10TensorInfoIKT_T0_EES8_S8_S8_S8_NS5_IS6_S8_EENS5_IlS8_EE,"axG",@progbits,_ZN2at6native12_GLOBAL__N_114gatherKthValueIfiLi3EEEvNS_4cuda6detail10TensorInfoIKT_T0_EES8_S8_S8_S8_NS5_IS6_S8_EENS5_IlS8_EE,comdat
	.globl	_ZN2at6native12_GLOBAL__N_114gatherKthValueIfiLi3EEEvNS_4cuda6detail10TensorInfoIKT_T0_EES8_S8_S8_S8_NS5_IS6_S8_EENS5_IlS8_EE ; -- Begin function _ZN2at6native12_GLOBAL__N_114gatherKthValueIfiLi3EEEvNS_4cuda6detail10TensorInfoIKT_T0_EES8_S8_S8_S8_NS5_IS6_S8_EENS5_IlS8_EE
	.p2align	8
	.type	_ZN2at6native12_GLOBAL__N_114gatherKthValueIfiLi3EEEvNS_4cuda6detail10TensorInfoIKT_T0_EES8_S8_S8_S8_NS5_IS6_S8_EENS5_IlS8_EE,@function
_ZN2at6native12_GLOBAL__N_114gatherKthValueIfiLi3EEEvNS_4cuda6detail10TensorInfoIKT_T0_EES8_S8_S8_S8_NS5_IS6_S8_EENS5_IlS8_EE: ; @_ZN2at6native12_GLOBAL__N_114gatherKthValueIfiLi3EEEvNS_4cuda6detail10TensorInfoIKT_T0_EES8_S8_S8_S8_NS5_IS6_S8_EENS5_IlS8_EE
; %bb.0:
	s_load_dwordx2 s[14:15], s[4:5], 0x298
	s_load_dwordx4 s[68:71], s[4:5], 0xd8
	s_add_u32 s12, s4, 0x298
	s_addc_u32 s13, s5, 0
	s_waitcnt lgkmcnt(0)
	s_mul_i32 s0, s15, s8
	s_add_i32 s0, s0, s7
	s_mul_i32 s0, s0, s14
	s_add_i32 s23, s0, s6
	s_cmp_ge_i32 s23, s70
	s_cbranch_scc1 .LBB50_243
; %bb.1:
	s_load_dwordx2 s[2:3], s[4:5], 0xc
	s_load_dwordx2 s[24:25], s[4:5], 0xf4
	s_ashr_i32 s8, s23, 31
	s_abs_i32 s9, s23
	s_load_dwordx4 s[28:31], s[4:5], 0x154
	s_waitcnt lgkmcnt(0)
	s_abs_i32 s0, s3
	v_cvt_f32_u32_e32 v1, s0
	s_ashr_i32 s1, s3, 31
	s_xor_b32 s7, s8, s1
	s_sub_i32 s1, 0, s0
	v_rcp_iflag_f32_e32 v1, v1
                                        ; implicit-def: $vgpr48 : SGPR spill to VGPR lane
                                        ; kill: killed $sgpr4 killed $sgpr5
	s_mov_b32 s86, 0
	v_writelane_b32 v48, s28, 0
	v_writelane_b32 v48, s29, 1
	v_mul_f32_e32 v1, 0x4f7ffffe, v1
	v_cvt_u32_f32_e32 v1, v1
	v_writelane_b32 v48, s30, 2
	v_writelane_b32 v48, s31, 3
	v_readfirstlane_b32 s10, v1
	s_mul_i32 s1, s1, s10
	s_mul_hi_u32 s1, s10, s1
	s_add_i32 s10, s10, s1
	s_mul_hi_u32 s1, s9, s10
	s_mul_i32 s10, s1, s0
	s_sub_i32 s10, s9, s10
	s_add_i32 s11, s1, 1
	s_sub_i32 s15, s10, s0
	s_cmp_ge_u32 s10, s0
	s_cselect_b32 s1, s11, s1
	s_cselect_b32 s10, s15, s10
	s_add_i32 s11, s1, 1
	s_cmp_ge_u32 s10, s0
	s_cselect_b32 s10, s11, s1
	s_abs_i32 s0, s2
	v_cvt_f32_u32_e32 v1, s0
	s_abs_i32 s16, s25
	v_cvt_f32_u32_e32 v2, s16
	s_xor_b32 s10, s10, s7
	v_rcp_iflag_f32_e32 v1, v1
	s_sub_i32 s17, 0, s0
	v_rcp_iflag_f32_e32 v2, v2
	s_sub_i32 s7, s10, s7
	v_mul_f32_e32 v1, 0x4f7ffffe, v1
	v_cvt_u32_f32_e32 v1, v1
	v_mul_f32_e32 v2, 0x4f7ffffe, v2
	v_cvt_u32_f32_e32 v2, v2
	s_ashr_i32 s11, s25, 31
	v_readfirstlane_b32 s10, v1
	s_mul_i32 s17, s17, s10
	s_mul_hi_u32 s17, s10, s17
	s_add_i32 s19, s10, s17
	s_sub_i32 s10, 0, s16
	v_readfirstlane_b32 s17, v2
	s_mul_i32 s10, s10, s17
	s_mul_hi_u32 s10, s17, s10
	s_add_i32 s17, s17, s10
	s_mul_hi_u32 s10, s9, s17
	s_mul_i32 s17, s10, s16
	s_sub_i32 s17, s9, s17
	s_ashr_i32 s1, s2, 31
	s_xor_b32 s11, s8, s11
	s_ashr_i32 s15, s7, 31
	s_abs_i32 s18, s7
	s_add_i32 s20, s10, 1
	s_sub_i32 s21, s17, s16
	s_cmp_ge_u32 s17, s16
	s_cselect_b32 s10, s20, s10
	s_cselect_b32 s17, s21, s17
	s_add_i32 s20, s10, 1
	s_cmp_ge_u32 s17, s16
	s_cselect_b32 s10, s20, s10
	s_abs_i32 s22, s24
	v_cvt_f32_u32_e32 v1, s22
	s_load_dwordx2 s[16:17], s[4:5], 0x0
	s_load_dwordx4 s[28:31], s[4:5], 0x22c
	s_load_dwordx2 s[26:27], s[4:5], 0x1cc
	s_load_dwordx2 s[20:21], s[4:5], 0x1c0
	s_xor_b32 s10, s10, s11
	v_rcp_iflag_f32_e32 v1, v1
	s_waitcnt lgkmcnt(0)
	v_writelane_b32 v48, s28, 4
	v_writelane_b32 v48, s29, 5
	;; [unrolled: 1-line block ×4, first 2 shown]
	s_sub_i32 s28, s10, s11
	v_mul_f32_e32 v1, 0x4f7ffffe, v1
	s_abs_i32 s10, s27
	v_cvt_u32_f32_e32 v1, v1
	v_cvt_f32_u32_e32 v2, s10
	v_writelane_b32 v48, s20, 8
	v_writelane_b32 v48, s21, 9
	v_readfirstlane_b32 s20, v1
	v_rcp_iflag_f32_e32 v1, v2
	s_sub_i32 s11, 0, s22
	s_mul_i32 s11, s11, s20
	s_mul_hi_u32 s11, s20, s11
	v_mul_f32_e32 v1, 0x4f7ffffe, v1
	v_cvt_u32_f32_e32 v1, v1
	s_add_i32 s20, s20, s11
	s_ashr_i32 s11, s27, 31
	s_xor_b32 s21, s8, s11
	s_sub_i32 s8, 0, s10
	v_readfirstlane_b32 s11, v1
	s_mul_i32 s8, s8, s11
	s_mul_hi_u32 s8, s11, s8
	s_add_i32 s11, s11, s8
	s_mul_hi_u32 s8, s9, s11
	s_mul_i32 s11, s8, s10
	s_sub_i32 s9, s9, s11
	s_abs_i32 s29, s28
	v_writelane_b32 v48, s22, 10
	s_add_i32 s11, s8, 1
	s_sub_i32 s22, s9, s10
	s_cmp_ge_u32 s9, s10
	s_cselect_b32 s8, s11, s8
	s_cselect_b32 s9, s22, s9
	s_add_i32 s11, s8, 1
	s_cmp_ge_u32 s9, s10
	s_cselect_b32 s22, s11, s8
	s_abs_i32 s30, s26
	v_cvt_f32_u32_e32 v1, s30
	s_load_dwordx2 s[8:9], s[4:5], 0xe8
	v_rcp_iflag_f32_e32 v1, v1
	s_waitcnt lgkmcnt(0)
	v_writelane_b32 v48, s8, 11
	v_writelane_b32 v48, s9, 12
	v_mul_f32_e32 v1, 0x4f7ffffe, v1
	v_cvt_u32_f32_e32 v1, v1
	s_load_dwordx4 s[8:11], s[4:5], 0x6c
	v_writelane_b32 v48, s29, 13
	s_mul_hi_u32 s4, s29, s20
	v_writelane_b32 v48, s4, 14
	s_xor_b32 s4, s22, s21
	s_waitcnt lgkmcnt(0)
	s_mul_hi_u32 s11, s18, s19
	s_sub_i32 s19, s4, s21
	s_sub_i32 s4, 0, s30
	v_readfirstlane_b32 s5, v1
	s_mul_i32 s4, s4, s5
	s_mul_hi_u32 s4, s5, s4
	s_abs_i32 s20, s19
	v_writelane_b32 v48, s30, 15
	s_add_i32 s5, s5, s4
	v_writelane_b32 v48, s20, 16
	s_mul_hi_u32 s4, s20, s5
	v_writelane_b32 v48, s4, 17
	v_cmp_eq_u32_e64 s[20:21], 0, v0
	s_mov_b64 s[4:5], exec
	v_writelane_b32 v48, s20, 18
	v_writelane_b32 v48, s21, 19
	s_and_b64 s[20:21], s[4:5], s[20:21]
	s_mov_b64 exec, s[20:21]
; %bb.2:
	v_mov_b32_e32 v1, 0
	v_mov_b32_e32 v2, s68
	v_mov_b32_e32 v3, v1
	ds_write_b96 v1, v[1:3] offset:4096
; %bb.3:
	s_or_b64 exec, exec, s[4:5]
	v_writelane_b32 v48, s28, 20
	s_ashr_i32 s4, s28, 31
	v_writelane_b32 v48, s4, 21
	v_writelane_b32 v48, s24, 22
	;; [unrolled: 1-line block ×3, first 2 shown]
	s_ashr_i32 s4, s24, 31
	v_writelane_b32 v48, s4, 24
	v_writelane_b32 v48, s19, 25
	s_ashr_i32 s4, s19, 31
	v_writelane_b32 v48, s4, 26
	v_writelane_b32 v48, s26, 27
	;; [unrolled: 1-line block ×3, first 2 shown]
	s_ashr_i32 s4, s26, 31
	v_writelane_b32 v48, s4, 29
	s_mul_i32 s3, s7, s3
	s_mul_i32 s4, s11, s0
	s_sub_i32 s3, s23, s3
	s_sub_i32 s4, s18, s4
	s_mul_i32 s3, s3, s10
	s_xor_b32 s1, s15, s1
	s_add_i32 s5, s11, 1
	s_sub_i32 s10, s4, s0
	s_cmp_ge_u32 s4, s0
	s_cselect_b32 s5, s5, s11
	s_cselect_b32 s4, s10, s4
	s_add_i32 s10, s5, 1
	s_cmp_ge_u32 s4, s0
	s_cselect_b32 s0, s10, s5
	s_xor_b32 s0, s0, s1
	s_sub_i32 s0, s0, s1
	s_mul_i32 s1, s0, s2
	s_sub_i32 s1, s7, s1
	s_mul_i32 s1, s1, s9
	s_add_i32 s1, s1, s3
	s_mul_i32 s0, s0, s8
	v_mul_lo_u32 v5, s71, v0
	s_add_i32 s0, s1, s0
	s_waitcnt lgkmcnt(0)
	s_barrier
	s_load_dword s2, s[12:13], 0xc
	s_ashr_i32 s1, s0, 31
	v_mov_b32_e32 v7, 0
	s_lshl_b64 s[0:1], s[0:1], 2
	v_mbcnt_lo_u32_b32 v1, -1, 0
	v_mov_b32_e32 v6, v7
	s_add_u32 s70, s16, s0
	v_mbcnt_hi_u32_b32 v20, -1, v1
	v_lshlrev_b64 v[1:2], 2, v[5:6]
	s_addc_u32 s77, s17, s1
	v_cmp_gt_u32_e32 vcc, 64, v0
	v_cmp_gt_i32_e64 s[4:5], 4, v20
	s_and_b64 s[80:81], vcc, s[4:5]
	v_mov_b32_e32 v22, s77
	v_add_co_u32_e32 v8, vcc, s70, v1
	s_waitcnt lgkmcnt(0)
	s_and_b32 s76, s2, 0xffff
	v_addc_co_u32_e32 v9, vcc, v22, v2, vcc
	v_lshlrev_b64 v[2:3], v20, -1
	s_add_i32 s1, s76, -1
	s_lshl_b32 s8, s76, 2
	s_bfe_u32 s0, s2, 0xa0006
	s_add_i32 s91, s1, s68
	v_not_b32_e32 v25, v2
	v_lshrrev_b32_e32 v2, 2, v0
	v_writelane_b32 v48, s23, 30
	s_cmpk_gt_i32 s68, 0x300
	v_and_b32_e32 v2, 0xf0, v2
	v_writelane_b32 v48, s1, 31
	s_cselect_b64 s[82:83], -1, 0
	v_cmp_gt_u32_e64 s[10:11], s68, v0
	s_cmp_gt_u32 s76, 63
	v_or_b32_e32 v26, 0xc00, v2
	v_cvt_f32_u32_e32 v2, s8
	v_writelane_b32 v48, s10, 32
	s_cselect_b64 s[84:85], -1, 0
	s_cmp_lt_u32 s6, s14
	v_writelane_b32 v48, s11, 33
	v_cmp_gt_i32_e64 s[10:11], s68, v0
	s_cselect_b32 s1, 12, 18
	v_writelane_b32 v48, s10, 34
	s_add_u32 s6, s12, s1
	v_writelane_b32 v48, s11, 35
	s_addc_u32 s7, s13, 0
	v_rcp_iflag_f32_e32 v2, v2
	v_writelane_b32 v48, s6, 36
	s_add_i32 s1, s0, -1
	v_writelane_b32 v48, s7, 37
	s_bfe_u32 s6, s76, 0x30006
	s_and_b32 s1, s1, 0xffff
	s_cmp_gt_u32 s1, 6
	s_cselect_b64 s[10:11], -1, 0
	v_mul_f32_e32 v2, 0x4f7ffffe, v2
	v_writelane_b32 v48, s10, 38
	s_and_b32 s87, s0, 0x3f8
	v_cvt_u32_f32_e32 v2, v2
	v_writelane_b32 v48, s11, 39
	s_cmp_lg_u32 s6, 0
	v_writelane_b32 v48, s6, 40
	s_cselect_b64 s[0:1], -1, 0
	v_writelane_b32 v48, s0, 41
	v_writelane_b32 v48, s1, 42
	s_sub_i32 s0, 0, s8
	v_readfirstlane_b32 s1, v2
	s_mul_i32 s0, s0, s1
	s_mul_hi_u32 s0, s1, s0
	s_add_i32 s88, s1, s0
	s_mul_hi_u32 s0, s68, s88
	s_mul_i32 s0, s0, s8
	s_sub_i32 s0, s68, s0
	s_sub_i32 s1, s0, s8
	s_cmp_ge_u32 s0, s8
	s_cselect_b32 s0, s1, s0
	s_sub_i32 s1, s0, s8
	s_cmp_ge_u32 s0, s8
	s_cselect_b32 s0, s1, s0
	s_sub_i32 s89, s68, s0
	v_add_u32_e32 v27, s89, v0
	v_cvt_f32_u32_e32 v4, s76
	v_mul_lo_u32 v2, v27, s71
	v_not_b32_e32 v24, v3
	s_sub_i32 s7, 0, s76
	v_rcp_iflag_f32_e32 v4, v4
	v_ashrrev_i32_e32 v3, 31, v2
	v_lshlrev_b64 v[2:3], 2, v[2:3]
	s_abs_i32 s6, s91
	v_add_co_u32_e32 v10, vcc, s70, v2
	v_mul_f32_e32 v2, 0x4f7ffffe, v4
	v_cvt_u32_f32_e32 v2, v2
	s_ashr_i32 s1, s91, 31
	v_lshlrev_b32_e32 v19, 2, v0
	v_lshlrev_b32_e32 v1, 2, v20
	v_readfirstlane_b32 s9, v2
	s_mul_i32 s7, s7, s9
	s_mul_hi_u32 s7, s9, s7
	s_add_i32 s7, s9, s7
	v_writelane_b32 v48, s7, 43
	s_mul_hi_u32 s7, s6, s7
	s_mul_i32 s7, s7, s76
	s_sub_i32 s6, s6, s7
	s_sub_i32 s7, s6, s76
	s_cmp_ge_u32 s6, s76
	s_cselect_b32 s6, s7, s6
	s_sub_i32 s7, s6, s76
	v_mul_lo_u32 v2, s71, v19
	s_cmp_ge_u32 s6, s76
	s_cselect_b32 s6, s7, s6
	s_xor_b32 s6, s6, s1
	s_sub_i32 s1, s1, s6
	v_add_u32_e32 v28, s71, v2
	v_or_b32_e32 v2, 2, v19
	s_add_i32 s91, s91, s1
	v_mul_lo_u32 v30, s71, v2
	v_or_b32_e32 v2, 3, v19
	s_add_i32 s1, s76, s68
	v_mul_lo_u32 v31, s71, v2
	v_add_u32_e32 v2, s1, v0
	v_subrev_u32_e32 v2, s0, v2
	v_mul_lo_u32 v33, s71, v2
	v_mov_b32_e32 v6, s77
	v_cmp_gt_i32_e64 s[6:7], s91, v0
	s_mul_i32 s33, s71, s76
	v_cmp_eq_u32_e64 s[2:3], 0, v20
	v_cmp_gt_u32_e64 s[4:5], 2, v0
	v_add_u32_e32 v21, 0xc00, v19
	v_and_b32_e32 v23, 0x100, v1
	v_cmp_gt_i32_e64 s[10:11], s89, v19
	v_cmp_gt_u32_e64 s[12:13], s68, v27
	v_addc_co_u32_e32 v11, vcc, v6, v3, vcc
	v_cmp_gt_i32_e64 s[14:15], s68, v27
	v_writelane_b32 v48, s6, 44
	s_lshl_b32 s16, s33, 2
	v_lshlrev_b32_e32 v32, 2, v5
	v_lshlrev_b32_e32 v34, 4, v0
	s_lshl_b32 s17, s76, 4
	v_or_b32_e32 v35, 0xc00, v1
	s_mov_b64 s[92:93], 0
	v_mov_b32_e32 v37, 30
	v_mov_b32_e32 v39, s69
	v_bfrev_b32_e32 v36, 1
	v_mov_b32_e32 v29, 0
	v_mov_b32_e32 v38, 0
	v_mov_b32_e32 v12, 1.0
	v_mov_b32_e32 v14, 0
	v_writelane_b32 v48, s7, 45
                                        ; implicit-def: $sgpr94_sgpr95
                                        ; implicit-def: $sgpr78_sgpr79
                                        ; implicit-def: $sgpr74_sgpr75
                                        ; implicit-def: $sgpr62_sgpr63
                                        ; implicit-def: $sgpr64_sgpr65
                                        ; implicit-def: $sgpr60_sgpr61
	s_branch .LBB50_7
.LBB50_4:                               ;   in Loop: Header=BB50_7 Depth=1
	s_or_b64 exec, exec, s[30:31]
	s_and_b64 s[30:31], s[28:29], exec
	s_andn2_b64 s[26:27], s[26:27], exec
	s_andn2_b64 s[24:25], s[24:25], exec
	s_orn2_b64 s[20:21], s[20:21], exec
.LBB50_5:                               ;   in Loop: Header=BB50_7 Depth=1
	s_or_b64 exec, exec, s[22:23]
	s_andn2_b64 s[18:19], s[60:61], exec
	s_and_b64 s[22:23], s[30:31], exec
	s_or_b64 s[60:61], s[18:19], s[22:23]
	s_andn2_b64 s[18:19], s[64:65], exec
	s_and_b64 s[22:23], s[26:27], exec
	s_or_b64 s[64:65], s[18:19], s[22:23]
	;; [unrolled: 3-line block ×3, first 2 shown]
	s_orn2_b64 s[20:21], s[20:21], exec
.LBB50_6:                               ;   in Loop: Header=BB50_7 Depth=1
	s_or_b64 exec, exec, s[6:7]
	s_and_b64 s[6:7], exec, s[20:21]
	s_or_b64 s[92:93], s[6:7], s[92:93]
	s_andn2_b64 s[6:7], s[74:75], exec
	s_and_b64 s[18:19], s[60:61], exec
	s_or_b64 s[74:75], s[6:7], s[18:19]
	s_andn2_b64 s[6:7], s[78:79], exec
	s_and_b64 s[18:19], s[64:65], exec
	s_or_b64 s[78:79], s[6:7], s[18:19]
	s_andn2_b64 s[6:7], s[94:95], exec
	s_and_b64 s[18:19], s[62:63], exec
	s_or_b64 s[94:95], s[6:7], s[18:19]
	s_mov_b32 s86, s0
	v_mov_b32_e32 v39, v15
	s_andn2_b64 exec, exec, s[92:93]
	s_cbranch_execz .LBB50_239
.LBB50_7:                               ; =>This Loop Header: Depth=1
                                        ;     Child Loop BB50_13 Depth 2
                                        ;     Child Loop BB50_28 Depth 2
	;; [unrolled: 1-line block ×16, first 2 shown]
	ds_read_b64 v[1:2], v7 offset:4096
	s_waitcnt lgkmcnt(0)
	v_readfirstlane_b32 s69, v1
	s_cmp_gt_i32 s69, 0
	s_cbranch_scc1 .LBB50_35
; %bb.8:                                ;   in Loop: Header=BB50_7 Depth=1
	s_and_b64 vcc, exec, s[82:83]
	s_cbranch_vccz .LBB50_21
; %bb.9:                                ;   in Loop: Header=BB50_7 Depth=1
	s_movk_i32 s0, 0x301
	v_cmp_gt_i32_e32 vcc, s0, v2
	s_mov_b64 s[20:21], 0
	s_mov_b64 s[6:7], 0
	s_cbranch_vccz .LBB50_22
; %bb.10:                               ;   in Loop: Header=BB50_7 Depth=1
	s_mov_b64 s[22:23], exec
	v_readlane_b32 s0, v48, 32
	v_readlane_b32 s1, v48, 33
	s_and_b64 s[0:1], s[22:23], s[0:1]
	s_mov_b64 exec, s[0:1]
	s_cbranch_execz .LBB50_67
; %bb.11:                               ;   in Loop: Header=BB50_7 Depth=1
	v_readlane_b32 s0, v48, 36
	v_readlane_b32 s1, v48, 37
	s_nop 4
	global_load_ushort v1, v7, s[0:1]
	global_load_dword v3, v[8:9], off
	s_mov_b64 s[24:25], 0
	v_mov_b32_e32 v4, v0
	s_waitcnt vmcnt(1)
	v_add_u32_e32 v2, v0, v1
	v_mul_lo_u32 v6, s71, v2
	v_mul_lo_u32 v2, s71, v1
	s_branch .LBB50_13
.LBB50_12:                              ;   in Loop: Header=BB50_13 Depth=2
	s_or_b64 exec, exec, s[6:7]
	v_cmp_le_i32_e32 vcc, s68, v4
	v_add_u32_e32 v6, v6, v2
	s_or_b64 s[24:25], vcc, s[24:25]
	v_mov_b32_e32 v3, v13
	s_andn2_b64 exec, exec, s[24:25]
	s_cbranch_execz .LBB50_67
.LBB50_13:                              ;   Parent Loop BB50_7 Depth=1
                                        ; =>  This Inner Loop Header: Depth=2
	v_add_u32_e32 v4, v4, v1
	v_cmp_gt_u32_e32 vcc, s68, v4
	s_waitcnt lgkmcnt(0)
	v_mov_b32_e32 v15, 0
	v_mov_b32_e32 v13, 0
	s_and_saveexec_b64 s[6:7], vcc
	s_cbranch_execz .LBB50_15
; %bb.14:                               ;   in Loop: Header=BB50_13 Depth=2
	v_lshlrev_b64 v[16:17], 2, v[6:7]
	v_add_co_u32_e32 v16, vcc, s70, v16
	v_addc_co_u32_e32 v17, vcc, v22, v17, vcc
	global_load_dword v13, v[16:17], off
.LBB50_15:                              ;   in Loop: Header=BB50_13 Depth=2
	s_or_b64 exec, exec, s[6:7]
	s_waitcnt vmcnt(0)
	v_cmp_lt_i32_e32 vcc, -1, v3
	v_cndmask_b32_e32 v16, -1, v36, vcc
	v_xor_b32_e32 v16, v16, v3
	v_cmp_o_f32_e32 vcc, v3, v3
	v_cndmask_b32_e32 v16, -1, v16, vcc
	v_and_b32_e32 v16, v16, v38
	v_cmp_eq_u32_e32 vcc, v16, v29
	s_cmp_lg_u64 vcc, 0
	s_cselect_b64 s[0:1], -1, 0
	s_and_b64 s[0:1], s[2:3], s[0:1]
	s_and_saveexec_b64 s[26:27], s[0:1]
	s_cbranch_execz .LBB50_19
; %bb.16:                               ;   in Loop: Header=BB50_13 Depth=2
	s_mov_b64 s[30:31], exec
	v_mbcnt_lo_u32_b32 v15, s30, 0
	v_mbcnt_hi_u32_b32 v15, s31, v15
	s_bcnt1_i32_b64 s0, vcc
	v_cmp_eq_u32_e64 s[6:7], 0, v15
                                        ; implicit-def: $vgpr16
	s_and_saveexec_b64 s[28:29], s[6:7]
; %bb.17:                               ;   in Loop: Header=BB50_13 Depth=2
	s_bcnt1_i32_b64 s1, s[30:31]
	s_mul_i32 s1, s0, s1
	v_mov_b32_e32 v16, s1
	ds_add_rtn_u32 v16, v7, v16 offset:4104
; %bb.18:                               ;   in Loop: Header=BB50_13 Depth=2
	s_or_b64 exec, exec, s[28:29]
	s_waitcnt lgkmcnt(0)
	v_readfirstlane_b32 s1, v16
	v_mov_b32_e32 v16, s1
	v_mad_u32_u24 v15, s0, v15, v16
.LBB50_19:                              ;   in Loop: Header=BB50_13 Depth=2
	s_or_b64 exec, exec, s[26:27]
	ds_bpermute_b32 v15, v23, v15
	s_and_saveexec_b64 s[6:7], vcc
	s_cbranch_execz .LBB50_12
; %bb.20:                               ;   in Loop: Header=BB50_13 Depth=2
	v_and_b32_e32 v17, vcc_lo, v25
	v_and_b32_e32 v16, vcc_hi, v24
	v_bcnt_u32_b32 v17, v17, 0
	v_bcnt_u32_b32 v16, v16, v17
	v_lshlrev_b32_e32 v16, 2, v16
	s_waitcnt lgkmcnt(0)
	v_lshl_add_u32 v15, v15, 2, v16
	ds_write_b32 v15, v3
	s_branch .LBB50_12
.LBB50_21:                              ;   in Loop: Header=BB50_7 Depth=1
	s_mov_b64 s[20:21], -1
	s_mov_b64 s[6:7], 0
.LBB50_22:                              ;   in Loop: Header=BB50_7 Depth=1
	s_and_b64 vcc, exec, s[20:21]
	s_cbranch_vccz .LBB50_33
.LBB50_23:                              ;   in Loop: Header=BB50_7 Depth=1
	v_mov_b32_e32 v1, 0
	s_mov_b64 s[6:7], exec
	v_readlane_b32 s0, v48, 32
	v_readlane_b32 s1, v48, 33
	s_and_b64 s[0:1], s[6:7], s[0:1]
	s_mov_b64 exec, s[0:1]
	s_cbranch_execz .LBB50_25
; %bb.24:                               ;   in Loop: Header=BB50_7 Depth=1
	global_load_dword v1, v[8:9], off
.LBB50_25:                              ;   in Loop: Header=BB50_7 Depth=1
	s_or_b64 exec, exec, s[6:7]
	s_mov_b64 s[6:7], exec
	v_readlane_b32 s0, v48, 34
	v_readlane_b32 s1, v48, 35
	s_and_b64 s[0:1], s[6:7], s[0:1]
	s_mov_b64 exec, s[0:1]
	s_cbranch_execz .LBB50_30
; %bb.26:                               ;   in Loop: Header=BB50_7 Depth=1
	v_readlane_b32 s0, v48, 36
	v_readlane_b32 s1, v48, 37
	s_mov_b64 s[20:21], 0
	v_mov_b32_e32 v13, v19
	v_mov_b32_e32 v15, v0
	s_nop 1
	global_load_ushort v2, v7, s[0:1]
	s_waitcnt vmcnt(0)
	v_add_u32_e32 v4, v0, v2
	v_mul_lo_u32 v6, s71, v4
	v_mul_lo_u32 v4, s71, v2
	v_lshlrev_b32_e32 v3, 2, v2
	s_branch .LBB50_28
.LBB50_27:                              ;   in Loop: Header=BB50_28 Depth=2
	s_or_b64 exec, exec, s[22:23]
	v_cmp_le_i32_e32 vcc, s68, v15
	ds_write_b32 v13, v1
	v_add_u32_e32 v13, v13, v3
	v_add_u32_e32 v6, v6, v4
	s_or_b64 s[20:21], vcc, s[20:21]
	s_waitcnt vmcnt(0)
	v_mov_b32_e32 v1, v16
	s_andn2_b64 exec, exec, s[20:21]
	s_cbranch_execz .LBB50_30
.LBB50_28:                              ;   Parent Loop BB50_7 Depth=1
                                        ; =>  This Inner Loop Header: Depth=2
	v_add_u32_e32 v15, v15, v2
	v_cmp_gt_u32_e32 vcc, s68, v15
	v_mov_b32_e32 v16, 0
	s_and_saveexec_b64 s[22:23], vcc
	s_cbranch_execz .LBB50_27
; %bb.29:                               ;   in Loop: Header=BB50_28 Depth=2
	v_lshlrev_b64 v[16:17], 2, v[6:7]
	v_mov_b32_e32 v18, s77
	v_add_co_u32_e32 v16, vcc, s70, v16
	v_addc_co_u32_e32 v17, vcc, v18, v17, vcc
	global_load_dword v16, v[16:17], off
	s_branch .LBB50_27
.LBB50_30:                              ;   in Loop: Header=BB50_7 Depth=1
	s_or_b64 exec, exec, s[6:7]
	s_waitcnt vmcnt(0) lgkmcnt(0)
	s_barrier
	s_mov_b64 s[6:7], exec
	v_readlane_b32 s0, v48, 18
	v_readlane_b32 s1, v48, 19
	s_and_b64 s[0:1], s[6:7], s[0:1]
	s_mov_b64 exec, s[0:1]
; %bb.31:                               ;   in Loop: Header=BB50_7 Depth=1
	v_mov_b32_e32 v1, s68
	ds_write_b32 v7, v1 offset:4096
; %bb.32:                               ;   in Loop: Header=BB50_7 Depth=1
	s_or_b64 exec, exec, s[6:7]
	s_mov_b64 s[6:7], -1
	s_waitcnt lgkmcnt(0)
	s_barrier
.LBB50_33:                              ;   in Loop: Header=BB50_7 Depth=1
	s_and_b64 vcc, exec, s[6:7]
	s_cbranch_vccz .LBB50_35
; %bb.34:                               ;   in Loop: Header=BB50_7 Depth=1
	ds_read_b32 v1, v7 offset:4096
	s_waitcnt lgkmcnt(0)
	v_readfirstlane_b32 s69, v1
.LBB50_35:                              ;   in Loop: Header=BB50_7 Depth=1
	s_cmp_lt_i32 s69, 1
	s_mov_b64 s[6:7], -1
                                        ; implicit-def: $vgpr1
	s_cbranch_scc1 .LBB50_45
; %bb.36:                               ;   in Loop: Header=BB50_7 Depth=1
	s_and_b64 vcc, exec, s[6:7]
	s_cbranch_vccnz .LBB50_58
.LBB50_37:                              ;   in Loop: Header=BB50_7 Depth=1
	s_lshl_b32 s0, s86, 6
	s_and_saveexec_b64 s[6:7], s[2:3]
.LBB50_38:                              ;   in Loop: Header=BB50_7 Depth=1
	v_lshl_add_u32 v6, s0, 2, v26
	ds_write_b128 v6, v[1:4]
.LBB50_39:                              ;   in Loop: Header=BB50_7 Depth=1
	s_or_b64 exec, exec, s[6:7]
	s_waitcnt vmcnt(0) lgkmcnt(0)
	s_barrier
	s_and_saveexec_b64 s[6:7], s[80:81]
	s_cbranch_execz .LBB50_75
; %bb.40:                               ;   in Loop: Header=BB50_7 Depth=1
	s_andn2_b64 vcc, exec, s[84:85]
	v_mov_b32_e32 v1, 0
	s_cbranch_vccnz .LBB50_74
; %bb.41:                               ;   in Loop: Header=BB50_7 Depth=1
	v_readlane_b32 s18, v48, 38
	v_readlane_b32 s19, v48, 39
	s_andn2_b64 vcc, exec, s[18:19]
	s_cbranch_vccnz .LBB50_70
; %bb.42:                               ;   in Loop: Header=BB50_7 Depth=1
	v_lshl_add_u32 v2, s86, 8, v35
	s_mov_b32 s1, 0
	v_mov_b32_e32 v1, 0
.LBB50_43:                              ;   Parent Loop BB50_7 Depth=1
                                        ; =>  This Inner Loop Header: Depth=2
	ds_read2_b32 v[3:4], v2 offset1:4
	ds_read2_b32 v[15:16], v2 offset0:8 offset1:12
	ds_read2_b32 v[17:18], v2 offset0:16 offset1:20
	;; [unrolled: 1-line block ×3, first 2 shown]
	s_add_i32 s1, s1, 8
	s_waitcnt lgkmcnt(3)
	v_add3_u32 v1, v3, v1, v4
	s_waitcnt lgkmcnt(2)
	v_add3_u32 v1, v15, v1, v16
	;; [unrolled: 2-line block ×3, first 2 shown]
	v_add_u32_e32 v2, 0x80, v2
	s_cmp_eq_u32 s87, s1
	s_waitcnt lgkmcnt(0)
	v_add3_u32 v1, v40, v1, v41
	s_cbranch_scc0 .LBB50_43
; %bb.44:                               ;   in Loop: Header=BB50_7 Depth=1
	s_mov_b32 s1, s87
	s_branch .LBB50_71
.LBB50_45:                              ;   in Loop: Header=BB50_7 Depth=1
	v_mov_b32_e32 v1, 0
	v_mov_b32_e32 v2, 0
	v_mov_b32_e32 v3, 0
	v_mov_b32_e32 v4, 0
	s_and_saveexec_b64 s[66:67], s[10:11]
	s_cbranch_execnz .LBB50_48
; %bb.46:                               ;   in Loop: Header=BB50_7 Depth=1
	s_or_b64 exec, exec, s[66:67]
	v_mov_b32_e32 v13, 0
	s_and_saveexec_b64 s[6:7], s[12:13]
	s_cbranch_execnz .LBB50_51
.LBB50_47:                              ;   in Loop: Header=BB50_7 Depth=1
	s_or_b64 exec, exec, s[6:7]
	s_and_saveexec_b64 s[20:21], s[14:15]
	s_cbranch_execnz .LBB50_52
	s_branch .LBB50_57
.LBB50_48:                              ;   in Loop: Header=BB50_7 Depth=1
	s_mov_b32 s9, 0
	s_mov_b64 s[72:73], 0
	s_mov_b32 s90, 0
	s_mov_b32 s18, 0
	;; [unrolled: 1-line block ×4, first 2 shown]
	v_mov_b32_e32 v6, v19
.LBB50_49:                              ;   Parent Loop BB50_7 Depth=1
                                        ; =>  This Inner Loop Header: Depth=2
	v_add_u32_e32 v1, s9, v32
	v_ashrrev_i32_e32 v2, 31, v1
	v_add_u32_e32 v3, s9, v28
	v_lshlrev_b64 v[1:2], 2, v[1:2]
	v_ashrrev_i32_e32 v4, 31, v3
	v_mov_b32_e32 v13, s77
	v_add_u32_e32 v15, s9, v30
	v_lshlrev_b64 v[3:4], 2, v[3:4]
	v_add_co_u32_e64 v1, s[6:7], s70, v1
	v_ashrrev_i32_e32 v16, 31, v15
	v_addc_co_u32_e64 v2, s[6:7], v13, v2, s[6:7]
	v_add_u32_e32 v17, s9, v31
	v_lshlrev_b64 v[15:16], 2, v[15:16]
	v_add_co_u32_e64 v3, s[6:7], s70, v3
	v_ashrrev_i32_e32 v18, 31, v17
	v_addc_co_u32_e64 v4, s[6:7], v13, v4, s[6:7]
	v_lshlrev_b64 v[17:18], 2, v[17:18]
	v_add_co_u32_e64 v15, s[6:7], s70, v15
	v_addc_co_u32_e64 v16, s[6:7], v13, v16, s[6:7]
	v_add_co_u32_e64 v17, s[6:7], s70, v17
	v_addc_co_u32_e64 v18, s[6:7], v13, v18, s[6:7]
	global_load_dword v1, v[1:2], off
	s_nop 0
	global_load_dword v2, v[3:4], off
	s_nop 0
	global_load_dword v3, v[15:16], off
	global_load_dword v4, v[17:18], off
	v_add_u32_e32 v6, s8, v6
	s_add_i32 s9, s9, s16
	v_cmp_le_i32_e32 vcc, s89, v6
	s_waitcnt vmcnt(3)
	v_cmp_lt_i32_e64 s[6:7], -1, v1
	v_cndmask_b32_e64 v13, -1, v36, s[6:7]
	s_waitcnt vmcnt(2)
	v_cmp_lt_i32_e64 s[6:7], -1, v2
	v_cndmask_b32_e64 v15, -1, v36, s[6:7]
	;; [unrolled: 3-line block ×4, first 2 shown]
	v_xor_b32_e32 v15, v15, v2
	v_cmp_o_f32_e64 s[6:7], v2, v2
	v_xor_b32_e32 v2, v16, v3
	v_cmp_o_f32_e64 s[20:21], v3, v3
	;; [unrolled: 2-line block ×4, first 2 shown]
	v_cndmask_b32_e64 v1, -1, v4, s[24:25]
	v_cndmask_b32_e64 v4, -1, v15, s[6:7]
	v_and_b32_e32 v13, v1, v38
	v_bfe_u32 v1, v1, v37, 2
	v_cndmask_b32_e64 v2, -1, v2, s[20:21]
	v_and_b32_e32 v15, v4, v38
	v_bfe_u32 v4, v4, v37, 2
	v_cmp_eq_u32_e64 s[6:7], v13, v29
	v_cmp_eq_u32_e64 s[26:27], 0, v1
	v_cndmask_b32_e64 v3, -1, v3, s[22:23]
	v_and_b32_e32 v16, v2, v38
	v_bfe_u32 v2, v2, v37, 2
	v_cmp_eq_u32_e64 s[20:21], v15, v29
	v_cmp_eq_u32_e64 s[28:29], 0, v4
	s_and_b64 s[26:27], s[6:7], s[26:27]
	v_and_b32_e32 v17, v3, v38
	v_bfe_u32 v3, v3, v37, 2
	v_cmp_eq_u32_e64 s[22:23], v16, v29
	v_cmp_eq_u32_e64 s[30:31], 0, v2
	;; [unrolled: 1-line block ×5, first 2 shown]
	v_cndmask_b32_e64 v1, 0, 1, s[26:27]
	s_and_b64 s[26:27], s[20:21], s[28:29]
	v_cmp_eq_u32_e64 s[24:25], v17, v29
	v_cmp_eq_u32_e64 s[34:35], 0, v3
	;; [unrolled: 1-line block ×5, first 2 shown]
	v_cndmask_b32_e64 v2, 0, 1, s[26:27]
	s_and_b64 s[26:27], s[22:23], s[30:31]
	v_cmp_eq_u32_e64 s[42:43], 1, v3
	v_cmp_eq_u32_e64 s[50:51], 2, v3
	;; [unrolled: 1-line block ×3, first 2 shown]
	v_cndmask_b32_e64 v3, 0, 1, s[26:27]
	s_and_b64 s[26:27], s[24:25], s[34:35]
	v_cmp_eq_u32_e64 s[38:39], 1, v4
	v_cmp_eq_u32_e64 s[46:47], 2, v4
	;; [unrolled: 1-line block ×3, first 2 shown]
	v_cndmask_b32_e64 v4, 0, 1, s[26:27]
	s_and_b64 s[26:27], s[6:7], s[36:37]
	v_cndmask_b32_e64 v13, 0, 1, s[26:27]
	s_and_b64 s[26:27], s[20:21], s[38:39]
	;; [unrolled: 2-line block ×5, first 2 shown]
	s_and_b64 s[6:7], s[6:7], s[52:53]
	v_cndmask_b32_e64 v18, 0, 1, s[26:27]
	s_and_b64 s[26:27], s[20:21], s[46:47]
	v_cndmask_b32_e64 v43, 0, 1, s[6:7]
	;; [unrolled: 2-line block ×7, first 2 shown]
	v_cndmask_b32_e64 v46, 0, 1, s[6:7]
	v_cmp_ne_u32_e64 s[6:7], 0, v1
	v_cmp_ne_u32_e64 s[20:21], 0, v2
	;; [unrolled: 1-line block ×11, first 2 shown]
	s_bcnt1_i32_b64 s1, s[6:7]
	s_bcnt1_i32_b64 s6, s[20:21]
	;; [unrolled: 1-line block ×8, first 2 shown]
	v_cmp_ne_u32_e64 s[40:41], 0, v41
	v_cmp_ne_u32_e64 s[48:49], 0, v45
	s_bcnt1_i32_b64 s23, s[30:31]
	s_bcnt1_i32_b64 s26, s[38:39]
	;; [unrolled: 1-line block ×3, first 2 shown]
	s_add_i32 s0, s0, s1
	s_add_i32 s1, s19, s21
	s_add_i32 s18, s18, s25
	s_add_i32 s19, s90, s29
	v_cmp_ne_u32_e64 s[34:35], 0, v17
	v_cmp_ne_u32_e64 s[42:43], 0, v42
	;; [unrolled: 1-line block ×3, first 2 shown]
	s_bcnt1_i32_b64 s27, s[40:41]
	s_bcnt1_i32_b64 s31, s[48:49]
	s_add_i32 s0, s0, s6
	s_add_i32 s1, s1, s22
	;; [unrolled: 1-line block ×4, first 2 shown]
	s_bcnt1_i32_b64 s24, s[34:35]
	s_bcnt1_i32_b64 s28, s[42:43]
	;; [unrolled: 1-line block ×3, first 2 shown]
	s_add_i32 s0, s0, s7
	s_add_i32 s1, s1, s23
	;; [unrolled: 1-line block ×8, first 2 shown]
	s_or_b64 s[72:73], vcc, s[72:73]
	v_mov_b32_e32 v1, s0
	v_mov_b32_e32 v2, s19
	v_mov_b32_e32 v3, s18
	v_mov_b32_e32 v4, s90
	s_andn2_b64 exec, exec, s[72:73]
	s_cbranch_execnz .LBB50_49
; %bb.50:                               ;   in Loop: Header=BB50_7 Depth=1
	s_or_b64 exec, exec, s[72:73]
	s_or_b64 exec, exec, s[66:67]
	v_mov_b32_e32 v13, 0
	s_and_saveexec_b64 s[6:7], s[12:13]
	s_cbranch_execz .LBB50_47
.LBB50_51:                              ;   in Loop: Header=BB50_7 Depth=1
	global_load_dword v13, v[10:11], off
	s_or_b64 exec, exec, s[6:7]
	s_and_saveexec_b64 s[20:21], s[14:15]
	s_cbranch_execz .LBB50_57
.LBB50_52:                              ;   in Loop: Header=BB50_7 Depth=1
	s_mov_b64 s[22:23], 0
	v_mov_b32_e32 v15, v33
	v_mov_b32_e32 v6, v27
	s_branch .LBB50_54
.LBB50_53:                              ;   in Loop: Header=BB50_54 Depth=2
	s_or_b64 exec, exec, s[6:7]
	s_waitcnt vmcnt(0)
	v_cmp_lt_i32_e32 vcc, -1, v13
	v_cndmask_b32_e32 v17, -1, v36, vcc
	v_xor_b32_e32 v17, v17, v13
	v_cmp_o_f32_e32 vcc, v13, v13
	v_cndmask_b32_e32 v13, -1, v17, vcc
	v_and_b32_e32 v17, v13, v38
	v_bfe_u32 v13, v13, v37, 2
	v_cmp_eq_u32_e32 vcc, v17, v29
	v_cmp_eq_u32_e64 s[6:7], 0, v13
	s_and_b64 s[0:1], vcc, s[6:7]
	v_cndmask_b32_e64 v17, 0, 1, s[0:1]
	v_cmp_ne_u32_e64 s[6:7], 0, v17
	s_bcnt1_i32_b64 s0, s[6:7]
	v_cmp_eq_u32_e64 s[6:7], 1, v13
	v_add_u32_e32 v1, s0, v1
	s_and_b64 s[0:1], vcc, s[6:7]
	v_cndmask_b32_e64 v17, 0, 1, s[0:1]
	v_cmp_ne_u32_e64 s[6:7], 0, v17
	s_bcnt1_i32_b64 s0, s[6:7]
	v_cmp_eq_u32_e64 s[6:7], 2, v13
	v_add_u32_e32 v2, s0, v2
	;; [unrolled: 6-line block ×3, first 2 shown]
	s_and_b64 s[0:1], vcc, s[6:7]
	v_cndmask_b32_e64 v13, 0, 1, s[0:1]
	v_cmp_ne_u32_e32 vcc, 0, v13
	s_bcnt1_i32_b64 s0, vcc
	v_cmp_le_i32_e32 vcc, s68, v6
	v_add_u32_e32 v4, s0, v4
	v_add_u32_e32 v15, s33, v15
	s_or_b64 s[22:23], vcc, s[22:23]
	v_mov_b32_e32 v13, v16
	s_andn2_b64 exec, exec, s[22:23]
	s_cbranch_execz .LBB50_56
.LBB50_54:                              ;   Parent Loop BB50_7 Depth=1
                                        ; =>  This Inner Loop Header: Depth=2
	v_add_u32_e32 v6, s76, v6
	v_cmp_gt_u32_e32 vcc, s68, v6
	v_mov_b32_e32 v16, 0
	s_and_saveexec_b64 s[6:7], vcc
	s_cbranch_execz .LBB50_53
; %bb.55:                               ;   in Loop: Header=BB50_54 Depth=2
	v_ashrrev_i32_e32 v16, 31, v15
	v_lshlrev_b64 v[16:17], 2, v[15:16]
	v_mov_b32_e32 v18, s77
	v_add_co_u32_e32 v16, vcc, s70, v16
	v_addc_co_u32_e32 v17, vcc, v18, v17, vcc
	global_load_dword v16, v[16:17], off
	s_branch .LBB50_53
.LBB50_56:                              ;   in Loop: Header=BB50_7 Depth=1
	s_or_b64 exec, exec, s[22:23]
.LBB50_57:                              ;   in Loop: Header=BB50_7 Depth=1
	s_or_b64 exec, exec, s[20:21]
	s_branch .LBB50_37
.LBB50_58:                              ;   in Loop: Header=BB50_7 Depth=1
	s_mul_hi_u32 s0, s69, s88
	s_mul_i32 s0, s0, s8
	s_sub_i32 s0, s69, s0
	s_sub_i32 s1, s0, s8
	s_cmp_ge_u32 s0, s8
	s_cselect_b32 s0, s1, s0
	s_sub_i32 s1, s0, s8
	s_cmp_ge_u32 s0, s8
	s_cselect_b32 s0, s1, s0
	s_sub_i32 s0, s69, s0
	v_cmp_gt_u32_e32 vcc, s0, v19
	v_mov_b32_e32 v1, 0
	v_mov_b32_e32 v2, 0
	;; [unrolled: 1-line block ×4, first 2 shown]
	s_and_saveexec_b64 s[66:67], vcc
	s_cbranch_execz .LBB50_62
; %bb.59:                               ;   in Loop: Header=BB50_7 Depth=1
	s_mov_b32 s1, 0
	s_mov_b64 s[72:73], 0
	v_mov_b32_e32 v6, v34
	s_mov_b32 s9, 0
	s_mov_b32 s18, 0
	;; [unrolled: 1-line block ×3, first 2 shown]
	s_waitcnt vmcnt(0)
	v_mov_b32_e32 v13, v19
.LBB50_60:                              ;   Parent Loop BB50_7 Depth=1
                                        ; =>  This Inner Loop Header: Depth=2
	ds_read_b128 v[1:4], v6
	v_add_u32_e32 v13, s8, v13
	v_cmp_le_i32_e32 vcc, s0, v13
	v_add_u32_e32 v6, s17, v6
	s_waitcnt lgkmcnt(0)
	v_cmp_lt_i32_e64 s[6:7], -1, v1
	v_cndmask_b32_e64 v15, -1, v36, s[6:7]
	v_cmp_lt_i32_e64 s[6:7], -1, v2
	v_cndmask_b32_e64 v16, -1, v36, s[6:7]
	;; [unrolled: 2-line block ×4, first 2 shown]
	v_xor_b32_e32 v16, v16, v2
	v_cmp_o_f32_e64 s[6:7], v2, v2
	v_xor_b32_e32 v2, v17, v3
	v_cmp_o_f32_e64 s[20:21], v3, v3
	;; [unrolled: 2-line block ×4, first 2 shown]
	v_cndmask_b32_e64 v1, -1, v4, s[24:25]
	v_cndmask_b32_e64 v4, -1, v16, s[6:7]
	v_and_b32_e32 v15, v1, v38
	v_bfe_u32 v1, v1, v37, 2
	v_cndmask_b32_e64 v2, -1, v2, s[20:21]
	v_and_b32_e32 v16, v4, v38
	v_bfe_u32 v4, v4, v37, 2
	v_cmp_eq_u32_e64 s[6:7], v15, v29
	v_cmp_eq_u32_e64 s[26:27], 0, v1
	v_cndmask_b32_e64 v3, -1, v3, s[22:23]
	v_and_b32_e32 v17, v2, v38
	v_bfe_u32 v2, v2, v37, 2
	v_cmp_eq_u32_e64 s[20:21], v16, v29
	v_cmp_eq_u32_e64 s[28:29], 0, v4
	s_and_b64 s[26:27], s[6:7], s[26:27]
	v_and_b32_e32 v18, v3, v38
	v_bfe_u32 v3, v3, v37, 2
	v_cmp_eq_u32_e64 s[22:23], v17, v29
	v_cmp_eq_u32_e64 s[30:31], 0, v2
	;; [unrolled: 1-line block ×5, first 2 shown]
	v_cndmask_b32_e64 v1, 0, 1, s[26:27]
	s_and_b64 s[26:27], s[20:21], s[28:29]
	v_cmp_eq_u32_e64 s[24:25], v18, v29
	v_cmp_eq_u32_e64 s[34:35], 0, v3
	;; [unrolled: 1-line block ×5, first 2 shown]
	v_cndmask_b32_e64 v2, 0, 1, s[26:27]
	s_and_b64 s[26:27], s[22:23], s[30:31]
	v_cmp_eq_u32_e64 s[42:43], 1, v3
	v_cmp_eq_u32_e64 s[50:51], 2, v3
	;; [unrolled: 1-line block ×3, first 2 shown]
	v_cndmask_b32_e64 v3, 0, 1, s[26:27]
	s_and_b64 s[26:27], s[24:25], s[34:35]
	v_cmp_eq_u32_e64 s[38:39], 1, v4
	v_cmp_eq_u32_e64 s[46:47], 2, v4
	;; [unrolled: 1-line block ×3, first 2 shown]
	v_cndmask_b32_e64 v4, 0, 1, s[26:27]
	s_and_b64 s[26:27], s[6:7], s[36:37]
	v_cndmask_b32_e64 v15, 0, 1, s[26:27]
	s_and_b64 s[26:27], s[20:21], s[38:39]
	;; [unrolled: 2-line block ×5, first 2 shown]
	s_and_b64 s[6:7], s[6:7], s[52:53]
	v_cndmask_b32_e64 v40, 0, 1, s[26:27]
	s_and_b64 s[26:27], s[20:21], s[46:47]
	v_cndmask_b32_e64 v44, 0, 1, s[6:7]
	;; [unrolled: 2-line block ×7, first 2 shown]
	v_cndmask_b32_e64 v47, 0, 1, s[6:7]
	v_cmp_ne_u32_e64 s[6:7], 0, v1
	v_cmp_ne_u32_e64 s[20:21], 0, v2
	;; [unrolled: 1-line block ×11, first 2 shown]
	s_bcnt1_i32_b64 s6, s[6:7]
	s_bcnt1_i32_b64 s7, s[20:21]
	;; [unrolled: 1-line block ×8, first 2 shown]
	v_cmp_ne_u32_e64 s[34:35], 0, v18
	v_cmp_ne_u32_e64 s[40:41], 0, v42
	;; [unrolled: 1-line block ×3, first 2 shown]
	s_bcnt1_i32_b64 s23, s[28:29]
	s_bcnt1_i32_b64 s27, s[38:39]
	;; [unrolled: 1-line block ×3, first 2 shown]
	s_add_i32 s6, s19, s6
	s_add_i32 s18, s18, s22
	;; [unrolled: 1-line block ×4, first 2 shown]
	v_cmp_ne_u32_e64 s[42:43], 0, v43
	v_cmp_ne_u32_e64 s[50:51], 0, v47
	s_bcnt1_i32_b64 s25, s[34:35]
	s_bcnt1_i32_b64 s28, s[40:41]
	;; [unrolled: 1-line block ×3, first 2 shown]
	s_add_i32 s6, s6, s7
	s_add_i32 s7, s18, s23
	;; [unrolled: 1-line block ×4, first 2 shown]
	s_bcnt1_i32_b64 s29, s[42:43]
	s_bcnt1_i32_b64 s35, s[50:51]
	s_add_i32 s6, s6, s20
	s_add_i32 s7, s7, s24
	;; [unrolled: 1-line block ×8, first 2 shown]
	s_or_b64 s[72:73], vcc, s[72:73]
	v_mov_b32_e32 v1, s19
	v_mov_b32_e32 v2, s18
	;; [unrolled: 1-line block ×4, first 2 shown]
	s_andn2_b64 exec, exec, s[72:73]
	s_cbranch_execnz .LBB50_60
; %bb.61:                               ;   in Loop: Header=BB50_7 Depth=1
	s_or_b64 exec, exec, s[72:73]
.LBB50_62:                              ;   in Loop: Header=BB50_7 Depth=1
	s_or_b64 exec, exec, s[66:67]
	v_add_u32_e32 v6, s0, v0
	v_cmp_gt_i32_e32 vcc, s69, v6
	s_and_saveexec_b64 s[28:29], vcc
	s_cbranch_execz .LBB50_66
; %bb.63:                               ;   in Loop: Header=BB50_7 Depth=1
	s_waitcnt vmcnt(0)
	v_lshlrev_b32_e32 v13, 2, v6
	s_mov_b64 s[30:31], 0
.LBB50_64:                              ;   Parent Loop BB50_7 Depth=1
                                        ; =>  This Inner Loop Header: Depth=2
	ds_read_b32 v15, v13
	v_add_u32_e32 v6, s76, v6
	v_cmp_le_i32_e32 vcc, s69, v6
	v_add_u32_e32 v13, s8, v13
	s_waitcnt lgkmcnt(0)
	v_cmp_lt_i32_e64 s[6:7], -1, v15
	v_cndmask_b32_e64 v16, -1, v36, s[6:7]
	v_xor_b32_e32 v16, v16, v15
	v_cmp_o_f32_e64 s[6:7], v15, v15
	v_cndmask_b32_e64 v15, -1, v16, s[6:7]
	v_and_b32_e32 v16, v15, v38
	v_bfe_u32 v15, v15, v37, 2
	v_cmp_eq_u32_e64 s[6:7], v16, v29
	v_cmp_eq_u32_e64 s[20:21], 0, v15
	;; [unrolled: 1-line block ×3, first 2 shown]
	s_and_b64 s[0:1], s[6:7], s[20:21]
	v_cmp_eq_u32_e64 s[24:25], 2, v15
	v_cmp_eq_u32_e64 s[26:27], 3, v15
	v_cndmask_b32_e64 v15, 0, 1, s[0:1]
	s_and_b64 s[0:1], s[6:7], s[22:23]
	v_cndmask_b32_e64 v16, 0, 1, s[0:1]
	s_and_b64 s[0:1], s[6:7], s[24:25]
	v_cndmask_b32_e64 v17, 0, 1, s[0:1]
	s_and_b64 s[0:1], s[6:7], s[26:27]
	v_cndmask_b32_e64 v18, 0, 1, s[0:1]
	v_cmp_ne_u32_e64 s[6:7], 0, v15
	v_cmp_ne_u32_e64 s[20:21], 0, v16
	v_cmp_ne_u32_e64 s[22:23], 0, v17
	v_cmp_ne_u32_e64 s[24:25], 0, v18
	s_bcnt1_i32_b64 s0, s[6:7]
	s_bcnt1_i32_b64 s1, s[20:21]
	s_bcnt1_i32_b64 s6, s[22:23]
	s_bcnt1_i32_b64 s7, s[24:25]
	v_add_u32_e32 v1, s0, v1
	v_add_u32_e32 v2, s1, v2
	;; [unrolled: 1-line block ×3, first 2 shown]
	s_or_b64 s[30:31], vcc, s[30:31]
	v_add_u32_e32 v4, s7, v4
	s_andn2_b64 exec, exec, s[30:31]
	s_cbranch_execnz .LBB50_64
; %bb.65:                               ;   in Loop: Header=BB50_7 Depth=1
	s_or_b64 exec, exec, s[30:31]
.LBB50_66:                              ;   in Loop: Header=BB50_7 Depth=1
	s_or_b64 exec, exec, s[28:29]
	s_lshl_b32 s0, s86, 6
	s_and_saveexec_b64 s[6:7], s[2:3]
	s_cbranch_execnz .LBB50_38
	s_branch .LBB50_39
.LBB50_67:                              ;   in Loop: Header=BB50_7 Depth=1
	s_or_b64 exec, exec, s[22:23]
	s_waitcnt lgkmcnt(0)
	s_barrier
	s_mov_b64 s[6:7], exec
	v_readlane_b32 s0, v48, 18
	v_readlane_b32 s1, v48, 19
	s_and_b64 s[0:1], s[6:7], s[0:1]
	s_mov_b64 exec, s[0:1]
	s_cbranch_execz .LBB50_69
; %bb.68:                               ;   in Loop: Header=BB50_7 Depth=1
	ds_read_b32 v1, v7 offset:4104
	s_waitcnt lgkmcnt(0)
	ds_write_b32 v7, v1 offset:4096
.LBB50_69:                              ;   in Loop: Header=BB50_7 Depth=1
	s_or_b64 exec, exec, s[6:7]
	s_waitcnt lgkmcnt(0)
	s_barrier
	s_mov_b64 s[6:7], -1
	s_and_b64 vcc, exec, s[20:21]
	s_cbranch_vccnz .LBB50_23
	s_branch .LBB50_33
.LBB50_70:                              ;   in Loop: Header=BB50_7 Depth=1
	v_mov_b32_e32 v1, 0
	s_mov_b32 s1, 0
.LBB50_71:                              ;   in Loop: Header=BB50_7 Depth=1
	v_readlane_b32 s18, v48, 41
	v_readlane_b32 s19, v48, 42
	s_andn2_b64 vcc, exec, s[18:19]
	s_cbranch_vccnz .LBB50_74
; %bb.72:                               ;   in Loop: Header=BB50_7 Depth=1
	s_lshl_b32 s9, s86, 8
	s_lshl_b32 s1, s1, 4
	s_add_i32 s9, s9, s1
	v_add_u32_e32 v2, s9, v35
	v_readlane_b32 s1, v48, 40
.LBB50_73:                              ;   Parent Loop BB50_7 Depth=1
                                        ; =>  This Inner Loop Header: Depth=2
	ds_read_b32 v3, v2
	s_add_i32 s1, s1, -1
	v_add_u32_e32 v2, 16, v2
	s_cmp_lg_u32 s1, 0
	s_waitcnt lgkmcnt(0)
	v_add_u32_e32 v1, v3, v1
	s_cbranch_scc1 .LBB50_73
.LBB50_74:                              ;   in Loop: Header=BB50_7 Depth=1
	v_add_lshl_u32 v2, s0, v20, 2
	ds_write_b32 v2, v1 offset:3072
.LBB50_75:                              ;   in Loop: Header=BB50_7 Depth=1
	s_or_b64 exec, exec, s[6:7]
	s_lshl_b32 s0, s0, 2
	v_mov_b32_e32 v1, s0
	s_waitcnt lgkmcnt(0)
	s_barrier
	ds_read_b128 v[1:4], v1 offset:3072
	v_cmp_eq_u32_e32 vcc, 1, v39
	s_mov_b64 s[20:21], -1
	s_mov_b64 s[28:29], -1
                                        ; implicit-def: $sgpr26_sgpr27
                                        ; implicit-def: $sgpr24_sgpr25
	s_waitcnt lgkmcnt(0)
	v_readfirstlane_b32 s42, v1
	s_cmp_eq_u32 s42, 1
	v_readfirstlane_b32 s54, v3
	v_lshlrev_b32_e64 v3, v37, 3
	s_cselect_b64 s[0:1], -1, 0
	v_readfirstlane_b32 s46, v2
	v_readfirstlane_b32 s69, v4
	v_not_b32_e32 v6, v3
	s_and_b64 s[22:23], s[0:1], vcc
	s_and_saveexec_b64 s[6:7], s[22:23]
	s_cbranch_execz .LBB50_103
; %bb.76:                               ;   in Loop: Header=BB50_7 Depth=1
	ds_read_b32 v1, v7 offset:4096
	s_waitcnt lgkmcnt(0)
	s_barrier
	v_readfirstlane_b32 s0, v1
	s_and_saveexec_b64 s[24:25], s[4:5]
; %bb.77:                               ;   in Loop: Header=BB50_7 Depth=1
	ds_write_b32 v21, v7
; %bb.78:                               ;   in Loop: Header=BB50_7 Depth=1
	s_or_b64 exec, exec, s[24:25]
	v_and_b32_e32 v29, v29, v6
	v_or_b32_e32 v38, v38, v3
	s_mov_b64 s[24:25], -1
	s_mov_b64 s[26:27], 0
	s_cmp_lt_i32 s0, 1
	s_mov_b64 s[28:29], 0
	s_mov_b64 s[30:31], -1
	s_waitcnt lgkmcnt(0)
	s_barrier
                                        ; implicit-def: $vgpr14
	s_cbranch_scc0 .LBB50_90
; %bb.79:                               ;   in Loop: Header=BB50_7 Depth=1
	s_mov_b64 s[30:31], 0
                                        ; implicit-def: $vgpr14
	s_mov_b64 s[34:35], exec
	v_readlane_b32 s18, v48, 44
	v_readlane_b32 s19, v48, 45
	s_and_b64 s[18:19], s[34:35], s[18:19]
	s_mov_b64 exec, s[18:19]
	s_cbranch_execz .LBB50_89
; %bb.80:                               ;   in Loop: Header=BB50_7 Depth=1
	v_mov_b32_e32 v1, v5
	v_mov_b32_e32 v4, v0
                                        ; implicit-def: $sgpr36_sgpr37
	s_branch .LBB50_84
.LBB50_81:                              ;   in Loop: Header=BB50_84 Depth=2
	s_or_b64 exec, exec, s[38:39]
	s_waitcnt lgkmcnt(0)
	s_barrier
	ds_read_b64 v[13:14], v7 offset:3072
	s_waitcnt lgkmcnt(0)
	s_barrier
	v_cmp_neq_f32_e32 vcc, 0, v13
	s_cbranch_vccnz .LBB50_87
; %bb.82:                               ;   in Loop: Header=BB50_84 Depth=2
	v_add_u32_e32 v4, s76, v4
	v_cmp_le_i32_e32 vcc, s91, v4
	v_add_u32_e32 v1, s33, v1
	s_mov_b64 s[38:39], 0
	s_orn2_b64 s[40:41], vcc, exec
.LBB50_83:                              ;   in Loop: Header=BB50_84 Depth=2
	s_and_b64 s[18:19], exec, s[40:41]
	s_or_b64 s[28:29], s[18:19], s[28:29]
	s_andn2_b64 s[18:19], s[36:37], exec
	s_and_b64 s[36:37], s[38:39], exec
	s_or_b64 s[36:37], s[18:19], s[36:37]
	s_andn2_b64 exec, exec, s[28:29]
	s_cbranch_execz .LBB50_88
.LBB50_84:                              ;   Parent Loop BB50_7 Depth=1
                                        ; =>  This Inner Loop Header: Depth=2
	v_cmp_gt_i32_e32 vcc, s68, v4
	s_and_saveexec_b64 s[38:39], vcc
	s_cbranch_execz .LBB50_81
; %bb.85:                               ;   in Loop: Header=BB50_84 Depth=2
	v_ashrrev_i32_e32 v2, 31, v1
	v_lshlrev_b64 v[13:14], 2, v[1:2]
	v_mov_b32_e32 v2, s77
	v_add_co_u32_e32 v13, vcc, s70, v13
	v_addc_co_u32_e32 v14, vcc, v2, v14, vcc
	global_load_dword v13, v[13:14], off
	s_waitcnt vmcnt(0)
	v_cmp_lt_i32_e32 vcc, -1, v13
	v_cndmask_b32_e32 v2, -1, v36, vcc
	v_xor_b32_e32 v2, v2, v13
	v_cmp_o_f32_e32 vcc, v13, v13
	v_cndmask_b32_e32 v2, -1, v2, vcc
	v_and_b32_e32 v2, v2, v38
	v_cmp_eq_u32_e32 vcc, v2, v29
	s_and_b64 exec, exec, vcc
	s_cbranch_execz .LBB50_81
; %bb.86:                               ;   in Loop: Header=BB50_84 Depth=2
	ds_write_b64 v7, v[12:13] offset:3072
	s_branch .LBB50_81
.LBB50_87:                              ;   in Loop: Header=BB50_84 Depth=2
	s_mov_b64 s[40:41], -1
                                        ; implicit-def: $vgpr4
                                        ; implicit-def: $vgpr1
	s_mov_b64 s[38:39], -1
	s_branch .LBB50_83
.LBB50_88:                              ;   in Loop: Header=BB50_7 Depth=1
	s_or_b64 exec, exec, s[28:29]
	s_and_b64 s[28:29], s[36:37], exec
.LBB50_89:                              ;   in Loop: Header=BB50_7 Depth=1
	s_or_b64 exec, exec, s[34:35]
.LBB50_90:                              ;   in Loop: Header=BB50_7 Depth=1
	s_and_b64 vcc, exec, s[30:31]
	s_cbranch_vccz .LBB50_102
; %bb.91:                               ;   in Loop: Header=BB50_7 Depth=1
	v_readlane_b32 s1, v48, 31
	s_add_i32 s1, s0, s1
	s_abs_i32 s18, s1
	v_readlane_b32 s19, v48, 43
	s_mul_hi_u32 s19, s18, s19
	s_mul_i32 s19, s19, s76
	s_sub_i32 s18, s18, s19
	s_ashr_i32 s9, s1, 31
	s_sub_i32 s19, s18, s76
	s_cmp_ge_u32 s18, s76
	s_cselect_b32 s18, s19, s18
	s_sub_i32 s19, s18, s76
	s_cmp_ge_u32 s18, s76
	s_cselect_b32 s18, s19, s18
	s_xor_b32 s18, s18, s9
	s_sub_i32 s9, s9, s18
	s_add_i32 s1, s1, s9
	v_cmp_gt_i32_e32 vcc, s1, v0
                                        ; implicit-def: $vgpr14
	s_and_saveexec_b64 s[24:25], vcc
	s_cbranch_execz .LBB50_101
; %bb.92:                               ;   in Loop: Header=BB50_7 Depth=1
	s_mov_b64 s[26:27], 0
	v_mov_b32_e32 v1, v19
	v_mov_b32_e32 v2, v0
                                        ; implicit-def: $sgpr30_sgpr31
	s_branch .LBB50_96
.LBB50_93:                              ;   in Loop: Header=BB50_96 Depth=2
	s_or_b64 exec, exec, s[34:35]
	s_waitcnt lgkmcnt(0)
	s_barrier
	ds_read_b64 v[13:14], v7 offset:3072
	s_waitcnt lgkmcnt(0)
	s_barrier
	v_cmp_neq_f32_e32 vcc, 0, v13
	s_cbranch_vccnz .LBB50_99
; %bb.94:                               ;   in Loop: Header=BB50_96 Depth=2
	v_add_u32_e32 v2, s76, v2
	v_cmp_le_i32_e32 vcc, s1, v2
	v_add_u32_e32 v1, s8, v1
	s_mov_b64 s[34:35], 0
	s_orn2_b64 s[36:37], vcc, exec
.LBB50_95:                              ;   in Loop: Header=BB50_96 Depth=2
	s_and_b64 s[18:19], exec, s[36:37]
	s_or_b64 s[26:27], s[18:19], s[26:27]
	s_andn2_b64 s[18:19], s[30:31], exec
	s_and_b64 s[30:31], s[34:35], exec
	s_or_b64 s[30:31], s[18:19], s[30:31]
	s_andn2_b64 exec, exec, s[26:27]
	s_cbranch_execz .LBB50_100
.LBB50_96:                              ;   Parent Loop BB50_7 Depth=1
                                        ; =>  This Inner Loop Header: Depth=2
	v_cmp_gt_i32_e32 vcc, s0, v2
	s_and_saveexec_b64 s[34:35], vcc
	s_cbranch_execz .LBB50_93
; %bb.97:                               ;   in Loop: Header=BB50_96 Depth=2
	ds_read_b32 v13, v1
	s_waitcnt lgkmcnt(0)
	v_cmp_lt_i32_e32 vcc, -1, v13
	v_cndmask_b32_e32 v4, -1, v36, vcc
	v_xor_b32_e32 v4, v4, v13
	v_cmp_o_f32_e32 vcc, v13, v13
	v_cndmask_b32_e32 v4, -1, v4, vcc
	v_and_b32_e32 v4, v4, v38
	v_cmp_eq_u32_e32 vcc, v4, v29
	s_and_b64 exec, exec, vcc
	s_cbranch_execz .LBB50_93
; %bb.98:                               ;   in Loop: Header=BB50_96 Depth=2
	ds_write_b64 v7, v[12:13] offset:3072
	s_branch .LBB50_93
.LBB50_99:                              ;   in Loop: Header=BB50_96 Depth=2
	s_mov_b64 s[36:37], -1
                                        ; implicit-def: $vgpr2
                                        ; implicit-def: $vgpr1
	s_mov_b64 s[34:35], -1
	s_branch .LBB50_95
.LBB50_100:                             ;   in Loop: Header=BB50_7 Depth=1
	s_or_b64 exec, exec, s[26:27]
	s_andn2_b64 s[0:1], s[28:29], exec
	s_and_b64 s[18:19], s[30:31], exec
	s_or_b64 s[28:29], s[0:1], s[18:19]
.LBB50_101:                             ;   in Loop: Header=BB50_7 Depth=1
	s_or_b64 exec, exec, s[24:25]
	s_mov_b64 s[24:25], 0
	s_mov_b64 s[26:27], -1
.LBB50_102:                             ;   in Loop: Header=BB50_7 Depth=1
	s_orn2_b64 s[28:29], s[28:29], exec
.LBB50_103:                             ;   in Loop: Header=BB50_7 Depth=1
	s_or_b64 exec, exec, s[6:7]
	s_andn2_b64 s[6:7], s[64:65], exec
	s_and_b64 s[18:19], s[26:27], exec
	s_or_b64 s[64:65], s[6:7], s[18:19]
	s_andn2_b64 s[6:7], s[62:63], exec
	s_and_b64 s[18:19], s[24:25], exec
	v_readfirstlane_b32 s0, v0
	s_andn2_b64 s[60:61], s[60:61], exec
	s_or_b64 s[62:63], s[6:7], s[18:19]
                                        ; implicit-def: $vgpr15
	s_and_saveexec_b64 s[6:7], s[28:29]
	s_cbranch_execz .LBB50_6
; %bb.104:                              ;   in Loop: Header=BB50_7 Depth=1
	s_xor_b64 s[0:1], s[22:23], -1
	s_mov_b64 s[22:23], 0
	v_mov_b32_e32 v15, 1
	v_mov_b32_e32 v4, 1
	s_and_saveexec_b64 s[20:21], s[0:1]
	s_cbranch_execz .LBB50_113
; %bb.105:                              ;   in Loop: Header=BB50_7 Depth=1
	v_cmp_ge_i32_e32 vcc, s42, v39
	s_and_saveexec_b64 s[0:1], vcc
	s_xor_b64 s[22:23], exec, s[0:1]
	s_cbranch_execz .LBB50_110
; %bb.106:                              ;   in Loop: Header=BB50_7 Depth=1
	ds_read_b32 v1, v7 offset:4096
	v_and_b32_e32 v29, v29, v6
	v_or_b32_e32 v38, v38, v3
	s_waitcnt lgkmcnt(0)
	v_cmp_ne_u32_e32 vcc, 0, v1
	s_cbranch_vccnz .LBB50_110
; %bb.107:                              ;   in Loop: Header=BB50_7 Depth=1
	s_mov_b64 s[24:25], exec
	v_readlane_b32 s0, v48, 18
	v_readlane_b32 s1, v48, 19
	s_and_b64 s[0:1], s[24:25], s[0:1]
	s_mov_b64 exec, s[0:1]
; %bb.108:                              ;   in Loop: Header=BB50_7 Depth=1
	v_mov_b32_e32 v1, s42
	ds_write_b32 v7, v1 offset:4100
; %bb.109:                              ;   in Loop: Header=BB50_7 Depth=1
	s_or_b64 exec, exec, s[24:25]
	s_waitcnt lgkmcnt(0)
	s_barrier
.LBB50_110:                             ;   in Loop: Header=BB50_7 Depth=1
	s_or_saveexec_b64 s[22:23], s[22:23]
	s_mov_b64 s[24:25], 0
	v_mov_b32_e32 v4, 8
	s_xor_b64 exec, exec, s[22:23]
; %bb.111:                              ;   in Loop: Header=BB50_7 Depth=1
	s_mov_b64 s[24:25], exec
	v_subrev_u32_e32 v39, s42, v39
	v_mov_b32_e32 v4, 0
; %bb.112:                              ;   in Loop: Header=BB50_7 Depth=1
	s_or_b64 exec, exec, s[22:23]
	s_and_b64 s[22:23], s[24:25], exec
	v_mov_b32_e32 v15, v39
.LBB50_113:                             ;   in Loop: Header=BB50_7 Depth=1
	s_or_b64 exec, exec, s[20:21]
	s_mov_b64 s[20:21], -1
	s_mov_b64 s[28:29], -1
                                        ; implicit-def: $sgpr24_sgpr25
                                        ; implicit-def: $sgpr26_sgpr27
	s_and_saveexec_b64 s[0:1], s[22:23]
	s_xor_b64 s[22:23], exec, s[0:1]
	s_cbranch_execz .LBB50_236
; %bb.114:                              ;   in Loop: Header=BB50_7 Depth=1
	s_cmp_eq_u32 s46, 1
	s_cselect_b64 s[0:1], -1, 0
	v_cmp_eq_u32_e32 vcc, 1, v15
	s_and_b64 s[30:31], s[0:1], vcc
	s_mov_b64 s[34:35], -1
                                        ; implicit-def: $sgpr26_sgpr27
                                        ; implicit-def: $sgpr24_sgpr25
	s_and_saveexec_b64 s[28:29], s[30:31]
	s_cbranch_execz .LBB50_142
; %bb.115:                              ;   in Loop: Header=BB50_7 Depth=1
	ds_read_b32 v1, v7 offset:4096
	s_waitcnt lgkmcnt(0)
	s_barrier
	v_readfirstlane_b32 s0, v1
	s_and_saveexec_b64 s[24:25], s[4:5]
; %bb.116:                              ;   in Loop: Header=BB50_7 Depth=1
	ds_write_b32 v21, v7
; %bb.117:                              ;   in Loop: Header=BB50_7 Depth=1
	s_or_b64 exec, exec, s[24:25]
	v_and_b32_e32 v1, v29, v6
	v_lshl_or_b32 v29, 1, v37, v1
	v_or_b32_e32 v38, v38, v3
	s_mov_b64 s[24:25], -1
	s_mov_b64 s[26:27], 0
	s_cmp_gt_i32 s0, 0
	s_mov_b64 s[34:35], 0
	s_mov_b64 s[36:37], -1
	s_waitcnt lgkmcnt(0)
	s_barrier
                                        ; implicit-def: $vgpr14
	s_cbranch_scc1 .LBB50_129
; %bb.118:                              ;   in Loop: Header=BB50_7 Depth=1
	s_mov_b64 s[36:37], 0
                                        ; implicit-def: $vgpr14
	s_mov_b64 s[38:39], exec
	v_readlane_b32 s18, v48, 44
	v_readlane_b32 s19, v48, 45
	s_and_b64 s[18:19], s[38:39], s[18:19]
	s_mov_b64 exec, s[18:19]
	s_cbranch_execz .LBB50_128
; %bb.119:                              ;   in Loop: Header=BB50_7 Depth=1
	v_mov_b32_e32 v1, v5
	v_mov_b32_e32 v16, v0
                                        ; implicit-def: $sgpr40_sgpr41
	s_branch .LBB50_123
.LBB50_120:                             ;   in Loop: Header=BB50_123 Depth=2
	s_or_b64 exec, exec, s[42:43]
	s_waitcnt lgkmcnt(0)
	s_barrier
	ds_read_b64 v[13:14], v7 offset:3072
	s_waitcnt lgkmcnt(0)
	s_barrier
	v_cmp_neq_f32_e32 vcc, 0, v13
	s_cbranch_vccnz .LBB50_126
; %bb.121:                              ;   in Loop: Header=BB50_123 Depth=2
	v_add_u32_e32 v16, s76, v16
	v_cmp_le_i32_e32 vcc, s91, v16
	v_add_u32_e32 v1, s33, v1
	s_mov_b64 s[42:43], 0
	s_orn2_b64 s[44:45], vcc, exec
.LBB50_122:                             ;   in Loop: Header=BB50_123 Depth=2
	s_and_b64 s[18:19], exec, s[44:45]
	s_or_b64 s[34:35], s[18:19], s[34:35]
	s_andn2_b64 s[18:19], s[40:41], exec
	s_and_b64 s[40:41], s[42:43], exec
	s_or_b64 s[40:41], s[18:19], s[40:41]
	s_andn2_b64 exec, exec, s[34:35]
	s_cbranch_execz .LBB50_127
.LBB50_123:                             ;   Parent Loop BB50_7 Depth=1
                                        ; =>  This Inner Loop Header: Depth=2
	v_cmp_gt_i32_e32 vcc, s68, v16
	s_and_saveexec_b64 s[42:43], vcc
	s_cbranch_execz .LBB50_120
; %bb.124:                              ;   in Loop: Header=BB50_123 Depth=2
	v_ashrrev_i32_e32 v2, 31, v1
	v_lshlrev_b64 v[13:14], 2, v[1:2]
	v_mov_b32_e32 v2, s77
	v_add_co_u32_e32 v13, vcc, s70, v13
	v_addc_co_u32_e32 v14, vcc, v2, v14, vcc
	global_load_dword v13, v[13:14], off
	s_waitcnt vmcnt(0)
	v_cmp_lt_i32_e32 vcc, -1, v13
	v_cndmask_b32_e32 v2, -1, v36, vcc
	v_xor_b32_e32 v2, v2, v13
	v_cmp_o_f32_e32 vcc, v13, v13
	v_cndmask_b32_e32 v2, -1, v2, vcc
	v_and_b32_e32 v2, v2, v38
	v_cmp_eq_u32_e32 vcc, v2, v29
	s_and_b64 exec, exec, vcc
	s_cbranch_execz .LBB50_120
; %bb.125:                              ;   in Loop: Header=BB50_123 Depth=2
	ds_write_b64 v7, v[12:13] offset:3072
	s_branch .LBB50_120
.LBB50_126:                             ;   in Loop: Header=BB50_123 Depth=2
	s_mov_b64 s[44:45], -1
                                        ; implicit-def: $vgpr16
                                        ; implicit-def: $vgpr1
	s_mov_b64 s[42:43], -1
	s_branch .LBB50_122
.LBB50_127:                             ;   in Loop: Header=BB50_7 Depth=1
	s_or_b64 exec, exec, s[34:35]
	s_and_b64 s[34:35], s[40:41], exec
.LBB50_128:                             ;   in Loop: Header=BB50_7 Depth=1
	s_or_b64 exec, exec, s[38:39]
.LBB50_129:                             ;   in Loop: Header=BB50_7 Depth=1
	s_and_b64 vcc, exec, s[36:37]
	s_cbranch_vccz .LBB50_141
; %bb.130:                              ;   in Loop: Header=BB50_7 Depth=1
	v_readlane_b32 s1, v48, 31
	s_add_i32 s1, s0, s1
	s_abs_i32 s18, s1
	v_readlane_b32 s19, v48, 43
	s_mul_hi_u32 s19, s18, s19
	s_mul_i32 s19, s19, s76
	s_sub_i32 s18, s18, s19
	s_ashr_i32 s9, s1, 31
	s_sub_i32 s19, s18, s76
	s_cmp_ge_u32 s18, s76
	s_cselect_b32 s18, s19, s18
	s_sub_i32 s19, s18, s76
	s_cmp_ge_u32 s18, s76
	s_cselect_b32 s18, s19, s18
	s_xor_b32 s18, s18, s9
	s_sub_i32 s9, s9, s18
	s_add_i32 s1, s1, s9
	v_cmp_gt_i32_e32 vcc, s1, v0
                                        ; implicit-def: $vgpr14
	s_and_saveexec_b64 s[24:25], vcc
	s_cbranch_execz .LBB50_140
; %bb.131:                              ;   in Loop: Header=BB50_7 Depth=1
	s_mov_b64 s[26:27], 0
	v_mov_b32_e32 v1, v19
	v_mov_b32_e32 v2, v0
                                        ; implicit-def: $sgpr36_sgpr37
	s_branch .LBB50_135
.LBB50_132:                             ;   in Loop: Header=BB50_135 Depth=2
	s_or_b64 exec, exec, s[38:39]
	s_waitcnt lgkmcnt(0)
	s_barrier
	ds_read_b64 v[13:14], v7 offset:3072
	s_waitcnt lgkmcnt(0)
	s_barrier
	v_cmp_eq_f32_e32 vcc, 0, v13
	s_cbranch_vccz .LBB50_138
; %bb.133:                              ;   in Loop: Header=BB50_135 Depth=2
	v_add_u32_e32 v2, s76, v2
	v_cmp_le_i32_e32 vcc, s1, v2
	v_add_u32_e32 v1, s8, v1
	s_mov_b64 s[38:39], 0
	s_orn2_b64 s[40:41], vcc, exec
.LBB50_134:                             ;   in Loop: Header=BB50_135 Depth=2
	s_and_b64 s[18:19], exec, s[40:41]
	s_or_b64 s[26:27], s[18:19], s[26:27]
	s_andn2_b64 s[18:19], s[36:37], exec
	s_and_b64 s[36:37], s[38:39], exec
	s_or_b64 s[36:37], s[18:19], s[36:37]
	s_andn2_b64 exec, exec, s[26:27]
	s_cbranch_execz .LBB50_139
.LBB50_135:                             ;   Parent Loop BB50_7 Depth=1
                                        ; =>  This Inner Loop Header: Depth=2
	v_cmp_gt_i32_e32 vcc, s0, v2
	s_and_saveexec_b64 s[38:39], vcc
	s_cbranch_execz .LBB50_132
; %bb.136:                              ;   in Loop: Header=BB50_135 Depth=2
	ds_read_b32 v13, v1
	s_waitcnt lgkmcnt(0)
	v_cmp_lt_i32_e32 vcc, -1, v13
	v_cndmask_b32_e32 v14, -1, v36, vcc
	v_xor_b32_e32 v14, v14, v13
	v_cmp_o_f32_e32 vcc, v13, v13
	v_cndmask_b32_e32 v14, -1, v14, vcc
	v_and_b32_e32 v14, v14, v38
	v_cmp_eq_u32_e32 vcc, v14, v29
	s_and_b64 exec, exec, vcc
	s_cbranch_execz .LBB50_132
; %bb.137:                              ;   in Loop: Header=BB50_135 Depth=2
	ds_write_b64 v7, v[12:13] offset:3072
	s_branch .LBB50_132
.LBB50_138:                             ;   in Loop: Header=BB50_135 Depth=2
	s_mov_b64 s[40:41], -1
                                        ; implicit-def: $vgpr2
                                        ; implicit-def: $vgpr1
	s_mov_b64 s[38:39], -1
	s_branch .LBB50_134
.LBB50_139:                             ;   in Loop: Header=BB50_7 Depth=1
	s_or_b64 exec, exec, s[26:27]
	s_andn2_b64 s[0:1], s[34:35], exec
	s_and_b64 s[18:19], s[36:37], exec
	s_or_b64 s[34:35], s[0:1], s[18:19]
.LBB50_140:                             ;   in Loop: Header=BB50_7 Depth=1
	s_or_b64 exec, exec, s[24:25]
	s_mov_b64 s[24:25], 0
	s_mov_b64 s[26:27], -1
.LBB50_141:                             ;   in Loop: Header=BB50_7 Depth=1
	s_orn2_b64 s[34:35], s[34:35], exec
.LBB50_142:                             ;   in Loop: Header=BB50_7 Depth=1
	s_or_b64 exec, exec, s[28:29]
	s_mov_b64 s[36:37], 0
	s_and_saveexec_b64 s[28:29], s[34:35]
	s_cbranch_execz .LBB50_235
; %bb.143:                              ;   in Loop: Header=BB50_7 Depth=1
	s_xor_b64 s[0:1], s[30:31], -1
	s_mov_b64 s[40:41], 0
	v_mov_b32_e32 v16, 1
	v_mov_b32_e32 v4, 1
	s_and_saveexec_b64 s[30:31], s[0:1]
	s_cbranch_execz .LBB50_152
; %bb.144:                              ;   in Loop: Header=BB50_7 Depth=1
	v_cmp_ge_i32_e32 vcc, s46, v15
	s_and_saveexec_b64 s[0:1], vcc
	s_xor_b64 s[34:35], exec, s[0:1]
	s_cbranch_execz .LBB50_149
; %bb.145:                              ;   in Loop: Header=BB50_7 Depth=1
	ds_read_b32 v1, v7 offset:4096
	v_and_b32_e32 v2, v29, v6
	v_lshl_or_b32 v29, 1, v37, v2
	v_or_b32_e32 v38, v38, v3
	s_waitcnt lgkmcnt(0)
	v_cmp_ne_u32_e32 vcc, 0, v1
	s_cbranch_vccnz .LBB50_149
; %bb.146:                              ;   in Loop: Header=BB50_7 Depth=1
	s_mov_b64 s[36:37], exec
	v_readlane_b32 s0, v48, 18
	v_readlane_b32 s1, v48, 19
	s_and_b64 s[0:1], s[36:37], s[0:1]
	s_mov_b64 exec, s[0:1]
; %bb.147:                              ;   in Loop: Header=BB50_7 Depth=1
	v_mov_b32_e32 v1, s46
	ds_write_b32 v7, v1 offset:4100
; %bb.148:                              ;   in Loop: Header=BB50_7 Depth=1
	s_or_b64 exec, exec, s[36:37]
	s_waitcnt lgkmcnt(0)
	s_barrier
.LBB50_149:                             ;   in Loop: Header=BB50_7 Depth=1
	s_or_saveexec_b64 s[34:35], s[34:35]
	s_mov_b64 s[36:37], 0
	v_mov_b32_e32 v4, 8
	s_xor_b64 exec, exec, s[34:35]
; %bb.150:                              ;   in Loop: Header=BB50_7 Depth=1
	s_mov_b64 s[36:37], exec
	v_subrev_u32_e32 v15, s46, v15
	v_mov_b32_e32 v4, 0
; %bb.151:                              ;   in Loop: Header=BB50_7 Depth=1
	s_or_b64 exec, exec, s[34:35]
	s_and_b64 s[40:41], s[36:37], exec
	v_mov_b32_e32 v16, v15
.LBB50_152:                             ;   in Loop: Header=BB50_7 Depth=1
	s_or_b64 exec, exec, s[30:31]
	s_mov_b64 s[38:39], -1
                                        ; implicit-def: $sgpr34_sgpr35
                                        ; implicit-def: $sgpr36_sgpr37
	s_and_saveexec_b64 s[30:31], s[40:41]
	s_cbranch_execz .LBB50_234
; %bb.153:                              ;   in Loop: Header=BB50_7 Depth=1
	s_cmp_eq_u32 s54, 1
	s_cselect_b64 s[0:1], -1, 0
	v_cmp_eq_u32_e32 vcc, 1, v16
	s_and_b64 s[40:41], s[0:1], vcc
	s_mov_b64 s[42:43], -1
                                        ; implicit-def: $sgpr36_sgpr37
                                        ; implicit-def: $sgpr34_sgpr35
	s_and_saveexec_b64 s[38:39], s[40:41]
	s_cbranch_execz .LBB50_181
; %bb.154:                              ;   in Loop: Header=BB50_7 Depth=1
	ds_read_b32 v1, v7 offset:4096
	s_waitcnt lgkmcnt(0)
	s_barrier
	v_readfirstlane_b32 s0, v1
	s_and_saveexec_b64 s[34:35], s[4:5]
; %bb.155:                              ;   in Loop: Header=BB50_7 Depth=1
	ds_write_b32 v21, v7
; %bb.156:                              ;   in Loop: Header=BB50_7 Depth=1
	s_or_b64 exec, exec, s[34:35]
	v_and_b32_e32 v1, v29, v6
	v_lshl_or_b32 v29, 2, v37, v1
	v_or_b32_e32 v38, v38, v3
	s_mov_b64 s[34:35], -1
	s_mov_b64 s[36:37], 0
	s_cmp_gt_i32 s0, 0
	s_mov_b64 s[42:43], 0
	s_mov_b64 s[44:45], -1
	s_waitcnt lgkmcnt(0)
	s_barrier
                                        ; implicit-def: $vgpr14
	s_cbranch_scc1 .LBB50_168
; %bb.157:                              ;   in Loop: Header=BB50_7 Depth=1
	s_mov_b64 s[44:45], 0
                                        ; implicit-def: $vgpr14
	s_mov_b64 s[46:47], exec
	v_readlane_b32 s18, v48, 44
	v_readlane_b32 s19, v48, 45
	s_and_b64 s[18:19], s[46:47], s[18:19]
	s_mov_b64 exec, s[18:19]
	s_cbranch_execz .LBB50_167
; %bb.158:                              ;   in Loop: Header=BB50_7 Depth=1
	v_mov_b32_e32 v1, v5
	v_mov_b32_e32 v15, v0
                                        ; implicit-def: $sgpr48_sgpr49
	s_branch .LBB50_162
.LBB50_159:                             ;   in Loop: Header=BB50_162 Depth=2
	s_or_b64 exec, exec, s[50:51]
	s_waitcnt lgkmcnt(0)
	s_barrier
	ds_read_b64 v[13:14], v7 offset:3072
	s_waitcnt lgkmcnt(0)
	s_barrier
	v_cmp_neq_f32_e32 vcc, 0, v13
	s_cbranch_vccnz .LBB50_165
; %bb.160:                              ;   in Loop: Header=BB50_162 Depth=2
	v_add_u32_e32 v15, s76, v15
	v_cmp_le_i32_e32 vcc, s91, v15
	v_add_u32_e32 v1, s33, v1
	s_mov_b64 s[50:51], 0
	s_orn2_b64 s[52:53], vcc, exec
.LBB50_161:                             ;   in Loop: Header=BB50_162 Depth=2
	s_and_b64 s[18:19], exec, s[52:53]
	s_or_b64 s[42:43], s[18:19], s[42:43]
	s_andn2_b64 s[18:19], s[48:49], exec
	s_and_b64 s[48:49], s[50:51], exec
	s_or_b64 s[48:49], s[18:19], s[48:49]
	s_andn2_b64 exec, exec, s[42:43]
	s_cbranch_execz .LBB50_166
.LBB50_162:                             ;   Parent Loop BB50_7 Depth=1
                                        ; =>  This Inner Loop Header: Depth=2
	v_cmp_gt_i32_e32 vcc, s68, v15
	s_and_saveexec_b64 s[50:51], vcc
	s_cbranch_execz .LBB50_159
; %bb.163:                              ;   in Loop: Header=BB50_162 Depth=2
	v_ashrrev_i32_e32 v2, 31, v1
	v_lshlrev_b64 v[13:14], 2, v[1:2]
	v_mov_b32_e32 v2, s77
	v_add_co_u32_e32 v13, vcc, s70, v13
	v_addc_co_u32_e32 v14, vcc, v2, v14, vcc
	global_load_dword v13, v[13:14], off
	s_waitcnt vmcnt(0)
	v_cmp_lt_i32_e32 vcc, -1, v13
	v_cndmask_b32_e32 v2, -1, v36, vcc
	v_xor_b32_e32 v2, v2, v13
	v_cmp_o_f32_e32 vcc, v13, v13
	v_cndmask_b32_e32 v2, -1, v2, vcc
	v_and_b32_e32 v2, v2, v38
	v_cmp_eq_u32_e32 vcc, v2, v29
	s_and_b64 exec, exec, vcc
	s_cbranch_execz .LBB50_159
; %bb.164:                              ;   in Loop: Header=BB50_162 Depth=2
	ds_write_b64 v7, v[12:13] offset:3072
	s_branch .LBB50_159
.LBB50_165:                             ;   in Loop: Header=BB50_162 Depth=2
	s_mov_b64 s[52:53], -1
                                        ; implicit-def: $vgpr15
                                        ; implicit-def: $vgpr1
	s_mov_b64 s[50:51], -1
	s_branch .LBB50_161
.LBB50_166:                             ;   in Loop: Header=BB50_7 Depth=1
	s_or_b64 exec, exec, s[42:43]
	s_and_b64 s[42:43], s[48:49], exec
.LBB50_167:                             ;   in Loop: Header=BB50_7 Depth=1
	s_or_b64 exec, exec, s[46:47]
.LBB50_168:                             ;   in Loop: Header=BB50_7 Depth=1
	s_and_b64 vcc, exec, s[44:45]
	s_cbranch_vccz .LBB50_180
; %bb.169:                              ;   in Loop: Header=BB50_7 Depth=1
	v_readlane_b32 s1, v48, 31
	s_add_i32 s1, s0, s1
	s_abs_i32 s18, s1
	v_readlane_b32 s19, v48, 43
	s_mul_hi_u32 s19, s18, s19
	s_mul_i32 s19, s19, s76
	s_sub_i32 s18, s18, s19
	s_ashr_i32 s9, s1, 31
	s_sub_i32 s19, s18, s76
	s_cmp_ge_u32 s18, s76
	s_cselect_b32 s18, s19, s18
	s_sub_i32 s19, s18, s76
	s_cmp_ge_u32 s18, s76
	s_cselect_b32 s18, s19, s18
	s_xor_b32 s18, s18, s9
	s_sub_i32 s9, s9, s18
	s_add_i32 s1, s1, s9
	v_cmp_gt_i32_e32 vcc, s1, v0
                                        ; implicit-def: $vgpr14
	s_and_saveexec_b64 s[34:35], vcc
	s_cbranch_execz .LBB50_179
; %bb.170:                              ;   in Loop: Header=BB50_7 Depth=1
	s_mov_b64 s[36:37], 0
	v_mov_b32_e32 v1, v19
	v_mov_b32_e32 v2, v0
                                        ; implicit-def: $sgpr44_sgpr45
	s_branch .LBB50_174
.LBB50_171:                             ;   in Loop: Header=BB50_174 Depth=2
	s_or_b64 exec, exec, s[46:47]
	s_waitcnt lgkmcnt(0)
	s_barrier
	ds_read_b64 v[13:14], v7 offset:3072
	s_waitcnt lgkmcnt(0)
	s_barrier
	v_cmp_eq_f32_e32 vcc, 0, v13
	s_cbranch_vccz .LBB50_177
; %bb.172:                              ;   in Loop: Header=BB50_174 Depth=2
	v_add_u32_e32 v2, s76, v2
	v_cmp_le_i32_e32 vcc, s1, v2
	v_add_u32_e32 v1, s8, v1
	s_mov_b64 s[46:47], 0
	s_orn2_b64 s[48:49], vcc, exec
.LBB50_173:                             ;   in Loop: Header=BB50_174 Depth=2
	s_and_b64 s[18:19], exec, s[48:49]
	s_or_b64 s[36:37], s[18:19], s[36:37]
	s_andn2_b64 s[18:19], s[44:45], exec
	s_and_b64 s[44:45], s[46:47], exec
	s_or_b64 s[44:45], s[18:19], s[44:45]
	s_andn2_b64 exec, exec, s[36:37]
	s_cbranch_execz .LBB50_178
.LBB50_174:                             ;   Parent Loop BB50_7 Depth=1
                                        ; =>  This Inner Loop Header: Depth=2
	v_cmp_gt_i32_e32 vcc, s0, v2
	s_and_saveexec_b64 s[46:47], vcc
	s_cbranch_execz .LBB50_171
; %bb.175:                              ;   in Loop: Header=BB50_174 Depth=2
	ds_read_b32 v13, v1
	s_waitcnt lgkmcnt(0)
	v_cmp_lt_i32_e32 vcc, -1, v13
	v_cndmask_b32_e32 v14, -1, v36, vcc
	v_xor_b32_e32 v14, v14, v13
	v_cmp_o_f32_e32 vcc, v13, v13
	v_cndmask_b32_e32 v14, -1, v14, vcc
	v_and_b32_e32 v14, v14, v38
	v_cmp_eq_u32_e32 vcc, v14, v29
	s_and_b64 exec, exec, vcc
	s_cbranch_execz .LBB50_171
; %bb.176:                              ;   in Loop: Header=BB50_174 Depth=2
	ds_write_b64 v7, v[12:13] offset:3072
	s_branch .LBB50_171
.LBB50_177:                             ;   in Loop: Header=BB50_174 Depth=2
	s_mov_b64 s[48:49], -1
                                        ; implicit-def: $vgpr2
                                        ; implicit-def: $vgpr1
	s_mov_b64 s[46:47], -1
	s_branch .LBB50_173
.LBB50_178:                             ;   in Loop: Header=BB50_7 Depth=1
	s_or_b64 exec, exec, s[36:37]
	s_andn2_b64 s[0:1], s[42:43], exec
	s_and_b64 s[18:19], s[44:45], exec
	s_or_b64 s[42:43], s[0:1], s[18:19]
.LBB50_179:                             ;   in Loop: Header=BB50_7 Depth=1
	s_or_b64 exec, exec, s[34:35]
	s_mov_b64 s[34:35], 0
	s_mov_b64 s[36:37], -1
.LBB50_180:                             ;   in Loop: Header=BB50_7 Depth=1
	s_orn2_b64 s[42:43], s[42:43], exec
.LBB50_181:                             ;   in Loop: Header=BB50_7 Depth=1
	s_or_b64 exec, exec, s[38:39]
	s_mov_b64 s[44:45], 0
	s_and_saveexec_b64 s[38:39], s[42:43]
	s_cbranch_execz .LBB50_233
; %bb.182:                              ;   in Loop: Header=BB50_7 Depth=1
	s_xor_b64 s[0:1], s[40:41], -1
	s_mov_b64 s[48:49], 0
	v_mov_b32_e32 v15, 1
	v_mov_b32_e32 v4, 1
	s_and_saveexec_b64 s[40:41], s[0:1]
	s_cbranch_execz .LBB50_191
; %bb.183:                              ;   in Loop: Header=BB50_7 Depth=1
	v_cmp_ge_i32_e32 vcc, s54, v16
	s_and_saveexec_b64 s[0:1], vcc
	s_xor_b64 s[42:43], exec, s[0:1]
	s_cbranch_execz .LBB50_188
; %bb.184:                              ;   in Loop: Header=BB50_7 Depth=1
	ds_read_b32 v1, v7 offset:4096
	v_and_b32_e32 v2, v29, v6
	v_lshl_or_b32 v29, 2, v37, v2
	v_or_b32_e32 v38, v38, v3
	s_waitcnt lgkmcnt(0)
	v_cmp_ne_u32_e32 vcc, 0, v1
	s_cbranch_vccnz .LBB50_188
; %bb.185:                              ;   in Loop: Header=BB50_7 Depth=1
	s_mov_b64 s[44:45], exec
	v_readlane_b32 s0, v48, 18
	v_readlane_b32 s1, v48, 19
	s_and_b64 s[0:1], s[44:45], s[0:1]
	s_mov_b64 exec, s[0:1]
; %bb.186:                              ;   in Loop: Header=BB50_7 Depth=1
	v_mov_b32_e32 v1, s54
	ds_write_b32 v7, v1 offset:4100
; %bb.187:                              ;   in Loop: Header=BB50_7 Depth=1
	s_or_b64 exec, exec, s[44:45]
	s_waitcnt lgkmcnt(0)
	s_barrier
.LBB50_188:                             ;   in Loop: Header=BB50_7 Depth=1
	s_or_saveexec_b64 s[42:43], s[42:43]
	s_mov_b64 s[44:45], 0
	v_mov_b32_e32 v4, 8
	s_xor_b64 exec, exec, s[42:43]
; %bb.189:                              ;   in Loop: Header=BB50_7 Depth=1
	s_mov_b64 s[44:45], exec
	v_subrev_u32_e32 v16, s54, v16
	v_mov_b32_e32 v4, 0
; %bb.190:                              ;   in Loop: Header=BB50_7 Depth=1
	s_or_b64 exec, exec, s[42:43]
	s_and_b64 s[48:49], s[44:45], exec
	v_mov_b32_e32 v15, v16
.LBB50_191:                             ;   in Loop: Header=BB50_7 Depth=1
	s_or_b64 exec, exec, s[40:41]
	s_mov_b64 s[42:43], -1
                                        ; implicit-def: $sgpr46_sgpr47
                                        ; implicit-def: $sgpr44_sgpr45
	s_and_saveexec_b64 s[40:41], s[48:49]
	s_cbranch_execz .LBB50_232
; %bb.192:                              ;   in Loop: Header=BB50_7 Depth=1
	s_cmp_eq_u32 s69, 1
	s_cselect_b64 s[0:1], -1, 0
	v_cmp_eq_u32_e32 vcc, 1, v15
	s_and_b64 s[42:43], s[0:1], vcc
	s_mov_b64 s[50:51], -1
                                        ; implicit-def: $sgpr46_sgpr47
                                        ; implicit-def: $sgpr44_sgpr45
	s_and_saveexec_b64 s[48:49], s[42:43]
	s_cbranch_execz .LBB50_220
; %bb.193:                              ;   in Loop: Header=BB50_7 Depth=1
	ds_read_b32 v1, v7 offset:4096
	s_waitcnt lgkmcnt(0)
	s_barrier
	v_readfirstlane_b32 s0, v1
	s_and_saveexec_b64 s[44:45], s[4:5]
; %bb.194:                              ;   in Loop: Header=BB50_7 Depth=1
	ds_write_b32 v21, v7
; %bb.195:                              ;   in Loop: Header=BB50_7 Depth=1
	s_or_b64 exec, exec, s[44:45]
	v_or_b32_e32 v29, v29, v3
	v_or_b32_e32 v38, v38, v3
	s_mov_b64 s[44:45], -1
	s_mov_b64 s[46:47], 0
	s_cmp_gt_i32 s0, 0
	s_mov_b64 s[50:51], 0
	s_mov_b64 s[52:53], -1
	s_waitcnt lgkmcnt(0)
	s_barrier
                                        ; implicit-def: $vgpr14
	s_cbranch_scc1 .LBB50_207
; %bb.196:                              ;   in Loop: Header=BB50_7 Depth=1
	s_mov_b64 s[52:53], 0
                                        ; implicit-def: $vgpr14
	s_mov_b64 s[54:55], exec
	v_readlane_b32 s18, v48, 44
	v_readlane_b32 s19, v48, 45
	s_and_b64 s[18:19], s[54:55], s[18:19]
	s_mov_b64 exec, s[18:19]
	s_cbranch_execz .LBB50_206
; %bb.197:                              ;   in Loop: Header=BB50_7 Depth=1
	v_mov_b32_e32 v1, v5
	v_mov_b32_e32 v6, v0
                                        ; implicit-def: $sgpr56_sgpr57
	s_branch .LBB50_201
.LBB50_198:                             ;   in Loop: Header=BB50_201 Depth=2
	s_or_b64 exec, exec, s[58:59]
	s_waitcnt lgkmcnt(0)
	s_barrier
	ds_read_b64 v[13:14], v7 offset:3072
	s_waitcnt lgkmcnt(0)
	s_barrier
	v_cmp_neq_f32_e32 vcc, 0, v13
	s_cbranch_vccnz .LBB50_204
; %bb.199:                              ;   in Loop: Header=BB50_201 Depth=2
	v_add_u32_e32 v6, s76, v6
	v_cmp_le_i32_e32 vcc, s91, v6
	v_add_u32_e32 v1, s33, v1
	s_mov_b64 s[58:59], 0
	s_orn2_b64 s[66:67], vcc, exec
.LBB50_200:                             ;   in Loop: Header=BB50_201 Depth=2
	s_and_b64 s[18:19], exec, s[66:67]
	s_or_b64 s[50:51], s[18:19], s[50:51]
	s_andn2_b64 s[18:19], s[56:57], exec
	s_and_b64 s[56:57], s[58:59], exec
	s_or_b64 s[56:57], s[18:19], s[56:57]
	s_andn2_b64 exec, exec, s[50:51]
	s_cbranch_execz .LBB50_205
.LBB50_201:                             ;   Parent Loop BB50_7 Depth=1
                                        ; =>  This Inner Loop Header: Depth=2
	v_cmp_gt_i32_e32 vcc, s68, v6
	s_and_saveexec_b64 s[58:59], vcc
	s_cbranch_execz .LBB50_198
; %bb.202:                              ;   in Loop: Header=BB50_201 Depth=2
	v_ashrrev_i32_e32 v2, 31, v1
	v_lshlrev_b64 v[13:14], 2, v[1:2]
	v_mov_b32_e32 v2, s77
	v_add_co_u32_e32 v13, vcc, s70, v13
	v_addc_co_u32_e32 v14, vcc, v2, v14, vcc
	global_load_dword v13, v[13:14], off
	s_waitcnt vmcnt(0)
	v_cmp_lt_i32_e32 vcc, -1, v13
	v_cndmask_b32_e32 v2, -1, v36, vcc
	v_xor_b32_e32 v2, v2, v13
	v_cmp_o_f32_e32 vcc, v13, v13
	v_cndmask_b32_e32 v2, -1, v2, vcc
	v_and_b32_e32 v2, v2, v38
	v_cmp_eq_u32_e32 vcc, v2, v29
	s_and_b64 exec, exec, vcc
	s_cbranch_execz .LBB50_198
; %bb.203:                              ;   in Loop: Header=BB50_201 Depth=2
	ds_write_b64 v7, v[12:13] offset:3072
	s_branch .LBB50_198
.LBB50_204:                             ;   in Loop: Header=BB50_201 Depth=2
	s_mov_b64 s[66:67], -1
                                        ; implicit-def: $vgpr6
                                        ; implicit-def: $vgpr1
	s_mov_b64 s[58:59], -1
	s_branch .LBB50_200
.LBB50_205:                             ;   in Loop: Header=BB50_7 Depth=1
	s_or_b64 exec, exec, s[50:51]
	s_and_b64 s[50:51], s[56:57], exec
.LBB50_206:                             ;   in Loop: Header=BB50_7 Depth=1
	s_or_b64 exec, exec, s[54:55]
.LBB50_207:                             ;   in Loop: Header=BB50_7 Depth=1
	s_and_b64 vcc, exec, s[52:53]
	s_cbranch_vccz .LBB50_219
; %bb.208:                              ;   in Loop: Header=BB50_7 Depth=1
	v_readlane_b32 s1, v48, 31
	s_add_i32 s1, s0, s1
	s_abs_i32 s18, s1
	v_readlane_b32 s19, v48, 43
	s_mul_hi_u32 s19, s18, s19
	s_mul_i32 s19, s19, s76
	s_sub_i32 s18, s18, s19
	s_ashr_i32 s9, s1, 31
	s_sub_i32 s19, s18, s76
	s_cmp_ge_u32 s18, s76
	s_cselect_b32 s18, s19, s18
	s_sub_i32 s19, s18, s76
	s_cmp_ge_u32 s18, s76
	s_cselect_b32 s18, s19, s18
	s_xor_b32 s18, s18, s9
	s_sub_i32 s9, s9, s18
	s_add_i32 s1, s1, s9
	v_cmp_gt_i32_e32 vcc, s1, v0
                                        ; implicit-def: $vgpr14
	s_and_saveexec_b64 s[44:45], vcc
	s_cbranch_execz .LBB50_218
; %bb.209:                              ;   in Loop: Header=BB50_7 Depth=1
	s_mov_b64 s[46:47], 0
	v_mov_b32_e32 v1, v19
	v_mov_b32_e32 v2, v0
                                        ; implicit-def: $sgpr52_sgpr53
	s_branch .LBB50_213
.LBB50_210:                             ;   in Loop: Header=BB50_213 Depth=2
	s_or_b64 exec, exec, s[54:55]
	s_waitcnt lgkmcnt(0)
	s_barrier
	ds_read_b64 v[13:14], v7 offset:3072
	s_waitcnt lgkmcnt(0)
	s_barrier
	v_cmp_eq_f32_e32 vcc, 0, v13
	s_cbranch_vccz .LBB50_216
; %bb.211:                              ;   in Loop: Header=BB50_213 Depth=2
	v_add_u32_e32 v2, s76, v2
	v_cmp_le_i32_e32 vcc, s1, v2
	v_add_u32_e32 v1, s8, v1
	s_mov_b64 s[54:55], 0
	s_orn2_b64 s[56:57], vcc, exec
.LBB50_212:                             ;   in Loop: Header=BB50_213 Depth=2
	s_and_b64 s[18:19], exec, s[56:57]
	s_or_b64 s[46:47], s[18:19], s[46:47]
	s_andn2_b64 s[18:19], s[52:53], exec
	s_and_b64 s[52:53], s[54:55], exec
	s_or_b64 s[52:53], s[18:19], s[52:53]
	s_andn2_b64 exec, exec, s[46:47]
	s_cbranch_execz .LBB50_217
.LBB50_213:                             ;   Parent Loop BB50_7 Depth=1
                                        ; =>  This Inner Loop Header: Depth=2
	v_cmp_gt_i32_e32 vcc, s0, v2
	s_and_saveexec_b64 s[54:55], vcc
	s_cbranch_execz .LBB50_210
; %bb.214:                              ;   in Loop: Header=BB50_213 Depth=2
	ds_read_b32 v13, v1
	s_waitcnt lgkmcnt(0)
	v_cmp_lt_i32_e32 vcc, -1, v13
	v_cndmask_b32_e32 v6, -1, v36, vcc
	v_xor_b32_e32 v6, v6, v13
	v_cmp_o_f32_e32 vcc, v13, v13
	v_cndmask_b32_e32 v6, -1, v6, vcc
	v_and_b32_e32 v6, v6, v38
	v_cmp_eq_u32_e32 vcc, v6, v29
	s_and_b64 exec, exec, vcc
	s_cbranch_execz .LBB50_210
; %bb.215:                              ;   in Loop: Header=BB50_213 Depth=2
	ds_write_b64 v7, v[12:13] offset:3072
	s_branch .LBB50_210
.LBB50_216:                             ;   in Loop: Header=BB50_213 Depth=2
	s_mov_b64 s[56:57], -1
                                        ; implicit-def: $vgpr2
                                        ; implicit-def: $vgpr1
	s_mov_b64 s[54:55], -1
	s_branch .LBB50_212
.LBB50_217:                             ;   in Loop: Header=BB50_7 Depth=1
	s_or_b64 exec, exec, s[46:47]
	s_andn2_b64 s[0:1], s[50:51], exec
	s_and_b64 s[18:19], s[52:53], exec
	s_or_b64 s[50:51], s[0:1], s[18:19]
.LBB50_218:                             ;   in Loop: Header=BB50_7 Depth=1
	s_or_b64 exec, exec, s[44:45]
	s_mov_b64 s[44:45], 0
	s_mov_b64 s[46:47], -1
.LBB50_219:                             ;   in Loop: Header=BB50_7 Depth=1
	s_orn2_b64 s[50:51], s[50:51], exec
.LBB50_220:                             ;   in Loop: Header=BB50_7 Depth=1
	s_or_b64 exec, exec, s[48:49]
	s_mov_b64 s[52:53], 0
	s_and_saveexec_b64 s[48:49], s[50:51]
	s_cbranch_execz .LBB50_231
; %bb.221:                              ;   in Loop: Header=BB50_7 Depth=1
	s_xor_b64 s[0:1], s[42:43], -1
	v_mov_b32_e32 v4, 1
	v_mov_b32_e32 v1, 1
	s_and_saveexec_b64 s[42:43], s[0:1]
	s_cbranch_execz .LBB50_230
; %bb.222:                              ;   in Loop: Header=BB50_7 Depth=1
	v_cmp_ge_i32_e32 vcc, s69, v15
	s_and_saveexec_b64 s[0:1], vcc
	s_xor_b64 s[50:51], exec, s[0:1]
	s_cbranch_execz .LBB50_227
; %bb.223:                              ;   in Loop: Header=BB50_7 Depth=1
	ds_read_b32 v1, v7 offset:4096
	v_or_b32_e32 v29, v29, v3
	v_or_b32_e32 v38, v38, v3
	s_waitcnt lgkmcnt(0)
	v_cmp_ne_u32_e32 vcc, 0, v1
	s_cbranch_vccnz .LBB50_227
; %bb.224:                              ;   in Loop: Header=BB50_7 Depth=1
	s_mov_b64 s[52:53], exec
	v_readlane_b32 s0, v48, 18
	v_readlane_b32 s1, v48, 19
	s_and_b64 s[0:1], s[52:53], s[0:1]
	s_mov_b64 exec, s[0:1]
; %bb.225:                              ;   in Loop: Header=BB50_7 Depth=1
	v_mov_b32_e32 v1, s69
	ds_write_b32 v7, v1 offset:4100
; %bb.226:                              ;   in Loop: Header=BB50_7 Depth=1
	s_or_b64 exec, exec, s[52:53]
	s_waitcnt lgkmcnt(0)
	s_barrier
.LBB50_227:                             ;   in Loop: Header=BB50_7 Depth=1
	s_andn2_saveexec_b64 s[50:51], s[50:51]
; %bb.228:                              ;   in Loop: Header=BB50_7 Depth=1
	v_subrev_u32_e32 v15, s69, v15
; %bb.229:                              ;   in Loop: Header=BB50_7 Depth=1
	s_or_b64 exec, exec, s[50:51]
	v_mov_b32_e32 v4, 8
	v_mov_b32_e32 v1, v15
.LBB50_230:                             ;   in Loop: Header=BB50_7 Depth=1
	s_or_b64 exec, exec, s[42:43]
	s_mov_b64 s[52:53], exec
	v_mov_b32_e32 v15, v1
.LBB50_231:                             ;   in Loop: Header=BB50_7 Depth=1
	s_or_b64 exec, exec, s[48:49]
	s_orn2_b64 s[42:43], s[52:53], exec
.LBB50_232:                             ;   in Loop: Header=BB50_7 Depth=1
	s_or_b64 exec, exec, s[40:41]
	s_andn2_b64 s[0:1], s[36:37], exec
	s_and_b64 s[18:19], s[46:47], exec
	s_or_b64 s[36:37], s[0:1], s[18:19]
	s_andn2_b64 s[0:1], s[34:35], exec
	s_and_b64 s[18:19], s[44:45], exec
	s_or_b64 s[34:35], s[0:1], s[18:19]
	s_and_b64 s[44:45], s[42:43], exec
	v_mov_b32_e32 v16, v15
.LBB50_233:                             ;   in Loop: Header=BB50_7 Depth=1
	s_or_b64 exec, exec, s[38:39]
	s_orn2_b64 s[38:39], s[44:45], exec
.LBB50_234:                             ;   in Loop: Header=BB50_7 Depth=1
	s_or_b64 exec, exec, s[30:31]
	s_andn2_b64 s[0:1], s[26:27], exec
	s_and_b64 s[18:19], s[36:37], exec
	s_or_b64 s[26:27], s[0:1], s[18:19]
	s_andn2_b64 s[0:1], s[24:25], exec
	s_and_b64 s[18:19], s[34:35], exec
	s_or_b64 s[24:25], s[0:1], s[18:19]
	s_and_b64 s[36:37], s[38:39], exec
	v_mov_b32_e32 v15, v16
.LBB50_235:                             ;   in Loop: Header=BB50_7 Depth=1
	s_or_b64 exec, exec, s[28:29]
	s_orn2_b64 s[28:29], s[36:37], exec
.LBB50_236:                             ;   in Loop: Header=BB50_7 Depth=1
	s_or_b64 exec, exec, s[22:23]
	s_mov_b64 s[30:31], 0
                                        ; implicit-def: $sgpr0
	s_and_saveexec_b64 s[18:19], s[28:29]
	s_xor_b64 s[22:23], exec, s[18:19]
	s_cbranch_execz .LBB50_5
; %bb.237:                              ;   in Loop: Header=BB50_7 Depth=1
	v_and_b32_e32 v1, 7, v4
	v_cmp_eq_u32_e32 vcc, 0, v1
	s_mov_b64 s[20:21], -1
	s_mov_b64 s[28:29], -1
                                        ; implicit-def: $sgpr0
	s_and_saveexec_b64 s[30:31], vcc
	s_cbranch_execz .LBB50_4
; %bb.238:                              ;   in Loop: Header=BB50_7 Depth=1
	v_add_u32_e32 v1, -2, v37
	v_cmp_eq_u32_e32 vcc, 0, v37
	s_xor_b32 s0, s86, 1
	s_xor_b64 s[28:29], exec, -1
	s_orn2_b64 s[20:21], vcc, exec
	v_mov_b32_e32 v37, v1
	s_branch .LBB50_4
.LBB50_239:
	s_or_b64 exec, exec, s[92:93]
	s_xor_b64 s[6:7], s[78:79], -1
	s_xor_b64 s[0:1], s[94:95], -1
	;; [unrolled: 1-line block ×3, first 2 shown]
	s_mov_b64 s[2:3], 0
	s_and_saveexec_b64 s[4:5], s[0:1]
	s_xor_b64 s[4:5], exec, s[4:5]
	s_cbranch_execnz .LBB50_244
; %bb.240:
	s_andn2_saveexec_b64 s[0:1], s[4:5]
	s_cbranch_execnz .LBB50_264
.LBB50_241:
	s_or_b64 exec, exec, s[0:1]
	s_and_saveexec_b64 s[0:1], s[2:3]
.LBB50_242:
	; divergent unreachable
.LBB50_243:
	s_endpgm
.LBB50_244:
	s_and_saveexec_b64 s[0:1], s[6:7]
	s_xor_b64 s[6:7], exec, s[0:1]
	s_cbranch_execz .LBB50_262
; %bb.245:
	s_and_saveexec_b64 s[0:1], s[8:9]
	s_xor_b64 s[2:3], exec, s[0:1]
; %bb.246:
	v_bfrev_b32_e32 v1, 1
	v_cmp_lt_i32_e32 vcc, -1, v29
	v_cndmask_b32_e64 v1, v1, -1, vcc
	v_xor_b32_e32 v14, v1, v29
; %bb.247:
	s_or_b64 exec, exec, s[2:3]
	s_mov_b64 s[2:3], exec
	v_readlane_b32 s0, v48, 18
	v_readlane_b32 s1, v48, 19
	v_readlane_b32 s22, v48, 22
	v_readlane_b32 s24, v48, 27
	s_and_b64 s[0:1], s[2:3], s[0:1]
	v_readlane_b32 s20, v48, 30
	v_readlane_b32 s23, v48, 23
	;; [unrolled: 1-line block ×5, first 2 shown]
	s_mov_b64 exec, s[0:1]
; %bb.248:
	v_mov_b32_e32 v1, 0
	v_mov_b32_e32 v2, s68
	ds_write_b32 v1, v2 offset:4108
; %bb.249:
	s_or_b64 exec, exec, s[2:3]
	v_mov_b32_e32 v1, 0
	s_waitcnt lgkmcnt(0)
	s_barrier
	ds_read_b32 v1, v1 offset:4108
	s_waitcnt lgkmcnt(0)
	v_min_i32_e32 v1, s68, v1
	v_cmp_lt_i32_e32 vcc, v0, v1
	s_and_saveexec_b64 s[8:9], vcc
	s_cbranch_execz .LBB50_259
; %bb.250:
	v_cmp_u_f32_e32 vcc, v14, v14
	s_mov_b64 s[10:11], 0
	v_mov_b32_e32 v3, s77
	s_xor_b64 s[14:15], vcc, -1
                                        ; implicit-def: $sgpr12_sgpr13
                                        ; implicit-def: $sgpr18_sgpr19
                                        ; implicit-def: $sgpr16_sgpr17
	s_branch .LBB50_252
.LBB50_251:                             ;   in Loop: Header=BB50_252 Depth=1
	s_or_b64 exec, exec, s[2:3]
	s_and_b64 s[0:1], exec, s[18:19]
	s_or_b64 s[10:11], s[0:1], s[10:11]
	s_andn2_b64 s[0:1], s[12:13], exec
	s_and_b64 s[2:3], s[16:17], exec
	s_or_b64 s[12:13], s[0:1], s[2:3]
	s_andn2_b64 exec, exec, s[10:11]
	s_cbranch_execz .LBB50_254
.LBB50_252:                             ; =>This Inner Loop Header: Depth=1
	v_ashrrev_i32_e32 v6, 31, v5
	v_lshlrev_b64 v[6:7], 2, v[5:6]
	v_mov_b32_e32 v2, v0
	v_add_co_u32_e32 v6, vcc, s70, v6
	v_addc_co_u32_e32 v7, vcc, v3, v7, vcc
	global_load_dword v4, v[6:7], off
	s_or_b64 s[16:17], s[16:17], exec
	s_or_b64 s[18:19], s[18:19], exec
                                        ; implicit-def: $vgpr0
	s_waitcnt vmcnt(0)
	v_cmp_o_f32_e64 s[2:3], v4, v4
	v_cmp_neq_f32_e32 vcc, v4, v14
	s_or_b64 s[0:1], s[2:3], s[14:15]
	s_and_b64 s[0:1], vcc, s[0:1]
	s_and_saveexec_b64 s[2:3], s[0:1]
	s_cbranch_execz .LBB50_251
; %bb.253:                              ;   in Loop: Header=BB50_252 Depth=1
	v_add_u32_e32 v0, s76, v2
	v_cmp_ge_i32_e32 vcc, v0, v1
	s_andn2_b64 s[0:1], s[18:19], exec
	s_and_b64 s[18:19], vcc, exec
	v_add_u32_e32 v5, s33, v5
	s_andn2_b64 s[16:17], s[16:17], exec
	s_or_b64 s[18:19], s[0:1], s[18:19]
	s_branch .LBB50_251
.LBB50_254:
	s_or_b64 exec, exec, s[10:11]
	s_and_saveexec_b64 s[0:1], s[12:13]
	s_xor_b64 s[0:1], exec, s[0:1]
	s_cbranch_execz .LBB50_259
; %bb.255:
	s_mov_b64 s[2:3], exec
	s_brev_b32 s0, -2
.LBB50_256:                             ; =>This Inner Loop Header: Depth=1
	s_ff1_i32_b64 s1, s[2:3]
	v_readlane_b32 s12, v2, s1
	s_lshl_b64 s[10:11], 1, s1
	s_min_i32 s0, s0, s12
	s_andn2_b64 s[2:3], s[2:3], s[10:11]
	s_cmp_lg_u64 s[2:3], 0
	s_cbranch_scc1 .LBB50_256
; %bb.257:
	v_mbcnt_lo_u32_b32 v0, exec_lo, 0
	v_mbcnt_hi_u32_b32 v0, exec_hi, v0
	v_cmp_eq_u32_e32 vcc, 0, v0
	s_and_saveexec_b64 s[2:3], vcc
	s_xor_b64 s[2:3], exec, s[2:3]
; %bb.258:
	v_mov_b32_e32 v0, 0
	v_mov_b32_e32 v1, s0
	ds_min_i32 v0, v1 offset:4108
.LBB50_259:
	s_or_b64 exec, exec, s[8:9]
	s_waitcnt lgkmcnt(0)
	s_barrier
	s_mov_b64 s[2:3], exec
	v_readlane_b32 s0, v48, 18
	v_readlane_b32 s1, v48, 19
	s_and_b64 s[0:1], s[2:3], s[0:1]
	s_mov_b64 exec, s[0:1]
	s_cbranch_execz .LBB50_261
; %bb.260:
	v_readlane_b32 s8, v48, 0
	s_mul_i32 s0, s21, s23
	v_readlane_b32 s10, v48, 2
	s_sub_i32 s0, s20, s0
	v_readlane_b32 s9, v48, 1
	v_readlane_b32 s11, v48, 3
	s_mov_b32 s14, s10
	s_mov_b64 s[12:13], s[8:9]
	s_mul_i32 s0, s0, s14
	v_readlane_b32 s1, v48, 21
	v_readlane_b32 s8, v48, 24
	;; [unrolled: 1-line block ×4, first 2 shown]
	s_xor_b32 s1, s1, s8
	s_mul_i32 s8, s14, s11
	v_readlane_b32 s9, v48, 13
	s_sub_i32 s8, s9, s8
	s_add_i32 s9, s14, 1
	s_sub_i32 s10, s8, s11
	s_cmp_ge_u32 s8, s11
	s_cselect_b32 s9, s9, s14
	s_cselect_b32 s8, s10, s8
	s_add_i32 s10, s9, 1
	s_cmp_ge_u32 s8, s11
	s_cselect_b32 s8, s10, s9
	s_xor_b32 s8, s8, s1
	s_sub_i32 s1, s8, s1
	s_mul_i32 s8, s1, s22
	s_sub_i32 s8, s21, s8
	s_mul_i32 s8, s8, s13
	s_add_i32 s0, s8, s0
	s_mul_i32 s1, s1, s12
	v_readlane_b32 s8, v48, 4
	s_add_i32 s0, s0, s1
	s_mul_i32 s1, s26, s25
	v_readlane_b32 s10, v48, 6
	s_sub_i32 s1, s20, s1
	v_readlane_b32 s9, v48, 5
	s_mov_b32 s14, s10
	s_mov_b64 s[12:13], s[8:9]
	s_mul_i32 s1, s1, s14
	v_readlane_b32 s8, v48, 26
	v_readlane_b32 s9, v48, 29
	;; [unrolled: 1-line block ×4, first 2 shown]
	s_xor_b32 s8, s8, s9
	s_mul_i32 s9, s15, s14
	v_readlane_b32 s10, v48, 16
	v_readlane_b32 s11, v48, 7
	s_sub_i32 s9, s10, s9
	s_add_i32 s10, s15, 1
	s_sub_i32 s11, s9, s14
	s_cmp_ge_u32 s9, s14
	s_cselect_b32 s10, s10, s15
	s_cselect_b32 s9, s11, s9
	s_add_i32 s11, s10, 1
	s_cmp_ge_u32 s9, s14
	s_cselect_b32 s9, s11, s10
	s_xor_b32 s9, s9, s8
	s_sub_i32 s8, s9, s8
	s_mul_i32 s9, s8, s24
	s_sub_i32 s9, s26, s9
	s_mul_i32 s9, s9, s13
	s_add_i32 s1, s9, s1
	s_mul_i32 s8, s8, s12
	s_add_i32 s8, s1, s8
	s_ashr_i32 s1, s0, 31
	v_mov_b32_e32 v2, 0
	s_lshl_b64 s[0:1], s[0:1], 2
	v_readlane_b32 s10, v48, 11
	ds_read_b32 v0, v2 offset:4108
	v_readlane_b32 s11, v48, 12
	s_add_u32 s0, s10, s0
	s_addc_u32 s1, s11, s1
	s_ashr_i32 s9, s8, 31
	s_lshl_b64 s[8:9], s[8:9], 3
	v_readlane_b32 s10, v48, 8
	v_readlane_b32 s11, v48, 9
	s_add_u32 s8, s10, s8
	s_addc_u32 s9, s11, s9
	s_waitcnt lgkmcnt(0)
	v_ashrrev_i32_e32 v1, 31, v0
	global_store_dwordx2 v2, v[0:1], s[8:9]
	global_store_dword v2, v14, s[0:1]
.LBB50_261:
	s_or_b64 exec, exec, s[2:3]
.LBB50_262:
	s_or_saveexec_b64 s[0:1], s[6:7]
	s_mov_b64 s[2:3], 0
	s_xor_b64 exec, exec, s[0:1]
	s_cbranch_execnz .LBB50_265
.LBB50_263:
	s_or_b64 exec, exec, s[0:1]
	s_and_b64 s[2:3], s[2:3], exec
	s_andn2_saveexec_b64 s[0:1], s[4:5]
	s_cbranch_execz .LBB50_241
.LBB50_264:
	s_or_b64 s[2:3], s[2:3], exec
	s_trap 2
	s_or_b64 exec, exec, s[0:1]
	s_and_saveexec_b64 s[0:1], s[2:3]
	s_cbranch_execnz .LBB50_242
	s_branch .LBB50_243
.LBB50_265:
	s_mov_b64 s[2:3], exec
	s_trap 2
	s_branch .LBB50_263
	.section	.rodata,"a",@progbits
	.p2align	6, 0x0
	.amdhsa_kernel _ZN2at6native12_GLOBAL__N_114gatherKthValueIfiLi3EEEvNS_4cuda6detail10TensorInfoIKT_T0_EES8_S8_S8_S8_NS5_IS6_S8_EENS5_IlS8_EE
		.amdhsa_group_segment_fixed_size 4112
		.amdhsa_private_segment_fixed_size 0
		.amdhsa_kernarg_size 920
		.amdhsa_user_sgpr_count 6
		.amdhsa_user_sgpr_private_segment_buffer 1
		.amdhsa_user_sgpr_dispatch_ptr 0
		.amdhsa_user_sgpr_queue_ptr 0
		.amdhsa_user_sgpr_kernarg_segment_ptr 1
		.amdhsa_user_sgpr_dispatch_id 0
		.amdhsa_user_sgpr_flat_scratch_init 0
		.amdhsa_user_sgpr_private_segment_size 0
		.amdhsa_uses_dynamic_stack 0
		.amdhsa_system_sgpr_private_segment_wavefront_offset 0
		.amdhsa_system_sgpr_workgroup_id_x 1
		.amdhsa_system_sgpr_workgroup_id_y 1
		.amdhsa_system_sgpr_workgroup_id_z 1
		.amdhsa_system_sgpr_workgroup_info 0
		.amdhsa_system_vgpr_workitem_id 0
		.amdhsa_next_free_vgpr 49
		.amdhsa_next_free_sgpr 96
		.amdhsa_reserve_vcc 1
		.amdhsa_reserve_flat_scratch 0
		.amdhsa_float_round_mode_32 0
		.amdhsa_float_round_mode_16_64 0
		.amdhsa_float_denorm_mode_32 3
		.amdhsa_float_denorm_mode_16_64 3
		.amdhsa_dx10_clamp 1
		.amdhsa_ieee_mode 1
		.amdhsa_fp16_overflow 0
		.amdhsa_exception_fp_ieee_invalid_op 0
		.amdhsa_exception_fp_denorm_src 0
		.amdhsa_exception_fp_ieee_div_zero 0
		.amdhsa_exception_fp_ieee_overflow 0
		.amdhsa_exception_fp_ieee_underflow 0
		.amdhsa_exception_fp_ieee_inexact 0
		.amdhsa_exception_int_div_zero 0
	.end_amdhsa_kernel
	.section	.text._ZN2at6native12_GLOBAL__N_114gatherKthValueIfiLi3EEEvNS_4cuda6detail10TensorInfoIKT_T0_EES8_S8_S8_S8_NS5_IS6_S8_EENS5_IlS8_EE,"axG",@progbits,_ZN2at6native12_GLOBAL__N_114gatherKthValueIfiLi3EEEvNS_4cuda6detail10TensorInfoIKT_T0_EES8_S8_S8_S8_NS5_IS6_S8_EENS5_IlS8_EE,comdat
.Lfunc_end50:
	.size	_ZN2at6native12_GLOBAL__N_114gatherKthValueIfiLi3EEEvNS_4cuda6detail10TensorInfoIKT_T0_EES8_S8_S8_S8_NS5_IS6_S8_EENS5_IlS8_EE, .Lfunc_end50-_ZN2at6native12_GLOBAL__N_114gatherKthValueIfiLi3EEEvNS_4cuda6detail10TensorInfoIKT_T0_EES8_S8_S8_S8_NS5_IS6_S8_EENS5_IlS8_EE
                                        ; -- End function
	.set _ZN2at6native12_GLOBAL__N_114gatherKthValueIfiLi3EEEvNS_4cuda6detail10TensorInfoIKT_T0_EES8_S8_S8_S8_NS5_IS6_S8_EENS5_IlS8_EE.num_vgpr, 49
	.set _ZN2at6native12_GLOBAL__N_114gatherKthValueIfiLi3EEEvNS_4cuda6detail10TensorInfoIKT_T0_EES8_S8_S8_S8_NS5_IS6_S8_EENS5_IlS8_EE.num_agpr, 0
	.set _ZN2at6native12_GLOBAL__N_114gatherKthValueIfiLi3EEEvNS_4cuda6detail10TensorInfoIKT_T0_EES8_S8_S8_S8_NS5_IS6_S8_EENS5_IlS8_EE.numbered_sgpr, 96
	.set _ZN2at6native12_GLOBAL__N_114gatherKthValueIfiLi3EEEvNS_4cuda6detail10TensorInfoIKT_T0_EES8_S8_S8_S8_NS5_IS6_S8_EENS5_IlS8_EE.num_named_barrier, 0
	.set _ZN2at6native12_GLOBAL__N_114gatherKthValueIfiLi3EEEvNS_4cuda6detail10TensorInfoIKT_T0_EES8_S8_S8_S8_NS5_IS6_S8_EENS5_IlS8_EE.private_seg_size, 0
	.set _ZN2at6native12_GLOBAL__N_114gatherKthValueIfiLi3EEEvNS_4cuda6detail10TensorInfoIKT_T0_EES8_S8_S8_S8_NS5_IS6_S8_EENS5_IlS8_EE.uses_vcc, 1
	.set _ZN2at6native12_GLOBAL__N_114gatherKthValueIfiLi3EEEvNS_4cuda6detail10TensorInfoIKT_T0_EES8_S8_S8_S8_NS5_IS6_S8_EENS5_IlS8_EE.uses_flat_scratch, 0
	.set _ZN2at6native12_GLOBAL__N_114gatherKthValueIfiLi3EEEvNS_4cuda6detail10TensorInfoIKT_T0_EES8_S8_S8_S8_NS5_IS6_S8_EENS5_IlS8_EE.has_dyn_sized_stack, 0
	.set _ZN2at6native12_GLOBAL__N_114gatherKthValueIfiLi3EEEvNS_4cuda6detail10TensorInfoIKT_T0_EES8_S8_S8_S8_NS5_IS6_S8_EENS5_IlS8_EE.has_recursion, 0
	.set _ZN2at6native12_GLOBAL__N_114gatherKthValueIfiLi3EEEvNS_4cuda6detail10TensorInfoIKT_T0_EES8_S8_S8_S8_NS5_IS6_S8_EENS5_IlS8_EE.has_indirect_call, 0
	.section	.AMDGPU.csdata,"",@progbits
; Kernel info:
; codeLenInByte = 10612
; TotalNumSgprs: 100
; NumVgprs: 49
; ScratchSize: 0
; MemoryBound: 0
; FloatMode: 240
; IeeeMode: 1
; LDSByteSize: 4112 bytes/workgroup (compile time only)
; SGPRBlocks: 12
; VGPRBlocks: 12
; NumSGPRsForWavesPerEU: 100
; NumVGPRsForWavesPerEU: 49
; Occupancy: 4
; WaveLimiterHint : 1
; COMPUTE_PGM_RSRC2:SCRATCH_EN: 0
; COMPUTE_PGM_RSRC2:USER_SGPR: 6
; COMPUTE_PGM_RSRC2:TRAP_HANDLER: 0
; COMPUTE_PGM_RSRC2:TGID_X_EN: 1
; COMPUTE_PGM_RSRC2:TGID_Y_EN: 1
; COMPUTE_PGM_RSRC2:TGID_Z_EN: 1
; COMPUTE_PGM_RSRC2:TIDIG_COMP_CNT: 0
	.section	.text._ZN2at6native12_GLOBAL__N_114gatherKthValueIfiLin1EEEvNS_4cuda6detail10TensorInfoIKT_T0_EES8_S8_S8_S8_NS5_IS6_S8_EENS5_IlS8_EE,"axG",@progbits,_ZN2at6native12_GLOBAL__N_114gatherKthValueIfiLin1EEEvNS_4cuda6detail10TensorInfoIKT_T0_EES8_S8_S8_S8_NS5_IS6_S8_EENS5_IlS8_EE,comdat
	.globl	_ZN2at6native12_GLOBAL__N_114gatherKthValueIfiLin1EEEvNS_4cuda6detail10TensorInfoIKT_T0_EES8_S8_S8_S8_NS5_IS6_S8_EENS5_IlS8_EE ; -- Begin function _ZN2at6native12_GLOBAL__N_114gatherKthValueIfiLin1EEEvNS_4cuda6detail10TensorInfoIKT_T0_EES8_S8_S8_S8_NS5_IS6_S8_EENS5_IlS8_EE
	.p2align	8
	.type	_ZN2at6native12_GLOBAL__N_114gatherKthValueIfiLin1EEEvNS_4cuda6detail10TensorInfoIKT_T0_EES8_S8_S8_S8_NS5_IS6_S8_EENS5_IlS8_EE,@function
_ZN2at6native12_GLOBAL__N_114gatherKthValueIfiLin1EEEvNS_4cuda6detail10TensorInfoIKT_T0_EES8_S8_S8_S8_NS5_IS6_S8_EENS5_IlS8_EE: ; @_ZN2at6native12_GLOBAL__N_114gatherKthValueIfiLin1EEEvNS_4cuda6detail10TensorInfoIKT_T0_EES8_S8_S8_S8_NS5_IS6_S8_EENS5_IlS8_EE
; %bb.0:
	s_load_dwordx2 s[12:13], s[4:5], 0x298
	s_load_dwordx4 s[60:63], s[4:5], 0xd8
	s_add_u32 s10, s4, 0x298
	s_addc_u32 s11, s5, 0
	s_waitcnt lgkmcnt(0)
	s_mul_i32 s0, s13, s8
	s_add_i32 s0, s0, s7
	s_mul_i32 s0, s0, s12
	s_add_i32 s33, s0, s6
	s_cmp_ge_i32 s33, s62
	s_cbranch_scc1 .LBB51_252
; %bb.1:
	s_load_dword s0, s[4:5], 0xd0
	s_mov_b32 s3, 0
	s_mov_b32 s2, s33
	s_waitcnt lgkmcnt(0)
	s_cmp_lt_i32 s0, 2
	s_cbranch_scc1 .LBB51_4
; %bb.2:
	s_add_i32 s2, s0, -1
	s_add_i32 s7, s0, 1
	s_lshl_b64 s[0:1], s[2:3], 2
	s_add_u32 s0, s4, s0
	s_addc_u32 s1, s5, s1
	s_add_u32 s0, s0, 8
	s_addc_u32 s1, s1, 0
	s_mov_b32 s2, s33
.LBB51_3:                               ; =>This Inner Loop Header: Depth=1
	s_load_dword s8, s[0:1], 0x0
	s_load_dword s13, s[0:1], 0x64
	s_mov_b32 s9, s2
	s_abs_i32 s2, s2
	s_waitcnt lgkmcnt(0)
	s_abs_i32 s15, s8
	v_cvt_f32_u32_e32 v1, s15
	s_sub_i32 s16, 0, s15
	s_xor_b32 s14, s9, s8
	s_ashr_i32 s14, s14, 31
	v_rcp_iflag_f32_e32 v1, v1
	v_mul_f32_e32 v1, 0x4f7ffffe, v1
	v_cvt_u32_f32_e32 v1, v1
	v_readfirstlane_b32 s17, v1
	s_mul_i32 s16, s16, s17
	s_mul_hi_u32 s16, s17, s16
	s_add_i32 s17, s17, s16
	s_mul_hi_u32 s16, s2, s17
	s_mul_i32 s17, s16, s15
	s_sub_i32 s2, s2, s17
	s_add_i32 s18, s16, 1
	s_sub_i32 s17, s2, s15
	s_cmp_ge_u32 s2, s15
	s_cselect_b32 s16, s18, s16
	s_cselect_b32 s2, s17, s2
	s_add_i32 s17, s16, 1
	s_cmp_ge_u32 s2, s15
	s_cselect_b32 s2, s17, s16
	s_xor_b32 s2, s2, s14
	s_sub_i32 s2, s2, s14
	s_mul_i32 s8, s2, s8
	s_sub_i32 s8, s9, s8
	s_mul_i32 s8, s13, s8
	s_add_i32 s7, s7, -1
	s_add_i32 s3, s8, s3
	s_add_u32 s0, s0, -4
	s_addc_u32 s1, s1, -1
	s_cmp_gt_u32 s7, 2
	s_cbranch_scc1 .LBB51_3
.LBB51_4:
	s_load_dword s8, s[4:5], 0x1b8
	s_add_u32 s0, s4, 0xe8
	s_addc_u32 s1, s5, 0
	s_mov_b32 s65, 0
	s_mov_b32 s62, s33
	s_waitcnt lgkmcnt(0)
	s_cmp_lt_i32 s8, 2
	s_cbranch_scc1 .LBB51_7
; %bb.5:
	s_add_i32 s64, s8, -1
	s_add_i32 s7, s8, 1
	s_lshl_b64 s[8:9], s[64:65], 2
	s_add_u32 s8, s0, s8
	s_addc_u32 s9, s1, s9
	s_add_u32 s8, s8, 8
	s_addc_u32 s9, s9, 0
	s_mov_b32 s62, s33
.LBB51_6:                               ; =>This Inner Loop Header: Depth=1
	s_load_dword s13, s[8:9], 0x0
	s_load_dword s15, s[8:9], 0x64
	s_abs_i32 s16, s62
	s_mov_b32 s14, s62
	s_waitcnt lgkmcnt(0)
	s_abs_i32 s18, s13
	v_cvt_f32_u32_e32 v1, s18
	s_sub_i32 s19, 0, s18
	s_xor_b32 s17, s62, s13
	s_ashr_i32 s17, s17, 31
	v_rcp_iflag_f32_e32 v1, v1
	v_mul_f32_e32 v1, 0x4f7ffffe, v1
	v_cvt_u32_f32_e32 v1, v1
	v_readfirstlane_b32 s20, v1
	s_mul_i32 s19, s19, s20
	s_mul_hi_u32 s19, s20, s19
	s_add_i32 s20, s20, s19
	s_mul_hi_u32 s19, s16, s20
	s_mul_i32 s20, s19, s18
	s_sub_i32 s16, s16, s20
	s_add_i32 s21, s19, 1
	s_sub_i32 s20, s16, s18
	s_cmp_ge_u32 s16, s18
	s_cselect_b32 s19, s21, s19
	s_cselect_b32 s16, s20, s16
	s_add_i32 s20, s19, 1
	s_cmp_ge_u32 s16, s18
	s_cselect_b32 s16, s20, s19
	s_xor_b32 s16, s16, s17
	s_sub_i32 s62, s16, s17
	s_mul_i32 s13, s62, s13
	s_sub_i32 s13, s14, s13
	s_mul_i32 s13, s15, s13
	s_add_i32 s7, s7, -1
	s_add_i32 s65, s13, s65
	s_add_u32 s8, s8, -4
	s_addc_u32 s9, s9, -1
	s_cmp_gt_u32 s7, 2
	s_cbranch_scc1 .LBB51_6
.LBB51_7:
	s_load_dword s7, s[4:5], 0x6c
	s_load_dword s14, s[4:5], 0x290
	s_add_u32 s8, s4, 0x1c0
	s_addc_u32 s9, s5, 0
	s_mov_b32 s67, 0
	s_waitcnt lgkmcnt(0)
	s_cmp_lt_i32 s14, 2
	s_cbranch_scc1 .LBB51_10
; %bb.8:
	s_add_i32 s66, s14, -1
	s_add_i32 s13, s14, 1
	s_lshl_b64 s[14:15], s[66:67], 2
	s_add_u32 s8, s8, s14
	s_addc_u32 s9, s9, s15
	s_add_u32 s8, s8, 8
	s_addc_u32 s9, s9, 0
.LBB51_9:                               ; =>This Inner Loop Header: Depth=1
	s_load_dword s14, s[8:9], 0x0
	s_load_dword s16, s[8:9], 0x64
	s_abs_i32 s17, s33
	s_mov_b32 s15, s33
	s_waitcnt lgkmcnt(0)
	s_abs_i32 s19, s14
	v_cvt_f32_u32_e32 v1, s19
	s_sub_i32 s20, 0, s19
	s_xor_b32 s18, s33, s14
	s_ashr_i32 s18, s18, 31
	v_rcp_iflag_f32_e32 v1, v1
	v_mul_f32_e32 v1, 0x4f7ffffe, v1
	v_cvt_u32_f32_e32 v1, v1
	v_readfirstlane_b32 s21, v1
	s_mul_i32 s20, s20, s21
	s_mul_hi_u32 s20, s21, s20
	s_add_i32 s21, s21, s20
	s_mul_hi_u32 s20, s17, s21
	s_mul_i32 s21, s20, s19
	s_sub_i32 s17, s17, s21
	s_add_i32 s22, s20, 1
	s_sub_i32 s21, s17, s19
	s_cmp_ge_u32 s17, s19
	s_cselect_b32 s20, s22, s20
	s_cselect_b32 s17, s21, s17
	s_add_i32 s21, s20, 1
	s_cmp_ge_u32 s17, s19
	s_cselect_b32 s17, s21, s20
	s_xor_b32 s17, s17, s18
	s_sub_i32 s33, s17, s18
	s_mul_i32 s14, s33, s14
	s_sub_i32 s14, s15, s14
	s_mul_i32 s14, s16, s14
	s_add_i32 s13, s13, -1
	s_add_i32 s67, s14, s67
	s_add_u32 s8, s8, -4
	s_addc_u32 s9, s9, -1
	s_cmp_gt_u32 s13, 2
	s_cbranch_scc1 .LBB51_9
.LBB51_10:
	s_load_dword s0, s[0:1], 0x6c
                                        ; implicit-def: $vgpr48 : SGPR spill to VGPR lane
	s_mov_b32 s82, 0
	s_waitcnt lgkmcnt(0)
	v_writelane_b32 v48, s0, 0
	s_load_dwordx2 s[8:9], s[4:5], 0x0
	s_load_dwordx2 s[0:1], s[4:5], 0xe8
	s_waitcnt lgkmcnt(0)
	v_writelane_b32 v48, s0, 1
	v_writelane_b32 v48, s1, 2
	s_load_dwordx2 s[0:1], s[4:5], 0x1c0
	s_waitcnt lgkmcnt(0)
	v_writelane_b32 v48, s0, 3
	v_writelane_b32 v48, s1, 4
	v_cmp_eq_u32_e64 s[0:1], 0, v0
	s_mov_b64 s[14:15], exec
	v_writelane_b32 v48, s0, 5
	v_writelane_b32 v48, s1, 6
	s_and_b64 s[0:1], s[14:15], s[0:1]
	s_mov_b64 exec, s[0:1]
; %bb.11:
	v_mov_b32_e32 v1, 0
	v_mov_b32_e32 v2, s60
	;; [unrolled: 1-line block ×3, first 2 shown]
	ds_write_b96 v1, v[1:3] offset:4096
; %bb.12:
	s_or_b64 exec, exec, s[14:15]
	s_load_dword s0, s[4:5], 0x22c
	s_waitcnt lgkmcnt(0)
	s_barrier
	v_mul_lo_u32 v5, s63, v0
	v_writelane_b32 v48, s0, 7
	s_mul_i32 s0, s7, s2
	s_load_dword s2, s[10:11], 0xc
	s_add_i32 s0, s0, s3
	s_ashr_i32 s1, s0, 31
	s_lshl_b64 s[0:1], s[0:1], 2
	s_add_u32 s64, s8, s0
	v_mbcnt_lo_u32_b32 v1, -1, 0
	s_addc_u32 s78, s9, s1
	s_waitcnt lgkmcnt(0)
	s_and_b32 s66, s2, 0xffff
	v_mbcnt_hi_u32_b32 v20, -1, v1
	v_mov_b32_e32 v7, 0
	v_cmp_gt_u32_e32 vcc, 64, v0
	v_cmp_gt_i32_e64 s[4:5], 4, v20
	s_add_i32 s1, s66, -1
	v_mov_b32_e32 v6, v7
	s_lshl_b32 s80, s66, 2
	s_bfe_u32 s0, s2, 0xa0006
	s_and_b64 s[72:73], vcc, s[4:5]
	s_add_i32 s81, s1, s60
	v_lshlrev_b64 v[1:2], 2, v[5:6]
	s_cmpk_gt_i32 s60, 0x300
	v_writelane_b32 v48, s1, 8
	s_cselect_b64 s[8:9], -1, 0
	v_mov_b32_e32 v22, s78
	v_add_co_u32_e32 v8, vcc, s64, v1
	v_writelane_b32 v48, s8, 9
	v_addc_co_u32_e32 v9, vcc, v22, v2, vcc
	v_lshlrev_b64 v[2:3], v20, -1
	v_writelane_b32 v48, s9, 10
	v_cmp_gt_u32_e64 s[8:9], s60, v0
	v_writelane_b32 v48, s8, 11
	v_not_b32_e32 v25, v2
	v_lshrrev_b32_e32 v2, 2, v0
	v_writelane_b32 v48, s9, 12
	v_cmp_gt_i32_e64 s[8:9], s60, v0
	v_and_b32_e32 v2, 0xf0, v2
	v_writelane_b32 v48, s8, 13
	s_cmp_gt_u32 s66, 63
	v_or_b32_e32 v26, 0xc00, v2
	v_cvt_f32_u32_e32 v2, s80
	v_writelane_b32 v48, s9, 14
	s_cselect_b64 s[8:9], -1, 0
	s_cmp_lt_u32 s6, s12
	s_cselect_b32 s1, 12, 18
	v_writelane_b32 v48, s8, 15
	s_add_u32 s6, s10, s1
	v_writelane_b32 v48, s9, 16
	s_addc_u32 s7, s11, 0
	v_rcp_iflag_f32_e32 v2, v2
	v_writelane_b32 v48, s6, 17
	s_add_i32 s1, s0, -1
	v_writelane_b32 v48, s7, 18
	s_bfe_u32 s6, s66, 0x30006
	s_and_b32 s1, s1, 0xffff
	s_cmp_gt_u32 s1, 6
	s_cselect_b64 s[8:9], -1, 0
	v_mul_f32_e32 v2, 0x4f7ffffe, v2
	v_writelane_b32 v48, s8, 19
	s_and_b32 s83, s0, 0x3f8
	v_cvt_u32_f32_e32 v2, v2
	v_writelane_b32 v48, s9, 20
	s_cmp_lg_u32 s6, 0
	v_writelane_b32 v48, s6, 21
	s_cselect_b64 s[0:1], -1, 0
	v_writelane_b32 v48, s0, 22
	v_writelane_b32 v48, s1, 23
	s_sub_i32 s0, 0, s80
	v_readfirstlane_b32 s1, v2
	s_mul_i32 s0, s0, s1
	s_mul_hi_u32 s0, s1, s0
	s_add_i32 s16, s1, s0
	s_mul_hi_u32 s0, s60, s16
	s_mul_i32 s0, s0, s80
	s_sub_i32 s0, s60, s0
	s_sub_i32 s1, s0, s80
	s_cmp_ge_u32 s0, s80
	s_cselect_b32 s0, s1, s0
	s_sub_i32 s1, s0, s80
	s_cmp_ge_u32 s0, s80
	s_cselect_b32 s0, s1, s0
	s_sub_i32 s17, s60, s0
	v_add_u32_e32 v27, s17, v0
	v_cvt_f32_u32_e32 v4, s66
	v_mul_lo_u32 v2, v27, s63
	v_not_b32_e32 v24, v3
	s_sub_i32 s7, 0, s66
	v_rcp_iflag_f32_e32 v4, v4
	v_ashrrev_i32_e32 v3, 31, v2
	v_lshlrev_b64 v[2:3], 2, v[2:3]
	s_abs_i32 s6, s81
	v_add_co_u32_e32 v10, vcc, s64, v2
	v_mul_f32_e32 v2, 0x4f7ffffe, v4
	v_cvt_u32_f32_e32 v2, v2
	s_ashr_i32 s1, s81, 31
	v_lshlrev_b32_e32 v19, 2, v0
	v_lshlrev_b32_e32 v1, 2, v20
	v_readfirstlane_b32 s8, v2
	s_mul_i32 s7, s7, s8
	s_mul_hi_u32 s7, s8, s7
	s_add_i32 s7, s8, s7
	s_mov_b32 s77, s7
	s_mul_hi_u32 s7, s6, s7
	s_mul_i32 s7, s7, s66
	s_sub_i32 s6, s6, s7
	s_sub_i32 s7, s6, s66
	s_cmp_ge_u32 s6, s66
	s_cselect_b32 s6, s7, s6
	s_sub_i32 s7, s6, s66
	v_mul_lo_u32 v2, s63, v19
	s_cmp_ge_u32 s6, s66
	s_cselect_b32 s6, s7, s6
	s_xor_b32 s6, s6, s1
	s_sub_i32 s1, s1, s6
	v_add_u32_e32 v28, s63, v2
	v_or_b32_e32 v2, 2, v19
	s_add_i32 s81, s81, s1
	v_mul_lo_u32 v30, s63, v2
	v_or_b32_e32 v2, 3, v19
	s_add_i32 s1, s66, s60
	v_mul_lo_u32 v31, s63, v2
	v_add_u32_e32 v2, s1, v0
	v_subrev_u32_e32 v2, s0, v2
	v_mul_lo_u32 v33, s63, v2
	v_mov_b32_e32 v6, s78
	v_cmp_gt_i32_e64 s[6:7], s81, v0
	s_mul_i32 s79, s63, s66
	v_cmp_eq_u32_e64 s[2:3], 0, v20
	v_cmp_gt_u32_e64 s[4:5], 2, v0
	v_add_u32_e32 v21, 0xc00, v19
	v_and_b32_e32 v23, 0x100, v1
	v_cmp_gt_i32_e64 s[10:11], s17, v19
	v_cmp_gt_u32_e64 s[12:13], s60, v27
	v_addc_co_u32_e32 v11, vcc, v6, v3, vcc
	v_cmp_gt_i32_e64 s[14:15], s60, v27
	v_writelane_b32 v48, s6, 24
	s_lshl_b32 s18, s79, 2
	v_lshlrev_b32_e32 v32, 2, v5
	v_lshlrev_b32_e32 v34, 4, v0
	s_lshl_b32 s19, s66, 4
	v_or_b32_e32 v35, 0xc00, v1
	s_mov_b64 s[84:85], 0
	v_mov_b32_e32 v37, 30
	v_mov_b32_e32 v39, s61
	v_bfrev_b32_e32 v36, 1
	v_mov_b32_e32 v29, 0
	v_mov_b32_e32 v38, 0
	v_mov_b32_e32 v12, 1.0
	v_mov_b32_e32 v14, 0
	v_writelane_b32 v48, s7, 25
                                        ; implicit-def: $sgpr86_sgpr87
                                        ; implicit-def: $sgpr90_sgpr91
                                        ; implicit-def: $sgpr88_sgpr89
                                        ; implicit-def: $sgpr94_sgpr95
                                        ; implicit-def: $sgpr68_sgpr69
                                        ; implicit-def: $sgpr92_sgpr93
	s_branch .LBB51_16
.LBB51_13:                              ;   in Loop: Header=BB51_16 Depth=1
	s_or_b64 exec, exec, s[28:29]
	s_and_b64 s[22:23], s[22:23], exec
	s_andn2_b64 s[26:27], s[26:27], exec
	s_andn2_b64 s[24:25], s[24:25], exec
	s_orn2_b64 s[20:21], s[20:21], exec
.LBB51_14:                              ;   in Loop: Header=BB51_16 Depth=1
	s_or_b64 exec, exec, s[8:9]
	s_andn2_b64 s[8:9], s[92:93], exec
	s_and_b64 s[22:23], s[22:23], exec
	s_or_b64 s[92:93], s[8:9], s[22:23]
	s_andn2_b64 s[8:9], s[68:69], exec
	s_and_b64 s[22:23], s[26:27], exec
	s_or_b64 s[68:69], s[8:9], s[22:23]
	;; [unrolled: 3-line block ×3, first 2 shown]
	s_orn2_b64 s[8:9], s[20:21], exec
.LBB51_15:                              ;   in Loop: Header=BB51_16 Depth=1
	s_or_b64 exec, exec, s[6:7]
	s_and_b64 s[6:7], exec, s[8:9]
	s_or_b64 s[84:85], s[6:7], s[84:85]
	s_andn2_b64 s[6:7], s[88:89], exec
	s_and_b64 s[8:9], s[92:93], exec
	s_or_b64 s[88:89], s[6:7], s[8:9]
	s_andn2_b64 s[6:7], s[90:91], exec
	s_and_b64 s[8:9], s[68:69], exec
	;; [unrolled: 3-line block ×3, first 2 shown]
	s_or_b64 s[86:87], s[6:7], s[8:9]
	s_mov_b32 s82, s0
	v_mov_b32_e32 v39, v15
	s_andn2_b64 exec, exec, s[84:85]
	s_cbranch_execz .LBB51_248
.LBB51_16:                              ; =>This Loop Header: Depth=1
                                        ;     Child Loop BB51_22 Depth 2
                                        ;     Child Loop BB51_37 Depth 2
	;; [unrolled: 1-line block ×16, first 2 shown]
	ds_read_b64 v[1:2], v7 offset:4096
	s_waitcnt lgkmcnt(0)
	v_readfirstlane_b32 s61, v1
	s_cmp_gt_i32 s61, 0
	s_cbranch_scc1 .LBB51_44
; %bb.17:                               ;   in Loop: Header=BB51_16 Depth=1
	v_readlane_b32 s0, v48, 9
	v_readlane_b32 s1, v48, 10
	s_and_b64 vcc, exec, s[0:1]
	s_cbranch_vccz .LBB51_30
; %bb.18:                               ;   in Loop: Header=BB51_16 Depth=1
	s_movk_i32 s0, 0x301
	v_cmp_gt_i32_e32 vcc, s0, v2
	s_mov_b64 s[8:9], 0
	s_mov_b64 s[6:7], 0
	s_cbranch_vccz .LBB51_31
; %bb.19:                               ;   in Loop: Header=BB51_16 Depth=1
	s_mov_b64 s[20:21], exec
	v_readlane_b32 s0, v48, 11
	v_readlane_b32 s1, v48, 12
	s_and_b64 s[0:1], s[20:21], s[0:1]
	s_mov_b64 exec, s[0:1]
	s_cbranch_execz .LBB51_76
; %bb.20:                               ;   in Loop: Header=BB51_16 Depth=1
	v_readlane_b32 s0, v48, 17
	v_readlane_b32 s1, v48, 18
	s_nop 4
	global_load_ushort v1, v7, s[0:1]
	global_load_dword v3, v[8:9], off
	s_mov_b64 s[22:23], 0
	v_mov_b32_e32 v4, v0
	s_waitcnt vmcnt(1)
	v_add_u32_e32 v2, v0, v1
	v_mul_lo_u32 v6, s63, v2
	v_mul_lo_u32 v2, s63, v1
	s_branch .LBB51_22
.LBB51_21:                              ;   in Loop: Header=BB51_22 Depth=2
	s_or_b64 exec, exec, s[6:7]
	v_cmp_le_i32_e32 vcc, s60, v4
	v_add_u32_e32 v6, v6, v2
	s_or_b64 s[22:23], vcc, s[22:23]
	v_mov_b32_e32 v3, v13
	s_andn2_b64 exec, exec, s[22:23]
	s_cbranch_execz .LBB51_76
.LBB51_22:                              ;   Parent Loop BB51_16 Depth=1
                                        ; =>  This Inner Loop Header: Depth=2
	v_add_u32_e32 v4, v4, v1
	v_cmp_gt_u32_e32 vcc, s60, v4
	s_waitcnt lgkmcnt(0)
	v_mov_b32_e32 v15, 0
	v_mov_b32_e32 v13, 0
	s_and_saveexec_b64 s[6:7], vcc
	s_cbranch_execz .LBB51_24
; %bb.23:                               ;   in Loop: Header=BB51_22 Depth=2
	v_lshlrev_b64 v[16:17], 2, v[6:7]
	v_add_co_u32_e32 v16, vcc, s64, v16
	v_addc_co_u32_e32 v17, vcc, v22, v17, vcc
	global_load_dword v13, v[16:17], off
.LBB51_24:                              ;   in Loop: Header=BB51_22 Depth=2
	s_or_b64 exec, exec, s[6:7]
	s_waitcnt vmcnt(0)
	v_cmp_lt_i32_e32 vcc, -1, v3
	v_cndmask_b32_e32 v16, -1, v36, vcc
	v_xor_b32_e32 v16, v16, v3
	v_cmp_o_f32_e32 vcc, v3, v3
	v_cndmask_b32_e32 v16, -1, v16, vcc
	v_and_b32_e32 v16, v16, v38
	v_cmp_eq_u32_e32 vcc, v16, v29
	s_cmp_lg_u64 vcc, 0
	s_cselect_b64 s[0:1], -1, 0
	s_and_b64 s[0:1], s[2:3], s[0:1]
	s_and_saveexec_b64 s[24:25], s[0:1]
	s_cbranch_execz .LBB51_28
; %bb.25:                               ;   in Loop: Header=BB51_22 Depth=2
	s_mov_b64 s[28:29], exec
	v_mbcnt_lo_u32_b32 v15, s28, 0
	v_mbcnt_hi_u32_b32 v15, s29, v15
	s_bcnt1_i32_b64 s0, vcc
	v_cmp_eq_u32_e64 s[6:7], 0, v15
                                        ; implicit-def: $vgpr16
	s_and_saveexec_b64 s[26:27], s[6:7]
; %bb.26:                               ;   in Loop: Header=BB51_22 Depth=2
	s_bcnt1_i32_b64 s1, s[28:29]
	s_mul_i32 s1, s0, s1
	v_mov_b32_e32 v16, s1
	ds_add_rtn_u32 v16, v7, v16 offset:4104
; %bb.27:                               ;   in Loop: Header=BB51_22 Depth=2
	s_or_b64 exec, exec, s[26:27]
	s_waitcnt lgkmcnt(0)
	v_readfirstlane_b32 s1, v16
	v_mov_b32_e32 v16, s1
	v_mad_u32_u24 v15, s0, v15, v16
.LBB51_28:                              ;   in Loop: Header=BB51_22 Depth=2
	s_or_b64 exec, exec, s[24:25]
	ds_bpermute_b32 v15, v23, v15
	s_and_saveexec_b64 s[6:7], vcc
	s_cbranch_execz .LBB51_21
; %bb.29:                               ;   in Loop: Header=BB51_22 Depth=2
	v_and_b32_e32 v17, vcc_lo, v25
	v_and_b32_e32 v16, vcc_hi, v24
	v_bcnt_u32_b32 v17, v17, 0
	v_bcnt_u32_b32 v16, v16, v17
	v_lshlrev_b32_e32 v16, 2, v16
	s_waitcnt lgkmcnt(0)
	v_lshl_add_u32 v15, v15, 2, v16
	ds_write_b32 v15, v3
	s_branch .LBB51_21
.LBB51_30:                              ;   in Loop: Header=BB51_16 Depth=1
	s_mov_b64 s[8:9], -1
	s_mov_b64 s[6:7], 0
.LBB51_31:                              ;   in Loop: Header=BB51_16 Depth=1
	s_and_b64 vcc, exec, s[8:9]
	s_cbranch_vccz .LBB51_42
.LBB51_32:                              ;   in Loop: Header=BB51_16 Depth=1
	v_mov_b32_e32 v1, 0
	s_mov_b64 s[6:7], exec
	v_readlane_b32 s0, v48, 11
	v_readlane_b32 s1, v48, 12
	s_and_b64 s[0:1], s[6:7], s[0:1]
	s_mov_b64 exec, s[0:1]
	s_cbranch_execz .LBB51_34
; %bb.33:                               ;   in Loop: Header=BB51_16 Depth=1
	global_load_dword v1, v[8:9], off
.LBB51_34:                              ;   in Loop: Header=BB51_16 Depth=1
	s_or_b64 exec, exec, s[6:7]
	s_mov_b64 s[6:7], exec
	v_readlane_b32 s0, v48, 13
	v_readlane_b32 s1, v48, 14
	s_and_b64 s[0:1], s[6:7], s[0:1]
	s_mov_b64 exec, s[0:1]
	s_cbranch_execz .LBB51_39
; %bb.35:                               ;   in Loop: Header=BB51_16 Depth=1
	v_readlane_b32 s0, v48, 17
	v_readlane_b32 s1, v48, 18
	s_mov_b64 s[8:9], 0
	v_mov_b32_e32 v13, v19
	v_mov_b32_e32 v15, v0
	s_nop 1
	global_load_ushort v2, v7, s[0:1]
	s_waitcnt vmcnt(0)
	v_add_u32_e32 v4, v0, v2
	v_mul_lo_u32 v6, s63, v4
	v_mul_lo_u32 v4, s63, v2
	v_lshlrev_b32_e32 v3, 2, v2
	s_branch .LBB51_37
.LBB51_36:                              ;   in Loop: Header=BB51_37 Depth=2
	s_or_b64 exec, exec, s[20:21]
	v_cmp_le_i32_e32 vcc, s60, v15
	ds_write_b32 v13, v1
	v_add_u32_e32 v13, v13, v3
	v_add_u32_e32 v6, v6, v4
	s_or_b64 s[8:9], vcc, s[8:9]
	s_waitcnt vmcnt(0)
	v_mov_b32_e32 v1, v16
	s_andn2_b64 exec, exec, s[8:9]
	s_cbranch_execz .LBB51_39
.LBB51_37:                              ;   Parent Loop BB51_16 Depth=1
                                        ; =>  This Inner Loop Header: Depth=2
	v_add_u32_e32 v15, v15, v2
	v_cmp_gt_u32_e32 vcc, s60, v15
	v_mov_b32_e32 v16, 0
	s_and_saveexec_b64 s[20:21], vcc
	s_cbranch_execz .LBB51_36
; %bb.38:                               ;   in Loop: Header=BB51_37 Depth=2
	v_lshlrev_b64 v[16:17], 2, v[6:7]
	v_mov_b32_e32 v18, s78
	v_add_co_u32_e32 v16, vcc, s64, v16
	v_addc_co_u32_e32 v17, vcc, v18, v17, vcc
	global_load_dword v16, v[16:17], off
	s_branch .LBB51_36
.LBB51_39:                              ;   in Loop: Header=BB51_16 Depth=1
	s_or_b64 exec, exec, s[6:7]
	s_waitcnt vmcnt(0) lgkmcnt(0)
	s_barrier
	s_mov_b64 s[6:7], exec
	v_readlane_b32 s0, v48, 5
	v_readlane_b32 s1, v48, 6
	s_and_b64 s[0:1], s[6:7], s[0:1]
	s_mov_b64 exec, s[0:1]
; %bb.40:                               ;   in Loop: Header=BB51_16 Depth=1
	v_mov_b32_e32 v1, s60
	ds_write_b32 v7, v1 offset:4096
; %bb.41:                               ;   in Loop: Header=BB51_16 Depth=1
	s_or_b64 exec, exec, s[6:7]
	s_mov_b64 s[6:7], -1
	s_waitcnt lgkmcnt(0)
	s_barrier
.LBB51_42:                              ;   in Loop: Header=BB51_16 Depth=1
	s_and_b64 vcc, exec, s[6:7]
	s_cbranch_vccz .LBB51_44
; %bb.43:                               ;   in Loop: Header=BB51_16 Depth=1
	ds_read_b32 v1, v7 offset:4096
	s_waitcnt lgkmcnt(0)
	v_readfirstlane_b32 s61, v1
.LBB51_44:                              ;   in Loop: Header=BB51_16 Depth=1
	s_cmp_lt_i32 s61, 1
	s_mov_b64 s[6:7], -1
                                        ; implicit-def: $vgpr1
	s_cbranch_scc1 .LBB51_54
; %bb.45:                               ;   in Loop: Header=BB51_16 Depth=1
	s_and_b64 vcc, exec, s[6:7]
	s_cbranch_vccnz .LBB51_67
.LBB51_46:                              ;   in Loop: Header=BB51_16 Depth=1
	s_lshl_b32 s0, s82, 6
	s_and_saveexec_b64 s[6:7], s[2:3]
.LBB51_47:                              ;   in Loop: Header=BB51_16 Depth=1
	v_lshl_add_u32 v6, s0, 2, v26
	ds_write_b128 v6, v[1:4]
.LBB51_48:                              ;   in Loop: Header=BB51_16 Depth=1
	s_or_b64 exec, exec, s[6:7]
	s_waitcnt vmcnt(0) lgkmcnt(0)
	s_barrier
	s_and_saveexec_b64 s[6:7], s[72:73]
	s_cbranch_execz .LBB51_84
; %bb.49:                               ;   in Loop: Header=BB51_16 Depth=1
	v_readlane_b32 s8, v48, 15
	v_readlane_b32 s9, v48, 16
	s_andn2_b64 vcc, exec, s[8:9]
	v_mov_b32_e32 v1, 0
	s_cbranch_vccnz .LBB51_83
; %bb.50:                               ;   in Loop: Header=BB51_16 Depth=1
	v_readlane_b32 s8, v48, 19
	v_readlane_b32 s9, v48, 20
	s_andn2_b64 vcc, exec, s[8:9]
	s_cbranch_vccnz .LBB51_79
; %bb.51:                               ;   in Loop: Header=BB51_16 Depth=1
	v_lshl_add_u32 v2, s82, 8, v35
	s_mov_b32 s1, 0
	v_mov_b32_e32 v1, 0
.LBB51_52:                              ;   Parent Loop BB51_16 Depth=1
                                        ; =>  This Inner Loop Header: Depth=2
	ds_read2_b32 v[3:4], v2 offset1:4
	ds_read2_b32 v[15:16], v2 offset0:8 offset1:12
	ds_read2_b32 v[17:18], v2 offset0:16 offset1:20
	;; [unrolled: 1-line block ×3, first 2 shown]
	s_add_i32 s1, s1, 8
	s_waitcnt lgkmcnt(3)
	v_add3_u32 v1, v3, v1, v4
	s_waitcnt lgkmcnt(2)
	v_add3_u32 v1, v15, v1, v16
	;; [unrolled: 2-line block ×3, first 2 shown]
	v_add_u32_e32 v2, 0x80, v2
	s_cmp_eq_u32 s83, s1
	s_waitcnt lgkmcnt(0)
	v_add3_u32 v1, v40, v1, v41
	s_cbranch_scc0 .LBB51_52
; %bb.53:                               ;   in Loop: Header=BB51_16 Depth=1
	s_mov_b32 s1, s83
	s_branch .LBB51_80
.LBB51_54:                              ;   in Loop: Header=BB51_16 Depth=1
	v_mov_b32_e32 v1, 0
	v_mov_b32_e32 v2, 0
	;; [unrolled: 1-line block ×4, first 2 shown]
	s_and_saveexec_b64 s[70:71], s[10:11]
	s_cbranch_execnz .LBB51_57
; %bb.55:                               ;   in Loop: Header=BB51_16 Depth=1
	s_or_b64 exec, exec, s[70:71]
	v_mov_b32_e32 v13, 0
	s_and_saveexec_b64 s[6:7], s[12:13]
	s_cbranch_execnz .LBB51_60
.LBB51_56:                              ;   in Loop: Header=BB51_16 Depth=1
	s_or_b64 exec, exec, s[6:7]
	s_and_saveexec_b64 s[8:9], s[14:15]
	s_cbranch_execnz .LBB51_61
	s_branch .LBB51_66
.LBB51_57:                              ;   in Loop: Header=BB51_16 Depth=1
	s_mov_b32 s0, 0
	s_mov_b64 s[8:9], 0
	s_mov_b32 s1, 0
	s_mov_b32 s74, 0
	s_mov_b32 s75, 0
	s_mov_b32 s76, 0
	v_mov_b32_e32 v6, v19
.LBB51_58:                              ;   Parent Loop BB51_16 Depth=1
                                        ; =>  This Inner Loop Header: Depth=2
	v_add_u32_e32 v1, s0, v32
	v_ashrrev_i32_e32 v2, 31, v1
	v_add_u32_e32 v3, s0, v28
	v_lshlrev_b64 v[1:2], 2, v[1:2]
	v_ashrrev_i32_e32 v4, 31, v3
	v_mov_b32_e32 v13, s78
	v_add_u32_e32 v15, s0, v30
	v_lshlrev_b64 v[3:4], 2, v[3:4]
	v_add_co_u32_e64 v1, s[6:7], s64, v1
	v_ashrrev_i32_e32 v16, 31, v15
	v_addc_co_u32_e64 v2, s[6:7], v13, v2, s[6:7]
	v_add_u32_e32 v17, s0, v31
	v_lshlrev_b64 v[15:16], 2, v[15:16]
	v_add_co_u32_e64 v3, s[6:7], s64, v3
	v_ashrrev_i32_e32 v18, 31, v17
	v_addc_co_u32_e64 v4, s[6:7], v13, v4, s[6:7]
	v_lshlrev_b64 v[17:18], 2, v[17:18]
	v_add_co_u32_e64 v15, s[6:7], s64, v15
	v_addc_co_u32_e64 v16, s[6:7], v13, v16, s[6:7]
	v_add_co_u32_e64 v17, s[6:7], s64, v17
	v_addc_co_u32_e64 v18, s[6:7], v13, v18, s[6:7]
	global_load_dword v1, v[1:2], off
	s_nop 0
	global_load_dword v2, v[3:4], off
	s_nop 0
	global_load_dword v3, v[15:16], off
	global_load_dword v4, v[17:18], off
	v_add_u32_e32 v6, s80, v6
	s_add_i32 s0, s0, s18
	v_cmp_le_i32_e32 vcc, s17, v6
	s_waitcnt vmcnt(3)
	v_cmp_lt_i32_e64 s[6:7], -1, v1
	v_cndmask_b32_e64 v13, -1, v36, s[6:7]
	s_waitcnt vmcnt(2)
	v_cmp_lt_i32_e64 s[6:7], -1, v2
	v_cndmask_b32_e64 v15, -1, v36, s[6:7]
	;; [unrolled: 3-line block ×4, first 2 shown]
	v_xor_b32_e32 v15, v15, v2
	v_cmp_o_f32_e64 s[6:7], v2, v2
	v_xor_b32_e32 v2, v16, v3
	v_cmp_o_f32_e64 s[20:21], v3, v3
	;; [unrolled: 2-line block ×4, first 2 shown]
	v_cndmask_b32_e64 v1, -1, v4, s[24:25]
	v_cndmask_b32_e64 v4, -1, v15, s[6:7]
	v_and_b32_e32 v13, v1, v38
	v_bfe_u32 v1, v1, v37, 2
	v_cndmask_b32_e64 v2, -1, v2, s[20:21]
	v_and_b32_e32 v15, v4, v38
	v_bfe_u32 v4, v4, v37, 2
	v_cmp_eq_u32_e64 s[6:7], v13, v29
	v_cmp_eq_u32_e64 s[26:27], 0, v1
	v_cndmask_b32_e64 v3, -1, v3, s[22:23]
	v_and_b32_e32 v16, v2, v38
	v_bfe_u32 v2, v2, v37, 2
	v_cmp_eq_u32_e64 s[20:21], v15, v29
	v_cmp_eq_u32_e64 s[28:29], 0, v4
	s_and_b64 s[26:27], s[6:7], s[26:27]
	v_and_b32_e32 v17, v3, v38
	v_bfe_u32 v3, v3, v37, 2
	v_cmp_eq_u32_e64 s[22:23], v16, v29
	v_cmp_eq_u32_e64 s[30:31], 0, v2
	;; [unrolled: 1-line block ×5, first 2 shown]
	v_cndmask_b32_e64 v1, 0, 1, s[26:27]
	s_and_b64 s[26:27], s[20:21], s[28:29]
	v_cmp_eq_u32_e64 s[24:25], v17, v29
	v_cmp_eq_u32_e64 s[34:35], 0, v3
	;; [unrolled: 1-line block ×5, first 2 shown]
	v_cndmask_b32_e64 v2, 0, 1, s[26:27]
	s_and_b64 s[26:27], s[22:23], s[30:31]
	v_cmp_eq_u32_e64 s[42:43], 1, v3
	v_cmp_eq_u32_e64 s[50:51], 2, v3
	;; [unrolled: 1-line block ×3, first 2 shown]
	v_cndmask_b32_e64 v3, 0, 1, s[26:27]
	s_and_b64 s[26:27], s[24:25], s[34:35]
	v_cmp_eq_u32_e64 s[38:39], 1, v4
	v_cmp_eq_u32_e64 s[46:47], 2, v4
	;; [unrolled: 1-line block ×3, first 2 shown]
	v_cndmask_b32_e64 v4, 0, 1, s[26:27]
	s_and_b64 s[26:27], s[6:7], s[36:37]
	v_cndmask_b32_e64 v13, 0, 1, s[26:27]
	s_and_b64 s[26:27], s[20:21], s[38:39]
	;; [unrolled: 2-line block ×5, first 2 shown]
	s_and_b64 s[6:7], s[6:7], s[52:53]
	v_cndmask_b32_e64 v18, 0, 1, s[26:27]
	s_and_b64 s[26:27], s[20:21], s[46:47]
	v_cndmask_b32_e64 v43, 0, 1, s[6:7]
	;; [unrolled: 2-line block ×7, first 2 shown]
	v_cndmask_b32_e64 v46, 0, 1, s[6:7]
	v_cmp_ne_u32_e64 s[6:7], 0, v1
	v_cmp_ne_u32_e64 s[20:21], 0, v2
	;; [unrolled: 1-line block ×11, first 2 shown]
	s_bcnt1_i32_b64 s6, s[6:7]
	s_bcnt1_i32_b64 s7, s[20:21]
	;; [unrolled: 1-line block ×8, first 2 shown]
	v_cmp_ne_u32_e64 s[34:35], 0, v17
	v_cmp_ne_u32_e64 s[40:41], 0, v41
	;; [unrolled: 1-line block ×3, first 2 shown]
	s_bcnt1_i32_b64 s23, s[28:29]
	s_bcnt1_i32_b64 s27, s[38:39]
	;; [unrolled: 1-line block ×3, first 2 shown]
	s_add_i32 s6, s76, s6
	s_add_i32 s22, s75, s22
	;; [unrolled: 1-line block ×4, first 2 shown]
	v_cmp_ne_u32_e64 s[42:43], 0, v42
	v_cmp_ne_u32_e64 s[50:51], 0, v46
	s_bcnt1_i32_b64 s25, s[34:35]
	s_bcnt1_i32_b64 s28, s[40:41]
	;; [unrolled: 1-line block ×3, first 2 shown]
	s_add_i32 s6, s6, s7
	s_add_i32 s7, s22, s23
	;; [unrolled: 1-line block ×4, first 2 shown]
	s_bcnt1_i32_b64 s29, s[42:43]
	s_bcnt1_i32_b64 s35, s[50:51]
	s_add_i32 s6, s6, s20
	s_add_i32 s7, s7, s24
	;; [unrolled: 1-line block ×8, first 2 shown]
	s_or_b64 s[8:9], vcc, s[8:9]
	v_mov_b32_e32 v1, s76
	v_mov_b32_e32 v2, s75
	;; [unrolled: 1-line block ×4, first 2 shown]
	s_andn2_b64 exec, exec, s[8:9]
	s_cbranch_execnz .LBB51_58
; %bb.59:                               ;   in Loop: Header=BB51_16 Depth=1
	s_or_b64 exec, exec, s[8:9]
	s_or_b64 exec, exec, s[70:71]
	v_mov_b32_e32 v13, 0
	s_and_saveexec_b64 s[6:7], s[12:13]
	s_cbranch_execz .LBB51_56
.LBB51_60:                              ;   in Loop: Header=BB51_16 Depth=1
	global_load_dword v13, v[10:11], off
	s_or_b64 exec, exec, s[6:7]
	s_and_saveexec_b64 s[8:9], s[14:15]
	s_cbranch_execz .LBB51_66
.LBB51_61:                              ;   in Loop: Header=BB51_16 Depth=1
	s_mov_b64 s[20:21], 0
	v_mov_b32_e32 v15, v33
	v_mov_b32_e32 v6, v27
	s_branch .LBB51_63
.LBB51_62:                              ;   in Loop: Header=BB51_63 Depth=2
	s_or_b64 exec, exec, s[6:7]
	s_waitcnt vmcnt(0)
	v_cmp_lt_i32_e32 vcc, -1, v13
	v_cndmask_b32_e32 v17, -1, v36, vcc
	v_xor_b32_e32 v17, v17, v13
	v_cmp_o_f32_e32 vcc, v13, v13
	v_cndmask_b32_e32 v13, -1, v17, vcc
	v_and_b32_e32 v17, v13, v38
	v_bfe_u32 v13, v13, v37, 2
	v_cmp_eq_u32_e32 vcc, v17, v29
	v_cmp_eq_u32_e64 s[6:7], 0, v13
	s_and_b64 s[0:1], vcc, s[6:7]
	v_cndmask_b32_e64 v17, 0, 1, s[0:1]
	v_cmp_ne_u32_e64 s[6:7], 0, v17
	s_bcnt1_i32_b64 s0, s[6:7]
	v_cmp_eq_u32_e64 s[6:7], 1, v13
	v_add_u32_e32 v1, s0, v1
	s_and_b64 s[0:1], vcc, s[6:7]
	v_cndmask_b32_e64 v17, 0, 1, s[0:1]
	v_cmp_ne_u32_e64 s[6:7], 0, v17
	s_bcnt1_i32_b64 s0, s[6:7]
	v_cmp_eq_u32_e64 s[6:7], 2, v13
	v_add_u32_e32 v2, s0, v2
	;; [unrolled: 6-line block ×3, first 2 shown]
	s_and_b64 s[0:1], vcc, s[6:7]
	v_cndmask_b32_e64 v13, 0, 1, s[0:1]
	v_cmp_ne_u32_e32 vcc, 0, v13
	s_bcnt1_i32_b64 s0, vcc
	v_cmp_le_i32_e32 vcc, s60, v6
	v_add_u32_e32 v4, s0, v4
	v_add_u32_e32 v15, s79, v15
	s_or_b64 s[20:21], vcc, s[20:21]
	v_mov_b32_e32 v13, v16
	s_andn2_b64 exec, exec, s[20:21]
	s_cbranch_execz .LBB51_65
.LBB51_63:                              ;   Parent Loop BB51_16 Depth=1
                                        ; =>  This Inner Loop Header: Depth=2
	v_add_u32_e32 v6, s66, v6
	v_cmp_gt_u32_e32 vcc, s60, v6
	v_mov_b32_e32 v16, 0
	s_and_saveexec_b64 s[6:7], vcc
	s_cbranch_execz .LBB51_62
; %bb.64:                               ;   in Loop: Header=BB51_63 Depth=2
	v_ashrrev_i32_e32 v16, 31, v15
	v_lshlrev_b64 v[16:17], 2, v[15:16]
	v_mov_b32_e32 v18, s78
	v_add_co_u32_e32 v16, vcc, s64, v16
	v_addc_co_u32_e32 v17, vcc, v18, v17, vcc
	global_load_dword v16, v[16:17], off
	s_branch .LBB51_62
.LBB51_65:                              ;   in Loop: Header=BB51_16 Depth=1
	s_or_b64 exec, exec, s[20:21]
.LBB51_66:                              ;   in Loop: Header=BB51_16 Depth=1
	s_or_b64 exec, exec, s[8:9]
	s_branch .LBB51_46
.LBB51_67:                              ;   in Loop: Header=BB51_16 Depth=1
	s_mul_hi_u32 s0, s61, s16
	s_mul_i32 s0, s0, s80
	s_sub_i32 s0, s61, s0
	s_sub_i32 s1, s0, s80
	s_cmp_ge_u32 s0, s80
	s_cselect_b32 s0, s1, s0
	s_sub_i32 s1, s0, s80
	s_cmp_ge_u32 s0, s80
	s_cselect_b32 s0, s1, s0
	s_sub_i32 s0, s61, s0
	v_cmp_gt_u32_e32 vcc, s0, v19
	v_mov_b32_e32 v1, 0
	v_mov_b32_e32 v2, 0
	;; [unrolled: 1-line block ×4, first 2 shown]
	s_and_saveexec_b64 s[8:9], vcc
	s_cbranch_execz .LBB51_71
; %bb.68:                               ;   in Loop: Header=BB51_16 Depth=1
	s_mov_b32 s1, 0
	s_mov_b64 s[70:71], 0
	v_mov_b32_e32 v6, v34
	s_mov_b32 s74, 0
	s_mov_b32 s75, 0
	;; [unrolled: 1-line block ×3, first 2 shown]
	s_waitcnt vmcnt(0)
	v_mov_b32_e32 v13, v19
.LBB51_69:                              ;   Parent Loop BB51_16 Depth=1
                                        ; =>  This Inner Loop Header: Depth=2
	ds_read_b128 v[1:4], v6
	v_add_u32_e32 v13, s80, v13
	v_cmp_le_i32_e32 vcc, s0, v13
	v_add_u32_e32 v6, s19, v6
	s_waitcnt lgkmcnt(0)
	v_cmp_lt_i32_e64 s[6:7], -1, v1
	v_cndmask_b32_e64 v15, -1, v36, s[6:7]
	v_cmp_lt_i32_e64 s[6:7], -1, v2
	v_cndmask_b32_e64 v16, -1, v36, s[6:7]
	;; [unrolled: 2-line block ×4, first 2 shown]
	v_xor_b32_e32 v16, v16, v2
	v_cmp_o_f32_e64 s[6:7], v2, v2
	v_xor_b32_e32 v2, v17, v3
	v_cmp_o_f32_e64 s[20:21], v3, v3
	;; [unrolled: 2-line block ×4, first 2 shown]
	v_cndmask_b32_e64 v1, -1, v4, s[24:25]
	v_cndmask_b32_e64 v4, -1, v16, s[6:7]
	v_and_b32_e32 v15, v1, v38
	v_bfe_u32 v1, v1, v37, 2
	v_cndmask_b32_e64 v2, -1, v2, s[20:21]
	v_and_b32_e32 v16, v4, v38
	v_bfe_u32 v4, v4, v37, 2
	v_cmp_eq_u32_e64 s[6:7], v15, v29
	v_cmp_eq_u32_e64 s[26:27], 0, v1
	v_cndmask_b32_e64 v3, -1, v3, s[22:23]
	v_and_b32_e32 v17, v2, v38
	v_bfe_u32 v2, v2, v37, 2
	v_cmp_eq_u32_e64 s[20:21], v16, v29
	v_cmp_eq_u32_e64 s[28:29], 0, v4
	s_and_b64 s[26:27], s[6:7], s[26:27]
	v_and_b32_e32 v18, v3, v38
	v_bfe_u32 v3, v3, v37, 2
	v_cmp_eq_u32_e64 s[22:23], v17, v29
	v_cmp_eq_u32_e64 s[30:31], 0, v2
	;; [unrolled: 1-line block ×5, first 2 shown]
	v_cndmask_b32_e64 v1, 0, 1, s[26:27]
	s_and_b64 s[26:27], s[20:21], s[28:29]
	v_cmp_eq_u32_e64 s[24:25], v18, v29
	v_cmp_eq_u32_e64 s[34:35], 0, v3
	;; [unrolled: 1-line block ×5, first 2 shown]
	v_cndmask_b32_e64 v2, 0, 1, s[26:27]
	s_and_b64 s[26:27], s[22:23], s[30:31]
	v_cmp_eq_u32_e64 s[42:43], 1, v3
	v_cmp_eq_u32_e64 s[50:51], 2, v3
	;; [unrolled: 1-line block ×3, first 2 shown]
	v_cndmask_b32_e64 v3, 0, 1, s[26:27]
	s_and_b64 s[26:27], s[24:25], s[34:35]
	v_cmp_eq_u32_e64 s[38:39], 1, v4
	v_cmp_eq_u32_e64 s[46:47], 2, v4
	;; [unrolled: 1-line block ×3, first 2 shown]
	v_cndmask_b32_e64 v4, 0, 1, s[26:27]
	s_and_b64 s[26:27], s[6:7], s[36:37]
	v_cndmask_b32_e64 v15, 0, 1, s[26:27]
	s_and_b64 s[26:27], s[20:21], s[38:39]
	;; [unrolled: 2-line block ×5, first 2 shown]
	s_and_b64 s[6:7], s[6:7], s[52:53]
	v_cndmask_b32_e64 v40, 0, 1, s[26:27]
	s_and_b64 s[26:27], s[20:21], s[46:47]
	v_cndmask_b32_e64 v44, 0, 1, s[6:7]
	;; [unrolled: 2-line block ×7, first 2 shown]
	v_cndmask_b32_e64 v47, 0, 1, s[6:7]
	v_cmp_ne_u32_e64 s[6:7], 0, v1
	v_cmp_ne_u32_e64 s[20:21], 0, v2
	;; [unrolled: 1-line block ×11, first 2 shown]
	s_bcnt1_i32_b64 s6, s[6:7]
	s_bcnt1_i32_b64 s7, s[20:21]
	;; [unrolled: 1-line block ×8, first 2 shown]
	v_cmp_ne_u32_e64 s[34:35], 0, v18
	v_cmp_ne_u32_e64 s[40:41], 0, v42
	;; [unrolled: 1-line block ×3, first 2 shown]
	s_bcnt1_i32_b64 s23, s[28:29]
	s_bcnt1_i32_b64 s27, s[38:39]
	;; [unrolled: 1-line block ×3, first 2 shown]
	s_add_i32 s6, s76, s6
	s_add_i32 s22, s75, s22
	;; [unrolled: 1-line block ×4, first 2 shown]
	v_cmp_ne_u32_e64 s[42:43], 0, v43
	v_cmp_ne_u32_e64 s[50:51], 0, v47
	s_bcnt1_i32_b64 s25, s[34:35]
	s_bcnt1_i32_b64 s28, s[40:41]
	;; [unrolled: 1-line block ×3, first 2 shown]
	s_add_i32 s6, s6, s7
	s_add_i32 s7, s22, s23
	;; [unrolled: 1-line block ×4, first 2 shown]
	s_bcnt1_i32_b64 s29, s[42:43]
	s_bcnt1_i32_b64 s35, s[50:51]
	s_add_i32 s6, s6, s20
	s_add_i32 s7, s7, s24
	;; [unrolled: 1-line block ×8, first 2 shown]
	s_or_b64 s[70:71], vcc, s[70:71]
	v_mov_b32_e32 v1, s76
	v_mov_b32_e32 v2, s75
	;; [unrolled: 1-line block ×4, first 2 shown]
	s_andn2_b64 exec, exec, s[70:71]
	s_cbranch_execnz .LBB51_69
; %bb.70:                               ;   in Loop: Header=BB51_16 Depth=1
	s_or_b64 exec, exec, s[70:71]
.LBB51_71:                              ;   in Loop: Header=BB51_16 Depth=1
	s_or_b64 exec, exec, s[8:9]
	v_add_u32_e32 v6, s0, v0
	v_cmp_gt_i32_e32 vcc, s61, v6
	s_and_saveexec_b64 s[8:9], vcc
	s_cbranch_execz .LBB51_75
; %bb.72:                               ;   in Loop: Header=BB51_16 Depth=1
	s_waitcnt vmcnt(0)
	v_lshlrev_b32_e32 v13, 2, v6
	s_mov_b64 s[28:29], 0
.LBB51_73:                              ;   Parent Loop BB51_16 Depth=1
                                        ; =>  This Inner Loop Header: Depth=2
	ds_read_b32 v15, v13
	v_add_u32_e32 v6, s66, v6
	v_cmp_le_i32_e32 vcc, s61, v6
	v_add_u32_e32 v13, s80, v13
	s_waitcnt lgkmcnt(0)
	v_cmp_lt_i32_e64 s[6:7], -1, v15
	v_cndmask_b32_e64 v16, -1, v36, s[6:7]
	v_xor_b32_e32 v16, v16, v15
	v_cmp_o_f32_e64 s[6:7], v15, v15
	v_cndmask_b32_e64 v15, -1, v16, s[6:7]
	v_and_b32_e32 v16, v15, v38
	v_bfe_u32 v15, v15, v37, 2
	v_cmp_eq_u32_e64 s[6:7], v16, v29
	v_cmp_eq_u32_e64 s[20:21], 0, v15
	v_cmp_eq_u32_e64 s[22:23], 1, v15
	s_and_b64 s[0:1], s[6:7], s[20:21]
	v_cmp_eq_u32_e64 s[24:25], 2, v15
	v_cmp_eq_u32_e64 s[26:27], 3, v15
	v_cndmask_b32_e64 v15, 0, 1, s[0:1]
	s_and_b64 s[0:1], s[6:7], s[22:23]
	v_cndmask_b32_e64 v16, 0, 1, s[0:1]
	s_and_b64 s[0:1], s[6:7], s[24:25]
	;; [unrolled: 2-line block ×3, first 2 shown]
	v_cndmask_b32_e64 v18, 0, 1, s[0:1]
	v_cmp_ne_u32_e64 s[6:7], 0, v15
	v_cmp_ne_u32_e64 s[20:21], 0, v16
	;; [unrolled: 1-line block ×4, first 2 shown]
	s_bcnt1_i32_b64 s0, s[6:7]
	s_bcnt1_i32_b64 s1, s[20:21]
	;; [unrolled: 1-line block ×4, first 2 shown]
	v_add_u32_e32 v1, s0, v1
	v_add_u32_e32 v2, s1, v2
	;; [unrolled: 1-line block ×3, first 2 shown]
	s_or_b64 s[28:29], vcc, s[28:29]
	v_add_u32_e32 v4, s7, v4
	s_andn2_b64 exec, exec, s[28:29]
	s_cbranch_execnz .LBB51_73
; %bb.74:                               ;   in Loop: Header=BB51_16 Depth=1
	s_or_b64 exec, exec, s[28:29]
.LBB51_75:                              ;   in Loop: Header=BB51_16 Depth=1
	s_or_b64 exec, exec, s[8:9]
	s_lshl_b32 s0, s82, 6
	s_and_saveexec_b64 s[6:7], s[2:3]
	s_cbranch_execnz .LBB51_47
	s_branch .LBB51_48
.LBB51_76:                              ;   in Loop: Header=BB51_16 Depth=1
	s_or_b64 exec, exec, s[20:21]
	s_waitcnt lgkmcnt(0)
	s_barrier
	s_mov_b64 s[6:7], exec
	v_readlane_b32 s0, v48, 5
	v_readlane_b32 s1, v48, 6
	s_and_b64 s[0:1], s[6:7], s[0:1]
	s_mov_b64 exec, s[0:1]
	s_cbranch_execz .LBB51_78
; %bb.77:                               ;   in Loop: Header=BB51_16 Depth=1
	ds_read_b32 v1, v7 offset:4104
	s_waitcnt lgkmcnt(0)
	ds_write_b32 v7, v1 offset:4096
.LBB51_78:                              ;   in Loop: Header=BB51_16 Depth=1
	s_or_b64 exec, exec, s[6:7]
	s_waitcnt lgkmcnt(0)
	s_barrier
	s_mov_b64 s[6:7], -1
	s_and_b64 vcc, exec, s[8:9]
	s_cbranch_vccnz .LBB51_32
	s_branch .LBB51_42
.LBB51_79:                              ;   in Loop: Header=BB51_16 Depth=1
	v_mov_b32_e32 v1, 0
	s_mov_b32 s1, 0
.LBB51_80:                              ;   in Loop: Header=BB51_16 Depth=1
	v_readlane_b32 s8, v48, 22
	v_readlane_b32 s9, v48, 23
	s_andn2_b64 vcc, exec, s[8:9]
	s_cbranch_vccnz .LBB51_83
; %bb.81:                               ;   in Loop: Header=BB51_16 Depth=1
	s_lshl_b32 s8, s82, 8
	s_lshl_b32 s1, s1, 4
	s_add_i32 s8, s8, s1
	v_add_u32_e32 v2, s8, v35
	v_readlane_b32 s1, v48, 21
.LBB51_82:                              ;   Parent Loop BB51_16 Depth=1
                                        ; =>  This Inner Loop Header: Depth=2
	ds_read_b32 v3, v2
	s_add_i32 s1, s1, -1
	v_add_u32_e32 v2, 16, v2
	s_cmp_lg_u32 s1, 0
	s_waitcnt lgkmcnt(0)
	v_add_u32_e32 v1, v3, v1
	s_cbranch_scc1 .LBB51_82
.LBB51_83:                              ;   in Loop: Header=BB51_16 Depth=1
	v_add_lshl_u32 v2, s0, v20, 2
	ds_write_b32 v2, v1 offset:3072
.LBB51_84:                              ;   in Loop: Header=BB51_16 Depth=1
	s_or_b64 exec, exec, s[6:7]
	s_lshl_b32 s0, s0, 2
	v_mov_b32_e32 v1, s0
	s_waitcnt lgkmcnt(0)
	s_barrier
	ds_read_b128 v[1:4], v1 offset:3072
	v_cmp_eq_u32_e32 vcc, 1, v39
	s_mov_b64 s[8:9], -1
	s_mov_b64 s[26:27], -1
                                        ; implicit-def: $sgpr24_sgpr25
                                        ; implicit-def: $sgpr22_sgpr23
	s_waitcnt lgkmcnt(0)
	v_readfirstlane_b32 s40, v1
	s_cmp_eq_u32 s40, 1
	v_readfirstlane_b32 s52, v3
	v_lshlrev_b32_e64 v3, v37, 3
	s_cselect_b64 s[0:1], -1, 0
	v_readfirstlane_b32 s44, v2
	v_readfirstlane_b32 s61, v4
	v_not_b32_e32 v6, v3
	s_and_b64 s[20:21], s[0:1], vcc
	s_and_saveexec_b64 s[6:7], s[20:21]
	s_cbranch_execz .LBB51_112
; %bb.85:                               ;   in Loop: Header=BB51_16 Depth=1
	ds_read_b32 v1, v7 offset:4096
	s_waitcnt lgkmcnt(0)
	s_barrier
	v_readfirstlane_b32 s0, v1
	s_and_saveexec_b64 s[22:23], s[4:5]
; %bb.86:                               ;   in Loop: Header=BB51_16 Depth=1
	ds_write_b32 v21, v7
; %bb.87:                               ;   in Loop: Header=BB51_16 Depth=1
	s_or_b64 exec, exec, s[22:23]
	v_and_b32_e32 v29, v29, v6
	v_or_b32_e32 v38, v38, v3
	s_mov_b64 s[22:23], -1
	s_mov_b64 s[24:25], 0
	s_cmp_lt_i32 s0, 1
	s_mov_b64 s[26:27], 0
	s_mov_b64 s[28:29], -1
	s_waitcnt lgkmcnt(0)
	s_barrier
                                        ; implicit-def: $vgpr14
	s_cbranch_scc0 .LBB51_99
; %bb.88:                               ;   in Loop: Header=BB51_16 Depth=1
	s_mov_b64 s[28:29], 0
                                        ; implicit-def: $vgpr14
	s_mov_b64 s[30:31], exec
	v_readlane_b32 s34, v48, 24
	v_readlane_b32 s35, v48, 25
	s_and_b64 s[34:35], s[30:31], s[34:35]
	s_mov_b64 exec, s[34:35]
	s_cbranch_execz .LBB51_98
; %bb.89:                               ;   in Loop: Header=BB51_16 Depth=1
	v_mov_b32_e32 v1, v5
	v_mov_b32_e32 v4, v0
                                        ; implicit-def: $sgpr34_sgpr35
	s_branch .LBB51_93
.LBB51_90:                              ;   in Loop: Header=BB51_93 Depth=2
	s_or_b64 exec, exec, s[36:37]
	s_waitcnt lgkmcnt(0)
	s_barrier
	ds_read_b64 v[13:14], v7 offset:3072
	s_waitcnt lgkmcnt(0)
	s_barrier
	v_cmp_neq_f32_e32 vcc, 0, v13
	s_cbranch_vccnz .LBB51_96
; %bb.91:                               ;   in Loop: Header=BB51_93 Depth=2
	v_add_u32_e32 v4, s66, v4
	v_cmp_le_i32_e32 vcc, s81, v4
	v_add_u32_e32 v1, s79, v1
	s_mov_b64 s[36:37], 0
	s_orn2_b64 s[38:39], vcc, exec
.LBB51_92:                              ;   in Loop: Header=BB51_93 Depth=2
	s_and_b64 s[38:39], exec, s[38:39]
	s_or_b64 s[26:27], s[38:39], s[26:27]
	s_andn2_b64 s[34:35], s[34:35], exec
	s_and_b64 s[36:37], s[36:37], exec
	s_or_b64 s[34:35], s[34:35], s[36:37]
	s_andn2_b64 exec, exec, s[26:27]
	s_cbranch_execz .LBB51_97
.LBB51_93:                              ;   Parent Loop BB51_16 Depth=1
                                        ; =>  This Inner Loop Header: Depth=2
	v_cmp_gt_i32_e32 vcc, s60, v4
	s_and_saveexec_b64 s[36:37], vcc
	s_cbranch_execz .LBB51_90
; %bb.94:                               ;   in Loop: Header=BB51_93 Depth=2
	v_ashrrev_i32_e32 v2, 31, v1
	v_lshlrev_b64 v[13:14], 2, v[1:2]
	v_mov_b32_e32 v2, s78
	v_add_co_u32_e32 v13, vcc, s64, v13
	v_addc_co_u32_e32 v14, vcc, v2, v14, vcc
	global_load_dword v13, v[13:14], off
	s_waitcnt vmcnt(0)
	v_cmp_lt_i32_e32 vcc, -1, v13
	v_cndmask_b32_e32 v2, -1, v36, vcc
	v_xor_b32_e32 v2, v2, v13
	v_cmp_o_f32_e32 vcc, v13, v13
	v_cndmask_b32_e32 v2, -1, v2, vcc
	v_and_b32_e32 v2, v2, v38
	v_cmp_eq_u32_e32 vcc, v2, v29
	s_and_b64 exec, exec, vcc
	s_cbranch_execz .LBB51_90
; %bb.95:                               ;   in Loop: Header=BB51_93 Depth=2
	ds_write_b64 v7, v[12:13] offset:3072
	s_branch .LBB51_90
.LBB51_96:                              ;   in Loop: Header=BB51_93 Depth=2
	s_mov_b64 s[38:39], -1
                                        ; implicit-def: $vgpr4
                                        ; implicit-def: $vgpr1
	s_mov_b64 s[36:37], -1
	s_branch .LBB51_92
.LBB51_97:                              ;   in Loop: Header=BB51_16 Depth=1
	s_or_b64 exec, exec, s[26:27]
	s_and_b64 s[26:27], s[34:35], exec
.LBB51_98:                              ;   in Loop: Header=BB51_16 Depth=1
	s_or_b64 exec, exec, s[30:31]
.LBB51_99:                              ;   in Loop: Header=BB51_16 Depth=1
	s_and_b64 vcc, exec, s[28:29]
	s_cbranch_vccz .LBB51_111
; %bb.100:                              ;   in Loop: Header=BB51_16 Depth=1
	v_readlane_b32 s1, v48, 8
	s_add_i32 s1, s0, s1
	s_abs_i32 s23, s1
	s_mul_hi_u32 s24, s23, s77
	s_mul_i32 s24, s24, s66
	s_sub_i32 s23, s23, s24
	s_ashr_i32 s22, s1, 31
	s_sub_i32 s24, s23, s66
	s_cmp_ge_u32 s23, s66
	s_cselect_b32 s23, s24, s23
	s_sub_i32 s24, s23, s66
	s_cmp_ge_u32 s23, s66
	s_cselect_b32 s23, s24, s23
	s_xor_b32 s23, s23, s22
	s_sub_i32 s22, s22, s23
	s_add_i32 s1, s1, s22
	v_cmp_gt_i32_e32 vcc, s1, v0
                                        ; implicit-def: $vgpr14
	s_and_saveexec_b64 s[22:23], vcc
	s_cbranch_execz .LBB51_110
; %bb.101:                              ;   in Loop: Header=BB51_16 Depth=1
	s_mov_b64 s[24:25], 0
	v_mov_b32_e32 v1, v19
	v_mov_b32_e32 v2, v0
                                        ; implicit-def: $sgpr28_sgpr29
	s_branch .LBB51_105
.LBB51_102:                             ;   in Loop: Header=BB51_105 Depth=2
	s_or_b64 exec, exec, s[30:31]
	s_waitcnt lgkmcnt(0)
	s_barrier
	ds_read_b64 v[13:14], v7 offset:3072
	s_waitcnt lgkmcnt(0)
	s_barrier
	v_cmp_neq_f32_e32 vcc, 0, v13
	s_cbranch_vccnz .LBB51_108
; %bb.103:                              ;   in Loop: Header=BB51_105 Depth=2
	v_add_u32_e32 v2, s66, v2
	v_cmp_le_i32_e32 vcc, s1, v2
	v_add_u32_e32 v1, s80, v1
	s_mov_b64 s[30:31], 0
	s_orn2_b64 s[34:35], vcc, exec
.LBB51_104:                             ;   in Loop: Header=BB51_105 Depth=2
	s_and_b64 s[34:35], exec, s[34:35]
	s_or_b64 s[24:25], s[34:35], s[24:25]
	s_andn2_b64 s[28:29], s[28:29], exec
	s_and_b64 s[30:31], s[30:31], exec
	s_or_b64 s[28:29], s[28:29], s[30:31]
	s_andn2_b64 exec, exec, s[24:25]
	s_cbranch_execz .LBB51_109
.LBB51_105:                             ;   Parent Loop BB51_16 Depth=1
                                        ; =>  This Inner Loop Header: Depth=2
	v_cmp_gt_i32_e32 vcc, s0, v2
	s_and_saveexec_b64 s[30:31], vcc
	s_cbranch_execz .LBB51_102
; %bb.106:                              ;   in Loop: Header=BB51_105 Depth=2
	ds_read_b32 v13, v1
	s_waitcnt lgkmcnt(0)
	v_cmp_lt_i32_e32 vcc, -1, v13
	v_cndmask_b32_e32 v4, -1, v36, vcc
	v_xor_b32_e32 v4, v4, v13
	v_cmp_o_f32_e32 vcc, v13, v13
	v_cndmask_b32_e32 v4, -1, v4, vcc
	v_and_b32_e32 v4, v4, v38
	v_cmp_eq_u32_e32 vcc, v4, v29
	s_and_b64 exec, exec, vcc
	s_cbranch_execz .LBB51_102
; %bb.107:                              ;   in Loop: Header=BB51_105 Depth=2
	ds_write_b64 v7, v[12:13] offset:3072
	s_branch .LBB51_102
.LBB51_108:                             ;   in Loop: Header=BB51_105 Depth=2
	s_mov_b64 s[34:35], -1
                                        ; implicit-def: $vgpr2
                                        ; implicit-def: $vgpr1
	s_mov_b64 s[30:31], -1
	s_branch .LBB51_104
.LBB51_109:                             ;   in Loop: Header=BB51_16 Depth=1
	s_or_b64 exec, exec, s[24:25]
	s_andn2_b64 s[0:1], s[26:27], exec
	s_and_b64 s[24:25], s[28:29], exec
	s_or_b64 s[26:27], s[0:1], s[24:25]
.LBB51_110:                             ;   in Loop: Header=BB51_16 Depth=1
	s_or_b64 exec, exec, s[22:23]
	s_mov_b64 s[22:23], 0
	s_mov_b64 s[24:25], -1
.LBB51_111:                             ;   in Loop: Header=BB51_16 Depth=1
	s_orn2_b64 s[26:27], s[26:27], exec
.LBB51_112:                             ;   in Loop: Header=BB51_16 Depth=1
	s_or_b64 exec, exec, s[6:7]
	s_andn2_b64 s[6:7], s[68:69], exec
	s_and_b64 s[24:25], s[24:25], exec
	s_or_b64 s[68:69], s[6:7], s[24:25]
	s_andn2_b64 s[6:7], s[94:95], exec
	s_and_b64 s[22:23], s[22:23], exec
	v_readfirstlane_b32 s0, v0
	s_andn2_b64 s[92:93], s[92:93], exec
	s_or_b64 s[94:95], s[6:7], s[22:23]
                                        ; implicit-def: $vgpr15
	s_and_saveexec_b64 s[6:7], s[26:27]
	s_cbranch_execz .LBB51_15
; %bb.113:                              ;   in Loop: Header=BB51_16 Depth=1
	s_xor_b64 s[0:1], s[20:21], -1
	s_mov_b64 s[22:23], 0
	v_mov_b32_e32 v15, 1
	v_mov_b32_e32 v4, 1
	s_and_saveexec_b64 s[8:9], s[0:1]
	s_cbranch_execz .LBB51_122
; %bb.114:                              ;   in Loop: Header=BB51_16 Depth=1
	v_cmp_ge_i32_e32 vcc, s40, v39
	s_and_saveexec_b64 s[0:1], vcc
	s_xor_b64 s[20:21], exec, s[0:1]
	s_cbranch_execz .LBB51_119
; %bb.115:                              ;   in Loop: Header=BB51_16 Depth=1
	ds_read_b32 v1, v7 offset:4096
	v_and_b32_e32 v29, v29, v6
	v_or_b32_e32 v38, v38, v3
	s_waitcnt lgkmcnt(0)
	v_cmp_ne_u32_e32 vcc, 0, v1
	s_cbranch_vccnz .LBB51_119
; %bb.116:                              ;   in Loop: Header=BB51_16 Depth=1
	s_mov_b64 s[22:23], exec
	v_readlane_b32 s0, v48, 5
	v_readlane_b32 s1, v48, 6
	s_and_b64 s[0:1], s[22:23], s[0:1]
	s_mov_b64 exec, s[0:1]
; %bb.117:                              ;   in Loop: Header=BB51_16 Depth=1
	v_mov_b32_e32 v1, s40
	ds_write_b32 v7, v1 offset:4100
; %bb.118:                              ;   in Loop: Header=BB51_16 Depth=1
	s_or_b64 exec, exec, s[22:23]
	s_waitcnt lgkmcnt(0)
	s_barrier
.LBB51_119:                             ;   in Loop: Header=BB51_16 Depth=1
	s_or_saveexec_b64 s[20:21], s[20:21]
	s_mov_b64 s[22:23], 0
	v_mov_b32_e32 v4, 8
	s_xor_b64 exec, exec, s[20:21]
; %bb.120:                              ;   in Loop: Header=BB51_16 Depth=1
	s_mov_b64 s[22:23], exec
	v_subrev_u32_e32 v39, s40, v39
	v_mov_b32_e32 v4, 0
; %bb.121:                              ;   in Loop: Header=BB51_16 Depth=1
	s_or_b64 exec, exec, s[20:21]
	s_and_b64 s[22:23], s[22:23], exec
	v_mov_b32_e32 v15, v39
.LBB51_122:                             ;   in Loop: Header=BB51_16 Depth=1
	s_or_b64 exec, exec, s[8:9]
	s_mov_b64 s[20:21], -1
	s_mov_b64 s[8:9], -1
                                        ; implicit-def: $sgpr24_sgpr25
                                        ; implicit-def: $sgpr26_sgpr27
	s_and_saveexec_b64 s[0:1], s[22:23]
	s_xor_b64 s[22:23], exec, s[0:1]
	s_cbranch_execz .LBB51_245
; %bb.123:                              ;   in Loop: Header=BB51_16 Depth=1
	s_cmp_eq_u32 s44, 1
	s_cselect_b64 s[0:1], -1, 0
	v_cmp_eq_u32_e32 vcc, 1, v15
	s_and_b64 s[8:9], s[0:1], vcc
	s_mov_b64 s[30:31], -1
                                        ; implicit-def: $sgpr26_sgpr27
                                        ; implicit-def: $sgpr24_sgpr25
	s_and_saveexec_b64 s[28:29], s[8:9]
	s_cbranch_execz .LBB51_151
; %bb.124:                              ;   in Loop: Header=BB51_16 Depth=1
	ds_read_b32 v1, v7 offset:4096
	s_waitcnt lgkmcnt(0)
	s_barrier
	v_readfirstlane_b32 s0, v1
	s_and_saveexec_b64 s[24:25], s[4:5]
; %bb.125:                              ;   in Loop: Header=BB51_16 Depth=1
	ds_write_b32 v21, v7
; %bb.126:                              ;   in Loop: Header=BB51_16 Depth=1
	s_or_b64 exec, exec, s[24:25]
	v_and_b32_e32 v1, v29, v6
	v_lshl_or_b32 v29, 1, v37, v1
	v_or_b32_e32 v38, v38, v3
	s_mov_b64 s[24:25], -1
	s_mov_b64 s[26:27], 0
	s_cmp_gt_i32 s0, 0
	s_mov_b64 s[30:31], 0
	s_mov_b64 s[34:35], -1
	s_waitcnt lgkmcnt(0)
	s_barrier
                                        ; implicit-def: $vgpr14
	s_cbranch_scc1 .LBB51_138
; %bb.127:                              ;   in Loop: Header=BB51_16 Depth=1
	s_mov_b64 s[34:35], 0
                                        ; implicit-def: $vgpr14
	s_mov_b64 s[36:37], exec
	v_readlane_b32 s38, v48, 24
	v_readlane_b32 s39, v48, 25
	s_and_b64 s[38:39], s[36:37], s[38:39]
	s_mov_b64 exec, s[38:39]
	s_cbranch_execz .LBB51_137
; %bb.128:                              ;   in Loop: Header=BB51_16 Depth=1
	v_mov_b32_e32 v1, v5
	v_mov_b32_e32 v16, v0
                                        ; implicit-def: $sgpr38_sgpr39
	s_branch .LBB51_132
.LBB51_129:                             ;   in Loop: Header=BB51_132 Depth=2
	s_or_b64 exec, exec, s[40:41]
	s_waitcnt lgkmcnt(0)
	s_barrier
	ds_read_b64 v[13:14], v7 offset:3072
	s_waitcnt lgkmcnt(0)
	s_barrier
	v_cmp_neq_f32_e32 vcc, 0, v13
	s_cbranch_vccnz .LBB51_135
; %bb.130:                              ;   in Loop: Header=BB51_132 Depth=2
	v_add_u32_e32 v16, s66, v16
	v_cmp_le_i32_e32 vcc, s81, v16
	v_add_u32_e32 v1, s79, v1
	s_mov_b64 s[40:41], 0
	s_orn2_b64 s[42:43], vcc, exec
.LBB51_131:                             ;   in Loop: Header=BB51_132 Depth=2
	s_and_b64 s[42:43], exec, s[42:43]
	s_or_b64 s[30:31], s[42:43], s[30:31]
	s_andn2_b64 s[38:39], s[38:39], exec
	s_and_b64 s[40:41], s[40:41], exec
	s_or_b64 s[38:39], s[38:39], s[40:41]
	s_andn2_b64 exec, exec, s[30:31]
	s_cbranch_execz .LBB51_136
.LBB51_132:                             ;   Parent Loop BB51_16 Depth=1
                                        ; =>  This Inner Loop Header: Depth=2
	v_cmp_gt_i32_e32 vcc, s60, v16
	s_and_saveexec_b64 s[40:41], vcc
	s_cbranch_execz .LBB51_129
; %bb.133:                              ;   in Loop: Header=BB51_132 Depth=2
	v_ashrrev_i32_e32 v2, 31, v1
	v_lshlrev_b64 v[13:14], 2, v[1:2]
	v_mov_b32_e32 v2, s78
	v_add_co_u32_e32 v13, vcc, s64, v13
	v_addc_co_u32_e32 v14, vcc, v2, v14, vcc
	global_load_dword v13, v[13:14], off
	s_waitcnt vmcnt(0)
	v_cmp_lt_i32_e32 vcc, -1, v13
	v_cndmask_b32_e32 v2, -1, v36, vcc
	v_xor_b32_e32 v2, v2, v13
	v_cmp_o_f32_e32 vcc, v13, v13
	v_cndmask_b32_e32 v2, -1, v2, vcc
	v_and_b32_e32 v2, v2, v38
	v_cmp_eq_u32_e32 vcc, v2, v29
	s_and_b64 exec, exec, vcc
	s_cbranch_execz .LBB51_129
; %bb.134:                              ;   in Loop: Header=BB51_132 Depth=2
	ds_write_b64 v7, v[12:13] offset:3072
	s_branch .LBB51_129
.LBB51_135:                             ;   in Loop: Header=BB51_132 Depth=2
	s_mov_b64 s[42:43], -1
                                        ; implicit-def: $vgpr16
                                        ; implicit-def: $vgpr1
	s_mov_b64 s[40:41], -1
	s_branch .LBB51_131
.LBB51_136:                             ;   in Loop: Header=BB51_16 Depth=1
	s_or_b64 exec, exec, s[30:31]
	s_and_b64 s[30:31], s[38:39], exec
.LBB51_137:                             ;   in Loop: Header=BB51_16 Depth=1
	s_or_b64 exec, exec, s[36:37]
.LBB51_138:                             ;   in Loop: Header=BB51_16 Depth=1
	s_and_b64 vcc, exec, s[34:35]
	s_cbranch_vccz .LBB51_150
; %bb.139:                              ;   in Loop: Header=BB51_16 Depth=1
	v_readlane_b32 s1, v48, 8
	s_add_i32 s1, s0, s1
	s_abs_i32 s25, s1
	s_mul_hi_u32 s26, s25, s77
	s_mul_i32 s26, s26, s66
	s_sub_i32 s25, s25, s26
	s_ashr_i32 s24, s1, 31
	s_sub_i32 s26, s25, s66
	s_cmp_ge_u32 s25, s66
	s_cselect_b32 s25, s26, s25
	s_sub_i32 s26, s25, s66
	s_cmp_ge_u32 s25, s66
	s_cselect_b32 s25, s26, s25
	s_xor_b32 s25, s25, s24
	s_sub_i32 s24, s24, s25
	s_add_i32 s1, s1, s24
	v_cmp_gt_i32_e32 vcc, s1, v0
                                        ; implicit-def: $vgpr14
	s_and_saveexec_b64 s[24:25], vcc
	s_cbranch_execz .LBB51_149
; %bb.140:                              ;   in Loop: Header=BB51_16 Depth=1
	s_mov_b64 s[26:27], 0
	v_mov_b32_e32 v1, v19
	v_mov_b32_e32 v2, v0
                                        ; implicit-def: $sgpr34_sgpr35
	s_branch .LBB51_144
.LBB51_141:                             ;   in Loop: Header=BB51_144 Depth=2
	s_or_b64 exec, exec, s[36:37]
	s_waitcnt lgkmcnt(0)
	s_barrier
	ds_read_b64 v[13:14], v7 offset:3072
	s_waitcnt lgkmcnt(0)
	s_barrier
	v_cmp_eq_f32_e32 vcc, 0, v13
	s_cbranch_vccz .LBB51_147
; %bb.142:                              ;   in Loop: Header=BB51_144 Depth=2
	v_add_u32_e32 v2, s66, v2
	v_cmp_le_i32_e32 vcc, s1, v2
	v_add_u32_e32 v1, s80, v1
	s_mov_b64 s[36:37], 0
	s_orn2_b64 s[38:39], vcc, exec
.LBB51_143:                             ;   in Loop: Header=BB51_144 Depth=2
	s_and_b64 s[38:39], exec, s[38:39]
	s_or_b64 s[26:27], s[38:39], s[26:27]
	s_andn2_b64 s[34:35], s[34:35], exec
	s_and_b64 s[36:37], s[36:37], exec
	s_or_b64 s[34:35], s[34:35], s[36:37]
	s_andn2_b64 exec, exec, s[26:27]
	s_cbranch_execz .LBB51_148
.LBB51_144:                             ;   Parent Loop BB51_16 Depth=1
                                        ; =>  This Inner Loop Header: Depth=2
	v_cmp_gt_i32_e32 vcc, s0, v2
	s_and_saveexec_b64 s[36:37], vcc
	s_cbranch_execz .LBB51_141
; %bb.145:                              ;   in Loop: Header=BB51_144 Depth=2
	ds_read_b32 v13, v1
	s_waitcnt lgkmcnt(0)
	v_cmp_lt_i32_e32 vcc, -1, v13
	v_cndmask_b32_e32 v14, -1, v36, vcc
	v_xor_b32_e32 v14, v14, v13
	v_cmp_o_f32_e32 vcc, v13, v13
	v_cndmask_b32_e32 v14, -1, v14, vcc
	v_and_b32_e32 v14, v14, v38
	v_cmp_eq_u32_e32 vcc, v14, v29
	s_and_b64 exec, exec, vcc
	s_cbranch_execz .LBB51_141
; %bb.146:                              ;   in Loop: Header=BB51_144 Depth=2
	ds_write_b64 v7, v[12:13] offset:3072
	s_branch .LBB51_141
.LBB51_147:                             ;   in Loop: Header=BB51_144 Depth=2
	s_mov_b64 s[38:39], -1
                                        ; implicit-def: $vgpr2
                                        ; implicit-def: $vgpr1
	s_mov_b64 s[36:37], -1
	s_branch .LBB51_143
.LBB51_148:                             ;   in Loop: Header=BB51_16 Depth=1
	s_or_b64 exec, exec, s[26:27]
	s_andn2_b64 s[0:1], s[30:31], exec
	s_and_b64 s[26:27], s[34:35], exec
	s_or_b64 s[30:31], s[0:1], s[26:27]
.LBB51_149:                             ;   in Loop: Header=BB51_16 Depth=1
	s_or_b64 exec, exec, s[24:25]
	s_mov_b64 s[24:25], 0
	s_mov_b64 s[26:27], -1
.LBB51_150:                             ;   in Loop: Header=BB51_16 Depth=1
	s_orn2_b64 s[30:31], s[30:31], exec
.LBB51_151:                             ;   in Loop: Header=BB51_16 Depth=1
	s_or_b64 exec, exec, s[28:29]
	s_mov_b64 s[34:35], 0
	s_and_saveexec_b64 s[28:29], s[30:31]
	s_cbranch_execz .LBB51_244
; %bb.152:                              ;   in Loop: Header=BB51_16 Depth=1
	s_xor_b64 s[0:1], s[8:9], -1
	s_mov_b64 s[38:39], 0
	v_mov_b32_e32 v16, 1
	v_mov_b32_e32 v4, 1
	s_and_saveexec_b64 s[8:9], s[0:1]
	s_cbranch_execz .LBB51_161
; %bb.153:                              ;   in Loop: Header=BB51_16 Depth=1
	v_cmp_ge_i32_e32 vcc, s44, v15
	s_and_saveexec_b64 s[0:1], vcc
	s_xor_b64 s[30:31], exec, s[0:1]
	s_cbranch_execz .LBB51_158
; %bb.154:                              ;   in Loop: Header=BB51_16 Depth=1
	ds_read_b32 v1, v7 offset:4096
	v_and_b32_e32 v2, v29, v6
	v_lshl_or_b32 v29, 1, v37, v2
	v_or_b32_e32 v38, v38, v3
	s_waitcnt lgkmcnt(0)
	v_cmp_ne_u32_e32 vcc, 0, v1
	s_cbranch_vccnz .LBB51_158
; %bb.155:                              ;   in Loop: Header=BB51_16 Depth=1
	s_mov_b64 s[34:35], exec
	v_readlane_b32 s0, v48, 5
	v_readlane_b32 s1, v48, 6
	s_and_b64 s[0:1], s[34:35], s[0:1]
	s_mov_b64 exec, s[0:1]
; %bb.156:                              ;   in Loop: Header=BB51_16 Depth=1
	v_mov_b32_e32 v1, s44
	ds_write_b32 v7, v1 offset:4100
; %bb.157:                              ;   in Loop: Header=BB51_16 Depth=1
	s_or_b64 exec, exec, s[34:35]
	s_waitcnt lgkmcnt(0)
	s_barrier
.LBB51_158:                             ;   in Loop: Header=BB51_16 Depth=1
	s_or_saveexec_b64 s[30:31], s[30:31]
	s_mov_b64 s[34:35], 0
	v_mov_b32_e32 v4, 8
	s_xor_b64 exec, exec, s[30:31]
; %bb.159:                              ;   in Loop: Header=BB51_16 Depth=1
	s_mov_b64 s[34:35], exec
	v_subrev_u32_e32 v15, s44, v15
	v_mov_b32_e32 v4, 0
; %bb.160:                              ;   in Loop: Header=BB51_16 Depth=1
	s_or_b64 exec, exec, s[30:31]
	s_and_b64 s[38:39], s[34:35], exec
	v_mov_b32_e32 v16, v15
.LBB51_161:                             ;   in Loop: Header=BB51_16 Depth=1
	s_or_b64 exec, exec, s[8:9]
	s_mov_b64 s[8:9], -1
                                        ; implicit-def: $sgpr34_sgpr35
                                        ; implicit-def: $sgpr36_sgpr37
	s_and_saveexec_b64 s[30:31], s[38:39]
	s_cbranch_execz .LBB51_243
; %bb.162:                              ;   in Loop: Header=BB51_16 Depth=1
	s_cmp_eq_u32 s52, 1
	s_cselect_b64 s[0:1], -1, 0
	v_cmp_eq_u32_e32 vcc, 1, v16
	s_and_b64 s[8:9], s[0:1], vcc
	s_mov_b64 s[40:41], -1
                                        ; implicit-def: $sgpr36_sgpr37
                                        ; implicit-def: $sgpr34_sgpr35
	s_and_saveexec_b64 s[38:39], s[8:9]
	s_cbranch_execz .LBB51_190
; %bb.163:                              ;   in Loop: Header=BB51_16 Depth=1
	ds_read_b32 v1, v7 offset:4096
	s_waitcnt lgkmcnt(0)
	s_barrier
	v_readfirstlane_b32 s0, v1
	s_and_saveexec_b64 s[34:35], s[4:5]
; %bb.164:                              ;   in Loop: Header=BB51_16 Depth=1
	ds_write_b32 v21, v7
; %bb.165:                              ;   in Loop: Header=BB51_16 Depth=1
	s_or_b64 exec, exec, s[34:35]
	v_and_b32_e32 v1, v29, v6
	v_lshl_or_b32 v29, 2, v37, v1
	v_or_b32_e32 v38, v38, v3
	s_mov_b64 s[34:35], -1
	s_mov_b64 s[36:37], 0
	s_cmp_gt_i32 s0, 0
	s_mov_b64 s[40:41], 0
	s_mov_b64 s[42:43], -1
	s_waitcnt lgkmcnt(0)
	s_barrier
                                        ; implicit-def: $vgpr14
	s_cbranch_scc1 .LBB51_177
; %bb.166:                              ;   in Loop: Header=BB51_16 Depth=1
	s_mov_b64 s[42:43], 0
                                        ; implicit-def: $vgpr14
	s_mov_b64 s[44:45], exec
	v_readlane_b32 s46, v48, 24
	v_readlane_b32 s47, v48, 25
	s_and_b64 s[46:47], s[44:45], s[46:47]
	s_mov_b64 exec, s[46:47]
	s_cbranch_execz .LBB51_176
; %bb.167:                              ;   in Loop: Header=BB51_16 Depth=1
	v_mov_b32_e32 v1, v5
	v_mov_b32_e32 v15, v0
                                        ; implicit-def: $sgpr46_sgpr47
	s_branch .LBB51_171
.LBB51_168:                             ;   in Loop: Header=BB51_171 Depth=2
	s_or_b64 exec, exec, s[48:49]
	s_waitcnt lgkmcnt(0)
	s_barrier
	ds_read_b64 v[13:14], v7 offset:3072
	s_waitcnt lgkmcnt(0)
	s_barrier
	v_cmp_neq_f32_e32 vcc, 0, v13
	s_cbranch_vccnz .LBB51_174
; %bb.169:                              ;   in Loop: Header=BB51_171 Depth=2
	v_add_u32_e32 v15, s66, v15
	v_cmp_le_i32_e32 vcc, s81, v15
	v_add_u32_e32 v1, s79, v1
	s_mov_b64 s[48:49], 0
	s_orn2_b64 s[50:51], vcc, exec
.LBB51_170:                             ;   in Loop: Header=BB51_171 Depth=2
	s_and_b64 s[50:51], exec, s[50:51]
	s_or_b64 s[40:41], s[50:51], s[40:41]
	s_andn2_b64 s[46:47], s[46:47], exec
	s_and_b64 s[48:49], s[48:49], exec
	s_or_b64 s[46:47], s[46:47], s[48:49]
	s_andn2_b64 exec, exec, s[40:41]
	s_cbranch_execz .LBB51_175
.LBB51_171:                             ;   Parent Loop BB51_16 Depth=1
                                        ; =>  This Inner Loop Header: Depth=2
	v_cmp_gt_i32_e32 vcc, s60, v15
	s_and_saveexec_b64 s[48:49], vcc
	s_cbranch_execz .LBB51_168
; %bb.172:                              ;   in Loop: Header=BB51_171 Depth=2
	v_ashrrev_i32_e32 v2, 31, v1
	v_lshlrev_b64 v[13:14], 2, v[1:2]
	v_mov_b32_e32 v2, s78
	v_add_co_u32_e32 v13, vcc, s64, v13
	v_addc_co_u32_e32 v14, vcc, v2, v14, vcc
	global_load_dword v13, v[13:14], off
	s_waitcnt vmcnt(0)
	v_cmp_lt_i32_e32 vcc, -1, v13
	v_cndmask_b32_e32 v2, -1, v36, vcc
	v_xor_b32_e32 v2, v2, v13
	v_cmp_o_f32_e32 vcc, v13, v13
	v_cndmask_b32_e32 v2, -1, v2, vcc
	v_and_b32_e32 v2, v2, v38
	v_cmp_eq_u32_e32 vcc, v2, v29
	s_and_b64 exec, exec, vcc
	s_cbranch_execz .LBB51_168
; %bb.173:                              ;   in Loop: Header=BB51_171 Depth=2
	ds_write_b64 v7, v[12:13] offset:3072
	s_branch .LBB51_168
.LBB51_174:                             ;   in Loop: Header=BB51_171 Depth=2
	s_mov_b64 s[50:51], -1
                                        ; implicit-def: $vgpr15
                                        ; implicit-def: $vgpr1
	s_mov_b64 s[48:49], -1
	s_branch .LBB51_170
.LBB51_175:                             ;   in Loop: Header=BB51_16 Depth=1
	s_or_b64 exec, exec, s[40:41]
	s_and_b64 s[40:41], s[46:47], exec
.LBB51_176:                             ;   in Loop: Header=BB51_16 Depth=1
	s_or_b64 exec, exec, s[44:45]
.LBB51_177:                             ;   in Loop: Header=BB51_16 Depth=1
	s_and_b64 vcc, exec, s[42:43]
	s_cbranch_vccz .LBB51_189
; %bb.178:                              ;   in Loop: Header=BB51_16 Depth=1
	v_readlane_b32 s1, v48, 8
	s_add_i32 s1, s0, s1
	s_abs_i32 s35, s1
	s_mul_hi_u32 s36, s35, s77
	s_mul_i32 s36, s36, s66
	s_sub_i32 s35, s35, s36
	s_ashr_i32 s34, s1, 31
	s_sub_i32 s36, s35, s66
	s_cmp_ge_u32 s35, s66
	s_cselect_b32 s35, s36, s35
	s_sub_i32 s36, s35, s66
	s_cmp_ge_u32 s35, s66
	s_cselect_b32 s35, s36, s35
	s_xor_b32 s35, s35, s34
	s_sub_i32 s34, s34, s35
	s_add_i32 s1, s1, s34
	v_cmp_gt_i32_e32 vcc, s1, v0
                                        ; implicit-def: $vgpr14
	s_and_saveexec_b64 s[34:35], vcc
	s_cbranch_execz .LBB51_188
; %bb.179:                              ;   in Loop: Header=BB51_16 Depth=1
	s_mov_b64 s[36:37], 0
	v_mov_b32_e32 v1, v19
	v_mov_b32_e32 v2, v0
                                        ; implicit-def: $sgpr42_sgpr43
	s_branch .LBB51_183
.LBB51_180:                             ;   in Loop: Header=BB51_183 Depth=2
	s_or_b64 exec, exec, s[44:45]
	s_waitcnt lgkmcnt(0)
	s_barrier
	ds_read_b64 v[13:14], v7 offset:3072
	s_waitcnt lgkmcnt(0)
	s_barrier
	v_cmp_eq_f32_e32 vcc, 0, v13
	s_cbranch_vccz .LBB51_186
; %bb.181:                              ;   in Loop: Header=BB51_183 Depth=2
	v_add_u32_e32 v2, s66, v2
	v_cmp_le_i32_e32 vcc, s1, v2
	v_add_u32_e32 v1, s80, v1
	s_mov_b64 s[44:45], 0
	s_orn2_b64 s[46:47], vcc, exec
.LBB51_182:                             ;   in Loop: Header=BB51_183 Depth=2
	s_and_b64 s[46:47], exec, s[46:47]
	s_or_b64 s[36:37], s[46:47], s[36:37]
	s_andn2_b64 s[42:43], s[42:43], exec
	s_and_b64 s[44:45], s[44:45], exec
	s_or_b64 s[42:43], s[42:43], s[44:45]
	s_andn2_b64 exec, exec, s[36:37]
	s_cbranch_execz .LBB51_187
.LBB51_183:                             ;   Parent Loop BB51_16 Depth=1
                                        ; =>  This Inner Loop Header: Depth=2
	v_cmp_gt_i32_e32 vcc, s0, v2
	s_and_saveexec_b64 s[44:45], vcc
	s_cbranch_execz .LBB51_180
; %bb.184:                              ;   in Loop: Header=BB51_183 Depth=2
	ds_read_b32 v13, v1
	s_waitcnt lgkmcnt(0)
	v_cmp_lt_i32_e32 vcc, -1, v13
	v_cndmask_b32_e32 v14, -1, v36, vcc
	v_xor_b32_e32 v14, v14, v13
	v_cmp_o_f32_e32 vcc, v13, v13
	v_cndmask_b32_e32 v14, -1, v14, vcc
	v_and_b32_e32 v14, v14, v38
	v_cmp_eq_u32_e32 vcc, v14, v29
	s_and_b64 exec, exec, vcc
	s_cbranch_execz .LBB51_180
; %bb.185:                              ;   in Loop: Header=BB51_183 Depth=2
	ds_write_b64 v7, v[12:13] offset:3072
	s_branch .LBB51_180
.LBB51_186:                             ;   in Loop: Header=BB51_183 Depth=2
	s_mov_b64 s[46:47], -1
                                        ; implicit-def: $vgpr2
                                        ; implicit-def: $vgpr1
	s_mov_b64 s[44:45], -1
	s_branch .LBB51_182
.LBB51_187:                             ;   in Loop: Header=BB51_16 Depth=1
	s_or_b64 exec, exec, s[36:37]
	s_andn2_b64 s[0:1], s[40:41], exec
	s_and_b64 s[36:37], s[42:43], exec
	s_or_b64 s[40:41], s[0:1], s[36:37]
.LBB51_188:                             ;   in Loop: Header=BB51_16 Depth=1
	s_or_b64 exec, exec, s[34:35]
	s_mov_b64 s[34:35], 0
	s_mov_b64 s[36:37], -1
.LBB51_189:                             ;   in Loop: Header=BB51_16 Depth=1
	s_orn2_b64 s[40:41], s[40:41], exec
.LBB51_190:                             ;   in Loop: Header=BB51_16 Depth=1
	s_or_b64 exec, exec, s[38:39]
	s_mov_b64 s[42:43], 0
	s_and_saveexec_b64 s[38:39], s[40:41]
	s_cbranch_execz .LBB51_242
; %bb.191:                              ;   in Loop: Header=BB51_16 Depth=1
	s_xor_b64 s[0:1], s[8:9], -1
	s_mov_b64 s[46:47], 0
	v_mov_b32_e32 v15, 1
	v_mov_b32_e32 v4, 1
	s_and_saveexec_b64 s[8:9], s[0:1]
	s_cbranch_execz .LBB51_200
; %bb.192:                              ;   in Loop: Header=BB51_16 Depth=1
	v_cmp_ge_i32_e32 vcc, s52, v16
	s_and_saveexec_b64 s[0:1], vcc
	s_xor_b64 s[40:41], exec, s[0:1]
	s_cbranch_execz .LBB51_197
; %bb.193:                              ;   in Loop: Header=BB51_16 Depth=1
	ds_read_b32 v1, v7 offset:4096
	v_and_b32_e32 v2, v29, v6
	v_lshl_or_b32 v29, 2, v37, v2
	v_or_b32_e32 v38, v38, v3
	s_waitcnt lgkmcnt(0)
	v_cmp_ne_u32_e32 vcc, 0, v1
	s_cbranch_vccnz .LBB51_197
; %bb.194:                              ;   in Loop: Header=BB51_16 Depth=1
	s_mov_b64 s[42:43], exec
	v_readlane_b32 s0, v48, 5
	v_readlane_b32 s1, v48, 6
	s_and_b64 s[0:1], s[42:43], s[0:1]
	s_mov_b64 exec, s[0:1]
; %bb.195:                              ;   in Loop: Header=BB51_16 Depth=1
	v_mov_b32_e32 v1, s52
	ds_write_b32 v7, v1 offset:4100
; %bb.196:                              ;   in Loop: Header=BB51_16 Depth=1
	s_or_b64 exec, exec, s[42:43]
	s_waitcnt lgkmcnt(0)
	s_barrier
.LBB51_197:                             ;   in Loop: Header=BB51_16 Depth=1
	s_or_saveexec_b64 s[40:41], s[40:41]
	s_mov_b64 s[42:43], 0
	v_mov_b32_e32 v4, 8
	s_xor_b64 exec, exec, s[40:41]
; %bb.198:                              ;   in Loop: Header=BB51_16 Depth=1
	s_mov_b64 s[42:43], exec
	v_subrev_u32_e32 v16, s52, v16
	v_mov_b32_e32 v4, 0
; %bb.199:                              ;   in Loop: Header=BB51_16 Depth=1
	s_or_b64 exec, exec, s[40:41]
	s_and_b64 s[46:47], s[42:43], exec
	v_mov_b32_e32 v15, v16
.LBB51_200:                             ;   in Loop: Header=BB51_16 Depth=1
	s_or_b64 exec, exec, s[8:9]
	s_mov_b64 s[8:9], -1
                                        ; implicit-def: $sgpr44_sgpr45
                                        ; implicit-def: $sgpr42_sgpr43
	s_and_saveexec_b64 s[40:41], s[46:47]
	s_cbranch_execz .LBB51_241
; %bb.201:                              ;   in Loop: Header=BB51_16 Depth=1
	s_cmp_eq_u32 s61, 1
	s_cselect_b64 s[0:1], -1, 0
	v_cmp_eq_u32_e32 vcc, 1, v15
	s_and_b64 s[8:9], s[0:1], vcc
	s_mov_b64 s[48:49], -1
                                        ; implicit-def: $sgpr44_sgpr45
                                        ; implicit-def: $sgpr42_sgpr43
	s_and_saveexec_b64 s[46:47], s[8:9]
	s_cbranch_execz .LBB51_229
; %bb.202:                              ;   in Loop: Header=BB51_16 Depth=1
	ds_read_b32 v1, v7 offset:4096
	s_waitcnt lgkmcnt(0)
	s_barrier
	v_readfirstlane_b32 s0, v1
	s_and_saveexec_b64 s[42:43], s[4:5]
; %bb.203:                              ;   in Loop: Header=BB51_16 Depth=1
	ds_write_b32 v21, v7
; %bb.204:                              ;   in Loop: Header=BB51_16 Depth=1
	s_or_b64 exec, exec, s[42:43]
	v_or_b32_e32 v29, v29, v3
	v_or_b32_e32 v38, v38, v3
	s_mov_b64 s[42:43], -1
	s_mov_b64 s[44:45], 0
	s_cmp_gt_i32 s0, 0
	s_mov_b64 s[48:49], 0
	s_mov_b64 s[50:51], -1
	s_waitcnt lgkmcnt(0)
	s_barrier
                                        ; implicit-def: $vgpr14
	s_cbranch_scc1 .LBB51_216
; %bb.205:                              ;   in Loop: Header=BB51_16 Depth=1
	s_mov_b64 s[50:51], 0
                                        ; implicit-def: $vgpr14
	s_mov_b64 s[52:53], exec
	v_readlane_b32 s54, v48, 24
	v_readlane_b32 s55, v48, 25
	s_and_b64 s[54:55], s[52:53], s[54:55]
	s_mov_b64 exec, s[54:55]
	s_cbranch_execz .LBB51_215
; %bb.206:                              ;   in Loop: Header=BB51_16 Depth=1
	v_mov_b32_e32 v1, v5
	v_mov_b32_e32 v6, v0
                                        ; implicit-def: $sgpr54_sgpr55
	s_branch .LBB51_210
.LBB51_207:                             ;   in Loop: Header=BB51_210 Depth=2
	s_or_b64 exec, exec, s[56:57]
	s_waitcnt lgkmcnt(0)
	s_barrier
	ds_read_b64 v[13:14], v7 offset:3072
	s_waitcnt lgkmcnt(0)
	s_barrier
	v_cmp_neq_f32_e32 vcc, 0, v13
	s_cbranch_vccnz .LBB51_213
; %bb.208:                              ;   in Loop: Header=BB51_210 Depth=2
	v_add_u32_e32 v6, s66, v6
	v_cmp_le_i32_e32 vcc, s81, v6
	v_add_u32_e32 v1, s79, v1
	s_mov_b64 s[56:57], 0
	s_orn2_b64 s[58:59], vcc, exec
.LBB51_209:                             ;   in Loop: Header=BB51_210 Depth=2
	s_and_b64 s[58:59], exec, s[58:59]
	s_or_b64 s[48:49], s[58:59], s[48:49]
	s_andn2_b64 s[54:55], s[54:55], exec
	s_and_b64 s[56:57], s[56:57], exec
	s_or_b64 s[54:55], s[54:55], s[56:57]
	s_andn2_b64 exec, exec, s[48:49]
	s_cbranch_execz .LBB51_214
.LBB51_210:                             ;   Parent Loop BB51_16 Depth=1
                                        ; =>  This Inner Loop Header: Depth=2
	v_cmp_gt_i32_e32 vcc, s60, v6
	s_and_saveexec_b64 s[56:57], vcc
	s_cbranch_execz .LBB51_207
; %bb.211:                              ;   in Loop: Header=BB51_210 Depth=2
	v_ashrrev_i32_e32 v2, 31, v1
	v_lshlrev_b64 v[13:14], 2, v[1:2]
	v_mov_b32_e32 v2, s78
	v_add_co_u32_e32 v13, vcc, s64, v13
	v_addc_co_u32_e32 v14, vcc, v2, v14, vcc
	global_load_dword v13, v[13:14], off
	s_waitcnt vmcnt(0)
	v_cmp_lt_i32_e32 vcc, -1, v13
	v_cndmask_b32_e32 v2, -1, v36, vcc
	v_xor_b32_e32 v2, v2, v13
	v_cmp_o_f32_e32 vcc, v13, v13
	v_cndmask_b32_e32 v2, -1, v2, vcc
	v_and_b32_e32 v2, v2, v38
	v_cmp_eq_u32_e32 vcc, v2, v29
	s_and_b64 exec, exec, vcc
	s_cbranch_execz .LBB51_207
; %bb.212:                              ;   in Loop: Header=BB51_210 Depth=2
	ds_write_b64 v7, v[12:13] offset:3072
	s_branch .LBB51_207
.LBB51_213:                             ;   in Loop: Header=BB51_210 Depth=2
	s_mov_b64 s[58:59], -1
                                        ; implicit-def: $vgpr6
                                        ; implicit-def: $vgpr1
	s_mov_b64 s[56:57], -1
	s_branch .LBB51_209
.LBB51_214:                             ;   in Loop: Header=BB51_16 Depth=1
	s_or_b64 exec, exec, s[48:49]
	s_and_b64 s[48:49], s[54:55], exec
.LBB51_215:                             ;   in Loop: Header=BB51_16 Depth=1
	s_or_b64 exec, exec, s[52:53]
.LBB51_216:                             ;   in Loop: Header=BB51_16 Depth=1
	s_and_b64 vcc, exec, s[50:51]
	s_cbranch_vccz .LBB51_228
; %bb.217:                              ;   in Loop: Header=BB51_16 Depth=1
	v_readlane_b32 s1, v48, 8
	s_add_i32 s1, s0, s1
	s_abs_i32 s43, s1
	s_mul_hi_u32 s44, s43, s77
	s_mul_i32 s44, s44, s66
	s_sub_i32 s43, s43, s44
	s_ashr_i32 s42, s1, 31
	s_sub_i32 s44, s43, s66
	s_cmp_ge_u32 s43, s66
	s_cselect_b32 s43, s44, s43
	s_sub_i32 s44, s43, s66
	s_cmp_ge_u32 s43, s66
	s_cselect_b32 s43, s44, s43
	s_xor_b32 s43, s43, s42
	s_sub_i32 s42, s42, s43
	s_add_i32 s1, s1, s42
	v_cmp_gt_i32_e32 vcc, s1, v0
                                        ; implicit-def: $vgpr14
	s_and_saveexec_b64 s[42:43], vcc
	s_cbranch_execz .LBB51_227
; %bb.218:                              ;   in Loop: Header=BB51_16 Depth=1
	s_mov_b64 s[44:45], 0
	v_mov_b32_e32 v1, v19
	v_mov_b32_e32 v2, v0
                                        ; implicit-def: $sgpr50_sgpr51
	s_branch .LBB51_222
.LBB51_219:                             ;   in Loop: Header=BB51_222 Depth=2
	s_or_b64 exec, exec, s[52:53]
	s_waitcnt lgkmcnt(0)
	s_barrier
	ds_read_b64 v[13:14], v7 offset:3072
	s_waitcnt lgkmcnt(0)
	s_barrier
	v_cmp_eq_f32_e32 vcc, 0, v13
	s_cbranch_vccz .LBB51_225
; %bb.220:                              ;   in Loop: Header=BB51_222 Depth=2
	v_add_u32_e32 v2, s66, v2
	v_cmp_le_i32_e32 vcc, s1, v2
	v_add_u32_e32 v1, s80, v1
	s_mov_b64 s[52:53], 0
	s_orn2_b64 s[54:55], vcc, exec
.LBB51_221:                             ;   in Loop: Header=BB51_222 Depth=2
	s_and_b64 s[54:55], exec, s[54:55]
	s_or_b64 s[44:45], s[54:55], s[44:45]
	s_andn2_b64 s[50:51], s[50:51], exec
	s_and_b64 s[52:53], s[52:53], exec
	s_or_b64 s[50:51], s[50:51], s[52:53]
	s_andn2_b64 exec, exec, s[44:45]
	s_cbranch_execz .LBB51_226
.LBB51_222:                             ;   Parent Loop BB51_16 Depth=1
                                        ; =>  This Inner Loop Header: Depth=2
	v_cmp_gt_i32_e32 vcc, s0, v2
	s_and_saveexec_b64 s[52:53], vcc
	s_cbranch_execz .LBB51_219
; %bb.223:                              ;   in Loop: Header=BB51_222 Depth=2
	ds_read_b32 v13, v1
	s_waitcnt lgkmcnt(0)
	v_cmp_lt_i32_e32 vcc, -1, v13
	v_cndmask_b32_e32 v6, -1, v36, vcc
	v_xor_b32_e32 v6, v6, v13
	v_cmp_o_f32_e32 vcc, v13, v13
	v_cndmask_b32_e32 v6, -1, v6, vcc
	v_and_b32_e32 v6, v6, v38
	v_cmp_eq_u32_e32 vcc, v6, v29
	s_and_b64 exec, exec, vcc
	s_cbranch_execz .LBB51_219
; %bb.224:                              ;   in Loop: Header=BB51_222 Depth=2
	ds_write_b64 v7, v[12:13] offset:3072
	s_branch .LBB51_219
.LBB51_225:                             ;   in Loop: Header=BB51_222 Depth=2
	s_mov_b64 s[54:55], -1
                                        ; implicit-def: $vgpr2
                                        ; implicit-def: $vgpr1
	s_mov_b64 s[52:53], -1
	s_branch .LBB51_221
.LBB51_226:                             ;   in Loop: Header=BB51_16 Depth=1
	s_or_b64 exec, exec, s[44:45]
	s_andn2_b64 s[0:1], s[48:49], exec
	s_and_b64 s[44:45], s[50:51], exec
	s_or_b64 s[48:49], s[0:1], s[44:45]
.LBB51_227:                             ;   in Loop: Header=BB51_16 Depth=1
	s_or_b64 exec, exec, s[42:43]
	s_mov_b64 s[42:43], 0
	s_mov_b64 s[44:45], -1
.LBB51_228:                             ;   in Loop: Header=BB51_16 Depth=1
	s_orn2_b64 s[48:49], s[48:49], exec
.LBB51_229:                             ;   in Loop: Header=BB51_16 Depth=1
	s_or_b64 exec, exec, s[46:47]
	s_mov_b64 s[50:51], 0
	s_and_saveexec_b64 s[46:47], s[48:49]
	s_cbranch_execz .LBB51_240
; %bb.230:                              ;   in Loop: Header=BB51_16 Depth=1
	s_xor_b64 s[0:1], s[8:9], -1
	v_mov_b32_e32 v4, 1
	v_mov_b32_e32 v1, 1
	s_and_saveexec_b64 s[8:9], s[0:1]
	s_cbranch_execz .LBB51_239
; %bb.231:                              ;   in Loop: Header=BB51_16 Depth=1
	v_cmp_ge_i32_e32 vcc, s61, v15
	s_and_saveexec_b64 s[0:1], vcc
	s_xor_b64 s[48:49], exec, s[0:1]
	s_cbranch_execz .LBB51_236
; %bb.232:                              ;   in Loop: Header=BB51_16 Depth=1
	ds_read_b32 v1, v7 offset:4096
	v_or_b32_e32 v29, v29, v3
	v_or_b32_e32 v38, v38, v3
	s_waitcnt lgkmcnt(0)
	v_cmp_ne_u32_e32 vcc, 0, v1
	s_cbranch_vccnz .LBB51_236
; %bb.233:                              ;   in Loop: Header=BB51_16 Depth=1
	s_mov_b64 s[50:51], exec
	v_readlane_b32 s0, v48, 5
	v_readlane_b32 s1, v48, 6
	s_and_b64 s[0:1], s[50:51], s[0:1]
	s_mov_b64 exec, s[0:1]
; %bb.234:                              ;   in Loop: Header=BB51_16 Depth=1
	v_mov_b32_e32 v1, s61
	ds_write_b32 v7, v1 offset:4100
; %bb.235:                              ;   in Loop: Header=BB51_16 Depth=1
	s_or_b64 exec, exec, s[50:51]
	s_waitcnt lgkmcnt(0)
	s_barrier
.LBB51_236:                             ;   in Loop: Header=BB51_16 Depth=1
	s_andn2_saveexec_b64 s[48:49], s[48:49]
; %bb.237:                              ;   in Loop: Header=BB51_16 Depth=1
	v_subrev_u32_e32 v15, s61, v15
; %bb.238:                              ;   in Loop: Header=BB51_16 Depth=1
	s_or_b64 exec, exec, s[48:49]
	v_mov_b32_e32 v4, 8
	v_mov_b32_e32 v1, v15
.LBB51_239:                             ;   in Loop: Header=BB51_16 Depth=1
	s_or_b64 exec, exec, s[8:9]
	s_mov_b64 s[50:51], exec
	v_mov_b32_e32 v15, v1
.LBB51_240:                             ;   in Loop: Header=BB51_16 Depth=1
	s_or_b64 exec, exec, s[46:47]
	s_orn2_b64 s[8:9], s[50:51], exec
.LBB51_241:                             ;   in Loop: Header=BB51_16 Depth=1
	s_or_b64 exec, exec, s[40:41]
	s_andn2_b64 s[0:1], s[36:37], exec
	s_and_b64 s[36:37], s[44:45], exec
	s_or_b64 s[36:37], s[0:1], s[36:37]
	s_andn2_b64 s[0:1], s[34:35], exec
	s_and_b64 s[34:35], s[42:43], exec
	s_or_b64 s[34:35], s[0:1], s[34:35]
	s_and_b64 s[42:43], s[8:9], exec
	v_mov_b32_e32 v16, v15
.LBB51_242:                             ;   in Loop: Header=BB51_16 Depth=1
	s_or_b64 exec, exec, s[38:39]
	s_orn2_b64 s[8:9], s[42:43], exec
.LBB51_243:                             ;   in Loop: Header=BB51_16 Depth=1
	s_or_b64 exec, exec, s[30:31]
	s_andn2_b64 s[0:1], s[26:27], exec
	s_and_b64 s[26:27], s[36:37], exec
	s_or_b64 s[26:27], s[0:1], s[26:27]
	s_andn2_b64 s[0:1], s[24:25], exec
	s_and_b64 s[24:25], s[34:35], exec
	s_or_b64 s[24:25], s[0:1], s[24:25]
	s_and_b64 s[34:35], s[8:9], exec
	v_mov_b32_e32 v15, v16
.LBB51_244:                             ;   in Loop: Header=BB51_16 Depth=1
	s_or_b64 exec, exec, s[28:29]
	s_orn2_b64 s[8:9], s[34:35], exec
.LBB51_245:                             ;   in Loop: Header=BB51_16 Depth=1
	s_or_b64 exec, exec, s[22:23]
	s_mov_b64 s[22:23], 0
                                        ; implicit-def: $sgpr0
	s_and_saveexec_b64 s[28:29], s[8:9]
	s_xor_b64 s[8:9], exec, s[28:29]
	s_cbranch_execz .LBB51_14
; %bb.246:                              ;   in Loop: Header=BB51_16 Depth=1
	v_and_b32_e32 v1, 7, v4
	v_cmp_eq_u32_e32 vcc, 0, v1
	s_mov_b64 s[20:21], -1
	s_mov_b64 s[22:23], -1
                                        ; implicit-def: $sgpr0
	s_and_saveexec_b64 s[28:29], vcc
	s_cbranch_execz .LBB51_13
; %bb.247:                              ;   in Loop: Header=BB51_16 Depth=1
	v_add_u32_e32 v1, -2, v37
	v_cmp_eq_u32_e32 vcc, 0, v37
	s_xor_b32 s0, s82, 1
	s_xor_b64 s[22:23], exec, -1
	s_orn2_b64 s[20:21], vcc, exec
	v_mov_b32_e32 v37, v1
	s_branch .LBB51_13
.LBB51_248:
	s_or_b64 exec, exec, s[84:85]
	s_xor_b64 s[6:7], s[90:91], -1
	s_xor_b64 s[0:1], s[86:87], -1
	s_xor_b64 s[8:9], s[88:89], -1
	s_mov_b64 s[2:3], 0
	s_and_saveexec_b64 s[4:5], s[0:1]
	s_xor_b64 s[4:5], exec, s[4:5]
	s_cbranch_execnz .LBB51_253
; %bb.249:
	s_andn2_saveexec_b64 s[0:1], s[4:5]
	s_cbranch_execnz .LBB51_273
.LBB51_250:
	s_or_b64 exec, exec, s[0:1]
	s_and_saveexec_b64 s[0:1], s[2:3]
.LBB51_251:
	; divergent unreachable
.LBB51_252:
	s_endpgm
.LBB51_253:
	s_and_saveexec_b64 s[0:1], s[6:7]
	s_xor_b64 s[6:7], exec, s[0:1]
	s_cbranch_execz .LBB51_271
; %bb.254:
	s_and_saveexec_b64 s[0:1], s[8:9]
	s_xor_b64 s[2:3], exec, s[0:1]
; %bb.255:
	v_bfrev_b32_e32 v1, 1
	v_cmp_lt_i32_e32 vcc, -1, v29
	v_cndmask_b32_e64 v1, v1, -1, vcc
	v_xor_b32_e32 v14, v1, v29
; %bb.256:
	s_or_b64 exec, exec, s[2:3]
	s_mov_b64 s[2:3], exec
	v_readlane_b32 s0, v48, 5
	v_readlane_b32 s1, v48, 6
	s_and_b64 s[0:1], s[2:3], s[0:1]
	s_mov_b64 exec, s[0:1]
; %bb.257:
	v_mov_b32_e32 v1, 0
	v_mov_b32_e32 v2, s60
	ds_write_b32 v1, v2 offset:4108
; %bb.258:
	s_or_b64 exec, exec, s[2:3]
	v_mov_b32_e32 v1, 0
	s_waitcnt lgkmcnt(0)
	s_barrier
	ds_read_b32 v1, v1 offset:4108
	s_waitcnt lgkmcnt(0)
	v_min_i32_e32 v1, s60, v1
	v_cmp_lt_i32_e32 vcc, v0, v1
	s_and_saveexec_b64 s[8:9], vcc
	s_cbranch_execz .LBB51_268
; %bb.259:
	v_cmp_u_f32_e32 vcc, v14, v14
	s_mov_b64 s[10:11], 0
	v_mov_b32_e32 v3, s78
	s_xor_b64 s[14:15], vcc, -1
                                        ; implicit-def: $sgpr12_sgpr13
                                        ; implicit-def: $sgpr18_sgpr19
                                        ; implicit-def: $sgpr16_sgpr17
	s_branch .LBB51_261
.LBB51_260:                             ;   in Loop: Header=BB51_261 Depth=1
	s_or_b64 exec, exec, s[2:3]
	s_and_b64 s[0:1], exec, s[18:19]
	s_or_b64 s[10:11], s[0:1], s[10:11]
	s_andn2_b64 s[0:1], s[12:13], exec
	s_and_b64 s[2:3], s[16:17], exec
	s_or_b64 s[12:13], s[0:1], s[2:3]
	s_andn2_b64 exec, exec, s[10:11]
	s_cbranch_execz .LBB51_263
.LBB51_261:                             ; =>This Inner Loop Header: Depth=1
	v_ashrrev_i32_e32 v6, 31, v5
	v_lshlrev_b64 v[6:7], 2, v[5:6]
	v_mov_b32_e32 v2, v0
	v_add_co_u32_e32 v6, vcc, s64, v6
	v_addc_co_u32_e32 v7, vcc, v3, v7, vcc
	global_load_dword v4, v[6:7], off
	s_or_b64 s[16:17], s[16:17], exec
	s_or_b64 s[18:19], s[18:19], exec
                                        ; implicit-def: $vgpr0
	s_waitcnt vmcnt(0)
	v_cmp_o_f32_e64 s[2:3], v4, v4
	v_cmp_neq_f32_e32 vcc, v4, v14
	s_or_b64 s[0:1], s[2:3], s[14:15]
	s_and_b64 s[0:1], vcc, s[0:1]
	s_and_saveexec_b64 s[2:3], s[0:1]
	s_cbranch_execz .LBB51_260
; %bb.262:                              ;   in Loop: Header=BB51_261 Depth=1
	v_add_u32_e32 v0, s66, v2
	v_cmp_ge_i32_e32 vcc, v0, v1
	s_andn2_b64 s[0:1], s[18:19], exec
	s_and_b64 s[18:19], vcc, exec
	v_add_u32_e32 v5, s79, v5
	s_andn2_b64 s[16:17], s[16:17], exec
	s_or_b64 s[18:19], s[0:1], s[18:19]
	s_branch .LBB51_260
.LBB51_263:
	s_or_b64 exec, exec, s[10:11]
	s_and_saveexec_b64 s[0:1], s[12:13]
	s_xor_b64 s[0:1], exec, s[0:1]
	s_cbranch_execz .LBB51_268
; %bb.264:
	s_mov_b64 s[2:3], exec
	s_brev_b32 s0, -2
.LBB51_265:                             ; =>This Inner Loop Header: Depth=1
	s_ff1_i32_b64 s1, s[2:3]
	v_readlane_b32 s12, v2, s1
	s_lshl_b64 s[10:11], 1, s1
	s_min_i32 s0, s0, s12
	s_andn2_b64 s[2:3], s[2:3], s[10:11]
	s_cmp_lg_u64 s[2:3], 0
	s_cbranch_scc1 .LBB51_265
; %bb.266:
	v_mbcnt_lo_u32_b32 v0, exec_lo, 0
	v_mbcnt_hi_u32_b32 v0, exec_hi, v0
	v_cmp_eq_u32_e32 vcc, 0, v0
	s_and_saveexec_b64 s[2:3], vcc
	s_xor_b64 s[2:3], exec, s[2:3]
; %bb.267:
	v_mov_b32_e32 v0, 0
	v_mov_b32_e32 v1, s0
	ds_min_i32 v0, v1 offset:4108
.LBB51_268:
	s_or_b64 exec, exec, s[8:9]
	s_waitcnt lgkmcnt(0)
	s_barrier
	s_mov_b64 s[2:3], exec
	v_readlane_b32 s0, v48, 5
	v_readlane_b32 s1, v48, 6
	s_and_b64 s[0:1], s[2:3], s[0:1]
	s_mov_b64 exec, s[0:1]
	s_cbranch_execz .LBB51_270
; %bb.269:
	v_readlane_b32 s0, v48, 0
	s_mul_i32 s0, s0, s62
	v_readlane_b32 s1, v48, 7
	s_add_i32 s0, s0, s65
	s_mul_i32 s1, s1, s33
	s_add_i32 s8, s1, s67
	s_ashr_i32 s1, s0, 31
	v_mov_b32_e32 v2, 0
	s_lshl_b64 s[0:1], s[0:1], 2
	v_readlane_b32 s10, v48, 1
	ds_read_b32 v0, v2 offset:4108
	v_readlane_b32 s11, v48, 2
	s_add_u32 s0, s10, s0
	s_addc_u32 s1, s11, s1
	s_ashr_i32 s9, s8, 31
	s_lshl_b64 s[8:9], s[8:9], 3
	v_readlane_b32 s10, v48, 3
	v_readlane_b32 s11, v48, 4
	s_add_u32 s8, s10, s8
	s_addc_u32 s9, s11, s9
	s_waitcnt lgkmcnt(0)
	v_ashrrev_i32_e32 v1, 31, v0
	global_store_dwordx2 v2, v[0:1], s[8:9]
	global_store_dword v2, v14, s[0:1]
.LBB51_270:
	s_or_b64 exec, exec, s[2:3]
.LBB51_271:
	s_or_saveexec_b64 s[0:1], s[6:7]
	s_mov_b64 s[2:3], 0
	s_xor_b64 exec, exec, s[0:1]
	s_cbranch_execnz .LBB51_274
.LBB51_272:
	s_or_b64 exec, exec, s[0:1]
	s_and_b64 s[2:3], s[2:3], exec
	s_andn2_saveexec_b64 s[0:1], s[4:5]
	s_cbranch_execz .LBB51_250
.LBB51_273:
	s_or_b64 s[2:3], s[2:3], exec
	s_trap 2
	s_or_b64 exec, exec, s[0:1]
	s_and_saveexec_b64 s[0:1], s[2:3]
	s_cbranch_execnz .LBB51_251
	s_branch .LBB51_252
.LBB51_274:
	s_mov_b64 s[2:3], exec
	s_trap 2
	s_branch .LBB51_272
	.section	.rodata,"a",@progbits
	.p2align	6, 0x0
	.amdhsa_kernel _ZN2at6native12_GLOBAL__N_114gatherKthValueIfiLin1EEEvNS_4cuda6detail10TensorInfoIKT_T0_EES8_S8_S8_S8_NS5_IS6_S8_EENS5_IlS8_EE
		.amdhsa_group_segment_fixed_size 4112
		.amdhsa_private_segment_fixed_size 0
		.amdhsa_kernarg_size 920
		.amdhsa_user_sgpr_count 6
		.amdhsa_user_sgpr_private_segment_buffer 1
		.amdhsa_user_sgpr_dispatch_ptr 0
		.amdhsa_user_sgpr_queue_ptr 0
		.amdhsa_user_sgpr_kernarg_segment_ptr 1
		.amdhsa_user_sgpr_dispatch_id 0
		.amdhsa_user_sgpr_flat_scratch_init 0
		.amdhsa_user_sgpr_private_segment_size 0
		.amdhsa_uses_dynamic_stack 0
		.amdhsa_system_sgpr_private_segment_wavefront_offset 0
		.amdhsa_system_sgpr_workgroup_id_x 1
		.amdhsa_system_sgpr_workgroup_id_y 1
		.amdhsa_system_sgpr_workgroup_id_z 1
		.amdhsa_system_sgpr_workgroup_info 0
		.amdhsa_system_vgpr_workitem_id 0
		.amdhsa_next_free_vgpr 49
		.amdhsa_next_free_sgpr 96
		.amdhsa_reserve_vcc 1
		.amdhsa_reserve_flat_scratch 0
		.amdhsa_float_round_mode_32 0
		.amdhsa_float_round_mode_16_64 0
		.amdhsa_float_denorm_mode_32 3
		.amdhsa_float_denorm_mode_16_64 3
		.amdhsa_dx10_clamp 1
		.amdhsa_ieee_mode 1
		.amdhsa_fp16_overflow 0
		.amdhsa_exception_fp_ieee_invalid_op 0
		.amdhsa_exception_fp_denorm_src 0
		.amdhsa_exception_fp_ieee_div_zero 0
		.amdhsa_exception_fp_ieee_overflow 0
		.amdhsa_exception_fp_ieee_underflow 0
		.amdhsa_exception_fp_ieee_inexact 0
		.amdhsa_exception_int_div_zero 0
	.end_amdhsa_kernel
	.section	.text._ZN2at6native12_GLOBAL__N_114gatherKthValueIfiLin1EEEvNS_4cuda6detail10TensorInfoIKT_T0_EES8_S8_S8_S8_NS5_IS6_S8_EENS5_IlS8_EE,"axG",@progbits,_ZN2at6native12_GLOBAL__N_114gatherKthValueIfiLin1EEEvNS_4cuda6detail10TensorInfoIKT_T0_EES8_S8_S8_S8_NS5_IS6_S8_EENS5_IlS8_EE,comdat
.Lfunc_end51:
	.size	_ZN2at6native12_GLOBAL__N_114gatherKthValueIfiLin1EEEvNS_4cuda6detail10TensorInfoIKT_T0_EES8_S8_S8_S8_NS5_IS6_S8_EENS5_IlS8_EE, .Lfunc_end51-_ZN2at6native12_GLOBAL__N_114gatherKthValueIfiLin1EEEvNS_4cuda6detail10TensorInfoIKT_T0_EES8_S8_S8_S8_NS5_IS6_S8_EENS5_IlS8_EE
                                        ; -- End function
	.set _ZN2at6native12_GLOBAL__N_114gatherKthValueIfiLin1EEEvNS_4cuda6detail10TensorInfoIKT_T0_EES8_S8_S8_S8_NS5_IS6_S8_EENS5_IlS8_EE.num_vgpr, 49
	.set _ZN2at6native12_GLOBAL__N_114gatherKthValueIfiLin1EEEvNS_4cuda6detail10TensorInfoIKT_T0_EES8_S8_S8_S8_NS5_IS6_S8_EENS5_IlS8_EE.num_agpr, 0
	.set _ZN2at6native12_GLOBAL__N_114gatherKthValueIfiLin1EEEvNS_4cuda6detail10TensorInfoIKT_T0_EES8_S8_S8_S8_NS5_IS6_S8_EENS5_IlS8_EE.numbered_sgpr, 96
	.set _ZN2at6native12_GLOBAL__N_114gatherKthValueIfiLin1EEEvNS_4cuda6detail10TensorInfoIKT_T0_EES8_S8_S8_S8_NS5_IS6_S8_EENS5_IlS8_EE.num_named_barrier, 0
	.set _ZN2at6native12_GLOBAL__N_114gatherKthValueIfiLin1EEEvNS_4cuda6detail10TensorInfoIKT_T0_EES8_S8_S8_S8_NS5_IS6_S8_EENS5_IlS8_EE.private_seg_size, 0
	.set _ZN2at6native12_GLOBAL__N_114gatherKthValueIfiLin1EEEvNS_4cuda6detail10TensorInfoIKT_T0_EES8_S8_S8_S8_NS5_IS6_S8_EENS5_IlS8_EE.uses_vcc, 1
	.set _ZN2at6native12_GLOBAL__N_114gatherKthValueIfiLin1EEEvNS_4cuda6detail10TensorInfoIKT_T0_EES8_S8_S8_S8_NS5_IS6_S8_EENS5_IlS8_EE.uses_flat_scratch, 0
	.set _ZN2at6native12_GLOBAL__N_114gatherKthValueIfiLin1EEEvNS_4cuda6detail10TensorInfoIKT_T0_EES8_S8_S8_S8_NS5_IS6_S8_EENS5_IlS8_EE.has_dyn_sized_stack, 0
	.set _ZN2at6native12_GLOBAL__N_114gatherKthValueIfiLin1EEEvNS_4cuda6detail10TensorInfoIKT_T0_EES8_S8_S8_S8_NS5_IS6_S8_EENS5_IlS8_EE.has_recursion, 0
	.set _ZN2at6native12_GLOBAL__N_114gatherKthValueIfiLin1EEEvNS_4cuda6detail10TensorInfoIKT_T0_EES8_S8_S8_S8_NS5_IS6_S8_EENS5_IlS8_EE.has_indirect_call, 0
	.section	.AMDGPU.csdata,"",@progbits
; Kernel info:
; codeLenInByte = 10188
; TotalNumSgprs: 100
; NumVgprs: 49
; ScratchSize: 0
; MemoryBound: 0
; FloatMode: 240
; IeeeMode: 1
; LDSByteSize: 4112 bytes/workgroup (compile time only)
; SGPRBlocks: 12
; VGPRBlocks: 12
; NumSGPRsForWavesPerEU: 100
; NumVGPRsForWavesPerEU: 49
; Occupancy: 4
; WaveLimiterHint : 1
; COMPUTE_PGM_RSRC2:SCRATCH_EN: 0
; COMPUTE_PGM_RSRC2:USER_SGPR: 6
; COMPUTE_PGM_RSRC2:TRAP_HANDLER: 0
; COMPUTE_PGM_RSRC2:TGID_X_EN: 1
; COMPUTE_PGM_RSRC2:TGID_Y_EN: 1
; COMPUTE_PGM_RSRC2:TGID_Z_EN: 1
; COMPUTE_PGM_RSRC2:TIDIG_COMP_CNT: 0
	.section	.text._ZN2at6native12_GLOBAL__N_114gatherKthValueIflLi1EEEvNS_4cuda6detail10TensorInfoIKT_T0_EES8_S8_S8_S8_NS5_IS6_S8_EENS5_IlS8_EE,"axG",@progbits,_ZN2at6native12_GLOBAL__N_114gatherKthValueIflLi1EEEvNS_4cuda6detail10TensorInfoIKT_T0_EES8_S8_S8_S8_NS5_IS6_S8_EENS5_IlS8_EE,comdat
	.globl	_ZN2at6native12_GLOBAL__N_114gatherKthValueIflLi1EEEvNS_4cuda6detail10TensorInfoIKT_T0_EES8_S8_S8_S8_NS5_IS6_S8_EENS5_IlS8_EE ; -- Begin function _ZN2at6native12_GLOBAL__N_114gatherKthValueIflLi1EEEvNS_4cuda6detail10TensorInfoIKT_T0_EES8_S8_S8_S8_NS5_IS6_S8_EENS5_IlS8_EE
	.p2align	8
	.type	_ZN2at6native12_GLOBAL__N_114gatherKthValueIflLi1EEEvNS_4cuda6detail10TensorInfoIKT_T0_EES8_S8_S8_S8_NS5_IS6_S8_EENS5_IlS8_EE,@function
_ZN2at6native12_GLOBAL__N_114gatherKthValueIflLi1EEEvNS_4cuda6detail10TensorInfoIKT_T0_EES8_S8_S8_S8_NS5_IS6_S8_EENS5_IlS8_EE: ; @_ZN2at6native12_GLOBAL__N_114gatherKthValueIflLi1EEEvNS_4cuda6detail10TensorInfoIKT_T0_EES8_S8_S8_S8_NS5_IS6_S8_EENS5_IlS8_EE
; %bb.0:
	s_load_dwordx2 s[12:13], s[4:5], 0x500
	s_load_dwordx8 s[56:63], s[4:5], 0x1a0
	s_add_u32 s10, s4, 0x500
	s_addc_u32 s11, s5, 0
	s_mov_b32 s15, 0
	s_waitcnt lgkmcnt(0)
	s_mul_i32 s0, s13, s8
	s_add_i32 s0, s0, s7
	s_mul_i32 s0, s0, s12
	s_add_i32 s14, s0, s6
	v_mov_b32_e32 v1, s14
	v_mov_b32_e32 v2, s15
	v_cmp_le_i64_e32 vcc, s[60:61], v[1:2]
	s_cbranch_vccnz .LBB52_277
; %bb.1:
	s_load_dwordx2 s[0:1], s[4:5], 0x430
                                        ; implicit-def: $vgpr54 : SGPR spill to VGPR lane
	v_cmp_eq_u32_e64 s[8:9], 0, v0
	s_waitcnt lgkmcnt(0)
	v_writelane_b32 v54, s0, 0
	v_writelane_b32 v54, s1, 1
	s_load_dwordx2 s[0:1], s[4:5], 0x360
	s_waitcnt lgkmcnt(0)
	v_writelane_b32 v54, s0, 2
	v_writelane_b32 v54, s1, 3
	s_load_dwordx2 s[0:1], s[4:5], 0x290
	;; [unrolled: 4-line block ×4, first 2 shown]
	s_load_dwordx2 s[0:1], s[4:5], 0x0
	s_mov_b64 s[4:5], exec
	v_writelane_b32 v54, s8, 8
	v_writelane_b32 v54, s9, 9
	s_and_b64 s[8:9], s[4:5], s[8:9]
	s_mov_b64 exec, s[8:9]
	s_cbranch_execz .LBB52_3
; %bb.2:
	v_mov_b32_e32 v1, 0
	v_mov_b32_e32 v3, s56
	;; [unrolled: 1-line block ×4, first 2 shown]
	ds_write_b32 v1, v1 offset:5136
	ds_write_b128 v1, v[1:4] offset:5120
.LBB52_3:
	s_or_b64 exec, exec, s[4:5]
	s_waitcnt lgkmcnt(0)
	s_mul_i32 s3, s3, s14
	s_mul_hi_u32 s4, s2, s14
	s_add_i32 s3, s4, s3
	s_mul_i32 s2, s2, s14
	s_mov_b32 s4, s14
	s_lshl_b64 s[2:3], s[2:3], 2
	v_writelane_b32 v54, s4, 10
	s_add_u32 s8, s0, s2
	v_writelane_b32 v54, s5, 11
	s_addc_u32 s9, s1, s3
	v_cmp_gt_u32_e64 s[0:1], 2, v0
	v_writelane_b32 v54, s0, 12
	v_writelane_b32 v54, s1, 13
	v_mad_u64_u32 v[2:3], s[0:1], s62, v0, 0
	v_mov_b32_e32 v4, 0x300
	v_mov_b32_e32 v5, 0
	v_mad_u64_u32 v[6:7], s[0:1], s63, v0, v[3:4]
	v_cmp_gt_i64_e64 s[0:1], s[56:57], v[4:5]
	v_mbcnt_lo_u32_b32 v1, -1, 0
	v_mov_b32_e32 v13, 0
	v_mbcnt_hi_u32_b32 v31, -1, v1
	v_mov_b32_e32 v1, v13
	v_writelane_b32 v54, s0, 14
	v_writelane_b32 v54, s1, 15
	v_cmp_gt_u64_e64 s[0:1], s[56:57], v[0:1]
	v_mov_b32_e32 v3, v6
	v_writelane_b32 v54, s0, 16
	v_writelane_b32 v54, s1, 17
	v_mov_b32_e32 v6, s9
	v_writelane_b32 v54, s8, 18
	v_cmp_gt_i64_e64 s[0:1], s[56:57], v[0:1]
	v_writelane_b32 v54, s9, 19
	v_writelane_b32 v54, s0, 20
	s_barrier
	v_writelane_b32 v54, s1, 21
	s_load_dword s0, s[10:11], 0xc
	v_lshlrev_b64 v[4:5], 2, v[2:3]
	v_cmp_gt_u32_e32 vcc, 64, v0
	v_cmp_gt_i32_e64 s[2:3], 4, v31
	s_and_b64 s[76:77], vcc, s[2:3]
	v_add_co_u32_e32 v10, vcc, s8, v4
	s_waitcnt lgkmcnt(0)
	s_and_b32 s33, s0, 0xffff
	s_bfe_u32 s2, s0, 0xa0006
	v_addc_co_u32_e32 v11, vcc, v6, v5, vcc
	v_lshlrev_b64 v[4:5], v31, -1
	s_cmp_gt_u32 s33, 63
	s_cselect_b64 s[0:1], -1, 0
	v_lshlrev_b32_e32 v35, 4, v0
	v_not_b32_e32 v33, v5
	v_writelane_b32 v54, s0, 22
	v_or_b32_e32 v5, 12, v35
	v_writelane_b32 v54, s1, 23
	v_mad_u64_u32 v[16:17], s[0:1], s62, v5, 0
	s_add_u32 s3, s33, -1
	v_lshlrev_b32_e32 v6, 2, v31
	s_addc_u32 s0, 0, -1
	v_and_b32_e32 v32, 0x100, v6
	v_writelane_b32 v54, s3, 24
	s_add_u32 s83, s3, s56
	v_or_b32_e32 v6, 8, v35
	v_not_b32_e32 v34, v4
	v_writelane_b32 v54, s0, 25
	s_addc_u32 s89, s0, s57
	v_mov_b32_e32 v4, v17
	v_mad_u64_u32 v[17:18], s[0:1], s62, v6, 0
	v_or_b32_e32 v7, 4, v35
	v_mad_u64_u32 v[19:20], s[0:1], s62, v7, 0
	v_mad_u64_u32 v[4:5], s[0:1], s63, v5, v[4:5]
	v_mov_b32_e32 v5, v18
	v_mad_u64_u32 v[5:6], s[0:1], s63, v6, v[5:6]
	v_mov_b32_e32 v6, v20
	v_mad_u64_u32 v[6:7], s[0:1], s63, v7, v[6:7]
	s_cmp_lt_u32 s6, s12
	s_cselect_b32 s0, 12, 18
	s_add_u32 s78, s10, s0
	s_addc_u32 s79, s11, 0
	s_add_i32 s0, s2, -1
	s_bfe_u32 s3, s33, 0x30006
	s_and_b32 s0, s0, 0xffff
	s_cmp_gt_u32 s0, 6
	s_cselect_b64 s[0:1], -1, 0
	v_writelane_b32 v54, s0, 26
	v_writelane_b32 v54, s1, 27
	s_and_b32 s0, s2, 0x3f8
	s_cmp_lg_u32 s3, 0
	v_writelane_b32 v54, s3, 28
	s_cselect_b64 s[2:3], -1, 0
	v_writelane_b32 v54, s2, 29
	v_writelane_b32 v54, s3, 30
	s_lshl_b64 s[2:3], s[62:63], 2
	v_writelane_b32 v54, s2, 31
	v_writelane_b32 v54, s3, 32
	v_lshrrev_b32_e32 v7, 1, v0
	v_lshlrev_b64 v[20:21], 4, v[2:3]
	v_mov_b32_e32 v2, s57
	v_add_co_u32_e32 v39, vcc, s56, v0
	s_mul_i32 s1, s63, s33
	s_mul_hi_u32 s2, s62, s33
	v_writelane_b32 v54, s76, 33
	v_lshlrev_b32_e32 v14, 2, v0
	v_and_b32_e32 v7, 0x1e0, v7
	v_addc_co_u32_e32 v40, vcc, 0, v2, vcc
	v_mov_b32_e32 v2, 0xc00
	s_add_i32 s3, s2, s1
	s_mul_i32 s2, s62, s33
	v_mov_b32_e32 v25, s58
	v_writelane_b32 v54, s77, 34
	s_mov_b32 s85, 0
	v_cmp_eq_u32_e64 s[4:5], 0, v31
	v_mov_b32_e32 v15, v13
	v_or_b32_e32 v18, 0xc00, v7
	v_mov_b32_e32 v36, v4
	s_lshl_b64 s[90:91], s[62:63], 4
	v_mov_b32_e32 v37, v5
	v_mov_b32_e32 v38, v6
	v_lshl_or_b32 v41, v31, 3, v2
	s_lshl_b64 s[70:71], s[2:3], 2
	s_lshl_b32 s1, s33, 2
	s_mov_b32 s82, 30
	s_mov_b64 s[92:93], 0
	s_mov_b32 s80, 0
	v_add_u32_e32 v43, 0xc00, v14
	v_bfrev_b32_e32 v44, 1
	v_mov_b32_e32 v42, 0
	v_mov_b32_e32 v45, 0
	;; [unrolled: 1-line block ×3, first 2 shown]
	v_mov_b32_e32 v22, 1.0
	v_mov_b32_e32 v24, 0
	v_writelane_b32 v54, s78, 35
                                        ; implicit-def: $sgpr94_sgpr95
                                        ; implicit-def: $sgpr60_sgpr61
                                        ; implicit-def: $sgpr54_sgpr55
                                        ; implicit-def: $sgpr68_sgpr69
                                        ; implicit-def: $sgpr10_sgpr11
                                        ; implicit-def: $sgpr66_sgpr67
	v_writelane_b32 v54, s79, 36
	s_branch .LBB52_7
.LBB52_4:                               ;   in Loop: Header=BB52_7 Depth=1
	s_or_b64 exec, exec, s[16:17]
	s_and_b64 s[8:9], s[8:9], exec
	s_andn2_b64 s[22:23], s[22:23], exec
	s_andn2_b64 s[6:7], s[6:7], exec
	s_orn2_b64 s[16:17], s[12:13], exec
.LBB52_5:                               ;   in Loop: Header=BB52_7 Depth=1
	s_or_b64 exec, exec, s[2:3]
	s_andn2_b64 s[2:3], s[66:67], exec
	s_and_b64 s[8:9], s[8:9], exec
	s_or_b64 s[66:67], s[2:3], s[8:9]
	s_andn2_b64 s[2:3], s[10:11], exec
	s_and_b64 s[8:9], s[22:23], exec
	s_or_b64 s[10:11], s[2:3], s[8:9]
	s_andn2_b64 s[2:3], s[68:69], exec
	s_and_b64 s[6:7], s[6:7], exec
	s_or_b64 s[68:69], s[2:3], s[6:7]
	s_orn2_b64 s[6:7], s[16:17], exec
.LBB52_6:                               ;   in Loop: Header=BB52_7 Depth=1
	s_or_b64 exec, exec, s[14:15]
	s_and_b64 s[2:3], exec, s[6:7]
	s_or_b64 s[92:93], s[2:3], s[92:93]
	s_andn2_b64 s[2:3], s[54:55], exec
	s_and_b64 s[6:7], s[66:67], exec
	s_or_b64 s[54:55], s[2:3], s[6:7]
	s_andn2_b64 s[2:3], s[60:61], exec
	s_and_b64 s[6:7], s[10:11], exec
	;; [unrolled: 3-line block ×3, first 2 shown]
	v_mov_b32_e32 v26, v7
	s_or_b64 s[94:95], s[2:3], s[6:7]
	v_mov_b32_e32 v25, v6
	s_andn2_b64 exec, exec, s[92:93]
	s_cbranch_execz .LBB52_273
.LBB52_7:                               ; =>This Loop Header: Depth=1
                                        ;     Child Loop BB52_13 Depth 2
                                        ;     Child Loop BB52_26 Depth 2
	;; [unrolled: 1-line block ×16, first 2 shown]
	ds_read_b128 v[2:5], v13 offset:5120
	s_waitcnt lgkmcnt(0)
	v_readfirstlane_b32 s59, v3
	v_readfirstlane_b32 s58, v2
	v_cmp_gt_i64_e64 s[2:3], s[58:59], 0
	s_and_b64 vcc, exec, s[2:3]
	s_cbranch_vccnz .LBB52_34
; %bb.8:                                ;   in Loop: Header=BB52_7 Depth=1
	v_readlane_b32 s2, v54, 14
	v_readlane_b32 s3, v54, 15
	s_and_b64 vcc, exec, s[2:3]
	s_cbranch_vccz .LBB52_21
; %bb.9:                                ;   in Loop: Header=BB52_7 Depth=1
	s_mov_b64 s[2:3], 0x301
	v_cmp_gt_i64_e32 vcc, s[2:3], v[4:5]
	s_mov_b64 s[2:3], 0
	s_mov_b64 s[6:7], 0
	s_cbranch_vccz .LBB52_22
; %bb.10:                               ;   in Loop: Header=BB52_7 Depth=1
	s_mov_b64 s[8:9], exec
	v_readlane_b32 s6, v54, 16
	v_readlane_b32 s7, v54, 17
	s_and_b64 s[6:7], s[8:9], s[6:7]
	s_mov_b64 exec, s[6:7]
	s_cbranch_execz .LBB52_68
; %bb.11:                               ;   in Loop: Header=BB52_7 Depth=1
	global_load_ushort v6, v13, s[78:79]
	global_load_dword v7, v[10:11], off
	v_readlane_b32 s6, v54, 18
	v_readlane_b32 s7, v54, 19
	v_mov_b32_e32 v2, s6
	v_mov_b32_e32 v3, s7
	v_readlane_b32 s16, v54, 31
	v_readlane_b32 s17, v54, 32
	s_mov_b64 s[14:15], 0
	s_waitcnt vmcnt(1)
	v_readfirstlane_b32 s6, v6
	s_and_b32 s12, 0xffff, s6
	v_add_u32_e32 v4, s12, v0
	v_mad_u64_u32 v[2:3], s[6:7], s16, v4, v[2:3]
	s_mul_i32 s13, s17, s12
	s_mul_i32 s22, s16, s12
	v_mad_u64_u32 v[3:4], s[6:7], s17, v4, v[3:4]
	s_mul_hi_u32 s6, s16, s12
	v_mov_b32_e32 v5, v1
	s_add_i32 s23, s6, s13
	v_mov_b32_e32 v4, v0
	s_branch .LBB52_13
.LBB52_12:                              ;   in Loop: Header=BB52_13 Depth=2
	s_or_b64 exec, exec, s[6:7]
	v_mov_b32_e32 v7, s23
	v_add_co_u32_e32 v2, vcc, s22, v2
	v_addc_co_u32_e32 v3, vcc, v3, v7, vcc
	v_mov_b32_e32 v7, v8
	s_andn2_b64 exec, exec, s[14:15]
	s_cbranch_execz .LBB52_68
.LBB52_13:                              ;   Parent Loop BB52_7 Depth=1
                                        ; =>  This Inner Loop Header: Depth=2
	v_add_co_u32_sdwa v4, vcc, v4, v6 dst_sel:DWORD dst_unused:UNUSED_PAD src0_sel:DWORD src1_sel:WORD_0
	v_addc_co_u32_e32 v5, vcc, 0, v5, vcc
	v_cmp_gt_i64_e64 s[6:7], s[56:57], v[4:5]
	v_cmp_le_i64_e32 vcc, s[56:57], v[4:5]
	s_waitcnt lgkmcnt(0)
	v_mov_b32_e32 v9, 0
	v_mov_b32_e32 v8, 0
	s_and_saveexec_b64 s[12:13], s[6:7]
	s_cbranch_execz .LBB52_15
; %bb.14:                               ;   in Loop: Header=BB52_13 Depth=2
	global_load_dword v8, v[2:3], off
.LBB52_15:                              ;   in Loop: Header=BB52_13 Depth=2
	s_or_b64 exec, exec, s[12:13]
	s_waitcnt vmcnt(0)
	v_cmp_lt_i32_e64 s[6:7], -1, v7
	v_cndmask_b32_e64 v12, -1, v44, s[6:7]
	v_xor_b32_e32 v12, v12, v7
	v_cmp_o_f32_e64 s[6:7], v7, v7
	v_cndmask_b32_e64 v12, -1, v12, s[6:7]
	v_and_b32_e32 v12, v12, v45
	v_cmp_eq_u32_e64 s[12:13], v12, v42
	s_cmp_lg_u64 s[12:13], 0
	s_cselect_b64 s[6:7], -1, 0
	s_and_b64 s[6:7], s[4:5], s[6:7]
	s_and_saveexec_b64 s[16:17], s[6:7]
	s_cbranch_execz .LBB52_19
; %bb.16:                               ;   in Loop: Header=BB52_13 Depth=2
	s_mov_b64 s[20:21], exec
	v_mbcnt_lo_u32_b32 v9, s20, 0
	v_mbcnt_hi_u32_b32 v9, s21, v9
	s_bcnt1_i32_b64 s24, s[12:13]
	v_cmp_eq_u32_e64 s[6:7], 0, v9
                                        ; implicit-def: $vgpr12
	s_and_saveexec_b64 s[18:19], s[6:7]
; %bb.17:                               ;   in Loop: Header=BB52_13 Depth=2
	s_bcnt1_i32_b64 s6, s[20:21]
	s_mul_i32 s6, s24, s6
	v_mov_b32_e32 v12, s6
	ds_add_rtn_u32 v12, v13, v12 offset:5136
; %bb.18:                               ;   in Loop: Header=BB52_13 Depth=2
	s_or_b64 exec, exec, s[18:19]
	s_waitcnt lgkmcnt(0)
	v_readfirstlane_b32 s6, v12
	v_mov_b32_e32 v12, s6
	v_mad_u32_u24 v9, s24, v9, v12
.LBB52_19:                              ;   in Loop: Header=BB52_13 Depth=2
	s_or_b64 exec, exec, s[16:17]
	ds_bpermute_b32 v9, v32, v9
	s_and_b64 s[6:7], exec, vcc
	s_or_b64 s[14:15], s[6:7], s[14:15]
	s_and_saveexec_b64 s[6:7], s[12:13]
	s_cbranch_execz .LBB52_12
; %bb.20:                               ;   in Loop: Header=BB52_13 Depth=2
	v_and_b32_e32 v23, s12, v34
	v_and_b32_e32 v12, s13, v33
	v_bcnt_u32_b32 v23, v23, 0
	v_bcnt_u32_b32 v12, v12, v23
	v_lshlrev_b32_e32 v12, 2, v12
	s_waitcnt lgkmcnt(0)
	v_lshl_add_u32 v9, v9, 2, v12
	ds_write_b32 v9, v7
	s_branch .LBB52_12
.LBB52_21:                              ;   in Loop: Header=BB52_7 Depth=1
	s_mov_b64 s[2:3], -1
	s_mov_b64 s[6:7], 0
.LBB52_22:                              ;   in Loop: Header=BB52_7 Depth=1
	s_and_b64 vcc, exec, s[2:3]
	s_cbranch_vccz .LBB52_32
.LBB52_23:                              ;   in Loop: Header=BB52_7 Depth=1
	s_mov_b64 s[2:3], exec
	v_readlane_b32 s6, v54, 20
	v_readlane_b32 s7, v54, 21
	s_and_b64 s[6:7], s[2:3], s[6:7]
	s_mov_b64 exec, s[6:7]
	s_cbranch_execz .LBB52_29
; %bb.24:                               ;   in Loop: Header=BB52_7 Depth=1
	global_load_ushort v2, v13, s[78:79]
	global_load_dword v8, v[10:11], off
	s_waitcnt vmcnt(1)
	v_add_u32_sdwa v12, v2, v0 dst_sel:DWORD dst_unused:UNUSED_PAD src0_sel:WORD_0 src1_sel:DWORD
	v_cmp_gt_i64_e32 vcc, s[56:57], v[12:13]
	v_readfirstlane_b32 s6, v2
	v_mov_b32_e32 v2, v0
	s_and_saveexec_b64 s[8:9], vcc
	s_cbranch_execz .LBB52_28
; %bb.25:                               ;   in Loop: Header=BB52_7 Depth=1
	v_readlane_b32 s12, v54, 18
	v_readlane_b32 s13, v54, 19
	v_mov_b32_e32 v2, s12
	v_mov_b32_e32 v3, s13
	v_readlane_b32 s16, v54, 31
	v_mad_u64_u32 v[2:3], s[12:13], s16, v12, v[2:3]
	v_readlane_b32 s17, v54, 32
	s_and_b32 s14, s6, 0xffff
	v_mad_u64_u32 v[3:4], s[6:7], s17, v12, v[3:4]
	s_mul_i32 s6, s17, s14
	s_mul_hi_u32 s7, s16, s14
	v_mov_b32_e32 v4, v12
	v_mov_b32_e32 v7, v1
	s_add_i32 s15, s7, s6
	s_mul_i32 s16, s16, s14
	s_mov_b64 s[12:13], 0
	v_mov_b32_e32 v5, v13
	v_mov_b32_e32 v6, v0
.LBB52_26:                              ;   Parent Loop BB52_7 Depth=1
                                        ; =>  This Inner Loop Header: Depth=2
	global_load_dword v9, v[2:3], off
	v_mov_b32_e32 v28, v5
	v_mov_b32_e32 v27, v4
	v_lshlrev_b32_e32 v4, 2, v6
	v_mov_b32_e32 v6, s15
	v_add_co_u32_e32 v2, vcc, s16, v2
	s_waitcnt vmcnt(1)
	ds_write_b32 v4, v8
	v_add_co_u32_e64 v4, s[6:7], s14, v27
	v_addc_co_u32_e64 v5, s[6:7], 0, v28, s[6:7]
	v_addc_co_u32_e32 v3, vcc, v3, v6, vcc
	v_cmp_le_i64_e32 vcc, s[56:57], v[4:5]
	v_mov_b32_e32 v6, v27
	s_or_b64 s[12:13], vcc, s[12:13]
	v_mov_b32_e32 v7, v28
	s_waitcnt vmcnt(0)
	v_mov_b32_e32 v8, v9
	s_andn2_b64 exec, exec, s[12:13]
	s_cbranch_execnz .LBB52_26
; %bb.27:                               ;   in Loop: Header=BB52_7 Depth=1
	s_or_b64 exec, exec, s[12:13]
	v_subrev_u32_e32 v2, s14, v4
	v_mov_b32_e32 v8, v9
.LBB52_28:                              ;   in Loop: Header=BB52_7 Depth=1
	s_or_b64 exec, exec, s[8:9]
	v_lshlrev_b32_e32 v2, 2, v2
	s_waitcnt vmcnt(0)
	ds_write_b32 v2, v8
.LBB52_29:                              ;   in Loop: Header=BB52_7 Depth=1
	s_or_b64 exec, exec, s[2:3]
	s_waitcnt lgkmcnt(0)
	s_barrier
	s_mov_b64 s[2:3], exec
	v_readlane_b32 s6, v54, 8
	v_readlane_b32 s7, v54, 9
	s_and_b64 s[6:7], s[2:3], s[6:7]
	s_mov_b64 exec, s[6:7]
; %bb.30:                               ;   in Loop: Header=BB52_7 Depth=1
	v_mov_b32_e32 v2, s56
	v_mov_b32_e32 v3, s57
	ds_write_b64 v13, v[2:3] offset:5120
; %bb.31:                               ;   in Loop: Header=BB52_7 Depth=1
	s_or_b64 exec, exec, s[2:3]
	s_mov_b64 s[6:7], -1
	s_waitcnt lgkmcnt(0)
	s_barrier
.LBB52_32:                              ;   in Loop: Header=BB52_7 Depth=1
	s_and_b64 vcc, exec, s[6:7]
	s_cbranch_vccz .LBB52_34
; %bb.33:                               ;   in Loop: Header=BB52_7 Depth=1
	ds_read_b64 v[2:3], v13 offset:5120
	s_waitcnt lgkmcnt(0)
	v_readfirstlane_b32 s58, v2
.LBB52_34:                              ;   in Loop: Header=BB52_7 Depth=1
	s_cmp_lt_i32 s58, 1
	s_mov_b64 s[2:3], -1
                                        ; implicit-def: $vgpr2_vgpr3
                                        ; implicit-def: $vgpr6_vgpr7
	s_cbranch_scc1 .LBB52_44
; %bb.35:                               ;   in Loop: Header=BB52_7 Depth=1
	s_and_b64 vcc, exec, s[2:3]
	s_cbranch_vccnz .LBB52_58
.LBB52_36:                              ;   in Loop: Header=BB52_7 Depth=1
	s_lshl_b32 s6, s80, 6
	s_and_saveexec_b64 s[2:3], s[4:5]
	s_cbranch_execz .LBB52_38
.LBB52_37:                              ;   in Loop: Header=BB52_7 Depth=1
	v_lshl_add_u32 v12, s6, 3, v18
	ds_write_b128 v12, v[2:5]
	ds_write_b128 v12, v[6:9] offset:16
.LBB52_38:                              ;   in Loop: Header=BB52_7 Depth=1
	s_or_b64 exec, exec, s[2:3]
	s_waitcnt lgkmcnt(0)
	s_barrier
	s_and_saveexec_b64 s[2:3], s[76:77]
	s_cbranch_execz .LBB52_76
; %bb.39:                               ;   in Loop: Header=BB52_7 Depth=1
	v_readlane_b32 s8, v54, 22
	v_mov_b32_e32 v2, 0
	v_readlane_b32 s9, v54, 23
	v_mov_b32_e32 v3, 0
	s_andn2_b64 vcc, exec, s[8:9]
	s_cbranch_vccnz .LBB52_75
; %bb.40:                               ;   in Loop: Header=BB52_7 Depth=1
	v_readlane_b32 s8, v54, 26
	v_readlane_b32 s9, v54, 27
	s_andn2_b64 vcc, exec, s[8:9]
	s_cbranch_vccnz .LBB52_71
; %bb.41:                               ;   in Loop: Header=BB52_7 Depth=1
	v_mov_b32_e32 v2, 0
	v_lshl_add_u32 v4, s80, 9, v41
	v_mov_b32_e32 v3, 0
	s_mov_b32 s7, 0
.LBB52_42:                              ;   Parent Loop BB52_7 Depth=1
                                        ; =>  This Inner Loop Header: Depth=2
	ds_read2_b64 v[5:8], v4 offset1:4
	ds_read2_b64 v[27:30], v4 offset0:8 offset1:12
	ds_read2_b64 v[46:49], v4 offset0:16 offset1:20
	;; [unrolled: 1-line block ×3, first 2 shown]
	s_add_i32 s7, s7, 8
	s_waitcnt lgkmcnt(3)
	v_add_co_u32_e32 v2, vcc, v5, v2
	v_addc_co_u32_e32 v3, vcc, v6, v3, vcc
	v_add_co_u32_e32 v2, vcc, v7, v2
	v_addc_co_u32_e32 v3, vcc, v8, v3, vcc
	s_waitcnt lgkmcnt(2)
	v_add_co_u32_e32 v2, vcc, v27, v2
	v_addc_co_u32_e32 v3, vcc, v28, v3, vcc
	v_add_co_u32_e32 v2, vcc, v29, v2
	v_addc_co_u32_e32 v3, vcc, v30, v3, vcc
	;; [unrolled: 5-line block ×3, first 2 shown]
	s_waitcnt lgkmcnt(0)
	v_add_co_u32_e32 v2, vcc, v50, v2
	v_addc_co_u32_e32 v3, vcc, v51, v3, vcc
	v_add_co_u32_e32 v2, vcc, v52, v2
	v_add_u32_e32 v4, 0x100, v4
	s_cmp_eq_u32 s0, s7
	v_addc_co_u32_e32 v3, vcc, v53, v3, vcc
	s_cbranch_scc0 .LBB52_42
; %bb.43:                               ;   in Loop: Header=BB52_7 Depth=1
	s_mov_b32 s7, s0
	s_branch .LBB52_72
.LBB52_44:                              ;   in Loop: Header=BB52_7 Depth=1
	global_load_ushort v2, v13, s[78:79]
	s_mov_b32 s88, s80
	s_mov_b32 s2, s85
	s_waitcnt vmcnt(0)
	v_readfirstlane_b32 s3, v2
	s_and_b32 s59, s3, 0xffff
	s_lshl_b32 s80, s59, 2
	s_mov_b32 s3, s57
	s_cmp_lg_u64 s[2:3], 0
	s_cbranch_scc0 .LBB52_67
; %bb.45:                               ;   in Loop: Header=BB52_7 Depth=1
	s_add_u32 s2, s80, 0
	s_addc_u32 s3, 0, 0
	s_xor_b64 s[2:3], s[2:3], 0
	v_cvt_f32_u32_e32 v2, s2
	v_cvt_f32_u32_e32 v3, s3
	s_sub_u32 s8, 0, s2
	s_subb_u32 s9, 0, s3
	v_mac_f32_e32 v2, 0x4f800000, v3
	v_rcp_f32_e32 v2, v2
	v_mul_f32_e32 v2, 0x5f7ffffc, v2
	v_mul_f32_e32 v3, 0x2f800000, v2
	v_trunc_f32_e32 v3, v3
	v_mac_f32_e32 v2, 0xcf800000, v3
	v_cvt_u32_f32_e32 v3, v3
	v_cvt_u32_f32_e32 v2, v2
	v_readfirstlane_b32 s12, v3
	v_readfirstlane_b32 s6, v2
	s_mul_i32 s7, s8, s12
	s_mul_hi_u32 s14, s8, s6
	s_mul_i32 s13, s9, s6
	s_add_i32 s7, s14, s7
	s_mul_i32 s15, s8, s6
	s_add_i32 s7, s7, s13
	s_mul_i32 s14, s6, s7
	s_mul_hi_u32 s16, s6, s15
	s_mul_hi_u32 s13, s6, s7
	s_add_u32 s14, s16, s14
	s_addc_u32 s13, 0, s13
	s_mul_hi_u32 s17, s12, s15
	s_mul_i32 s15, s12, s15
	s_add_u32 s14, s14, s15
	s_mul_hi_u32 s16, s12, s7
	s_addc_u32 s13, s13, s17
	s_addc_u32 s14, s16, 0
	s_mul_i32 s7, s12, s7
	s_add_u32 s7, s13, s7
	s_addc_u32 s13, 0, s14
	s_add_u32 s14, s6, s7
	s_cselect_b64 s[6:7], -1, 0
	s_cmp_lg_u64 s[6:7], 0
	s_addc_u32 s12, s12, s13
	s_mul_i32 s6, s8, s12
	s_mul_hi_u32 s7, s8, s14
	s_add_i32 s6, s7, s6
	s_mul_i32 s9, s9, s14
	s_add_i32 s6, s6, s9
	s_mul_i32 s8, s8, s14
	s_mul_hi_u32 s9, s12, s8
	s_mul_i32 s13, s12, s8
	s_mul_i32 s16, s14, s6
	s_mul_hi_u32 s8, s14, s8
	s_mul_hi_u32 s15, s14, s6
	s_add_u32 s8, s8, s16
	s_addc_u32 s15, 0, s15
	s_add_u32 s8, s8, s13
	s_mul_hi_u32 s7, s12, s6
	s_addc_u32 s8, s15, s9
	s_addc_u32 s7, s7, 0
	s_mul_i32 s6, s12, s6
	s_add_u32 s6, s8, s6
	s_addc_u32 s8, 0, s7
	s_add_u32 s13, s14, s6
	s_cselect_b64 s[6:7], -1, 0
	s_cmp_lg_u64 s[6:7], 0
	s_addc_u32 s12, s12, s8
	s_ashr_i32 s6, s57, 31
	s_add_u32 s8, s56, s6
	s_mov_b32 s7, s6
	s_addc_u32 s9, s57, s6
	s_xor_b64 s[8:9], s[8:9], s[6:7]
	s_mul_i32 s15, s8, s12
	s_mul_hi_u32 s16, s8, s13
	s_mul_hi_u32 s14, s8, s12
	s_add_u32 s15, s16, s15
	s_addc_u32 s14, 0, s14
	s_mul_hi_u32 s17, s9, s13
	s_mul_i32 s13, s9, s13
	s_add_u32 s13, s15, s13
	s_mul_hi_u32 s16, s9, s12
	s_addc_u32 s13, s14, s17
	s_addc_u32 s14, s16, 0
	s_mul_i32 s12, s9, s12
	s_add_u32 s12, s13, s12
	s_addc_u32 s13, 0, s14
	s_mul_i32 s13, s2, s13
	s_mul_hi_u32 s14, s2, s12
	s_add_i32 s13, s14, s13
	s_mul_i32 s14, s3, s12
	s_add_i32 s16, s13, s14
	s_sub_i32 s14, s9, s16
	s_mul_i32 s12, s2, s12
	s_sub_u32 s8, s8, s12
	s_cselect_b64 s[12:13], -1, 0
	s_cmp_lg_u64 s[12:13], 0
	s_subb_u32 s17, s14, s3
	s_sub_u32 s18, s8, s2
	s_cselect_b64 s[14:15], -1, 0
	s_cmp_lg_u64 s[14:15], 0
	s_subb_u32 s19, s17, 0
	s_cmp_ge_u32 s19, s3
	s_cselect_b32 s20, -1, 0
	s_cmp_ge_u32 s18, s2
	s_cselect_b32 s21, -1, 0
	s_cmp_eq_u32 s19, s3
	s_cselect_b32 s20, s21, s20
	s_cmp_lg_u64 s[14:15], 0
	s_subb_u32 s17, s17, s3
	s_sub_u32 s21, s18, s2
	s_cselect_b64 s[14:15], -1, 0
	s_cmp_lg_u64 s[14:15], 0
	s_subb_u32 s14, s17, 0
	s_cmp_lg_u32 s20, 0
	s_cselect_b32 s15, s21, s18
	s_cselect_b32 s14, s14, s19
	s_cmp_lg_u64 s[12:13], 0
	s_subb_u32 s9, s9, s16
	s_cmp_ge_u32 s9, s3
	s_cselect_b32 s12, -1, 0
	s_cmp_ge_u32 s8, s2
	s_cselect_b32 s2, -1, 0
	s_cmp_eq_u32 s9, s3
	s_cselect_b32 s2, s2, s12
	s_cmp_lg_u32 s2, 0
	s_cselect_b32 s3, s14, s9
	s_cselect_b32 s2, s15, s8
	s_xor_b64 s[2:3], s[2:3], s[6:7]
	s_sub_u32 s74, s2, s6
	s_subb_u32 s75, s3, s6
	s_cbranch_execnz .LBB52_47
.LBB52_46:                              ;   in Loop: Header=BB52_7 Depth=1
	v_cvt_f32_u32_e32 v2, s80
	s_sub_i32 s2, 0, s80
	v_rcp_iflag_f32_e32 v2, v2
	v_mul_f32_e32 v2, 0x4f7ffffe, v2
	v_cvt_u32_f32_e32 v2, v2
	v_readfirstlane_b32 s3, v2
	s_mul_i32 s2, s2, s3
	s_mul_hi_u32 s2, s3, s2
	s_add_i32 s3, s3, s2
	s_mul_hi_u32 s2, s56, s3
	s_mul_i32 s2, s2, s80
	s_sub_i32 s2, s56, s2
	s_sub_i32 s3, s2, s80
	s_cmp_ge_u32 s2, s80
	s_cselect_b32 s2, s3, s2
	s_sub_i32 s3, s2, s80
	s_cmp_ge_u32 s2, s80
	s_cselect_b32 s84, s3, s2
	s_mov_b64 s[74:75], s[84:85]
.LBB52_47:                              ;   in Loop: Header=BB52_7 Depth=1
	s_sub_u32 s86, s56, s74
	s_subb_u32 s87, s57, s75
	v_cmp_gt_i64_e32 vcc, s[86:87], v[14:15]
	v_mov_b32_e32 v2, 0
	v_mov_b32_e32 v4, 0
	;; [unrolled: 1-line block ×8, first 2 shown]
	s_and_saveexec_b64 s[2:3], vcc
	s_cbranch_execz .LBB52_51
; %bb.48:                               ;   in Loop: Header=BB52_7 Depth=1
	s_mul_i32 s6, s91, s59
	s_mul_hi_u32 s7, s90, s59
	v_readlane_b32 s72, v54, 18
	v_mov_b32_e32 v28, v15
	s_mov_b32 s81, s83
	s_add_i32 s84, s7, s6
	s_mov_b64 s[64:65], 0
	v_readlane_b32 s73, v54, 19
	s_mov_b64 s[8:9], 0
	s_mov_b64 s[78:79], 0
	;; [unrolled: 1-line block ×4, first 2 shown]
	v_mov_b32_e32 v27, v14
.LBB52_49:                              ;   Parent Loop BB52_7 Depth=1
                                        ; =>  This Inner Loop Header: Depth=2
	v_add_co_u32_e64 v27, s[6:7], s80, v27
	v_addc_co_u32_e64 v28, s[6:7], 0, v28, s[6:7]
	v_mov_b32_e32 v7, s73
	v_add_co_u32_e32 v2, vcc, s72, v19
	v_add_co_u32_e64 v8, s[6:7], s72, v20
	v_add_co_u32_e64 v4, s[12:13], s72, v17
	;; [unrolled: 1-line block ×3, first 2 shown]
	v_addc_co_u32_e64 v9, s[6:7], v7, v21, s[6:7]
	v_addc_co_u32_e32 v3, vcc, v7, v38, vcc
	v_addc_co_u32_e64 v5, vcc, v7, v37, s[12:13]
	v_addc_co_u32_e64 v7, vcc, v7, v36, s[14:15]
	global_load_dword v8, v[8:9], off
	s_nop 0
	global_load_dword v2, v[2:3], off
	s_nop 0
	;; [unrolled: 2-line block ×3, first 2 shown]
	global_load_dword v4, v[6:7], off
	s_mul_i32 s83, s90, s59
	v_cmp_le_i64_e32 vcc, s[86:87], v[27:28]
	s_waitcnt vmcnt(3)
	v_cmp_lt_i32_e64 s[6:7], -1, v8
	v_cndmask_b32_e64 v5, -1, v44, s[6:7]
	s_waitcnt vmcnt(2)
	v_cmp_lt_i32_e64 s[6:7], -1, v2
	v_cndmask_b32_e64 v6, -1, v44, s[6:7]
	s_waitcnt vmcnt(1)
	v_cmp_lt_i32_e64 s[6:7], -1, v3
	v_cndmask_b32_e64 v7, -1, v44, s[6:7]
	s_waitcnt vmcnt(0)
	v_cmp_lt_i32_e64 s[6:7], -1, v4
	v_cndmask_b32_e64 v9, -1, v44, s[6:7]
	v_xor_b32_e32 v6, v6, v2
	v_cmp_o_f32_e64 s[6:7], v2, v2
	v_xor_b32_e32 v2, v7, v3
	v_cmp_o_f32_e64 s[12:13], v3, v3
	;; [unrolled: 2-line block ×4, first 2 shown]
	v_cndmask_b32_e64 v4, -1, v4, s[16:17]
	v_cndmask_b32_e64 v5, -1, v6, s[6:7]
	v_and_b32_e32 v6, v4, v45
	v_bfe_u32 v4, v4, s82, 2
	v_cndmask_b32_e64 v2, -1, v2, s[12:13]
	v_and_b32_e32 v7, v5, v45
	v_bfe_u32 v5, v5, s82, 2
	v_cmp_eq_u32_e64 s[6:7], v6, v42
	v_cmp_eq_u32_e64 s[18:19], 0, v4
	v_cndmask_b32_e64 v3, -1, v3, s[14:15]
	v_and_b32_e32 v8, v2, v45
	v_bfe_u32 v2, v2, s82, 2
	v_cmp_eq_u32_e64 s[14:15], v7, v42
	v_cmp_eq_u32_e64 s[20:21], 0, v5
	s_and_b64 s[18:19], s[6:7], s[18:19]
	v_and_b32_e32 v9, v3, v45
	v_bfe_u32 v3, v3, s82, 2
	v_cmp_eq_u32_e64 s[16:17], v8, v42
	v_cmp_eq_u32_e64 s[22:23], 0, v2
	;; [unrolled: 1-line block ×5, first 2 shown]
	v_cndmask_b32_e64 v2, 0, 1, s[18:19]
	s_and_b64 s[18:19], s[14:15], s[20:21]
	v_cmp_eq_u32_e64 s[12:13], v9, v42
	v_cmp_eq_u32_e64 s[24:25], 0, v3
	;; [unrolled: 1-line block ×5, first 2 shown]
	v_cndmask_b32_e64 v3, 0, 1, s[18:19]
	s_and_b64 s[18:19], s[16:17], s[22:23]
	v_cmp_eq_u32_e64 s[26:27], 1, v4
	v_cmp_eq_u32_e64 s[38:39], 2, v4
	;; [unrolled: 1-line block ×3, first 2 shown]
	v_cndmask_b32_e64 v4, 0, 1, s[18:19]
	s_and_b64 s[18:19], s[12:13], s[24:25]
	v_cmp_eq_u32_e64 s[30:31], 1, v5
	v_cmp_eq_u32_e64 s[40:41], 2, v5
	;; [unrolled: 1-line block ×3, first 2 shown]
	v_cndmask_b32_e64 v5, 0, 1, s[18:19]
	v_cmp_ne_u32_e64 s[18:19], 0, v2
	v_cmp_ne_u32_e64 s[20:21], 0, v3
	v_cmp_ne_u32_e64 s[22:23], 0, v4
	v_cmp_ne_u32_e64 s[24:25], 0, v5
	s_bcnt1_i32_b64 s18, s[18:19]
	s_bcnt1_i32_b64 s19, s[20:21]
	s_bcnt1_i32_b64 s20, s[22:23]
	s_bcnt1_i32_b64 s21, s[24:25]
	s_add_u32 s18, s18, s76
	s_addc_u32 s22, 0, s77
	s_add_u32 s18, s18, s19
	s_addc_u32 s19, s22, 0
	s_add_u32 s18, s18, s20
	s_addc_u32 s19, s19, 0
	s_add_u32 s76, s18, s21
	s_addc_u32 s77, s19, 0
	s_and_b64 s[18:19], s[6:7], s[26:27]
	v_cndmask_b32_e64 v4, 0, 1, s[18:19]
	s_and_b64 s[18:19], s[14:15], s[30:31]
	v_cndmask_b32_e64 v5, 0, 1, s[18:19]
	s_and_b64 s[18:19], s[16:17], s[34:35]
	v_cndmask_b32_e64 v6, 0, 1, s[18:19]
	s_and_b64 s[18:19], s[12:13], s[36:37]
	v_cndmask_b32_e64 v7, 0, 1, s[18:19]
	v_cmp_ne_u32_e64 s[18:19], 0, v4
	v_cmp_ne_u32_e64 s[20:21], 0, v5
	v_cmp_ne_u32_e64 s[22:23], 0, v6
	v_cmp_ne_u32_e64 s[24:25], 0, v7
	s_bcnt1_i32_b64 s18, s[18:19]
	s_bcnt1_i32_b64 s19, s[20:21]
	s_bcnt1_i32_b64 s20, s[22:23]
	s_bcnt1_i32_b64 s21, s[24:25]
	s_add_u32 s18, s18, s28
	s_addc_u32 s22, 0, s29
	s_add_u32 s18, s18, s19
	s_addc_u32 s19, s22, 0
	s_add_u32 s18, s18, s20
	s_addc_u32 s19, s19, 0
	s_add_u32 s28, s18, s21
	s_addc_u32 s29, s19, 0
	s_and_b64 s[18:19], s[6:7], s[38:39]
	v_cndmask_b32_e64 v6, 0, 1, s[18:19]
	s_and_b64 s[18:19], s[14:15], s[40:41]
	v_cndmask_b32_e64 v7, 0, 1, s[18:19]
	s_and_b64 s[18:19], s[16:17], s[42:43]
	v_cndmask_b32_e64 v8, 0, 1, s[18:19]
	s_and_b64 s[18:19], s[12:13], s[44:45]
	;; [unrolled: 24-line block ×3, first 2 shown]
	v_cndmask_b32_e64 v23, 0, 1, s[6:7]
	v_cmp_ne_u32_e64 s[6:7], 0, v8
	v_cmp_ne_u32_e64 s[12:13], 0, v9
	;; [unrolled: 1-line block ×4, first 2 shown]
	s_bcnt1_i32_b64 s6, s[6:7]
	s_bcnt1_i32_b64 s7, s[12:13]
	;; [unrolled: 1-line block ×4, first 2 shown]
	s_add_u32 s6, s6, s8
	s_addc_u32 s8, 0, s9
	s_add_u32 s6, s6, s7
	s_addc_u32 s7, s8, 0
	s_add_u32 s6, s6, s12
	s_addc_u32 s7, s7, 0
	s_add_u32 s8, s6, s13
	s_addc_u32 s9, s7, 0
	s_add_u32 s72, s72, s83
	v_mov_b32_e32 v2, s76
	v_mov_b32_e32 v4, s28
	;; [unrolled: 1-line block ×3, first 2 shown]
	s_addc_u32 s73, s73, s84
	v_mov_b32_e32 v8, s8
	v_mov_b32_e32 v3, s77
	;; [unrolled: 1-line block ×4, first 2 shown]
	s_or_b64 s[64:65], vcc, s[64:65]
	v_mov_b32_e32 v9, s9
	s_andn2_b64 exec, exec, s[64:65]
	s_cbranch_execnz .LBB52_49
; %bb.50:                               ;   in Loop: Header=BB52_7 Depth=1
	s_or_b64 exec, exec, s[64:65]
	v_readlane_b32 s76, v54, 33
	v_readlane_b32 s78, v54, 35
	v_readlane_b32 s77, v54, 34
	s_mov_b32 s83, s81
	v_readlane_b32 s79, v54, 36
.LBB52_51:                              ;   in Loop: Header=BB52_7 Depth=1
	s_or_b64 exec, exec, s[2:3]
	v_mov_b32_e32 v12, s87
	v_add_co_u32_e32 v27, vcc, s86, v0
	v_addc_co_u32_e32 v28, vcc, 0, v12, vcc
	v_cmp_gt_i64_e32 vcc, s[56:57], v[27:28]
	s_and_saveexec_b64 s[2:3], vcc
	s_mov_b32 s80, s88
	s_cbranch_execz .LBB52_57
; %bb.52:                               ;   in Loop: Header=BB52_7 Depth=1
	v_mul_lo_u32 v12, v28, s62
	v_mul_lo_u32 v23, v27, s63
	v_mad_u64_u32 v[29:30], s[6:7], v27, s62, 0
	v_readlane_b32 s6, v54, 18
	v_readlane_b32 s7, v54, 19
	v_add3_u32 v30, v30, v23, v12
	v_lshlrev_b64 v[29:30], 2, v[29:30]
	v_mov_b32_e32 v12, s7
	v_add_co_u32_e32 v29, vcc, s6, v29
	v_addc_co_u32_e32 v30, vcc, v12, v30, vcc
	global_load_dword v12, v[29:30], off
	v_add_co_u32_e32 v23, vcc, s59, v39
	v_addc_co_u32_e32 v29, vcc, 0, v40, vcc
	v_mov_b32_e32 v30, s75
	v_subrev_co_u32_e32 v23, vcc, s74, v23
	v_subb_co_u32_e32 v29, vcc, v29, v30, vcc
	v_readlane_b32 s8, v54, 31
	v_mul_lo_u32 v46, s8, v29
	v_mov_b32_e32 v30, s7
	v_readlane_b32 s9, v54, 32
	v_mov_b32_e32 v29, s6
	v_mul_lo_u32 v47, s9, v23
	v_mad_u64_u32 v[29:30], s[6:7], s8, v23, v[29:30]
	s_mul_i32 s6, s9, s59
	s_mul_hi_u32 s7, s8, s59
	v_add3_u32 v30, v47, v30, v46
	s_add_i32 s14, s7, s6
	s_mul_i32 s15, s8, s59
	s_mov_b64 s[8:9], 0
	s_branch .LBB52_54
.LBB52_53:                              ;   in Loop: Header=BB52_54 Depth=2
	s_or_b64 exec, exec, s[12:13]
	s_and_b64 s[6:7], exec, vcc
	s_waitcnt vmcnt(0)
	v_cmp_lt_i32_e32 vcc, -1, v12
	v_cndmask_b32_e32 v46, -1, v44, vcc
	v_xor_b32_e32 v46, v46, v12
	v_cmp_o_f32_e32 vcc, v12, v12
	v_cndmask_b32_e32 v12, -1, v46, vcc
	v_and_b32_e32 v46, v12, v45
	v_bfe_u32 v12, v12, s82, 2
	s_or_b64 s[8:9], s[6:7], s[8:9]
	v_cmp_eq_u32_e32 vcc, v46, v42
	v_cmp_eq_u32_e64 s[6:7], 0, v12
	s_and_b64 s[6:7], vcc, s[6:7]
	v_cndmask_b32_e64 v46, 0, 1, s[6:7]
	v_cmp_ne_u32_e64 s[6:7], 0, v46
	s_bcnt1_i32_b64 s6, s[6:7]
	v_add_co_u32_e64 v2, s[6:7], s6, v2
	v_addc_co_u32_e64 v3, s[6:7], 0, v3, s[6:7]
	v_cmp_eq_u32_e64 s[6:7], 1, v12
	s_and_b64 s[6:7], vcc, s[6:7]
	v_cndmask_b32_e64 v46, 0, 1, s[6:7]
	v_cmp_ne_u32_e64 s[6:7], 0, v46
	s_bcnt1_i32_b64 s6, s[6:7]
	v_add_co_u32_e64 v4, s[6:7], s6, v4
	v_addc_co_u32_e64 v5, s[6:7], 0, v5, s[6:7]
	;; [unrolled: 7-line block ×3, first 2 shown]
	v_cmp_eq_u32_e64 s[6:7], 3, v12
	s_and_b64 s[6:7], vcc, s[6:7]
	v_cndmask_b32_e64 v12, 0, 1, s[6:7]
	v_cmp_ne_u32_e32 vcc, 0, v12
	s_bcnt1_i32_b64 s6, vcc
	v_add_co_u32_e32 v8, vcc, s6, v8
	v_addc_co_u32_e32 v9, vcc, 0, v9, vcc
	v_mov_b32_e32 v12, s14
	v_add_co_u32_e32 v29, vcc, s15, v29
	v_addc_co_u32_e32 v30, vcc, v30, v12, vcc
	v_mov_b32_e32 v12, v23
	s_andn2_b64 exec, exec, s[8:9]
	s_cbranch_execz .LBB52_56
.LBB52_54:                              ;   Parent Loop BB52_7 Depth=1
                                        ; =>  This Inner Loop Header: Depth=2
	v_add_co_u32_e32 v27, vcc, s59, v27
	v_addc_co_u32_e32 v28, vcc, 0, v28, vcc
	v_cmp_gt_i64_e64 s[6:7], s[56:57], v[27:28]
	v_cmp_le_i64_e32 vcc, s[56:57], v[27:28]
	v_mov_b32_e32 v23, 0
	s_and_saveexec_b64 s[12:13], s[6:7]
	s_cbranch_execz .LBB52_53
; %bb.55:                               ;   in Loop: Header=BB52_54 Depth=2
	global_load_dword v23, v[29:30], off
	s_branch .LBB52_53
.LBB52_56:                              ;   in Loop: Header=BB52_7 Depth=1
	s_or_b64 exec, exec, s[8:9]
.LBB52_57:                              ;   in Loop: Header=BB52_7 Depth=1
	s_or_b64 exec, exec, s[2:3]
	s_branch .LBB52_36
.LBB52_58:                              ;   in Loop: Header=BB52_7 Depth=1
	global_load_ushort v12, v13, s[78:79]
	v_mov_b32_e32 v6, 0
	v_mov_b32_e32 v7, 0
	s_waitcnt vmcnt(0)
	v_readfirstlane_b32 s2, v12
	s_and_b32 s6, 0xffff, s2
	s_lshl_b32 s59, s6, 2
	v_cvt_f32_u32_e32 v2, s59
	s_sub_i32 s2, 0, s59
	v_rcp_iflag_f32_e32 v4, v2
	v_mov_b32_e32 v2, 0
	v_mov_b32_e32 v3, 0
	v_mul_f32_e32 v4, 0x4f7ffffe, v4
	v_cvt_u32_f32_e32 v8, v4
	v_mov_b32_e32 v4, 0
	v_mov_b32_e32 v5, 0
	v_readfirstlane_b32 s3, v8
	s_mul_i32 s2, s2, s3
	s_mul_hi_u32 s2, s3, s2
	s_add_i32 s3, s3, s2
	s_mul_hi_u32 s2, s58, s3
	s_mul_i32 s3, s2, s59
	s_sub_i32 s3, s58, s3
	s_add_i32 s7, s2, 1
	s_sub_i32 s8, s3, s59
	s_cmp_ge_u32 s3, s59
	s_cselect_b32 s2, s7, s2
	s_cselect_b32 s3, s8, s3
	s_add_i32 s7, s2, 1
	s_cmp_ge_u32 s3, s59
	s_cselect_b32 s2, s7, s2
	s_mul_hi_u32 s3, s6, s2
	s_mul_i32 s2, s6, s2
	s_lshl_b64 s[8:9], s[2:3], 2
	v_cmp_gt_u64_e32 vcc, s[8:9], v[14:15]
	v_mov_b32_e32 v8, 0
	v_mov_b32_e32 v9, 0
	s_and_saveexec_b64 s[28:29], vcc
	s_cbranch_execz .LBB52_62
; %bb.59:                               ;   in Loop: Header=BB52_7 Depth=1
	v_mov_b32_e32 v28, v15
	s_lshl_b32 s3, s6, 4
	s_mov_b64 s[64:65], 0
	v_mov_b32_e32 v23, v35
	s_mov_b64 s[72:73], 0
	s_mov_b64 s[74:75], 0
	;; [unrolled: 1-line block ×4, first 2 shown]
	v_mov_b32_e32 v27, v14
.LBB52_60:                              ;   Parent Loop BB52_7 Depth=1
                                        ; =>  This Inner Loop Header: Depth=2
	ds_read_b128 v[2:5], v23
	v_add_co_u32_e32 v27, vcc, s59, v27
	v_addc_co_u32_e32 v28, vcc, 0, v28, vcc
	s_waitcnt lgkmcnt(0)
	v_cmp_lt_i32_e64 s[6:7], -1, v2
	v_cndmask_b32_e64 v6, -1, v44, s[6:7]
	v_cmp_lt_i32_e64 s[6:7], -1, v3
	v_cndmask_b32_e64 v7, -1, v44, s[6:7]
	;; [unrolled: 2-line block ×4, first 2 shown]
	v_xor_b32_e32 v7, v7, v3
	v_cmp_o_f32_e64 s[6:7], v3, v3
	v_xor_b32_e32 v3, v8, v4
	v_cmp_o_f32_e64 s[12:13], v4, v4
	;; [unrolled: 2-line block ×4, first 2 shown]
	v_cndmask_b32_e64 v2, -1, v5, s[16:17]
	v_cndmask_b32_e64 v5, -1, v7, s[6:7]
	v_and_b32_e32 v6, v2, v45
	v_bfe_u32 v2, v2, s82, 2
	v_cndmask_b32_e64 v3, -1, v3, s[12:13]
	v_and_b32_e32 v7, v5, v45
	v_bfe_u32 v5, v5, s82, 2
	v_cmp_eq_u32_e64 s[18:19], v6, v42
	v_cmp_eq_u32_e64 s[6:7], 0, v2
	v_cndmask_b32_e64 v4, -1, v4, s[14:15]
	v_and_b32_e32 v8, v3, v45
	v_bfe_u32 v3, v3, s82, 2
	v_cmp_eq_u32_e64 s[16:17], v7, v42
	v_cmp_eq_u32_e64 s[30:31], 0, v5
	s_and_b64 s[6:7], s[18:19], s[6:7]
	v_and_b32_e32 v9, v4, v45
	v_bfe_u32 v4, v4, s82, 2
	v_cmp_eq_u32_e64 s[14:15], v8, v42
	v_cmp_eq_u32_e64 s[34:35], 0, v3
	;; [unrolled: 1-line block ×5, first 2 shown]
	v_cndmask_b32_e64 v2, 0, 1, s[6:7]
	s_and_b64 s[6:7], s[16:17], s[30:31]
	v_cmp_eq_u32_e64 s[12:13], v9, v42
	v_cmp_eq_u32_e64 s[36:37], 0, v4
	;; [unrolled: 1-line block ×5, first 2 shown]
	v_cndmask_b32_e64 v3, 0, 1, s[6:7]
	s_and_b64 s[6:7], s[14:15], s[34:35]
	v_cmp_eq_u32_e64 s[44:45], 1, v4
	v_cmp_eq_u32_e64 s[52:53], 2, v4
	;; [unrolled: 1-line block ×3, first 2 shown]
	v_cndmask_b32_e64 v4, 0, 1, s[6:7]
	s_and_b64 s[6:7], s[12:13], s[36:37]
	v_cmp_eq_u32_e64 s[40:41], 1, v5
	v_cmp_eq_u32_e64 s[48:49], 2, v5
	;; [unrolled: 1-line block ×3, first 2 shown]
	v_cndmask_b32_e64 v5, 0, 1, s[6:7]
	v_cmp_ne_u32_e64 s[6:7], 0, v2
	v_cmp_ne_u32_e64 s[30:31], 0, v3
	v_cmp_ne_u32_e64 s[34:35], 0, v4
	v_cmp_ne_u32_e64 s[36:37], 0, v5
	s_bcnt1_i32_b64 s6, s[6:7]
	s_bcnt1_i32_b64 s7, s[30:31]
	s_bcnt1_i32_b64 s30, s[34:35]
	s_bcnt1_i32_b64 s31, s[36:37]
	s_add_u32 s6, s6, s78
	s_addc_u32 s34, 0, s79
	s_add_u32 s6, s6, s7
	s_addc_u32 s7, s34, 0
	s_add_u32 s6, s6, s30
	s_addc_u32 s7, s7, 0
	s_add_u32 s78, s6, s31
	s_addc_u32 s79, s7, 0
	s_and_b64 s[6:7], s[18:19], s[38:39]
	v_cndmask_b32_e64 v4, 0, 1, s[6:7]
	s_and_b64 s[6:7], s[16:17], s[40:41]
	v_cndmask_b32_e64 v5, 0, 1, s[6:7]
	s_and_b64 s[6:7], s[14:15], s[42:43]
	v_cndmask_b32_e64 v6, 0, 1, s[6:7]
	s_and_b64 s[6:7], s[12:13], s[44:45]
	v_cndmask_b32_e64 v7, 0, 1, s[6:7]
	v_cmp_ne_u32_e64 s[6:7], 0, v4
	v_cmp_ne_u32_e64 s[30:31], 0, v5
	v_cmp_ne_u32_e64 s[34:35], 0, v6
	v_cmp_ne_u32_e64 s[36:37], 0, v7
	s_bcnt1_i32_b64 s6, s[6:7]
	s_bcnt1_i32_b64 s7, s[30:31]
	s_bcnt1_i32_b64 s30, s[34:35]
	s_bcnt1_i32_b64 s31, s[36:37]
	s_add_u32 s6, s6, s76
	s_addc_u32 s34, 0, s77
	s_add_u32 s6, s6, s7
	s_addc_u32 s7, s34, 0
	s_add_u32 s6, s6, s30
	s_addc_u32 s7, s7, 0
	s_add_u32 s76, s6, s31
	s_addc_u32 s77, s7, 0
	s_and_b64 s[6:7], s[18:19], s[46:47]
	v_cndmask_b32_e64 v6, 0, 1, s[6:7]
	s_and_b64 s[6:7], s[16:17], s[48:49]
	v_cndmask_b32_e64 v7, 0, 1, s[6:7]
	s_and_b64 s[6:7], s[14:15], s[50:51]
	v_cndmask_b32_e64 v8, 0, 1, s[6:7]
	s_and_b64 s[6:7], s[12:13], s[52:53]
	;; [unrolled: 24-line block ×3, first 2 shown]
	v_cndmask_b32_e64 v30, 0, 1, s[6:7]
	v_cmp_ne_u32_e64 s[6:7], 0, v8
	v_cmp_ne_u32_e64 s[12:13], 0, v9
	;; [unrolled: 1-line block ×4, first 2 shown]
	s_bcnt1_i32_b64 s6, s[6:7]
	s_bcnt1_i32_b64 s7, s[12:13]
	;; [unrolled: 1-line block ×4, first 2 shown]
	s_add_u32 s6, s6, s72
	s_addc_u32 s14, 0, s73
	s_add_u32 s6, s6, s7
	s_addc_u32 s7, s14, 0
	;; [unrolled: 2-line block ×3, first 2 shown]
	v_cmp_le_u64_e32 vcc, s[8:9], v[27:28]
	s_add_u32 s72, s6, s13
	v_mov_b32_e32 v2, s78
	v_mov_b32_e32 v4, s76
	;; [unrolled: 1-line block ×3, first 2 shown]
	s_addc_u32 s73, s7, 0
	v_mov_b32_e32 v8, s72
	v_add_u32_e32 v23, s3, v23
	v_mov_b32_e32 v3, s79
	v_mov_b32_e32 v5, s77
	;; [unrolled: 1-line block ×3, first 2 shown]
	s_or_b64 s[64:65], vcc, s[64:65]
	v_mov_b32_e32 v9, s73
	s_andn2_b64 exec, exec, s[64:65]
	s_cbranch_execnz .LBB52_60
; %bb.61:                               ;   in Loop: Header=BB52_7 Depth=1
	s_or_b64 exec, exec, s[64:65]
	v_readlane_b32 s76, v54, 33
	v_readlane_b32 s78, v54, 35
	;; [unrolled: 1-line block ×4, first 2 shown]
.LBB52_62:                              ;   in Loop: Header=BB52_7 Depth=1
	s_or_b64 exec, exec, s[28:29]
	v_mov_b32_e32 v23, s9
	v_add_co_u32_e32 v27, vcc, s8, v0
	s_and_b32 s84, s58, 0x7fffffff
	v_addc_co_u32_e32 v28, vcc, 0, v23, vcc
	v_cmp_gt_u64_e32 vcc, s[84:85], v[27:28]
	s_and_saveexec_b64 s[8:9], vcc
	s_cbranch_execz .LBB52_66
; %bb.63:                               ;   in Loop: Header=BB52_7 Depth=1
	v_lshl_add_u32 v23, s2, 4, v14
	s_mov_b64 s[2:3], 0
.LBB52_64:                              ;   Parent Loop BB52_7 Depth=1
                                        ; =>  This Inner Loop Header: Depth=2
	ds_read_b32 v29, v23
	v_add_co_u32_sdwa v27, vcc, v27, v12 dst_sel:DWORD dst_unused:UNUSED_PAD src0_sel:DWORD src1_sel:WORD_0
	v_addc_co_u32_e32 v28, vcc, 0, v28, vcc
	s_waitcnt lgkmcnt(0)
	v_cmp_lt_i32_e64 s[6:7], -1, v29
	v_cndmask_b32_e64 v30, -1, v44, s[6:7]
	v_xor_b32_e32 v30, v30, v29
	v_cmp_o_f32_e64 s[6:7], v29, v29
	v_cndmask_b32_e64 v29, -1, v30, s[6:7]
	v_and_b32_e32 v30, v29, v45
	v_bfe_u32 v29, v29, s82, 2
	v_cmp_eq_u32_e64 s[6:7], v30, v42
	v_cmp_eq_u32_e64 s[12:13], 0, v29
	;; [unrolled: 1-line block ×3, first 2 shown]
	s_and_b64 s[12:13], s[6:7], s[12:13]
	v_cmp_eq_u32_e64 s[16:17], 2, v29
	v_cmp_eq_u32_e64 s[18:19], 3, v29
	v_cndmask_b32_e64 v29, 0, 1, s[12:13]
	s_and_b64 s[12:13], s[6:7], s[14:15]
	v_cndmask_b32_e64 v30, 0, 1, s[12:13]
	s_and_b64 s[12:13], s[6:7], s[16:17]
	s_and_b64 s[6:7], s[6:7], s[18:19]
	v_cndmask_b32_e64 v47, 0, 1, s[6:7]
	v_cmp_ne_u32_e64 s[6:7], 0, v29
	s_bcnt1_i32_b64 s6, s[6:7]
	v_cndmask_b32_e64 v46, 0, 1, s[12:13]
	v_cmp_ne_u32_e64 s[12:13], 0, v30
	v_add_co_u32_e64 v2, s[6:7], s6, v2
	s_bcnt1_i32_b64 s12, s[12:13]
	v_addc_co_u32_e64 v3, s[6:7], 0, v3, s[6:7]
	v_cmp_le_u64_e32 vcc, s[84:85], v[27:28]
	v_cmp_ne_u32_e64 s[14:15], 0, v46
	v_cmp_ne_u32_e64 s[16:17], 0, v47
	v_add_co_u32_e64 v4, s[6:7], s12, v4
	s_bcnt1_i32_b64 s13, s[14:15]
	s_bcnt1_i32_b64 s14, s[16:17]
	v_addc_co_u32_e64 v5, s[6:7], 0, v5, s[6:7]
	v_add_co_u32_e64 v6, s[6:7], s13, v6
	s_or_b64 s[2:3], vcc, s[2:3]
	v_add_co_u32_e32 v8, vcc, s14, v8
	v_add_u32_e32 v23, s59, v23
	v_addc_co_u32_e64 v7, s[6:7], 0, v7, s[6:7]
	v_addc_co_u32_e32 v9, vcc, 0, v9, vcc
	s_andn2_b64 exec, exec, s[2:3]
	s_cbranch_execnz .LBB52_64
; %bb.65:                               ;   in Loop: Header=BB52_7 Depth=1
	s_or_b64 exec, exec, s[2:3]
.LBB52_66:                              ;   in Loop: Header=BB52_7 Depth=1
	s_or_b64 exec, exec, s[8:9]
	s_lshl_b32 s6, s80, 6
	s_and_saveexec_b64 s[2:3], s[4:5]
	s_cbranch_execnz .LBB52_37
	s_branch .LBB52_38
.LBB52_67:                              ;   in Loop: Header=BB52_7 Depth=1
                                        ; implicit-def: $sgpr74_sgpr75
	s_branch .LBB52_46
.LBB52_68:                              ;   in Loop: Header=BB52_7 Depth=1
	s_or_b64 exec, exec, s[8:9]
	s_waitcnt lgkmcnt(0)
	s_barrier
	s_mov_b64 s[6:7], exec
	v_readlane_b32 s8, v54, 8
	v_readlane_b32 s9, v54, 9
	s_and_b64 s[8:9], s[6:7], s[8:9]
	s_mov_b64 exec, s[8:9]
	s_cbranch_execz .LBB52_70
; %bb.69:                               ;   in Loop: Header=BB52_7 Depth=1
	ds_read_b32 v2, v13 offset:5136
	s_waitcnt lgkmcnt(0)
	v_ashrrev_i32_e32 v3, 31, v2
	ds_write_b64 v13, v[2:3] offset:5120
.LBB52_70:                              ;   in Loop: Header=BB52_7 Depth=1
	s_or_b64 exec, exec, s[6:7]
	s_waitcnt lgkmcnt(0)
	s_barrier
	s_mov_b64 s[6:7], -1
	s_and_b64 vcc, exec, s[2:3]
	s_cbranch_vccnz .LBB52_23
	s_branch .LBB52_32
.LBB52_71:                              ;   in Loop: Header=BB52_7 Depth=1
	v_mov_b32_e32 v2, 0
	v_mov_b32_e32 v3, 0
	s_mov_b32 s7, 0
.LBB52_72:                              ;   in Loop: Header=BB52_7 Depth=1
	v_readlane_b32 s8, v54, 29
	v_readlane_b32 s9, v54, 30
	s_andn2_b64 vcc, exec, s[8:9]
	s_cbranch_vccnz .LBB52_75
; %bb.73:                               ;   in Loop: Header=BB52_7 Depth=1
	s_lshl_b32 s8, s80, 9
	s_lshl_b32 s7, s7, 5
	s_add_i32 s8, s8, s7
	v_add_u32_e32 v4, s8, v41
	v_readlane_b32 s7, v54, 28
.LBB52_74:                              ;   Parent Loop BB52_7 Depth=1
                                        ; =>  This Inner Loop Header: Depth=2
	ds_read_b64 v[5:6], v4
	s_add_i32 s7, s7, -1
	v_add_u32_e32 v4, 32, v4
	s_cmp_lg_u32 s7, 0
	s_waitcnt lgkmcnt(0)
	v_add_co_u32_e32 v2, vcc, v5, v2
	v_addc_co_u32_e32 v3, vcc, v6, v3, vcc
	s_cbranch_scc1 .LBB52_74
.LBB52_75:                              ;   in Loop: Header=BB52_7 Depth=1
	v_add_lshl_u32 v4, s6, v31, 3
	ds_write_b64 v4, v[2:3] offset:3072
.LBB52_76:                              ;   in Loop: Header=BB52_7 Depth=1
	s_or_b64 exec, exec, s[2:3]
	s_lshl_b32 s2, s6, 3
	v_mov_b32_e32 v2, s2
	s_waitcnt lgkmcnt(0)
	s_barrier
	ds_read_b128 v[6:9], v2 offset:3088
	ds_read_b128 v[2:5], v2 offset:3072
	v_cmp_eq_u64_e64 s[6:7], 1, v[25:26]
	s_lshl_b32 s64, 3, s82
	s_not_b32 s50, s64
	s_waitcnt lgkmcnt(1)
	v_readfirstlane_b32 s20, v6
	s_waitcnt lgkmcnt(0)
	v_cmp_eq_u64_e32 vcc, 1, v[2:3]
	v_readfirstlane_b32 s21, v7
	v_readfirstlane_b32 s12, v8
	;; [unrolled: 1-line block ×3, first 2 shown]
	s_and_b64 s[16:17], vcc, s[6:7]
	s_mov_b64 s[6:7], -1
	s_mov_b64 s[18:19], -1
                                        ; implicit-def: $sgpr8_sgpr9
                                        ; implicit-def: $sgpr2_sgpr3
	s_and_saveexec_b64 s[14:15], s[16:17]
	s_cbranch_execz .LBB52_110
; %bb.77:                               ;   in Loop: Header=BB52_7 Depth=1
	ds_read_b64 v[6:7], v13 offset:5120
	s_waitcnt lgkmcnt(0)
	s_barrier
	v_readfirstlane_b32 s18, v6
	v_readfirstlane_b32 s19, v7
	s_mov_b64 s[2:3], exec
	v_readlane_b32 s8, v54, 12
	v_readlane_b32 s9, v54, 13
	s_and_b64 s[8:9], s[2:3], s[8:9]
	s_mov_b64 exec, s[8:9]
; %bb.78:                               ;   in Loop: Header=BB52_7 Depth=1
	ds_write_b32 v43, v13
; %bb.79:                               ;   in Loop: Header=BB52_7 Depth=1
	s_or_b64 exec, exec, s[2:3]
	v_cmp_lt_i64_e64 s[22:23], s[18:19], 1
	v_and_b32_e32 v42, s50, v42
	v_or_b32_e32 v45, s64, v45
	s_mov_b64 s[2:3], -1
	s_mov_b64 s[8:9], 0
	s_and_b64 vcc, exec, s[22:23]
	s_mov_b64 s[22:23], 0
	s_mov_b64 s[24:25], -1
	s_waitcnt lgkmcnt(0)
	s_barrier
                                        ; implicit-def: $vgpr24
	s_cbranch_vccz .LBB52_94
; %bb.80:                               ;   in Loop: Header=BB52_7 Depth=1
	s_mov_b32 s88, s85
	s_cmp_lg_u64 s[88:89], 0
	s_cbranch_scc0 .LBB52_137
; %bb.81:                               ;   in Loop: Header=BB52_7 Depth=1
	s_add_u32 s22, s33, 0
	s_addc_u32 s23, 0, 0
	s_xor_b64 s[22:23], s[22:23], 0
	v_cvt_f32_u32_e32 v6, s22
	v_cvt_f32_u32_e32 v7, s23
	s_sub_u32 s26, 0, s22
	s_subb_u32 s27, 0, s23
	v_mac_f32_e32 v6, 0x4f800000, v7
	v_rcp_f32_e32 v6, v6
	v_mul_f32_e32 v6, 0x5f7ffffc, v6
	v_mul_f32_e32 v7, 0x2f800000, v6
	v_trunc_f32_e32 v7, v7
	v_mac_f32_e32 v6, 0xcf800000, v7
	v_cvt_u32_f32_e32 v7, v7
	v_cvt_u32_f32_e32 v6, v6
	v_readfirstlane_b32 s28, v7
	v_readfirstlane_b32 s24, v6
	s_mul_i32 s25, s26, s28
	s_mul_hi_u32 s30, s26, s24
	s_mul_i32 s29, s27, s24
	s_add_i32 s25, s30, s25
	s_mul_i32 s31, s26, s24
	s_add_i32 s25, s25, s29
	s_mul_i32 s30, s24, s25
	s_mul_hi_u32 s34, s24, s31
	s_mul_hi_u32 s29, s24, s25
	s_add_u32 s30, s34, s30
	s_addc_u32 s29, 0, s29
	s_mul_hi_u32 s35, s28, s31
	s_mul_i32 s31, s28, s31
	s_add_u32 s30, s30, s31
	s_mul_hi_u32 s34, s28, s25
	s_addc_u32 s29, s29, s35
	s_addc_u32 s30, s34, 0
	s_mul_i32 s25, s28, s25
	s_add_u32 s25, s29, s25
	s_addc_u32 s29, 0, s30
	s_add_u32 s30, s24, s25
	s_cselect_b64 s[24:25], -1, 0
	s_cmp_lg_u64 s[24:25], 0
	s_addc_u32 s28, s28, s29
	s_mul_i32 s24, s26, s28
	s_mul_hi_u32 s25, s26, s30
	s_add_i32 s24, s25, s24
	s_mul_i32 s27, s27, s30
	s_add_i32 s24, s24, s27
	s_mul_i32 s26, s26, s30
	s_mul_hi_u32 s27, s28, s26
	s_mul_i32 s29, s28, s26
	s_mul_i32 s34, s30, s24
	s_mul_hi_u32 s26, s30, s26
	s_mul_hi_u32 s31, s30, s24
	s_add_u32 s26, s26, s34
	s_addc_u32 s31, 0, s31
	s_add_u32 s26, s26, s29
	s_mul_hi_u32 s25, s28, s24
	s_addc_u32 s26, s31, s27
	s_addc_u32 s25, s25, 0
	s_mul_i32 s24, s28, s24
	s_add_u32 s24, s26, s24
	s_addc_u32 s26, 0, s25
	s_add_u32 s29, s30, s24
	s_cselect_b64 s[24:25], -1, 0
	s_cmp_lg_u64 s[24:25], 0
	s_addc_u32 s28, s28, s26
	s_ashr_i32 s24, s89, 31
	s_add_u32 s26, s83, s24
	s_mov_b32 s25, s24
	s_addc_u32 s27, s89, s24
	s_xor_b64 s[26:27], s[26:27], s[24:25]
	s_mul_i32 s31, s26, s28
	s_mul_hi_u32 s34, s26, s29
	s_mul_hi_u32 s30, s26, s28
	s_add_u32 s31, s34, s31
	s_addc_u32 s30, 0, s30
	s_mul_hi_u32 s35, s27, s29
	s_mul_i32 s29, s27, s29
	s_add_u32 s29, s31, s29
	s_mul_hi_u32 s34, s27, s28
	s_addc_u32 s29, s30, s35
	s_addc_u32 s30, s34, 0
	s_mul_i32 s28, s27, s28
	s_add_u32 s28, s29, s28
	s_addc_u32 s29, 0, s30
	s_mul_i32 s29, s22, s29
	s_mul_hi_u32 s30, s22, s28
	s_add_i32 s29, s30, s29
	s_mul_i32 s30, s23, s28
	s_add_i32 s34, s29, s30
	s_sub_i32 s30, s27, s34
	s_mul_i32 s28, s22, s28
	s_sub_u32 s26, s26, s28
	s_cselect_b64 s[28:29], -1, 0
	s_cmp_lg_u64 s[28:29], 0
	s_subb_u32 s35, s30, s23
	s_sub_u32 s36, s26, s22
	s_cselect_b64 s[30:31], -1, 0
	s_cmp_lg_u64 s[30:31], 0
	s_subb_u32 s37, s35, 0
	s_cmp_ge_u32 s37, s23
	s_cselect_b32 s38, -1, 0
	s_cmp_ge_u32 s36, s22
	s_cselect_b32 s39, -1, 0
	s_cmp_eq_u32 s37, s23
	s_cselect_b32 s38, s39, s38
	s_cmp_lg_u64 s[30:31], 0
	s_subb_u32 s35, s35, s23
	s_sub_u32 s39, s36, s22
	s_cselect_b64 s[30:31], -1, 0
	s_cmp_lg_u64 s[30:31], 0
	s_subb_u32 s30, s35, 0
	s_cmp_lg_u32 s38, 0
	s_cselect_b32 s31, s39, s36
	s_cselect_b32 s30, s30, s37
	s_cmp_lg_u64 s[28:29], 0
	s_subb_u32 s27, s27, s34
	s_cmp_ge_u32 s27, s23
	s_cselect_b32 s28, -1, 0
	s_cmp_ge_u32 s26, s22
	s_cselect_b32 s22, -1, 0
	s_cmp_eq_u32 s27, s23
	s_cselect_b32 s22, s22, s28
	s_cmp_lg_u32 s22, 0
	s_cselect_b32 s23, s30, s27
	s_cselect_b32 s22, s31, s26
	s_xor_b64 s[22:23], s[22:23], s[24:25]
	s_sub_u32 s22, s22, s24
	s_subb_u32 s23, s23, s24
	s_cbranch_execnz .LBB52_83
.LBB52_82:                              ;   in Loop: Header=BB52_7 Depth=1
	v_cvt_f32_u32_e32 v6, s33
	s_sub_i32 s22, 0, s33
	v_rcp_iflag_f32_e32 v6, v6
	v_mul_f32_e32 v6, 0x4f7ffffe, v6
	v_cvt_u32_f32_e32 v6, v6
	v_readfirstlane_b32 s23, v6
	s_mul_i32 s22, s22, s23
	s_mul_hi_u32 s22, s23, s22
	s_add_i32 s23, s23, s22
	s_mul_hi_u32 s22, s83, s23
	s_mul_i32 s22, s22, s33
	s_sub_i32 s22, s83, s22
	s_sub_i32 s23, s22, s33
	s_cmp_ge_u32 s22, s33
	s_cselect_b32 s22, s23, s22
	s_sub_i32 s23, s22, s33
	s_cmp_ge_u32 s22, s33
	s_cselect_b32 s84, s23, s22
	s_mov_b64 s[22:23], s[84:85]
.LBB52_83:                              ;   in Loop: Header=BB52_7 Depth=1
	s_sub_u32 s28, s83, s22
	s_subb_u32 s29, s89, s23
	v_cmp_gt_i64_e32 vcc, s[28:29], v[0:1]
	s_mov_b64 s[24:25], 0
	s_mov_b64 s[22:23], 0
                                        ; implicit-def: $vgpr24
	s_and_saveexec_b64 s[26:27], vcc
	s_cbranch_execz .LBB52_93
; %bb.84:                               ;   in Loop: Header=BB52_7 Depth=1
	v_mov_b32_e32 v6, v10
	v_mov_b32_e32 v9, v1
	;; [unrolled: 1-line block ×4, first 2 shown]
                                        ; implicit-def: $sgpr30_sgpr31
	s_branch .LBB52_88
.LBB52_85:                              ;   in Loop: Header=BB52_88 Depth=2
	s_or_b64 exec, exec, s[34:35]
	s_waitcnt lgkmcnt(0)
	s_barrier
	ds_read_b64 v[23:24], v13 offset:3072
	s_waitcnt lgkmcnt(0)
	s_barrier
	v_cmp_neq_f32_e32 vcc, 0, v23
	s_cbranch_vccnz .LBB52_91
; %bb.86:                               ;   in Loop: Header=BB52_88 Depth=2
	v_add_co_u32_e32 v8, vcc, s33, v8
	v_addc_co_u32_e32 v9, vcc, 0, v9, vcc
	v_mov_b32_e32 v12, s71
	v_add_co_u32_e32 v6, vcc, s70, v6
	v_addc_co_u32_e32 v7, vcc, v7, v12, vcc
	v_cmp_le_i64_e32 vcc, s[28:29], v[8:9]
	s_mov_b64 s[34:35], 0
	s_orn2_b64 s[36:37], vcc, exec
.LBB52_87:                              ;   in Loop: Header=BB52_88 Depth=2
	s_and_b64 s[36:37], exec, s[36:37]
	s_or_b64 s[22:23], s[36:37], s[22:23]
	s_andn2_b64 s[30:31], s[30:31], exec
	s_and_b64 s[34:35], s[34:35], exec
	s_or_b64 s[30:31], s[30:31], s[34:35]
	s_andn2_b64 exec, exec, s[22:23]
	s_cbranch_execz .LBB52_92
.LBB52_88:                              ;   Parent Loop BB52_7 Depth=1
                                        ; =>  This Inner Loop Header: Depth=2
	v_cmp_gt_i64_e32 vcc, s[56:57], v[8:9]
	s_and_saveexec_b64 s[34:35], vcc
	s_cbranch_execz .LBB52_85
; %bb.89:                               ;   in Loop: Header=BB52_88 Depth=2
	global_load_dword v23, v[6:7], off
	s_waitcnt vmcnt(0)
	v_cmp_lt_i32_e32 vcc, -1, v23
	v_cndmask_b32_e32 v12, -1, v44, vcc
	v_xor_b32_e32 v12, v12, v23
	v_cmp_o_f32_e32 vcc, v23, v23
	v_cndmask_b32_e32 v12, -1, v12, vcc
	v_and_b32_e32 v12, v12, v45
	v_cmp_eq_u32_e32 vcc, v12, v42
	s_and_b64 exec, exec, vcc
	s_cbranch_execz .LBB52_85
; %bb.90:                               ;   in Loop: Header=BB52_88 Depth=2
	ds_write_b64 v13, v[22:23] offset:3072
	s_branch .LBB52_85
.LBB52_91:                              ;   in Loop: Header=BB52_88 Depth=2
	s_mov_b64 s[36:37], -1
                                        ; implicit-def: $vgpr8_vgpr9
                                        ; implicit-def: $vgpr6_vgpr7
	s_mov_b64 s[34:35], -1
	s_branch .LBB52_87
.LBB52_92:                              ;   in Loop: Header=BB52_7 Depth=1
	s_or_b64 exec, exec, s[22:23]
	s_and_b64 s[22:23], s[30:31], exec
.LBB52_93:                              ;   in Loop: Header=BB52_7 Depth=1
	s_or_b64 exec, exec, s[26:27]
.LBB52_94:                              ;   in Loop: Header=BB52_7 Depth=1
	s_and_b64 vcc, exec, s[24:25]
	s_cbranch_vccz .LBB52_109
; %bb.95:                               ;   in Loop: Header=BB52_7 Depth=1
	v_readlane_b32 s2, v54, 24
	s_add_u32 s26, s18, s2
	v_readlane_b32 s2, v54, 25
	s_addc_u32 s3, s19, s2
	s_mov_b32 s2, s85
	s_cmp_lg_u64 s[2:3], 0
	s_cbranch_scc0 .LBB52_138
; %bb.96:                               ;   in Loop: Header=BB52_7 Depth=1
	s_add_u32 s8, s33, 0
	s_addc_u32 s9, 0, 0
	s_xor_b64 s[8:9], s[8:9], 0
	v_cvt_f32_u32_e32 v6, s8
	v_cvt_f32_u32_e32 v7, s9
	s_sub_u32 s2, 0, s8
	s_subb_u32 s27, 0, s9
	v_mac_f32_e32 v6, 0x4f800000, v7
	v_rcp_f32_e32 v6, v6
	v_mul_f32_e32 v6, 0x5f7ffffc, v6
	v_mul_f32_e32 v7, 0x2f800000, v6
	v_trunc_f32_e32 v7, v7
	v_mac_f32_e32 v6, 0xcf800000, v7
	v_cvt_u32_f32_e32 v7, v7
	v_cvt_u32_f32_e32 v6, v6
	v_readfirstlane_b32 s28, v7
	v_readfirstlane_b32 s24, v6
	s_mul_i32 s25, s2, s28
	s_mul_hi_u32 s30, s2, s24
	s_mul_i32 s29, s27, s24
	s_add_i32 s25, s30, s25
	s_mul_i32 s31, s2, s24
	s_add_i32 s25, s25, s29
	s_mul_i32 s30, s24, s25
	s_mul_hi_u32 s34, s24, s31
	s_mul_hi_u32 s29, s24, s25
	s_add_u32 s30, s34, s30
	s_addc_u32 s29, 0, s29
	s_mul_hi_u32 s35, s28, s31
	s_mul_i32 s31, s28, s31
	s_add_u32 s30, s30, s31
	s_mul_hi_u32 s34, s28, s25
	s_addc_u32 s29, s29, s35
	s_addc_u32 s30, s34, 0
	s_mul_i32 s25, s28, s25
	s_add_u32 s25, s29, s25
	s_addc_u32 s29, 0, s30
	s_add_u32 s30, s24, s25
	s_cselect_b64 s[24:25], -1, 0
	s_cmp_lg_u64 s[24:25], 0
	s_addc_u32 s28, s28, s29
	s_mul_i32 s24, s2, s28
	s_mul_hi_u32 s25, s2, s30
	s_add_i32 s24, s25, s24
	s_mul_i32 s27, s27, s30
	s_add_i32 s24, s24, s27
	s_mul_i32 s2, s2, s30
	s_mul_hi_u32 s27, s28, s2
	s_mul_i32 s29, s28, s2
	s_mul_i32 s34, s30, s24
	s_mul_hi_u32 s2, s30, s2
	s_mul_hi_u32 s31, s30, s24
	s_add_u32 s2, s2, s34
	s_addc_u32 s31, 0, s31
	s_add_u32 s2, s2, s29
	s_mul_hi_u32 s25, s28, s24
	s_addc_u32 s2, s31, s27
	s_addc_u32 s25, s25, 0
	s_mul_i32 s24, s28, s24
	s_add_u32 s2, s2, s24
	s_addc_u32 s27, 0, s25
	s_add_u32 s2, s30, s2
	s_cselect_b64 s[24:25], -1, 0
	s_cmp_lg_u64 s[24:25], 0
	s_addc_u32 s27, s28, s27
	s_ashr_i32 s24, s3, 31
	s_add_u32 s28, s26, s24
	s_mov_b32 s25, s24
	s_addc_u32 s29, s3, s24
	s_xor_b64 s[28:29], s[28:29], s[24:25]
	s_mul_i32 s31, s28, s27
	s_mul_hi_u32 s34, s28, s2
	s_mul_hi_u32 s30, s28, s27
	s_add_u32 s31, s34, s31
	s_addc_u32 s30, 0, s30
	s_mul_hi_u32 s35, s29, s2
	s_mul_i32 s2, s29, s2
	s_add_u32 s2, s31, s2
	s_mul_hi_u32 s34, s29, s27
	s_addc_u32 s2, s30, s35
	s_addc_u32 s30, s34, 0
	s_mul_i32 s27, s29, s27
	s_add_u32 s2, s2, s27
	s_addc_u32 s27, 0, s30
	s_mul_i32 s27, s8, s27
	s_mul_hi_u32 s30, s8, s2
	s_add_i32 s27, s30, s27
	s_mul_i32 s30, s9, s2
	s_add_i32 s27, s27, s30
	s_sub_i32 s34, s29, s27
	s_mul_i32 s2, s8, s2
	s_sub_u32 s2, s28, s2
	s_cselect_b64 s[30:31], -1, 0
	s_cmp_lg_u64 s[30:31], 0
	s_subb_u32 s28, s34, s9
	s_sub_u32 s36, s2, s8
	s_cselect_b64 s[34:35], -1, 0
	s_cmp_lg_u64 s[34:35], 0
	s_subb_u32 s37, s28, 0
	s_cmp_ge_u32 s37, s9
	s_cselect_b32 s38, -1, 0
	s_cmp_ge_u32 s36, s8
	s_cselect_b32 s39, -1, 0
	s_cmp_eq_u32 s37, s9
	s_cselect_b32 s38, s39, s38
	s_cmp_lg_u64 s[34:35], 0
	s_subb_u32 s28, s28, s9
	s_sub_u32 s39, s36, s8
	s_cselect_b64 s[34:35], -1, 0
	s_cmp_lg_u64 s[34:35], 0
	s_subb_u32 s28, s28, 0
	s_cmp_lg_u32 s38, 0
	s_cselect_b32 s34, s39, s36
	s_cselect_b32 s28, s28, s37
	s_cmp_lg_u64 s[30:31], 0
	s_subb_u32 s27, s29, s27
	s_cmp_ge_u32 s27, s9
	s_cselect_b32 s29, -1, 0
	s_cmp_ge_u32 s2, s8
	s_cselect_b32 s8, -1, 0
	s_cmp_eq_u32 s27, s9
	s_cselect_b32 s8, s8, s29
	s_cmp_lg_u32 s8, 0
	s_cselect_b32 s9, s28, s27
	s_cselect_b32 s8, s34, s2
	s_xor_b64 s[8:9], s[8:9], s[24:25]
	s_sub_u32 s8, s8, s24
	s_subb_u32 s9, s9, s24
	s_cbranch_execnz .LBB52_98
.LBB52_97:                              ;   in Loop: Header=BB52_7 Depth=1
	v_cvt_f32_u32_e32 v6, s33
	s_sub_i32 s2, 0, s33
	v_rcp_iflag_f32_e32 v6, v6
	v_mul_f32_e32 v6, 0x4f7ffffe, v6
	v_cvt_u32_f32_e32 v6, v6
	v_readfirstlane_b32 s8, v6
	s_mul_i32 s2, s2, s8
	s_mul_hi_u32 s2, s8, s2
	s_add_i32 s8, s8, s2
	s_mul_hi_u32 s2, s26, s8
	s_mul_i32 s2, s2, s33
	s_sub_i32 s2, s26, s2
	s_sub_i32 s8, s2, s33
	s_cmp_ge_u32 s2, s33
	s_cselect_b32 s2, s8, s2
	s_sub_i32 s8, s2, s33
	s_cmp_ge_u32 s2, s33
	s_cselect_b32 s84, s8, s2
	s_mov_b64 s[8:9], s[84:85]
.LBB52_98:                              ;   in Loop: Header=BB52_7 Depth=1
	s_sub_u32 s8, s26, s8
	s_subb_u32 s9, s3, s9
	v_cmp_gt_i64_e32 vcc, s[8:9], v[0:1]
                                        ; implicit-def: $vgpr24
	s_and_saveexec_b64 s[2:3], vcc
	s_cbranch_execz .LBB52_108
; %bb.99:                               ;   in Loop: Header=BB52_7 Depth=1
	v_mov_b32_e32 v7, v1
	s_mov_b64 s[24:25], 0
	v_mov_b32_e32 v8, v14
	v_mov_b32_e32 v6, v0
                                        ; implicit-def: $sgpr26_sgpr27
	s_branch .LBB52_103
.LBB52_100:                             ;   in Loop: Header=BB52_103 Depth=2
	s_or_b64 exec, exec, s[28:29]
	s_waitcnt lgkmcnt(0)
	s_barrier
	ds_read_b64 v[23:24], v13 offset:3072
	s_waitcnt lgkmcnt(0)
	s_barrier
	v_cmp_neq_f32_e32 vcc, 0, v23
	s_cbranch_vccnz .LBB52_106
; %bb.101:                              ;   in Loop: Header=BB52_103 Depth=2
	v_add_co_u32_e32 v6, vcc, s33, v6
	v_addc_co_u32_e32 v7, vcc, 0, v7, vcc
	v_cmp_le_i64_e32 vcc, s[8:9], v[6:7]
	v_add_u32_e32 v8, s1, v8
	s_mov_b64 s[28:29], 0
	s_orn2_b64 s[30:31], vcc, exec
.LBB52_102:                             ;   in Loop: Header=BB52_103 Depth=2
	s_and_b64 s[30:31], exec, s[30:31]
	s_or_b64 s[24:25], s[30:31], s[24:25]
	s_andn2_b64 s[26:27], s[26:27], exec
	s_and_b64 s[28:29], s[28:29], exec
	s_or_b64 s[26:27], s[26:27], s[28:29]
	s_andn2_b64 exec, exec, s[24:25]
	s_cbranch_execz .LBB52_107
.LBB52_103:                             ;   Parent Loop BB52_7 Depth=1
                                        ; =>  This Inner Loop Header: Depth=2
	v_cmp_gt_u64_e32 vcc, s[18:19], v[6:7]
	s_and_saveexec_b64 s[28:29], vcc
	s_cbranch_execz .LBB52_100
; %bb.104:                              ;   in Loop: Header=BB52_103 Depth=2
	ds_read_b32 v23, v8
	s_waitcnt lgkmcnt(0)
	v_cmp_lt_i32_e32 vcc, -1, v23
	v_cndmask_b32_e32 v9, -1, v44, vcc
	v_xor_b32_e32 v9, v9, v23
	v_cmp_o_f32_e32 vcc, v23, v23
	v_cndmask_b32_e32 v9, -1, v9, vcc
	v_and_b32_e32 v9, v9, v45
	v_cmp_eq_u32_e32 vcc, v9, v42
	s_and_b64 exec, exec, vcc
	s_cbranch_execz .LBB52_100
; %bb.105:                              ;   in Loop: Header=BB52_103 Depth=2
	ds_write_b64 v13, v[22:23] offset:3072
	s_branch .LBB52_100
.LBB52_106:                             ;   in Loop: Header=BB52_103 Depth=2
	s_mov_b64 s[30:31], -1
                                        ; implicit-def: $vgpr6_vgpr7
                                        ; implicit-def: $vgpr8
	s_mov_b64 s[28:29], -1
	s_branch .LBB52_102
.LBB52_107:                             ;   in Loop: Header=BB52_7 Depth=1
	s_or_b64 exec, exec, s[24:25]
	s_andn2_b64 s[8:9], s[22:23], exec
	s_and_b64 s[18:19], s[26:27], exec
	s_or_b64 s[22:23], s[8:9], s[18:19]
.LBB52_108:                             ;   in Loop: Header=BB52_7 Depth=1
	s_or_b64 exec, exec, s[2:3]
	s_mov_b64 s[2:3], 0
	s_mov_b64 s[8:9], -1
.LBB52_109:                             ;   in Loop: Header=BB52_7 Depth=1
	s_orn2_b64 s[18:19], s[22:23], exec
.LBB52_110:                             ;   in Loop: Header=BB52_7 Depth=1
	s_or_b64 exec, exec, s[14:15]
	s_andn2_b64 s[10:11], s[10:11], exec
	s_and_b64 s[8:9], s[8:9], exec
	s_or_b64 s[10:11], s[10:11], s[8:9]
	s_andn2_b64 s[8:9], s[68:69], exec
	s_and_b64 s[2:3], s[2:3], exec
	s_andn2_b64 s[66:67], s[66:67], exec
	s_or_b64 s[68:69], s[8:9], s[2:3]
                                        ; implicit-def: $vgpr6_vgpr7
	s_and_saveexec_b64 s[14:15], s[18:19]
	s_cbranch_execz .LBB52_6
; %bb.111:                              ;   in Loop: Header=BB52_7 Depth=1
	v_mov_b32_e32 v6, 1
	s_xor_b64 s[6:7], s[16:17], -1
	v_mov_b32_e32 v12, 1
	v_mov_b32_e32 v7, 0
	s_mov_b64 s[8:9], 0
	s_and_saveexec_b64 s[2:3], s[6:7]
	s_cbranch_execz .LBB52_120
; %bb.112:                              ;   in Loop: Header=BB52_7 Depth=1
	v_cmp_le_i64_e32 vcc, v[25:26], v[2:3]
	s_and_saveexec_b64 s[6:7], vcc
	s_xor_b64 s[6:7], exec, s[6:7]
	s_cbranch_execz .LBB52_117
; %bb.113:                              ;   in Loop: Header=BB52_7 Depth=1
	ds_read_b64 v[6:7], v13 offset:5120
	v_and_b32_e32 v42, s50, v42
	v_or_b32_e32 v45, s64, v45
	s_waitcnt lgkmcnt(0)
	v_cmp_ne_u64_e32 vcc, 0, v[6:7]
	s_cbranch_vccnz .LBB52_117
; %bb.114:                              ;   in Loop: Header=BB52_7 Depth=1
	s_mov_b64 s[8:9], exec
	v_readlane_b32 s16, v54, 8
	v_readlane_b32 s17, v54, 9
	s_and_b64 s[16:17], s[8:9], s[16:17]
	s_mov_b64 exec, s[16:17]
; %bb.115:                              ;   in Loop: Header=BB52_7 Depth=1
	ds_write_b64 v13, v[2:3] offset:5128
; %bb.116:                              ;   in Loop: Header=BB52_7 Depth=1
	s_or_b64 exec, exec, s[8:9]
	s_waitcnt lgkmcnt(0)
	s_barrier
.LBB52_117:                             ;   in Loop: Header=BB52_7 Depth=1
	s_or_saveexec_b64 s[6:7], s[6:7]
	s_mov_b64 s[8:9], 0
	v_mov_b32_e32 v12, 8
	s_xor_b64 exec, exec, s[6:7]
; %bb.118:                              ;   in Loop: Header=BB52_7 Depth=1
	v_sub_co_u32_e32 v25, vcc, v25, v2
	s_mov_b64 s[8:9], exec
	v_subb_co_u32_e32 v26, vcc, v26, v3, vcc
	v_mov_b32_e32 v12, 0
; %bb.119:                              ;   in Loop: Header=BB52_7 Depth=1
	s_or_b64 exec, exec, s[6:7]
	v_mov_b32_e32 v6, v25
	s_and_b64 s[8:9], s[8:9], exec
	v_mov_b32_e32 v7, v26
.LBB52_120:                             ;   in Loop: Header=BB52_7 Depth=1
	s_or_b64 exec, exec, s[2:3]
	s_mov_b64 s[16:17], -1
	s_mov_b64 s[2:3], -1
                                        ; implicit-def: $sgpr6_sgpr7
                                        ; implicit-def: $sgpr22_sgpr23
	s_and_saveexec_b64 s[18:19], s[8:9]
	s_xor_b64 s[18:19], exec, s[18:19]
	s_cbranch_execz .LBB52_268
; %bb.121:                              ;   in Loop: Header=BB52_7 Depth=1
	v_cmp_eq_u64_e32 vcc, 1, v[4:5]
	v_cmp_eq_u64_e64 s[6:7], 1, v[6:7]
                                        ; implicit-def: $sgpr22_sgpr23
	s_and_b64 s[26:27], vcc, s[6:7]
                                        ; implicit-def: $sgpr6_sgpr7
	s_and_saveexec_b64 s[24:25], s[26:27]
	s_cbranch_execz .LBB52_157
; %bb.122:                              ;   in Loop: Header=BB52_7 Depth=1
	ds_read_b64 v[2:3], v13 offset:5120
	s_waitcnt lgkmcnt(0)
	s_barrier
	v_readfirstlane_b32 s30, v2
	v_readfirstlane_b32 s31, v3
	s_mov_b64 s[2:3], exec
	v_readlane_b32 s6, v54, 12
	v_readlane_b32 s7, v54, 13
	s_and_b64 s[6:7], s[2:3], s[6:7]
	s_mov_b64 exec, s[6:7]
; %bb.123:                              ;   in Loop: Header=BB52_7 Depth=1
	ds_write_b32 v43, v13
; %bb.124:                              ;   in Loop: Header=BB52_7 Depth=1
	s_or_b64 exec, exec, s[2:3]
	v_cmp_gt_i64_e64 s[2:3], s[30:31], 0
	v_and_b32_e32 v2, s50, v42
	v_lshl_or_b32 v42, 1, s82, v2
	v_or_b32_e32 v45, s64, v45
	s_mov_b64 s[6:7], -1
	s_mov_b64 s[22:23], 0
	s_and_b64 vcc, exec, s[2:3]
	s_mov_b64 s[2:3], 0
	s_mov_b64 s[8:9], -1
	s_waitcnt lgkmcnt(0)
	s_barrier
                                        ; implicit-def: $vgpr24
	s_cbranch_vccnz .LBB52_141
; %bb.125:                              ;   in Loop: Header=BB52_7 Depth=1
	s_mov_b32 s88, s85
	s_cmp_lg_u64 s[88:89], 0
	s_cbranch_scc0 .LBB52_185
; %bb.126:                              ;   in Loop: Header=BB52_7 Depth=1
	s_add_u32 s2, s33, 0
	s_addc_u32 s3, 0, 0
	s_xor_b64 s[2:3], s[2:3], 0
	v_cvt_f32_u32_e32 v2, s2
	v_cvt_f32_u32_e32 v3, s3
	s_sub_u32 s28, 0, s2
	s_subb_u32 s29, 0, s3
	v_mac_f32_e32 v2, 0x4f800000, v3
	v_rcp_f32_e32 v2, v2
	v_mul_f32_e32 v2, 0x5f7ffffc, v2
	v_mul_f32_e32 v3, 0x2f800000, v2
	v_trunc_f32_e32 v3, v3
	v_mac_f32_e32 v2, 0xcf800000, v3
	v_cvt_u32_f32_e32 v3, v3
	v_cvt_u32_f32_e32 v2, v2
	v_readfirstlane_b32 s34, v3
	v_readfirstlane_b32 s8, v2
	s_mul_i32 s9, s28, s34
	s_mul_hi_u32 s36, s28, s8
	s_mul_i32 s35, s29, s8
	s_add_i32 s9, s36, s9
	s_mul_i32 s37, s28, s8
	s_add_i32 s9, s9, s35
	s_mul_i32 s36, s8, s9
	s_mul_hi_u32 s38, s8, s37
	s_mul_hi_u32 s35, s8, s9
	s_add_u32 s36, s38, s36
	s_addc_u32 s35, 0, s35
	s_mul_hi_u32 s39, s34, s37
	s_mul_i32 s37, s34, s37
	s_add_u32 s36, s36, s37
	s_mul_hi_u32 s38, s34, s9
	s_addc_u32 s35, s35, s39
	s_addc_u32 s36, s38, 0
	s_mul_i32 s9, s34, s9
	s_add_u32 s9, s35, s9
	s_addc_u32 s35, 0, s36
	s_add_u32 s36, s8, s9
	s_cselect_b64 s[8:9], -1, 0
	s_cmp_lg_u64 s[8:9], 0
	s_addc_u32 s34, s34, s35
	s_mul_i32 s8, s28, s34
	s_mul_hi_u32 s9, s28, s36
	s_add_i32 s8, s9, s8
	s_mul_i32 s29, s29, s36
	s_add_i32 s8, s8, s29
	s_mul_i32 s28, s28, s36
	s_mul_hi_u32 s29, s34, s28
	s_mul_i32 s35, s34, s28
	s_mul_i32 s38, s36, s8
	s_mul_hi_u32 s28, s36, s28
	s_mul_hi_u32 s37, s36, s8
	s_add_u32 s28, s28, s38
	s_addc_u32 s37, 0, s37
	s_add_u32 s28, s28, s35
	s_mul_hi_u32 s9, s34, s8
	s_addc_u32 s28, s37, s29
	s_addc_u32 s9, s9, 0
	s_mul_i32 s8, s34, s8
	s_add_u32 s8, s28, s8
	s_addc_u32 s28, 0, s9
	s_add_u32 s35, s36, s8
	s_cselect_b64 s[8:9], -1, 0
	s_cmp_lg_u64 s[8:9], 0
	s_addc_u32 s34, s34, s28
	s_ashr_i32 s8, s89, 31
	s_add_u32 s28, s83, s8
	s_mov_b32 s9, s8
	s_addc_u32 s29, s89, s8
	s_xor_b64 s[28:29], s[28:29], s[8:9]
	s_mul_i32 s37, s28, s34
	s_mul_hi_u32 s38, s28, s35
	s_mul_hi_u32 s36, s28, s34
	s_add_u32 s37, s38, s37
	s_addc_u32 s36, 0, s36
	s_mul_hi_u32 s39, s29, s35
	s_mul_i32 s35, s29, s35
	s_add_u32 s35, s37, s35
	s_mul_hi_u32 s38, s29, s34
	s_addc_u32 s35, s36, s39
	s_addc_u32 s36, s38, 0
	s_mul_i32 s34, s29, s34
	s_add_u32 s34, s35, s34
	s_addc_u32 s35, 0, s36
	s_mul_i32 s35, s2, s35
	s_mul_hi_u32 s36, s2, s34
	s_add_i32 s35, s36, s35
	s_mul_i32 s36, s3, s34
	s_add_i32 s38, s35, s36
	s_sub_i32 s36, s29, s38
	s_mul_i32 s34, s2, s34
	s_sub_u32 s28, s28, s34
	s_cselect_b64 s[34:35], -1, 0
	s_cmp_lg_u64 s[34:35], 0
	s_subb_u32 s39, s36, s3
	s_sub_u32 s40, s28, s2
	s_cselect_b64 s[36:37], -1, 0
	s_cmp_lg_u64 s[36:37], 0
	s_subb_u32 s41, s39, 0
	s_cmp_ge_u32 s41, s3
	s_cselect_b32 s42, -1, 0
	s_cmp_ge_u32 s40, s2
	s_cselect_b32 s43, -1, 0
	s_cmp_eq_u32 s41, s3
	s_cselect_b32 s42, s43, s42
	s_cmp_lg_u64 s[36:37], 0
	s_subb_u32 s39, s39, s3
	s_sub_u32 s43, s40, s2
	s_cselect_b64 s[36:37], -1, 0
	s_cmp_lg_u64 s[36:37], 0
	s_subb_u32 s36, s39, 0
	s_cmp_lg_u32 s42, 0
	s_cselect_b32 s37, s43, s40
	s_cselect_b32 s36, s36, s41
	s_cmp_lg_u64 s[34:35], 0
	s_subb_u32 s29, s29, s38
	s_cmp_ge_u32 s29, s3
	s_cselect_b32 s34, -1, 0
	s_cmp_ge_u32 s28, s2
	s_cselect_b32 s2, -1, 0
	s_cmp_eq_u32 s29, s3
	s_cselect_b32 s2, s2, s34
	s_cmp_lg_u32 s2, 0
	s_cselect_b32 s3, s36, s29
	s_cselect_b32 s2, s37, s28
	s_xor_b64 s[2:3], s[2:3], s[8:9]
	s_sub_u32 s2, s2, s8
	s_subb_u32 s3, s3, s8
	s_cbranch_execnz .LBB52_128
.LBB52_127:                             ;   in Loop: Header=BB52_7 Depth=1
	v_cvt_f32_u32_e32 v2, s33
	s_sub_i32 s2, 0, s33
	v_rcp_iflag_f32_e32 v2, v2
	v_mul_f32_e32 v2, 0x4f7ffffe, v2
	v_cvt_u32_f32_e32 v2, v2
	v_readfirstlane_b32 s3, v2
	s_mul_i32 s2, s2, s3
	s_mul_hi_u32 s2, s3, s2
	s_add_i32 s3, s3, s2
	s_mul_hi_u32 s2, s83, s3
	s_mul_i32 s2, s2, s33
	s_sub_i32 s2, s83, s2
	s_sub_i32 s3, s2, s33
	s_cmp_ge_u32 s2, s33
	s_cselect_b32 s2, s3, s2
	s_sub_i32 s3, s2, s33
	s_cmp_ge_u32 s2, s33
	s_cselect_b32 s84, s3, s2
	s_mov_b64 s[2:3], s[84:85]
.LBB52_128:                             ;   in Loop: Header=BB52_7 Depth=1
	s_sub_u32 s34, s83, s2
	s_subb_u32 s35, s89, s3
	v_cmp_gt_i64_e32 vcc, s[34:35], v[0:1]
	s_mov_b64 s[8:9], 0
	s_mov_b64 s[2:3], 0
                                        ; implicit-def: $vgpr24
	s_and_saveexec_b64 s[28:29], vcc
	s_cbranch_execz .LBB52_140
; %bb.129:                              ;   in Loop: Header=BB52_7 Depth=1
	v_mov_b32_e32 v2, v10
	v_mov_b32_e32 v9, v1
	;; [unrolled: 1-line block ×4, first 2 shown]
                                        ; implicit-def: $sgpr36_sgpr37
	s_branch .LBB52_133
.LBB52_130:                             ;   in Loop: Header=BB52_133 Depth=2
	s_or_b64 exec, exec, s[38:39]
	s_waitcnt lgkmcnt(0)
	s_barrier
	ds_read_b64 v[23:24], v13 offset:3072
	s_waitcnt lgkmcnt(0)
	s_barrier
	v_cmp_neq_f32_e32 vcc, 0, v23
	s_cbranch_vccnz .LBB52_136
; %bb.131:                              ;   in Loop: Header=BB52_133 Depth=2
	v_add_co_u32_e32 v8, vcc, s33, v8
	v_addc_co_u32_e32 v9, vcc, 0, v9, vcc
	v_mov_b32_e32 v23, s71
	v_add_co_u32_e32 v2, vcc, s70, v2
	v_addc_co_u32_e32 v3, vcc, v3, v23, vcc
	v_cmp_le_i64_e32 vcc, s[34:35], v[8:9]
	s_mov_b64 s[38:39], 0
	s_orn2_b64 s[40:41], vcc, exec
.LBB52_132:                             ;   in Loop: Header=BB52_133 Depth=2
	s_and_b64 s[40:41], exec, s[40:41]
	s_or_b64 s[2:3], s[40:41], s[2:3]
	s_andn2_b64 s[36:37], s[36:37], exec
	s_and_b64 s[38:39], s[38:39], exec
	s_or_b64 s[36:37], s[36:37], s[38:39]
	s_andn2_b64 exec, exec, s[2:3]
	s_cbranch_execz .LBB52_139
.LBB52_133:                             ;   Parent Loop BB52_7 Depth=1
                                        ; =>  This Inner Loop Header: Depth=2
	v_cmp_gt_i64_e32 vcc, s[56:57], v[8:9]
	s_and_saveexec_b64 s[38:39], vcc
	s_cbranch_execz .LBB52_130
; %bb.134:                              ;   in Loop: Header=BB52_133 Depth=2
	global_load_dword v23, v[2:3], off
	s_waitcnt vmcnt(0)
	v_cmp_lt_i32_e32 vcc, -1, v23
	v_cndmask_b32_e32 v24, -1, v44, vcc
	v_xor_b32_e32 v24, v24, v23
	v_cmp_o_f32_e32 vcc, v23, v23
	v_cndmask_b32_e32 v24, -1, v24, vcc
	v_and_b32_e32 v24, v24, v45
	v_cmp_eq_u32_e32 vcc, v24, v42
	s_and_b64 exec, exec, vcc
	s_cbranch_execz .LBB52_130
; %bb.135:                              ;   in Loop: Header=BB52_133 Depth=2
	ds_write_b64 v13, v[22:23] offset:3072
	s_branch .LBB52_130
.LBB52_136:                             ;   in Loop: Header=BB52_133 Depth=2
	s_mov_b64 s[40:41], -1
                                        ; implicit-def: $vgpr8_vgpr9
                                        ; implicit-def: $vgpr2_vgpr3
	s_mov_b64 s[38:39], -1
	s_branch .LBB52_132
.LBB52_137:                             ;   in Loop: Header=BB52_7 Depth=1
                                        ; implicit-def: $sgpr22_sgpr23
	s_andn2_b64 vcc, exec, s[24:25]
	s_cbranch_vccz .LBB52_82
	s_branch .LBB52_83
.LBB52_138:                             ;   in Loop: Header=BB52_7 Depth=1
                                        ; implicit-def: $sgpr8_sgpr9
	s_branch .LBB52_97
.LBB52_139:                             ;   in Loop: Header=BB52_7 Depth=1
	s_or_b64 exec, exec, s[2:3]
	s_and_b64 s[2:3], s[36:37], exec
.LBB52_140:                             ;   in Loop: Header=BB52_7 Depth=1
	s_or_b64 exec, exec, s[28:29]
.LBB52_141:                             ;   in Loop: Header=BB52_7 Depth=1
	s_and_b64 vcc, exec, s[8:9]
	s_cbranch_vccz .LBB52_156
; %bb.142:                              ;   in Loop: Header=BB52_7 Depth=1
	v_readlane_b32 s6, v54, 24
	s_add_u32 s28, s30, s6
	v_readlane_b32 s6, v54, 25
	s_addc_u32 s7, s31, s6
	s_mov_b32 s6, s85
	s_cmp_lg_u64 s[6:7], 0
	s_cbranch_scc0 .LBB52_186
; %bb.143:                              ;   in Loop: Header=BB52_7 Depth=1
	s_add_u32 s8, s33, 0
	s_addc_u32 s9, 0, 0
	s_xor_b64 s[8:9], s[8:9], 0
	v_cvt_f32_u32_e32 v2, s8
	v_cvt_f32_u32_e32 v3, s9
	s_sub_u32 s6, 0, s8
	s_subb_u32 s29, 0, s9
	v_mac_f32_e32 v2, 0x4f800000, v3
	v_rcp_f32_e32 v2, v2
	v_mul_f32_e32 v2, 0x5f7ffffc, v2
	v_mul_f32_e32 v3, 0x2f800000, v2
	v_trunc_f32_e32 v3, v3
	v_mac_f32_e32 v2, 0xcf800000, v3
	v_cvt_u32_f32_e32 v3, v3
	v_cvt_u32_f32_e32 v2, v2
	v_readfirstlane_b32 s34, v3
	v_readfirstlane_b32 s22, v2
	s_mul_i32 s23, s6, s34
	s_mul_hi_u32 s36, s6, s22
	s_mul_i32 s35, s29, s22
	s_add_i32 s23, s36, s23
	s_mul_i32 s37, s6, s22
	s_add_i32 s23, s23, s35
	s_mul_i32 s36, s22, s23
	s_mul_hi_u32 s38, s22, s37
	s_mul_hi_u32 s35, s22, s23
	s_add_u32 s36, s38, s36
	s_addc_u32 s35, 0, s35
	s_mul_hi_u32 s39, s34, s37
	s_mul_i32 s37, s34, s37
	s_add_u32 s36, s36, s37
	s_mul_hi_u32 s38, s34, s23
	s_addc_u32 s35, s35, s39
	s_addc_u32 s36, s38, 0
	s_mul_i32 s23, s34, s23
	s_add_u32 s23, s35, s23
	s_addc_u32 s35, 0, s36
	s_add_u32 s36, s22, s23
	s_cselect_b64 s[22:23], -1, 0
	s_cmp_lg_u64 s[22:23], 0
	s_addc_u32 s34, s34, s35
	s_mul_i32 s22, s6, s34
	s_mul_hi_u32 s23, s6, s36
	s_add_i32 s22, s23, s22
	s_mul_i32 s29, s29, s36
	s_add_i32 s22, s22, s29
	s_mul_i32 s6, s6, s36
	s_mul_hi_u32 s29, s34, s6
	s_mul_i32 s35, s34, s6
	s_mul_i32 s38, s36, s22
	s_mul_hi_u32 s6, s36, s6
	s_mul_hi_u32 s37, s36, s22
	s_add_u32 s6, s6, s38
	s_addc_u32 s37, 0, s37
	s_add_u32 s6, s6, s35
	s_mul_hi_u32 s23, s34, s22
	s_addc_u32 s6, s37, s29
	s_addc_u32 s23, s23, 0
	s_mul_i32 s22, s34, s22
	s_add_u32 s6, s6, s22
	s_addc_u32 s29, 0, s23
	s_add_u32 s6, s36, s6
	s_cselect_b64 s[22:23], -1, 0
	s_cmp_lg_u64 s[22:23], 0
	s_addc_u32 s29, s34, s29
	s_ashr_i32 s22, s7, 31
	s_add_u32 s34, s28, s22
	s_mov_b32 s23, s22
	s_addc_u32 s35, s7, s22
	s_xor_b64 s[34:35], s[34:35], s[22:23]
	s_mul_i32 s37, s34, s29
	s_mul_hi_u32 s38, s34, s6
	s_mul_hi_u32 s36, s34, s29
	s_add_u32 s37, s38, s37
	s_addc_u32 s36, 0, s36
	s_mul_hi_u32 s39, s35, s6
	s_mul_i32 s6, s35, s6
	s_add_u32 s6, s37, s6
	s_mul_hi_u32 s38, s35, s29
	s_addc_u32 s6, s36, s39
	s_addc_u32 s36, s38, 0
	s_mul_i32 s29, s35, s29
	s_add_u32 s6, s6, s29
	s_addc_u32 s29, 0, s36
	s_mul_i32 s29, s8, s29
	s_mul_hi_u32 s36, s8, s6
	s_add_i32 s29, s36, s29
	s_mul_i32 s36, s9, s6
	s_add_i32 s29, s29, s36
	s_sub_i32 s38, s35, s29
	s_mul_i32 s6, s8, s6
	s_sub_u32 s6, s34, s6
	s_cselect_b64 s[36:37], -1, 0
	s_cmp_lg_u64 s[36:37], 0
	s_subb_u32 s34, s38, s9
	s_sub_u32 s40, s6, s8
	s_cselect_b64 s[38:39], -1, 0
	s_cmp_lg_u64 s[38:39], 0
	s_subb_u32 s41, s34, 0
	s_cmp_ge_u32 s41, s9
	s_cselect_b32 s42, -1, 0
	s_cmp_ge_u32 s40, s8
	s_cselect_b32 s43, -1, 0
	s_cmp_eq_u32 s41, s9
	s_cselect_b32 s42, s43, s42
	s_cmp_lg_u64 s[38:39], 0
	s_subb_u32 s34, s34, s9
	s_sub_u32 s43, s40, s8
	s_cselect_b64 s[38:39], -1, 0
	s_cmp_lg_u64 s[38:39], 0
	s_subb_u32 s34, s34, 0
	s_cmp_lg_u32 s42, 0
	s_cselect_b32 s38, s43, s40
	s_cselect_b32 s34, s34, s41
	s_cmp_lg_u64 s[36:37], 0
	s_subb_u32 s29, s35, s29
	s_cmp_ge_u32 s29, s9
	s_cselect_b32 s35, -1, 0
	s_cmp_ge_u32 s6, s8
	s_cselect_b32 s8, -1, 0
	s_cmp_eq_u32 s29, s9
	s_cselect_b32 s8, s8, s35
	s_cmp_lg_u32 s8, 0
	s_cselect_b32 s9, s34, s29
	s_cselect_b32 s8, s38, s6
	s_xor_b64 s[8:9], s[8:9], s[22:23]
	s_sub_u32 s8, s8, s22
	s_subb_u32 s9, s9, s22
	s_cbranch_execnz .LBB52_145
.LBB52_144:                             ;   in Loop: Header=BB52_7 Depth=1
	v_cvt_f32_u32_e32 v2, s33
	s_sub_i32 s6, 0, s33
	v_rcp_iflag_f32_e32 v2, v2
	v_mul_f32_e32 v2, 0x4f7ffffe, v2
	v_cvt_u32_f32_e32 v2, v2
	v_readfirstlane_b32 s8, v2
	s_mul_i32 s6, s6, s8
	s_mul_hi_u32 s6, s8, s6
	s_add_i32 s8, s8, s6
	s_mul_hi_u32 s6, s28, s8
	s_mul_i32 s6, s6, s33
	s_sub_i32 s6, s28, s6
	s_sub_i32 s8, s6, s33
	s_cmp_ge_u32 s6, s33
	s_cselect_b32 s6, s8, s6
	s_sub_i32 s8, s6, s33
	s_cmp_ge_u32 s6, s33
	s_cselect_b32 s84, s8, s6
	s_mov_b64 s[8:9], s[84:85]
.LBB52_145:                             ;   in Loop: Header=BB52_7 Depth=1
	s_sub_u32 s8, s28, s8
	s_subb_u32 s9, s7, s9
	v_cmp_gt_i64_e32 vcc, s[8:9], v[0:1]
                                        ; implicit-def: $vgpr24
	s_and_saveexec_b64 s[6:7], vcc
	s_cbranch_execz .LBB52_155
; %bb.146:                              ;   in Loop: Header=BB52_7 Depth=1
	v_mov_b32_e32 v3, v1
	s_mov_b64 s[22:23], 0
	v_mov_b32_e32 v8, v14
	v_mov_b32_e32 v2, v0
                                        ; implicit-def: $sgpr28_sgpr29
	s_branch .LBB52_150
.LBB52_147:                             ;   in Loop: Header=BB52_150 Depth=2
	s_or_b64 exec, exec, s[34:35]
	s_waitcnt lgkmcnt(0)
	s_barrier
	ds_read_b64 v[23:24], v13 offset:3072
	s_waitcnt lgkmcnt(0)
	s_barrier
	v_cmp_eq_f32_e32 vcc, 0, v23
	s_cbranch_vccz .LBB52_153
; %bb.148:                              ;   in Loop: Header=BB52_150 Depth=2
	v_add_co_u32_e32 v2, vcc, s33, v2
	v_addc_co_u32_e32 v3, vcc, 0, v3, vcc
	v_cmp_le_i64_e32 vcc, s[8:9], v[2:3]
	v_add_u32_e32 v8, s1, v8
	s_mov_b64 s[34:35], 0
	s_orn2_b64 s[36:37], vcc, exec
.LBB52_149:                             ;   in Loop: Header=BB52_150 Depth=2
	s_and_b64 s[36:37], exec, s[36:37]
	s_or_b64 s[22:23], s[36:37], s[22:23]
	s_andn2_b64 s[28:29], s[28:29], exec
	s_and_b64 s[34:35], s[34:35], exec
	s_or_b64 s[28:29], s[28:29], s[34:35]
	s_andn2_b64 exec, exec, s[22:23]
	s_cbranch_execz .LBB52_154
.LBB52_150:                             ;   Parent Loop BB52_7 Depth=1
                                        ; =>  This Inner Loop Header: Depth=2
	v_cmp_gt_u64_e32 vcc, s[30:31], v[2:3]
	s_and_saveexec_b64 s[34:35], vcc
	s_cbranch_execz .LBB52_147
; %bb.151:                              ;   in Loop: Header=BB52_150 Depth=2
	ds_read_b32 v23, v8
	s_waitcnt lgkmcnt(0)
	v_cmp_lt_i32_e32 vcc, -1, v23
	v_cndmask_b32_e32 v9, -1, v44, vcc
	v_xor_b32_e32 v9, v9, v23
	v_cmp_o_f32_e32 vcc, v23, v23
	v_cndmask_b32_e32 v9, -1, v9, vcc
	v_and_b32_e32 v9, v9, v45
	v_cmp_eq_u32_e32 vcc, v9, v42
	s_and_b64 exec, exec, vcc
	s_cbranch_execz .LBB52_147
; %bb.152:                              ;   in Loop: Header=BB52_150 Depth=2
	ds_write_b64 v13, v[22:23] offset:3072
	s_branch .LBB52_147
.LBB52_153:                             ;   in Loop: Header=BB52_150 Depth=2
	s_mov_b64 s[36:37], -1
                                        ; implicit-def: $vgpr2_vgpr3
                                        ; implicit-def: $vgpr8
	s_mov_b64 s[34:35], -1
	s_branch .LBB52_149
.LBB52_154:                             ;   in Loop: Header=BB52_7 Depth=1
	s_or_b64 exec, exec, s[22:23]
	s_andn2_b64 s[2:3], s[2:3], exec
	s_and_b64 s[8:9], s[28:29], exec
	s_or_b64 s[2:3], s[2:3], s[8:9]
.LBB52_155:                             ;   in Loop: Header=BB52_7 Depth=1
	s_or_b64 exec, exec, s[6:7]
	s_mov_b64 s[6:7], 0
	s_mov_b64 s[22:23], -1
.LBB52_156:                             ;   in Loop: Header=BB52_7 Depth=1
	s_orn2_b64 s[2:3], s[2:3], exec
.LBB52_157:                             ;   in Loop: Header=BB52_7 Depth=1
	s_or_b64 exec, exec, s[24:25]
	s_mov_b64 s[8:9], 0
	s_and_saveexec_b64 s[24:25], s[2:3]
	s_cbranch_execz .LBB52_267
; %bb.158:                              ;   in Loop: Header=BB52_7 Depth=1
	v_mov_b32_e32 v2, 1
	s_xor_b64 s[26:27], s[26:27], -1
	v_mov_b32_e32 v12, 1
	v_mov_b32_e32 v3, 0
	s_and_saveexec_b64 s[2:3], s[26:27]
	s_cbranch_execz .LBB52_168
; %bb.159:                              ;   in Loop: Header=BB52_7 Depth=1
	v_cmp_le_i64_e32 vcc, v[6:7], v[4:5]
	s_and_saveexec_b64 s[8:9], vcc
	s_xor_b64 s[8:9], exec, s[8:9]
	s_cbranch_execz .LBB52_165
; %bb.160:                              ;   in Loop: Header=BB52_7 Depth=1
	ds_read_b64 v[2:3], v13 offset:5120
	v_and_b32_e32 v8, s50, v42
	v_lshl_or_b32 v42, 1, s82, v8
	v_or_b32_e32 v45, s64, v45
	s_waitcnt lgkmcnt(0)
	v_cmp_ne_u64_e32 vcc, 0, v[2:3]
	s_cbranch_vccnz .LBB52_164
; %bb.161:                              ;   in Loop: Header=BB52_7 Depth=1
	s_mov_b64 s[26:27], exec
	v_readlane_b32 s28, v54, 8
	v_readlane_b32 s29, v54, 9
	s_and_b64 s[28:29], s[26:27], s[28:29]
	s_mov_b64 exec, s[28:29]
; %bb.162:                              ;   in Loop: Header=BB52_7 Depth=1
	ds_write_b64 v13, v[4:5] offset:5128
; %bb.163:                              ;   in Loop: Header=BB52_7 Depth=1
	s_or_b64 exec, exec, s[26:27]
	s_waitcnt lgkmcnt(0)
	s_barrier
.LBB52_164:                             ;   in Loop: Header=BB52_7 Depth=1
                                        ; implicit-def: $vgpr2_vgpr3_vgpr4_vgpr5
.LBB52_165:                             ;   in Loop: Header=BB52_7 Depth=1
	s_or_saveexec_b64 s[8:9], s[8:9]
	s_mov_b64 s[26:27], 0
	v_mov_b32_e32 v12, 8
	s_xor_b64 exec, exec, s[8:9]
; %bb.166:                              ;   in Loop: Header=BB52_7 Depth=1
	v_sub_co_u32_e32 v6, vcc, v6, v4
	s_mov_b64 s[26:27], exec
	v_subb_co_u32_e32 v7, vcc, v7, v5, vcc
	v_mov_b32_e32 v12, 0
; %bb.167:                              ;   in Loop: Header=BB52_7 Depth=1
	s_or_b64 exec, exec, s[8:9]
	v_mov_b32_e32 v2, v6
	s_and_b64 s[8:9], s[26:27], exec
	v_mov_b32_e32 v3, v7
.LBB52_168:                             ;   in Loop: Header=BB52_7 Depth=1
	s_or_b64 exec, exec, s[2:3]
	s_mov_b64 s[2:3], -1
                                        ; implicit-def: $sgpr30_sgpr31
                                        ; implicit-def: $sgpr34_sgpr35
	s_and_saveexec_b64 s[26:27], s[8:9]
	s_cbranch_execz .LBB52_266
; %bb.169:                              ;   in Loop: Header=BB52_7 Depth=1
	s_cmp_eq_u64 s[20:21], 1
	v_cmp_eq_u64_e32 vcc, 1, v[2:3]
	s_cselect_b64 s[2:3], -1, 0
	s_and_b64 s[38:39], s[2:3], vcc
	s_mov_b64 s[2:3], -1
                                        ; implicit-def: $sgpr34_sgpr35
                                        ; implicit-def: $sgpr30_sgpr31
	s_and_saveexec_b64 s[36:37], s[38:39]
	s_cbranch_execz .LBB52_205
; %bb.170:                              ;   in Loop: Header=BB52_7 Depth=1
	ds_read_b64 v[4:5], v13 offset:5120
	s_waitcnt lgkmcnt(0)
	s_barrier
	v_readfirstlane_b32 s40, v4
	v_readfirstlane_b32 s41, v5
	s_mov_b64 s[2:3], exec
	v_readlane_b32 s8, v54, 12
	v_readlane_b32 s9, v54, 13
	s_and_b64 s[8:9], s[2:3], s[8:9]
	s_mov_b64 exec, s[8:9]
; %bb.171:                              ;   in Loop: Header=BB52_7 Depth=1
	ds_write_b32 v43, v13
; %bb.172:                              ;   in Loop: Header=BB52_7 Depth=1
	s_or_b64 exec, exec, s[2:3]
	v_cmp_gt_i64_e64 s[2:3], s[40:41], 0
	v_and_b32_e32 v4, s50, v42
	v_lshl_or_b32 v42, 2, s82, v4
	v_or_b32_e32 v45, s64, v45
	s_mov_b64 s[30:31], -1
	s_mov_b64 s[34:35], 0
	s_and_b64 vcc, exec, s[2:3]
	s_mov_b64 s[2:3], 0
	s_mov_b64 s[8:9], -1
	s_waitcnt lgkmcnt(0)
	s_barrier
                                        ; implicit-def: $vgpr24
	s_cbranch_vccnz .LBB52_189
; %bb.173:                              ;   in Loop: Header=BB52_7 Depth=1
	s_mov_b32 s88, s85
	s_cmp_lg_u64 s[88:89], 0
	s_cbranch_scc0 .LBB52_232
; %bb.174:                              ;   in Loop: Header=BB52_7 Depth=1
	s_add_u32 s2, s33, 0
	s_addc_u32 s3, 0, 0
	s_xor_b64 s[2:3], s[2:3], 0
	v_cvt_f32_u32_e32 v4, s2
	v_cvt_f32_u32_e32 v5, s3
	s_sub_u32 s28, 0, s2
	s_subb_u32 s29, 0, s3
	v_mac_f32_e32 v4, 0x4f800000, v5
	v_rcp_f32_e32 v4, v4
	v_mul_f32_e32 v4, 0x5f7ffffc, v4
	v_mul_f32_e32 v5, 0x2f800000, v4
	v_trunc_f32_e32 v5, v5
	v_mac_f32_e32 v4, 0xcf800000, v5
	v_cvt_u32_f32_e32 v5, v5
	v_cvt_u32_f32_e32 v4, v4
	v_readfirstlane_b32 s42, v5
	v_readfirstlane_b32 s8, v4
	s_mul_i32 s9, s28, s42
	s_mul_hi_u32 s44, s28, s8
	s_mul_i32 s43, s29, s8
	s_add_i32 s9, s44, s9
	s_mul_i32 s45, s28, s8
	s_add_i32 s9, s9, s43
	s_mul_i32 s44, s8, s9
	s_mul_hi_u32 s46, s8, s45
	s_mul_hi_u32 s43, s8, s9
	s_add_u32 s44, s46, s44
	s_addc_u32 s43, 0, s43
	s_mul_hi_u32 s47, s42, s45
	s_mul_i32 s45, s42, s45
	s_add_u32 s44, s44, s45
	s_mul_hi_u32 s46, s42, s9
	s_addc_u32 s43, s43, s47
	s_addc_u32 s44, s46, 0
	s_mul_i32 s9, s42, s9
	s_add_u32 s9, s43, s9
	s_addc_u32 s43, 0, s44
	s_add_u32 s44, s8, s9
	s_cselect_b64 s[8:9], -1, 0
	s_cmp_lg_u64 s[8:9], 0
	s_addc_u32 s42, s42, s43
	s_mul_i32 s8, s28, s42
	s_mul_hi_u32 s9, s28, s44
	s_add_i32 s8, s9, s8
	s_mul_i32 s29, s29, s44
	s_add_i32 s8, s8, s29
	s_mul_i32 s28, s28, s44
	s_mul_hi_u32 s29, s42, s28
	s_mul_i32 s43, s42, s28
	s_mul_i32 s46, s44, s8
	s_mul_hi_u32 s28, s44, s28
	s_mul_hi_u32 s45, s44, s8
	s_add_u32 s28, s28, s46
	s_addc_u32 s45, 0, s45
	s_add_u32 s28, s28, s43
	s_mul_hi_u32 s9, s42, s8
	s_addc_u32 s28, s45, s29
	s_addc_u32 s9, s9, 0
	s_mul_i32 s8, s42, s8
	s_add_u32 s8, s28, s8
	s_addc_u32 s28, 0, s9
	s_add_u32 s43, s44, s8
	s_cselect_b64 s[8:9], -1, 0
	s_cmp_lg_u64 s[8:9], 0
	s_addc_u32 s42, s42, s28
	s_ashr_i32 s8, s89, 31
	s_add_u32 s28, s83, s8
	s_mov_b32 s9, s8
	s_addc_u32 s29, s89, s8
	s_xor_b64 s[28:29], s[28:29], s[8:9]
	s_mul_i32 s45, s28, s42
	s_mul_hi_u32 s46, s28, s43
	s_mul_hi_u32 s44, s28, s42
	s_add_u32 s45, s46, s45
	s_addc_u32 s44, 0, s44
	s_mul_hi_u32 s47, s29, s43
	s_mul_i32 s43, s29, s43
	s_add_u32 s43, s45, s43
	s_mul_hi_u32 s46, s29, s42
	s_addc_u32 s43, s44, s47
	s_addc_u32 s44, s46, 0
	s_mul_i32 s42, s29, s42
	s_add_u32 s42, s43, s42
	s_addc_u32 s43, 0, s44
	s_mul_i32 s43, s2, s43
	s_mul_hi_u32 s44, s2, s42
	s_add_i32 s43, s44, s43
	s_mul_i32 s44, s3, s42
	s_add_i32 s46, s43, s44
	s_sub_i32 s44, s29, s46
	s_mul_i32 s42, s2, s42
	s_sub_u32 s28, s28, s42
	s_cselect_b64 s[42:43], -1, 0
	s_cmp_lg_u64 s[42:43], 0
	s_subb_u32 s47, s44, s3
	s_sub_u32 s48, s28, s2
	s_cselect_b64 s[44:45], -1, 0
	s_cmp_lg_u64 s[44:45], 0
	s_subb_u32 s49, s47, 0
	s_cmp_ge_u32 s49, s3
	s_cselect_b32 s51, -1, 0
	s_cmp_ge_u32 s48, s2
	s_cselect_b32 s52, -1, 0
	s_cmp_eq_u32 s49, s3
	s_cselect_b32 s51, s52, s51
	s_cmp_lg_u64 s[44:45], 0
	s_subb_u32 s47, s47, s3
	s_sub_u32 s52, s48, s2
	s_cselect_b64 s[44:45], -1, 0
	s_cmp_lg_u64 s[44:45], 0
	s_subb_u32 s44, s47, 0
	s_cmp_lg_u32 s51, 0
	s_cselect_b32 s45, s52, s48
	s_cselect_b32 s44, s44, s49
	s_cmp_lg_u64 s[42:43], 0
	s_subb_u32 s29, s29, s46
	s_cmp_ge_u32 s29, s3
	s_cselect_b32 s42, -1, 0
	s_cmp_ge_u32 s28, s2
	s_cselect_b32 s2, -1, 0
	s_cmp_eq_u32 s29, s3
	s_cselect_b32 s2, s2, s42
	s_cmp_lg_u32 s2, 0
	s_cselect_b32 s3, s44, s29
	s_cselect_b32 s2, s45, s28
	s_xor_b64 s[2:3], s[2:3], s[8:9]
	s_sub_u32 s2, s2, s8
	s_subb_u32 s3, s3, s8
	s_cbranch_execnz .LBB52_176
.LBB52_175:                             ;   in Loop: Header=BB52_7 Depth=1
	v_cvt_f32_u32_e32 v4, s33
	s_sub_i32 s2, 0, s33
	v_rcp_iflag_f32_e32 v4, v4
	v_mul_f32_e32 v4, 0x4f7ffffe, v4
	v_cvt_u32_f32_e32 v4, v4
	v_readfirstlane_b32 s3, v4
	s_mul_i32 s2, s2, s3
	s_mul_hi_u32 s2, s3, s2
	s_add_i32 s3, s3, s2
	s_mul_hi_u32 s2, s83, s3
	s_mul_i32 s2, s2, s33
	s_sub_i32 s2, s83, s2
	s_sub_i32 s3, s2, s33
	s_cmp_ge_u32 s2, s33
	s_cselect_b32 s2, s3, s2
	s_sub_i32 s3, s2, s33
	s_cmp_ge_u32 s2, s33
	s_cselect_b32 s84, s3, s2
	s_mov_b64 s[2:3], s[84:85]
.LBB52_176:                             ;   in Loop: Header=BB52_7 Depth=1
	s_sub_u32 s42, s83, s2
	s_subb_u32 s43, s89, s3
	v_cmp_gt_i64_e32 vcc, s[42:43], v[0:1]
	s_mov_b64 s[8:9], 0
	s_mov_b64 s[2:3], 0
                                        ; implicit-def: $vgpr24
	s_and_saveexec_b64 s[28:29], vcc
	s_cbranch_execz .LBB52_188
; %bb.177:                              ;   in Loop: Header=BB52_7 Depth=1
	v_mov_b32_e32 v4, v10
	v_mov_b32_e32 v7, v1
	;; [unrolled: 1-line block ×4, first 2 shown]
                                        ; implicit-def: $sgpr44_sgpr45
	s_branch .LBB52_181
.LBB52_178:                             ;   in Loop: Header=BB52_181 Depth=2
	s_or_b64 exec, exec, s[46:47]
	s_waitcnt lgkmcnt(0)
	s_barrier
	ds_read_b64 v[23:24], v13 offset:3072
	s_waitcnt lgkmcnt(0)
	s_barrier
	v_cmp_neq_f32_e32 vcc, 0, v23
	s_cbranch_vccnz .LBB52_184
; %bb.179:                              ;   in Loop: Header=BB52_181 Depth=2
	v_add_co_u32_e32 v6, vcc, s33, v6
	v_addc_co_u32_e32 v7, vcc, 0, v7, vcc
	v_mov_b32_e32 v8, s71
	v_add_co_u32_e32 v4, vcc, s70, v4
	v_addc_co_u32_e32 v5, vcc, v5, v8, vcc
	v_cmp_le_i64_e32 vcc, s[42:43], v[6:7]
	s_mov_b64 s[46:47], 0
	s_orn2_b64 s[48:49], vcc, exec
.LBB52_180:                             ;   in Loop: Header=BB52_181 Depth=2
	s_and_b64 s[48:49], exec, s[48:49]
	s_or_b64 s[2:3], s[48:49], s[2:3]
	s_andn2_b64 s[44:45], s[44:45], exec
	s_and_b64 s[46:47], s[46:47], exec
	s_or_b64 s[44:45], s[44:45], s[46:47]
	s_andn2_b64 exec, exec, s[2:3]
	s_cbranch_execz .LBB52_187
.LBB52_181:                             ;   Parent Loop BB52_7 Depth=1
                                        ; =>  This Inner Loop Header: Depth=2
	v_cmp_gt_i64_e32 vcc, s[56:57], v[6:7]
	s_and_saveexec_b64 s[46:47], vcc
	s_cbranch_execz .LBB52_178
; %bb.182:                              ;   in Loop: Header=BB52_181 Depth=2
	global_load_dword v23, v[4:5], off
	s_waitcnt vmcnt(0)
	v_cmp_lt_i32_e32 vcc, -1, v23
	v_cndmask_b32_e32 v8, -1, v44, vcc
	v_xor_b32_e32 v8, v8, v23
	v_cmp_o_f32_e32 vcc, v23, v23
	v_cndmask_b32_e32 v8, -1, v8, vcc
	v_and_b32_e32 v8, v8, v45
	v_cmp_eq_u32_e32 vcc, v8, v42
	s_and_b64 exec, exec, vcc
	s_cbranch_execz .LBB52_178
; %bb.183:                              ;   in Loop: Header=BB52_181 Depth=2
	ds_write_b64 v13, v[22:23] offset:3072
	s_branch .LBB52_178
.LBB52_184:                             ;   in Loop: Header=BB52_181 Depth=2
	s_mov_b64 s[48:49], -1
                                        ; implicit-def: $vgpr6_vgpr7
                                        ; implicit-def: $vgpr4_vgpr5
	s_mov_b64 s[46:47], -1
	s_branch .LBB52_180
.LBB52_185:                             ;   in Loop: Header=BB52_7 Depth=1
                                        ; implicit-def: $sgpr2_sgpr3
	s_andn2_b64 vcc, exec, s[8:9]
	s_cbranch_vccz .LBB52_127
	s_branch .LBB52_128
.LBB52_186:                             ;   in Loop: Header=BB52_7 Depth=1
                                        ; implicit-def: $sgpr8_sgpr9
	s_branch .LBB52_144
.LBB52_187:                             ;   in Loop: Header=BB52_7 Depth=1
	s_or_b64 exec, exec, s[2:3]
	s_and_b64 s[2:3], s[44:45], exec
.LBB52_188:                             ;   in Loop: Header=BB52_7 Depth=1
	s_or_b64 exec, exec, s[28:29]
.LBB52_189:                             ;   in Loop: Header=BB52_7 Depth=1
	s_and_b64 vcc, exec, s[8:9]
	s_cbranch_vccz .LBB52_204
; %bb.190:                              ;   in Loop: Header=BB52_7 Depth=1
	v_readlane_b32 s8, v54, 24
	s_add_u32 s34, s40, s8
	v_readlane_b32 s8, v54, 25
	s_addc_u32 s9, s41, s8
	s_mov_b32 s8, s85
	s_cmp_lg_u64 s[8:9], 0
	s_cbranch_scc0 .LBB52_233
; %bb.191:                              ;   in Loop: Header=BB52_7 Depth=1
	s_add_u32 s28, s33, 0
	s_addc_u32 s29, 0, 0
	s_xor_b64 s[28:29], s[28:29], 0
	v_cvt_f32_u32_e32 v4, s28
	v_cvt_f32_u32_e32 v5, s29
	s_sub_u32 s8, 0, s28
	s_subb_u32 s35, 0, s29
	v_mac_f32_e32 v4, 0x4f800000, v5
	v_rcp_f32_e32 v4, v4
	v_mul_f32_e32 v4, 0x5f7ffffc, v4
	v_mul_f32_e32 v5, 0x2f800000, v4
	v_trunc_f32_e32 v5, v5
	v_mac_f32_e32 v4, 0xcf800000, v5
	v_cvt_u32_f32_e32 v5, v5
	v_cvt_u32_f32_e32 v4, v4
	v_readfirstlane_b32 s42, v5
	v_readfirstlane_b32 s30, v4
	s_mul_i32 s31, s8, s42
	s_mul_hi_u32 s44, s8, s30
	s_mul_i32 s43, s35, s30
	s_add_i32 s31, s44, s31
	s_mul_i32 s45, s8, s30
	s_add_i32 s31, s31, s43
	s_mul_i32 s44, s30, s31
	s_mul_hi_u32 s46, s30, s45
	s_mul_hi_u32 s43, s30, s31
	s_add_u32 s44, s46, s44
	s_addc_u32 s43, 0, s43
	s_mul_hi_u32 s47, s42, s45
	s_mul_i32 s45, s42, s45
	s_add_u32 s44, s44, s45
	s_mul_hi_u32 s46, s42, s31
	s_addc_u32 s43, s43, s47
	s_addc_u32 s44, s46, 0
	s_mul_i32 s31, s42, s31
	s_add_u32 s31, s43, s31
	s_addc_u32 s43, 0, s44
	s_add_u32 s44, s30, s31
	s_cselect_b64 s[30:31], -1, 0
	s_cmp_lg_u64 s[30:31], 0
	s_addc_u32 s42, s42, s43
	s_mul_i32 s30, s8, s42
	s_mul_hi_u32 s31, s8, s44
	s_add_i32 s30, s31, s30
	s_mul_i32 s35, s35, s44
	s_add_i32 s30, s30, s35
	s_mul_i32 s8, s8, s44
	s_mul_hi_u32 s35, s42, s8
	s_mul_i32 s43, s42, s8
	s_mul_i32 s46, s44, s30
	s_mul_hi_u32 s8, s44, s8
	s_mul_hi_u32 s45, s44, s30
	s_add_u32 s8, s8, s46
	s_addc_u32 s45, 0, s45
	s_add_u32 s8, s8, s43
	s_mul_hi_u32 s31, s42, s30
	s_addc_u32 s8, s45, s35
	s_addc_u32 s31, s31, 0
	s_mul_i32 s30, s42, s30
	s_add_u32 s8, s8, s30
	s_addc_u32 s35, 0, s31
	s_add_u32 s8, s44, s8
	s_cselect_b64 s[30:31], -1, 0
	s_cmp_lg_u64 s[30:31], 0
	s_addc_u32 s35, s42, s35
	s_ashr_i32 s30, s9, 31
	s_add_u32 s42, s34, s30
	s_mov_b32 s31, s30
	s_addc_u32 s43, s9, s30
	s_xor_b64 s[42:43], s[42:43], s[30:31]
	s_mul_i32 s45, s42, s35
	s_mul_hi_u32 s46, s42, s8
	s_mul_hi_u32 s44, s42, s35
	s_add_u32 s45, s46, s45
	s_addc_u32 s44, 0, s44
	s_mul_hi_u32 s47, s43, s8
	s_mul_i32 s8, s43, s8
	s_add_u32 s8, s45, s8
	s_mul_hi_u32 s46, s43, s35
	s_addc_u32 s8, s44, s47
	s_addc_u32 s44, s46, 0
	s_mul_i32 s35, s43, s35
	s_add_u32 s8, s8, s35
	s_addc_u32 s35, 0, s44
	s_mul_i32 s35, s28, s35
	s_mul_hi_u32 s44, s28, s8
	s_add_i32 s35, s44, s35
	s_mul_i32 s44, s29, s8
	s_add_i32 s35, s35, s44
	s_sub_i32 s46, s43, s35
	s_mul_i32 s8, s28, s8
	s_sub_u32 s8, s42, s8
	s_cselect_b64 s[44:45], -1, 0
	s_cmp_lg_u64 s[44:45], 0
	s_subb_u32 s42, s46, s29
	s_sub_u32 s48, s8, s28
	s_cselect_b64 s[46:47], -1, 0
	s_cmp_lg_u64 s[46:47], 0
	s_subb_u32 s49, s42, 0
	s_cmp_ge_u32 s49, s29
	s_cselect_b32 s51, -1, 0
	s_cmp_ge_u32 s48, s28
	s_cselect_b32 s52, -1, 0
	s_cmp_eq_u32 s49, s29
	s_cselect_b32 s51, s52, s51
	s_cmp_lg_u64 s[46:47], 0
	s_subb_u32 s42, s42, s29
	s_sub_u32 s52, s48, s28
	s_cselect_b64 s[46:47], -1, 0
	s_cmp_lg_u64 s[46:47], 0
	s_subb_u32 s42, s42, 0
	s_cmp_lg_u32 s51, 0
	s_cselect_b32 s46, s52, s48
	s_cselect_b32 s42, s42, s49
	s_cmp_lg_u64 s[44:45], 0
	s_subb_u32 s35, s43, s35
	s_cmp_ge_u32 s35, s29
	s_cselect_b32 s43, -1, 0
	s_cmp_ge_u32 s8, s28
	s_cselect_b32 s28, -1, 0
	s_cmp_eq_u32 s35, s29
	s_cselect_b32 s28, s28, s43
	s_cmp_lg_u32 s28, 0
	s_cselect_b32 s29, s42, s35
	s_cselect_b32 s28, s46, s8
	s_xor_b64 s[28:29], s[28:29], s[30:31]
	s_sub_u32 s28, s28, s30
	s_subb_u32 s29, s29, s30
	s_cbranch_execnz .LBB52_193
.LBB52_192:                             ;   in Loop: Header=BB52_7 Depth=1
	v_cvt_f32_u32_e32 v4, s33
	s_sub_i32 s8, 0, s33
	v_rcp_iflag_f32_e32 v4, v4
	v_mul_f32_e32 v4, 0x4f7ffffe, v4
	v_cvt_u32_f32_e32 v4, v4
	v_readfirstlane_b32 s28, v4
	s_mul_i32 s8, s8, s28
	s_mul_hi_u32 s8, s28, s8
	s_add_i32 s28, s28, s8
	s_mul_hi_u32 s8, s34, s28
	s_mul_i32 s8, s8, s33
	s_sub_i32 s8, s34, s8
	s_sub_i32 s28, s8, s33
	s_cmp_ge_u32 s8, s33
	s_cselect_b32 s8, s28, s8
	s_sub_i32 s28, s8, s33
	s_cmp_ge_u32 s8, s33
	s_cselect_b32 s84, s28, s8
	s_mov_b64 s[28:29], s[84:85]
.LBB52_193:                             ;   in Loop: Header=BB52_7 Depth=1
	s_sub_u32 s28, s34, s28
	s_subb_u32 s29, s9, s29
	v_cmp_gt_i64_e32 vcc, s[28:29], v[0:1]
                                        ; implicit-def: $vgpr24
	s_and_saveexec_b64 s[8:9], vcc
	s_cbranch_execz .LBB52_203
; %bb.194:                              ;   in Loop: Header=BB52_7 Depth=1
	v_mov_b32_e32 v5, v1
	s_mov_b64 s[30:31], 0
	v_mov_b32_e32 v6, v14
	v_mov_b32_e32 v4, v0
                                        ; implicit-def: $sgpr34_sgpr35
	s_branch .LBB52_198
.LBB52_195:                             ;   in Loop: Header=BB52_198 Depth=2
	s_or_b64 exec, exec, s[42:43]
	s_waitcnt lgkmcnt(0)
	s_barrier
	ds_read_b64 v[23:24], v13 offset:3072
	s_waitcnt lgkmcnt(0)
	s_barrier
	v_cmp_eq_f32_e32 vcc, 0, v23
	s_cbranch_vccz .LBB52_201
; %bb.196:                              ;   in Loop: Header=BB52_198 Depth=2
	v_add_co_u32_e32 v4, vcc, s33, v4
	v_addc_co_u32_e32 v5, vcc, 0, v5, vcc
	v_cmp_le_i64_e32 vcc, s[28:29], v[4:5]
	v_add_u32_e32 v6, s1, v6
	s_mov_b64 s[42:43], 0
	s_orn2_b64 s[44:45], vcc, exec
.LBB52_197:                             ;   in Loop: Header=BB52_198 Depth=2
	s_and_b64 s[44:45], exec, s[44:45]
	s_or_b64 s[30:31], s[44:45], s[30:31]
	s_andn2_b64 s[34:35], s[34:35], exec
	s_and_b64 s[42:43], s[42:43], exec
	s_or_b64 s[34:35], s[34:35], s[42:43]
	s_andn2_b64 exec, exec, s[30:31]
	s_cbranch_execz .LBB52_202
.LBB52_198:                             ;   Parent Loop BB52_7 Depth=1
                                        ; =>  This Inner Loop Header: Depth=2
	v_cmp_gt_u64_e32 vcc, s[40:41], v[4:5]
	s_and_saveexec_b64 s[42:43], vcc
	s_cbranch_execz .LBB52_195
; %bb.199:                              ;   in Loop: Header=BB52_198 Depth=2
	ds_read_b32 v23, v6
	s_waitcnt lgkmcnt(0)
	v_cmp_lt_i32_e32 vcc, -1, v23
	v_cndmask_b32_e32 v7, -1, v44, vcc
	v_xor_b32_e32 v7, v7, v23
	v_cmp_o_f32_e32 vcc, v23, v23
	v_cndmask_b32_e32 v7, -1, v7, vcc
	v_and_b32_e32 v7, v7, v45
	v_cmp_eq_u32_e32 vcc, v7, v42
	s_and_b64 exec, exec, vcc
	s_cbranch_execz .LBB52_195
; %bb.200:                              ;   in Loop: Header=BB52_198 Depth=2
	ds_write_b64 v13, v[22:23] offset:3072
	s_branch .LBB52_195
.LBB52_201:                             ;   in Loop: Header=BB52_198 Depth=2
	s_mov_b64 s[44:45], -1
                                        ; implicit-def: $vgpr4_vgpr5
                                        ; implicit-def: $vgpr6
	s_mov_b64 s[42:43], -1
	s_branch .LBB52_197
.LBB52_202:                             ;   in Loop: Header=BB52_7 Depth=1
	s_or_b64 exec, exec, s[30:31]
	s_andn2_b64 s[2:3], s[2:3], exec
	s_and_b64 s[28:29], s[34:35], exec
	s_or_b64 s[2:3], s[2:3], s[28:29]
.LBB52_203:                             ;   in Loop: Header=BB52_7 Depth=1
	s_or_b64 exec, exec, s[8:9]
	s_mov_b64 s[30:31], 0
	s_mov_b64 s[34:35], -1
.LBB52_204:                             ;   in Loop: Header=BB52_7 Depth=1
	s_orn2_b64 s[2:3], s[2:3], exec
.LBB52_205:                             ;   in Loop: Header=BB52_7 Depth=1
	s_or_b64 exec, exec, s[36:37]
	s_mov_b64 s[8:9], 0
	s_and_saveexec_b64 s[36:37], s[2:3]
	s_cbranch_execz .LBB52_265
; %bb.206:                              ;   in Loop: Header=BB52_7 Depth=1
	v_mov_b32_e32 v4, 1
	s_xor_b64 s[8:9], s[38:39], -1
	v_mov_b32_e32 v12, 1
	v_mov_b32_e32 v5, 0
	s_mov_b64 s[38:39], 0
	s_and_saveexec_b64 s[2:3], s[8:9]
	s_cbranch_execz .LBB52_215
; %bb.207:                              ;   in Loop: Header=BB52_7 Depth=1
	v_cmp_ge_i64_e32 vcc, s[20:21], v[2:3]
	s_and_saveexec_b64 s[8:9], vcc
	s_xor_b64 s[8:9], exec, s[8:9]
	s_cbranch_execz .LBB52_212
; %bb.208:                              ;   in Loop: Header=BB52_7 Depth=1
	ds_read_b64 v[4:5], v13 offset:5120
	v_and_b32_e32 v6, s50, v42
	v_lshl_or_b32 v42, 2, s82, v6
	v_or_b32_e32 v45, s64, v45
	s_waitcnt lgkmcnt(0)
	v_cmp_ne_u64_e32 vcc, 0, v[4:5]
	s_cbranch_vccnz .LBB52_212
; %bb.209:                              ;   in Loop: Header=BB52_7 Depth=1
	s_mov_b64 s[28:29], exec
	v_readlane_b32 s38, v54, 8
	v_readlane_b32 s39, v54, 9
	s_and_b64 s[38:39], s[28:29], s[38:39]
	s_mov_b64 exec, s[38:39]
; %bb.210:                              ;   in Loop: Header=BB52_7 Depth=1
	v_mov_b32_e32 v4, s20
	v_mov_b32_e32 v5, s21
	ds_write_b64 v13, v[4:5] offset:5128
; %bb.211:                              ;   in Loop: Header=BB52_7 Depth=1
	s_or_b64 exec, exec, s[28:29]
	s_waitcnt lgkmcnt(0)
	s_barrier
.LBB52_212:                             ;   in Loop: Header=BB52_7 Depth=1
	s_or_saveexec_b64 s[8:9], s[8:9]
	s_mov_b64 s[28:29], 0
	v_mov_b32_e32 v12, 8
	s_xor_b64 exec, exec, s[8:9]
; %bb.213:                              ;   in Loop: Header=BB52_7 Depth=1
	v_subrev_co_u32_e32 v2, vcc, s20, v2
	v_mov_b32_e32 v4, s21
	v_subb_co_u32_e32 v3, vcc, v3, v4, vcc
	v_mov_b32_e32 v12, 0
	s_mov_b64 s[28:29], exec
; %bb.214:                              ;   in Loop: Header=BB52_7 Depth=1
	s_or_b64 exec, exec, s[8:9]
	v_mov_b32_e32 v5, v3
	s_and_b64 s[38:39], s[28:29], exec
	v_mov_b32_e32 v4, v2
.LBB52_215:                             ;   in Loop: Header=BB52_7 Depth=1
	s_or_b64 exec, exec, s[2:3]
	s_mov_b64 s[28:29], -1
                                        ; implicit-def: $sgpr8_sgpr9
                                        ; implicit-def: $sgpr2_sgpr3
	s_and_saveexec_b64 s[20:21], s[38:39]
	s_cbranch_execz .LBB52_264
; %bb.216:                              ;   in Loop: Header=BB52_7 Depth=1
	s_cmp_eq_u64 s[12:13], 1
	v_cmp_eq_u64_e32 vcc, 1, v[4:5]
	s_cselect_b64 s[2:3], -1, 0
	s_and_b64 s[38:39], s[2:3], vcc
	s_mov_b64 s[42:43], -1
                                        ; implicit-def: $sgpr8_sgpr9
                                        ; implicit-def: $sgpr2_sgpr3
	s_and_saveexec_b64 s[40:41], s[38:39]
	s_cbranch_execz .LBB52_252
; %bb.217:                              ;   in Loop: Header=BB52_7 Depth=1
	ds_read_b64 v[2:3], v13 offset:5120
	s_waitcnt lgkmcnt(0)
	s_barrier
	v_readfirstlane_b32 s42, v2
	v_readfirstlane_b32 s43, v3
	s_mov_b64 s[2:3], exec
	v_readlane_b32 s8, v54, 12
	v_readlane_b32 s9, v54, 13
	s_and_b64 s[8:9], s[2:3], s[8:9]
	s_mov_b64 exec, s[8:9]
; %bb.218:                              ;   in Loop: Header=BB52_7 Depth=1
	ds_write_b32 v43, v13
; %bb.219:                              ;   in Loop: Header=BB52_7 Depth=1
	s_or_b64 exec, exec, s[2:3]
	v_cmp_gt_i64_e64 s[28:29], s[42:43], 0
	v_or_b32_e32 v42, s64, v42
	v_or_b32_e32 v45, s64, v45
	s_mov_b64 s[2:3], -1
	s_mov_b64 s[8:9], 0
	s_and_b64 vcc, exec, s[28:29]
	s_mov_b64 s[28:29], 0
	s_mov_b64 s[44:45], -1
	s_waitcnt lgkmcnt(0)
	s_barrier
                                        ; implicit-def: $vgpr24
	s_cbranch_vccnz .LBB52_236
; %bb.220:                              ;   in Loop: Header=BB52_7 Depth=1
	s_mov_b32 s88, s85
	s_cmp_lg_u64 s[88:89], 0
	s_cbranch_scc0 .LBB52_271
; %bb.221:                              ;   in Loop: Header=BB52_7 Depth=1
	s_add_u32 s28, s33, 0
	s_addc_u32 s29, 0, 0
	s_xor_b64 s[28:29], s[28:29], 0
	v_cvt_f32_u32_e32 v2, s28
	v_cvt_f32_u32_e32 v3, s29
	s_sub_u32 s46, 0, s28
	s_subb_u32 s47, 0, s29
	v_mac_f32_e32 v2, 0x4f800000, v3
	v_rcp_f32_e32 v2, v2
	v_mul_f32_e32 v2, 0x5f7ffffc, v2
	v_mul_f32_e32 v3, 0x2f800000, v2
	v_trunc_f32_e32 v3, v3
	v_mac_f32_e32 v2, 0xcf800000, v3
	v_cvt_u32_f32_e32 v3, v3
	v_cvt_u32_f32_e32 v2, v2
	v_readfirstlane_b32 s48, v3
	v_readfirstlane_b32 s44, v2
	s_mul_i32 s45, s46, s48
	s_mul_hi_u32 s50, s46, s44
	s_mul_i32 s49, s47, s44
	s_add_i32 s45, s50, s45
	s_mul_i32 s51, s46, s44
	s_add_i32 s45, s45, s49
	s_mul_i32 s50, s44, s45
	s_mul_hi_u32 s52, s44, s51
	s_mul_hi_u32 s49, s44, s45
	s_add_u32 s50, s52, s50
	s_addc_u32 s49, 0, s49
	s_mul_hi_u32 s53, s48, s51
	s_mul_i32 s51, s48, s51
	s_add_u32 s50, s50, s51
	s_mul_hi_u32 s52, s48, s45
	s_addc_u32 s49, s49, s53
	s_addc_u32 s50, s52, 0
	s_mul_i32 s45, s48, s45
	s_add_u32 s45, s49, s45
	s_addc_u32 s49, 0, s50
	s_add_u32 s50, s44, s45
	s_cselect_b64 s[44:45], -1, 0
	s_cmp_lg_u64 s[44:45], 0
	s_addc_u32 s48, s48, s49
	s_mul_i32 s44, s46, s48
	s_mul_hi_u32 s45, s46, s50
	s_add_i32 s44, s45, s44
	s_mul_i32 s47, s47, s50
	s_add_i32 s44, s44, s47
	s_mul_i32 s46, s46, s50
	s_mul_hi_u32 s47, s48, s46
	s_mul_i32 s49, s48, s46
	s_mul_i32 s52, s50, s44
	s_mul_hi_u32 s46, s50, s46
	s_mul_hi_u32 s51, s50, s44
	s_add_u32 s46, s46, s52
	s_addc_u32 s51, 0, s51
	s_add_u32 s46, s46, s49
	s_mul_hi_u32 s45, s48, s44
	s_addc_u32 s46, s51, s47
	s_addc_u32 s45, s45, 0
	s_mul_i32 s44, s48, s44
	s_add_u32 s44, s46, s44
	s_addc_u32 s46, 0, s45
	s_add_u32 s49, s50, s44
	s_cselect_b64 s[44:45], -1, 0
	s_cmp_lg_u64 s[44:45], 0
	s_addc_u32 s48, s48, s46
	s_ashr_i32 s44, s89, 31
	s_add_u32 s46, s83, s44
	s_mov_b32 s45, s44
	s_addc_u32 s47, s89, s44
	s_xor_b64 s[46:47], s[46:47], s[44:45]
	s_mul_i32 s51, s46, s48
	s_mul_hi_u32 s52, s46, s49
	s_mul_hi_u32 s50, s46, s48
	s_add_u32 s51, s52, s51
	s_addc_u32 s50, 0, s50
	s_mul_hi_u32 s53, s47, s49
	s_mul_i32 s49, s47, s49
	s_add_u32 s49, s51, s49
	s_mul_hi_u32 s52, s47, s48
	s_addc_u32 s49, s50, s53
	s_addc_u32 s50, s52, 0
	s_mul_i32 s48, s47, s48
	s_add_u32 s48, s49, s48
	s_addc_u32 s49, 0, s50
	s_mul_i32 s49, s28, s49
	s_mul_hi_u32 s50, s28, s48
	s_add_i32 s49, s50, s49
	s_mul_i32 s50, s29, s48
	s_add_i32 s52, s49, s50
	s_sub_i32 s50, s47, s52
	s_mul_i32 s48, s28, s48
	s_sub_u32 s46, s46, s48
	s_cselect_b64 s[48:49], -1, 0
	s_cmp_lg_u64 s[48:49], 0
	s_subb_u32 s53, s50, s29
	s_sub_u32 s58, s46, s28
	s_cselect_b64 s[50:51], -1, 0
	s_cmp_lg_u64 s[50:51], 0
	s_subb_u32 s59, s53, 0
	s_cmp_ge_u32 s59, s29
	s_cselect_b32 s65, -1, 0
	s_cmp_ge_u32 s58, s28
	s_cselect_b32 s72, -1, 0
	s_cmp_eq_u32 s59, s29
	s_cselect_b32 s65, s72, s65
	s_cmp_lg_u64 s[50:51], 0
	s_subb_u32 s53, s53, s29
	s_sub_u32 s72, s58, s28
	s_cselect_b64 s[50:51], -1, 0
	s_cmp_lg_u64 s[50:51], 0
	s_subb_u32 s50, s53, 0
	s_cmp_lg_u32 s65, 0
	s_cselect_b32 s51, s72, s58
	s_cselect_b32 s50, s50, s59
	s_cmp_lg_u64 s[48:49], 0
	s_subb_u32 s47, s47, s52
	s_cmp_ge_u32 s47, s29
	s_cselect_b32 s48, -1, 0
	s_cmp_ge_u32 s46, s28
	s_cselect_b32 s28, -1, 0
	s_cmp_eq_u32 s47, s29
	s_cselect_b32 s28, s28, s48
	s_cmp_lg_u32 s28, 0
	s_cselect_b32 s29, s50, s47
	s_cselect_b32 s28, s51, s46
	s_xor_b64 s[28:29], s[28:29], s[44:45]
	s_sub_u32 s28, s28, s44
	s_subb_u32 s29, s29, s44
	s_cbranch_execnz .LBB52_223
.LBB52_222:                             ;   in Loop: Header=BB52_7 Depth=1
	v_cvt_f32_u32_e32 v2, s33
	s_sub_i32 s28, 0, s33
	v_rcp_iflag_f32_e32 v2, v2
	v_mul_f32_e32 v2, 0x4f7ffffe, v2
	v_cvt_u32_f32_e32 v2, v2
	v_readfirstlane_b32 s29, v2
	s_mul_i32 s28, s28, s29
	s_mul_hi_u32 s28, s29, s28
	s_add_i32 s29, s29, s28
	s_mul_hi_u32 s28, s83, s29
	s_mul_i32 s28, s28, s33
	s_sub_i32 s28, s83, s28
	s_sub_i32 s29, s28, s33
	s_cmp_ge_u32 s28, s33
	s_cselect_b32 s28, s29, s28
	s_sub_i32 s29, s28, s33
	s_cmp_ge_u32 s28, s33
	s_cselect_b32 s84, s29, s28
	s_mov_b64 s[28:29], s[84:85]
.LBB52_223:                             ;   in Loop: Header=BB52_7 Depth=1
	s_sub_u32 s48, s83, s28
	s_subb_u32 s49, s89, s29
	v_cmp_gt_i64_e32 vcc, s[48:49], v[0:1]
	s_mov_b64 s[44:45], 0
	s_mov_b64 s[28:29], 0
                                        ; implicit-def: $vgpr24
	s_and_saveexec_b64 s[46:47], vcc
	s_cbranch_execz .LBB52_235
; %bb.224:                              ;   in Loop: Header=BB52_7 Depth=1
	v_mov_b32_e32 v2, v10
	v_mov_b32_e32 v7, v1
	v_mov_b32_e32 v3, v11
	v_mov_b32_e32 v6, v0
                                        ; implicit-def: $sgpr50_sgpr51
	s_branch .LBB52_228
.LBB52_225:                             ;   in Loop: Header=BB52_228 Depth=2
	s_or_b64 exec, exec, s[52:53]
	s_waitcnt lgkmcnt(0)
	s_barrier
	ds_read_b64 v[23:24], v13 offset:3072
	s_waitcnt lgkmcnt(0)
	s_barrier
	v_cmp_neq_f32_e32 vcc, 0, v23
	s_cbranch_vccnz .LBB52_231
; %bb.226:                              ;   in Loop: Header=BB52_228 Depth=2
	v_add_co_u32_e32 v6, vcc, s33, v6
	v_addc_co_u32_e32 v7, vcc, 0, v7, vcc
	v_mov_b32_e32 v8, s71
	v_add_co_u32_e32 v2, vcc, s70, v2
	v_addc_co_u32_e32 v3, vcc, v3, v8, vcc
	v_cmp_le_i64_e32 vcc, s[48:49], v[6:7]
	s_mov_b64 s[52:53], 0
	s_orn2_b64 s[58:59], vcc, exec
.LBB52_227:                             ;   in Loop: Header=BB52_228 Depth=2
	s_and_b64 s[58:59], exec, s[58:59]
	s_or_b64 s[28:29], s[58:59], s[28:29]
	s_andn2_b64 s[50:51], s[50:51], exec
	s_and_b64 s[52:53], s[52:53], exec
	s_or_b64 s[50:51], s[50:51], s[52:53]
	s_andn2_b64 exec, exec, s[28:29]
	s_cbranch_execz .LBB52_234
.LBB52_228:                             ;   Parent Loop BB52_7 Depth=1
                                        ; =>  This Inner Loop Header: Depth=2
	v_cmp_gt_i64_e32 vcc, s[56:57], v[6:7]
	s_and_saveexec_b64 s[52:53], vcc
	s_cbranch_execz .LBB52_225
; %bb.229:                              ;   in Loop: Header=BB52_228 Depth=2
	global_load_dword v23, v[2:3], off
	s_waitcnt vmcnt(0)
	v_cmp_lt_i32_e32 vcc, -1, v23
	v_cndmask_b32_e32 v8, -1, v44, vcc
	v_xor_b32_e32 v8, v8, v23
	v_cmp_o_f32_e32 vcc, v23, v23
	v_cndmask_b32_e32 v8, -1, v8, vcc
	v_and_b32_e32 v8, v8, v45
	v_cmp_eq_u32_e32 vcc, v8, v42
	s_and_b64 exec, exec, vcc
	s_cbranch_execz .LBB52_225
; %bb.230:                              ;   in Loop: Header=BB52_228 Depth=2
	ds_write_b64 v13, v[22:23] offset:3072
	s_branch .LBB52_225
.LBB52_231:                             ;   in Loop: Header=BB52_228 Depth=2
	s_mov_b64 s[58:59], -1
                                        ; implicit-def: $vgpr6_vgpr7
                                        ; implicit-def: $vgpr2_vgpr3
	s_mov_b64 s[52:53], -1
	s_branch .LBB52_227
.LBB52_232:                             ;   in Loop: Header=BB52_7 Depth=1
                                        ; implicit-def: $sgpr2_sgpr3
	s_andn2_b64 vcc, exec, s[8:9]
	s_cbranch_vccz .LBB52_175
	s_branch .LBB52_176
.LBB52_233:                             ;   in Loop: Header=BB52_7 Depth=1
                                        ; implicit-def: $sgpr28_sgpr29
	s_branch .LBB52_192
.LBB52_234:                             ;   in Loop: Header=BB52_7 Depth=1
	s_or_b64 exec, exec, s[28:29]
	s_and_b64 s[28:29], s[50:51], exec
.LBB52_235:                             ;   in Loop: Header=BB52_7 Depth=1
	s_or_b64 exec, exec, s[46:47]
.LBB52_236:                             ;   in Loop: Header=BB52_7 Depth=1
	s_and_b64 vcc, exec, s[44:45]
	s_cbranch_vccz .LBB52_251
; %bb.237:                              ;   in Loop: Header=BB52_7 Depth=1
	v_readlane_b32 s2, v54, 24
	s_add_u32 s46, s42, s2
	v_readlane_b32 s2, v54, 25
	s_addc_u32 s3, s43, s2
	s_mov_b32 s2, s85
	s_cmp_lg_u64 s[2:3], 0
	s_cbranch_scc0 .LBB52_272
; %bb.238:                              ;   in Loop: Header=BB52_7 Depth=1
	s_add_u32 s8, s33, 0
	s_addc_u32 s9, 0, 0
	s_xor_b64 s[8:9], s[8:9], 0
	v_cvt_f32_u32_e32 v2, s8
	v_cvt_f32_u32_e32 v3, s9
	s_sub_u32 s2, 0, s8
	s_subb_u32 s47, 0, s9
	v_mac_f32_e32 v2, 0x4f800000, v3
	v_rcp_f32_e32 v2, v2
	v_mul_f32_e32 v2, 0x5f7ffffc, v2
	v_mul_f32_e32 v3, 0x2f800000, v2
	v_trunc_f32_e32 v3, v3
	v_mac_f32_e32 v2, 0xcf800000, v3
	v_cvt_u32_f32_e32 v3, v3
	v_cvt_u32_f32_e32 v2, v2
	v_readfirstlane_b32 s48, v3
	v_readfirstlane_b32 s44, v2
	s_mul_i32 s45, s2, s48
	s_mul_hi_u32 s50, s2, s44
	s_mul_i32 s49, s47, s44
	s_add_i32 s45, s50, s45
	s_mul_i32 s51, s2, s44
	s_add_i32 s45, s45, s49
	s_mul_i32 s50, s44, s45
	s_mul_hi_u32 s52, s44, s51
	s_mul_hi_u32 s49, s44, s45
	s_add_u32 s50, s52, s50
	s_addc_u32 s49, 0, s49
	s_mul_hi_u32 s53, s48, s51
	s_mul_i32 s51, s48, s51
	s_add_u32 s50, s50, s51
	s_mul_hi_u32 s52, s48, s45
	s_addc_u32 s49, s49, s53
	s_addc_u32 s50, s52, 0
	s_mul_i32 s45, s48, s45
	s_add_u32 s45, s49, s45
	s_addc_u32 s49, 0, s50
	s_add_u32 s50, s44, s45
	s_cselect_b64 s[44:45], -1, 0
	s_cmp_lg_u64 s[44:45], 0
	s_addc_u32 s48, s48, s49
	s_mul_i32 s44, s2, s48
	s_mul_hi_u32 s45, s2, s50
	s_add_i32 s44, s45, s44
	s_mul_i32 s47, s47, s50
	s_add_i32 s44, s44, s47
	s_mul_i32 s2, s2, s50
	s_mul_hi_u32 s47, s48, s2
	s_mul_i32 s49, s48, s2
	s_mul_i32 s52, s50, s44
	s_mul_hi_u32 s2, s50, s2
	s_mul_hi_u32 s51, s50, s44
	s_add_u32 s2, s2, s52
	s_addc_u32 s51, 0, s51
	s_add_u32 s2, s2, s49
	s_mul_hi_u32 s45, s48, s44
	s_addc_u32 s2, s51, s47
	s_addc_u32 s45, s45, 0
	s_mul_i32 s44, s48, s44
	s_add_u32 s2, s2, s44
	s_addc_u32 s47, 0, s45
	s_add_u32 s2, s50, s2
	s_cselect_b64 s[44:45], -1, 0
	s_cmp_lg_u64 s[44:45], 0
	s_addc_u32 s47, s48, s47
	s_ashr_i32 s44, s3, 31
	s_add_u32 s48, s46, s44
	s_mov_b32 s45, s44
	s_addc_u32 s49, s3, s44
	s_xor_b64 s[48:49], s[48:49], s[44:45]
	s_mul_i32 s51, s48, s47
	s_mul_hi_u32 s52, s48, s2
	s_mul_hi_u32 s50, s48, s47
	s_add_u32 s51, s52, s51
	s_addc_u32 s50, 0, s50
	s_mul_hi_u32 s53, s49, s2
	s_mul_i32 s2, s49, s2
	s_add_u32 s2, s51, s2
	s_mul_hi_u32 s52, s49, s47
	s_addc_u32 s2, s50, s53
	s_addc_u32 s50, s52, 0
	s_mul_i32 s47, s49, s47
	s_add_u32 s2, s2, s47
	s_addc_u32 s47, 0, s50
	s_mul_i32 s47, s8, s47
	s_mul_hi_u32 s50, s8, s2
	s_add_i32 s47, s50, s47
	s_mul_i32 s50, s9, s2
	s_add_i32 s47, s47, s50
	s_sub_i32 s52, s49, s47
	s_mul_i32 s2, s8, s2
	s_sub_u32 s2, s48, s2
	s_cselect_b64 s[50:51], -1, 0
	s_cmp_lg_u64 s[50:51], 0
	s_subb_u32 s48, s52, s9
	s_sub_u32 s58, s2, s8
	s_cselect_b64 s[52:53], -1, 0
	s_cmp_lg_u64 s[52:53], 0
	s_subb_u32 s59, s48, 0
	s_cmp_ge_u32 s59, s9
	s_cselect_b32 s65, -1, 0
	s_cmp_ge_u32 s58, s8
	s_cselect_b32 s72, -1, 0
	s_cmp_eq_u32 s59, s9
	s_cselect_b32 s65, s72, s65
	s_cmp_lg_u64 s[52:53], 0
	s_subb_u32 s48, s48, s9
	s_sub_u32 s72, s58, s8
	s_cselect_b64 s[52:53], -1, 0
	s_cmp_lg_u64 s[52:53], 0
	s_subb_u32 s48, s48, 0
	s_cmp_lg_u32 s65, 0
	s_cselect_b32 s52, s72, s58
	s_cselect_b32 s48, s48, s59
	s_cmp_lg_u64 s[50:51], 0
	s_subb_u32 s47, s49, s47
	s_cmp_ge_u32 s47, s9
	s_cselect_b32 s49, -1, 0
	s_cmp_ge_u32 s2, s8
	s_cselect_b32 s8, -1, 0
	s_cmp_eq_u32 s47, s9
	s_cselect_b32 s8, s8, s49
	s_cmp_lg_u32 s8, 0
	s_cselect_b32 s9, s48, s47
	s_cselect_b32 s8, s52, s2
	s_xor_b64 s[8:9], s[8:9], s[44:45]
	s_sub_u32 s8, s8, s44
	s_subb_u32 s9, s9, s44
	s_cbranch_execnz .LBB52_240
.LBB52_239:                             ;   in Loop: Header=BB52_7 Depth=1
	v_cvt_f32_u32_e32 v2, s33
	s_sub_i32 s2, 0, s33
	v_rcp_iflag_f32_e32 v2, v2
	v_mul_f32_e32 v2, 0x4f7ffffe, v2
	v_cvt_u32_f32_e32 v2, v2
	v_readfirstlane_b32 s8, v2
	s_mul_i32 s2, s2, s8
	s_mul_hi_u32 s2, s8, s2
	s_add_i32 s8, s8, s2
	s_mul_hi_u32 s2, s46, s8
	s_mul_i32 s2, s2, s33
	s_sub_i32 s2, s46, s2
	s_sub_i32 s8, s2, s33
	s_cmp_ge_u32 s2, s33
	s_cselect_b32 s2, s8, s2
	s_sub_i32 s8, s2, s33
	s_cmp_ge_u32 s2, s33
	s_cselect_b32 s84, s8, s2
	s_mov_b64 s[8:9], s[84:85]
.LBB52_240:                             ;   in Loop: Header=BB52_7 Depth=1
	s_sub_u32 s8, s46, s8
	s_subb_u32 s9, s3, s9
	v_cmp_gt_i64_e32 vcc, s[8:9], v[0:1]
                                        ; implicit-def: $vgpr24
	s_and_saveexec_b64 s[2:3], vcc
	s_cbranch_execz .LBB52_250
; %bb.241:                              ;   in Loop: Header=BB52_7 Depth=1
	v_mov_b32_e32 v3, v1
	s_mov_b64 s[44:45], 0
	v_mov_b32_e32 v6, v14
	v_mov_b32_e32 v2, v0
                                        ; implicit-def: $sgpr46_sgpr47
	s_branch .LBB52_245
.LBB52_242:                             ;   in Loop: Header=BB52_245 Depth=2
	s_or_b64 exec, exec, s[48:49]
	s_waitcnt lgkmcnt(0)
	s_barrier
	ds_read_b64 v[23:24], v13 offset:3072
	s_waitcnt lgkmcnt(0)
	s_barrier
	v_cmp_eq_f32_e32 vcc, 0, v23
	s_cbranch_vccz .LBB52_248
; %bb.243:                              ;   in Loop: Header=BB52_245 Depth=2
	v_add_co_u32_e32 v2, vcc, s33, v2
	v_addc_co_u32_e32 v3, vcc, 0, v3, vcc
	v_cmp_le_i64_e32 vcc, s[8:9], v[2:3]
	v_add_u32_e32 v6, s1, v6
	s_mov_b64 s[48:49], 0
	s_orn2_b64 s[50:51], vcc, exec
.LBB52_244:                             ;   in Loop: Header=BB52_245 Depth=2
	s_and_b64 s[50:51], exec, s[50:51]
	s_or_b64 s[44:45], s[50:51], s[44:45]
	s_andn2_b64 s[46:47], s[46:47], exec
	s_and_b64 s[48:49], s[48:49], exec
	s_or_b64 s[46:47], s[46:47], s[48:49]
	s_andn2_b64 exec, exec, s[44:45]
	s_cbranch_execz .LBB52_249
.LBB52_245:                             ;   Parent Loop BB52_7 Depth=1
                                        ; =>  This Inner Loop Header: Depth=2
	v_cmp_gt_u64_e32 vcc, s[42:43], v[2:3]
	s_and_saveexec_b64 s[48:49], vcc
	s_cbranch_execz .LBB52_242
; %bb.246:                              ;   in Loop: Header=BB52_245 Depth=2
	ds_read_b32 v23, v6
	s_waitcnt lgkmcnt(0)
	v_cmp_lt_i32_e32 vcc, -1, v23
	v_cndmask_b32_e32 v7, -1, v44, vcc
	v_xor_b32_e32 v7, v7, v23
	v_cmp_o_f32_e32 vcc, v23, v23
	v_cndmask_b32_e32 v7, -1, v7, vcc
	v_and_b32_e32 v7, v7, v45
	v_cmp_eq_u32_e32 vcc, v7, v42
	s_and_b64 exec, exec, vcc
	s_cbranch_execz .LBB52_242
; %bb.247:                              ;   in Loop: Header=BB52_245 Depth=2
	ds_write_b64 v13, v[22:23] offset:3072
	s_branch .LBB52_242
.LBB52_248:                             ;   in Loop: Header=BB52_245 Depth=2
	s_mov_b64 s[50:51], -1
                                        ; implicit-def: $vgpr2_vgpr3
                                        ; implicit-def: $vgpr6
	s_mov_b64 s[48:49], -1
	s_branch .LBB52_244
.LBB52_249:                             ;   in Loop: Header=BB52_7 Depth=1
	s_or_b64 exec, exec, s[44:45]
	s_andn2_b64 s[8:9], s[28:29], exec
	s_and_b64 s[28:29], s[46:47], exec
	s_or_b64 s[28:29], s[8:9], s[28:29]
.LBB52_250:                             ;   in Loop: Header=BB52_7 Depth=1
	s_or_b64 exec, exec, s[2:3]
	s_mov_b64 s[2:3], 0
	s_mov_b64 s[8:9], -1
.LBB52_251:                             ;   in Loop: Header=BB52_7 Depth=1
	s_orn2_b64 s[42:43], s[28:29], exec
.LBB52_252:                             ;   in Loop: Header=BB52_7 Depth=1
	s_or_b64 exec, exec, s[40:41]
	s_mov_b64 s[40:41], 0
	s_and_saveexec_b64 s[28:29], s[42:43]
	s_cbranch_execz .LBB52_263
; %bb.253:                              ;   in Loop: Header=BB52_7 Depth=1
	v_mov_b32_e32 v2, 1
	s_xor_b64 s[40:41], s[38:39], -1
	v_mov_b32_e32 v3, 0
	v_mov_b32_e32 v12, 1
	s_and_saveexec_b64 s[38:39], s[40:41]
	s_cbranch_execz .LBB52_262
; %bb.254:                              ;   in Loop: Header=BB52_7 Depth=1
	v_cmp_ge_i64_e32 vcc, s[12:13], v[4:5]
	s_and_saveexec_b64 s[40:41], vcc
	s_xor_b64 s[40:41], exec, s[40:41]
	s_cbranch_execz .LBB52_259
; %bb.255:                              ;   in Loop: Header=BB52_7 Depth=1
	ds_read_b64 v[2:3], v13 offset:5120
	v_or_b32_e32 v42, s64, v42
	v_or_b32_e32 v45, s64, v45
	s_waitcnt lgkmcnt(0)
	v_cmp_ne_u64_e32 vcc, 0, v[2:3]
	s_cbranch_vccnz .LBB52_259
; %bb.256:                              ;   in Loop: Header=BB52_7 Depth=1
	s_mov_b64 s[42:43], exec
	v_readlane_b32 s44, v54, 8
	v_readlane_b32 s45, v54, 9
	s_and_b64 s[44:45], s[42:43], s[44:45]
	s_mov_b64 exec, s[44:45]
; %bb.257:                              ;   in Loop: Header=BB52_7 Depth=1
	v_mov_b32_e32 v2, s12
	v_mov_b32_e32 v3, s13
	ds_write_b64 v13, v[2:3] offset:5128
; %bb.258:                              ;   in Loop: Header=BB52_7 Depth=1
	s_or_b64 exec, exec, s[42:43]
	s_waitcnt lgkmcnt(0)
	s_barrier
.LBB52_259:                             ;   in Loop: Header=BB52_7 Depth=1
	s_andn2_saveexec_b64 s[40:41], s[40:41]
; %bb.260:                              ;   in Loop: Header=BB52_7 Depth=1
	v_mov_b32_e32 v2, s13
	v_subrev_co_u32_e32 v4, vcc, s12, v4
	v_subb_co_u32_e32 v5, vcc, v5, v2, vcc
; %bb.261:                              ;   in Loop: Header=BB52_7 Depth=1
	s_or_b64 exec, exec, s[40:41]
	v_mov_b32_e32 v2, v4
	v_mov_b32_e32 v12, 8
	;; [unrolled: 1-line block ×3, first 2 shown]
.LBB52_262:                             ;   in Loop: Header=BB52_7 Depth=1
	s_or_b64 exec, exec, s[38:39]
	v_mov_b32_e32 v5, v3
	s_mov_b64 s[40:41], exec
	v_mov_b32_e32 v4, v2
.LBB52_263:                             ;   in Loop: Header=BB52_7 Depth=1
	s_or_b64 exec, exec, s[28:29]
	s_orn2_b64 s[28:29], s[40:41], exec
.LBB52_264:                             ;   in Loop: Header=BB52_7 Depth=1
	s_or_b64 exec, exec, s[20:21]
	s_andn2_b64 s[12:13], s[34:35], exec
	s_and_b64 s[8:9], s[8:9], exec
	s_or_b64 s[34:35], s[12:13], s[8:9]
	s_andn2_b64 s[8:9], s[30:31], exec
	s_and_b64 s[2:3], s[2:3], exec
	v_mov_b32_e32 v2, v4
	s_or_b64 s[30:31], s[8:9], s[2:3]
	s_and_b64 s[8:9], s[28:29], exec
	v_mov_b32_e32 v3, v5
.LBB52_265:                             ;   in Loop: Header=BB52_7 Depth=1
	s_or_b64 exec, exec, s[36:37]
	s_orn2_b64 s[2:3], s[8:9], exec
.LBB52_266:                             ;   in Loop: Header=BB52_7 Depth=1
	s_or_b64 exec, exec, s[26:27]
	s_andn2_b64 s[8:9], s[22:23], exec
	s_and_b64 s[12:13], s[34:35], exec
	s_or_b64 s[22:23], s[8:9], s[12:13]
	s_andn2_b64 s[6:7], s[6:7], exec
	s_and_b64 s[8:9], s[30:31], exec
	v_mov_b32_e32 v7, v3
	s_or_b64 s[6:7], s[6:7], s[8:9]
	s_and_b64 s[8:9], s[2:3], exec
	v_mov_b32_e32 v6, v2
.LBB52_267:                             ;   in Loop: Header=BB52_7 Depth=1
	s_or_b64 exec, exec, s[24:25]
	s_orn2_b64 s[2:3], s[8:9], exec
.LBB52_268:                             ;   in Loop: Header=BB52_7 Depth=1
	s_or_b64 exec, exec, s[18:19]
	s_mov_b64 s[8:9], 0
	s_and_saveexec_b64 s[12:13], s[2:3]
	s_xor_b64 s[2:3], exec, s[12:13]
	s_cbranch_execz .LBB52_5
; %bb.269:                              ;   in Loop: Header=BB52_7 Depth=1
	v_and_b32_e32 v2, 7, v12
	v_cmp_eq_u32_e32 vcc, 0, v2
	s_mov_b64 s[12:13], -1
	s_mov_b64 s[8:9], -1
	s_and_saveexec_b64 s[16:17], vcc
	s_cbranch_execz .LBB52_4
; %bb.270:                              ;   in Loop: Header=BB52_7 Depth=1
	s_xor_b32 s80, s80, 1
	s_add_i32 s18, s82, -2
	s_cmp_eq_u32 s82, 0
	s_cselect_b64 s[12:13], -1, 0
	s_xor_b64 s[8:9], exec, -1
	s_orn2_b64 s[12:13], s[12:13], exec
	s_mov_b32 s82, s18
	s_branch .LBB52_4
.LBB52_271:                             ;   in Loop: Header=BB52_7 Depth=1
                                        ; implicit-def: $sgpr28_sgpr29
	s_andn2_b64 vcc, exec, s[44:45]
	s_cbranch_vccz .LBB52_222
	s_branch .LBB52_223
.LBB52_272:                             ;   in Loop: Header=BB52_7 Depth=1
                                        ; implicit-def: $sgpr8_sgpr9
	s_branch .LBB52_239
.LBB52_273:
	s_or_b64 exec, exec, s[92:93]
	s_xor_b64 s[4:5], s[60:61], -1
	s_xor_b64 s[0:1], s[94:95], -1
	s_xor_b64 s[6:7], s[54:55], -1
	s_mov_b64 s[2:3], 0
	s_and_saveexec_b64 s[8:9], s[0:1]
	s_xor_b64 s[0:1], exec, s[8:9]
	s_cbranch_execnz .LBB52_278
; %bb.274:
	s_andn2_saveexec_b64 s[0:1], s[0:1]
	s_cbranch_execnz .LBB52_300
.LBB52_275:
	s_or_b64 exec, exec, s[0:1]
	s_and_saveexec_b64 s[0:1], s[2:3]
.LBB52_276:
	; divergent unreachable
.LBB52_277:
	s_endpgm
.LBB52_278:
	s_and_saveexec_b64 s[2:3], s[4:5]
	s_xor_b64 s[4:5], exec, s[2:3]
	s_cbranch_execz .LBB52_298
; %bb.279:
	s_and_saveexec_b64 s[2:3], s[6:7]
	s_xor_b64 s[2:3], exec, s[2:3]
; %bb.280:
	v_bfrev_b32_e32 v2, 1
	v_cmp_lt_i32_e32 vcc, -1, v42
	v_cndmask_b32_e64 v2, v2, -1, vcc
	v_xor_b32_e32 v24, v2, v42
; %bb.281:
	s_or_b64 exec, exec, s[2:3]
	s_mov_b64 s[2:3], exec
	v_readlane_b32 s6, v54, 8
	v_readlane_b32 s7, v54, 9
	s_and_b64 s[6:7], s[2:3], s[6:7]
	v_readlane_b32 s26, v54, 10
	v_readlane_b32 s27, v54, 11
	s_mov_b64 exec, s[6:7]
; %bb.282:
	v_mov_b32_e32 v2, 0
	v_mov_b32_e32 v3, s56
	ds_write_b32 v2, v3 offset:5140
; %bb.283:
	s_or_b64 exec, exec, s[2:3]
	s_waitcnt lgkmcnt(0)
	s_barrier
	s_mov_b64 s[6:7], exec
	v_readlane_b32 s2, v54, 20
	v_readlane_b32 s3, v54, 21
	s_and_b64 s[2:3], s[6:7], s[2:3]
	s_mov_b64 exec, s[2:3]
	s_cbranch_execz .LBB52_295
; %bb.284:
	v_mov_b32_e32 v2, 0
	ds_read_b32 v4, v2 offset:5140
	v_cmp_u_f32_e32 vcc, v24, v24
	s_mov_b64 s[8:9], 0
	s_xor_b64 s[10:11], vcc, -1
                                        ; implicit-def: $sgpr12_sgpr13
                                        ; implicit-def: $sgpr14_sgpr15
                                        ; implicit-def: $sgpr16_sgpr17
	s_waitcnt lgkmcnt(0)
	v_ashrrev_i32_e32 v5, 31, v4
	s_branch .LBB52_287
.LBB52_285:                             ;   in Loop: Header=BB52_287 Depth=1
	s_or_b64 exec, exec, s[24:25]
	s_andn2_b64 s[2:3], s[16:17], exec
	s_and_b64 s[16:17], s[20:21], exec
	s_or_b64 s[16:17], s[2:3], s[16:17]
	s_andn2_b64 s[2:3], s[14:15], exec
	s_and_b64 s[14:15], s[22:23], exec
	s_or_b64 s[14:15], s[2:3], s[14:15]
.LBB52_286:                             ;   in Loop: Header=BB52_287 Depth=1
	s_or_b64 exec, exec, s[18:19]
	s_and_b64 s[2:3], exec, s[14:15]
	s_or_b64 s[8:9], s[2:3], s[8:9]
	s_andn2_b64 s[2:3], s[12:13], exec
	s_and_b64 s[12:13], s[16:17], exec
	s_or_b64 s[12:13], s[2:3], s[12:13]
	s_andn2_b64 exec, exec, s[8:9]
	s_cbranch_execz .LBB52_290
.LBB52_287:                             ; =>This Inner Loop Header: Depth=1
	v_mov_b32_e32 v3, v1
	v_mov_b32_e32 v2, v0
	v_cmp_lt_i64_e32 vcc, v[2:3], v[4:5]
	s_or_b64 s[16:17], s[16:17], exec
	s_or_b64 s[14:15], s[14:15], exec
                                        ; implicit-def: $vgpr0_vgpr1
	s_and_saveexec_b64 s[18:19], vcc
	s_cbranch_execz .LBB52_286
; %bb.288:                              ;   in Loop: Header=BB52_287 Depth=1
	global_load_dword v0, v[10:11], off
	s_mov_b64 s[22:23], -1
	s_mov_b64 s[20:21], 0
	s_waitcnt vmcnt(0)
	v_cmp_o_f32_e64 s[2:3], v0, v0
	v_cmp_neq_f32_e32 vcc, v0, v24
	s_or_b64 s[2:3], s[2:3], s[10:11]
	s_and_b64 s[2:3], vcc, s[2:3]
                                        ; implicit-def: $vgpr0_vgpr1
	s_and_saveexec_b64 s[24:25], s[2:3]
	s_cbranch_execz .LBB52_285
; %bb.289:                              ;   in Loop: Header=BB52_287 Depth=1
	v_add_co_u32_e32 v0, vcc, s33, v2
	v_addc_co_u32_e32 v1, vcc, 0, v3, vcc
	v_cmp_le_i64_e32 vcc, s[56:57], v[0:1]
	v_mov_b32_e32 v3, s71
	v_add_co_u32_e64 v10, s[2:3], s70, v10
	s_mov_b64 s[20:21], exec
	v_addc_co_u32_e64 v11, s[2:3], v11, v3, s[2:3]
	s_orn2_b64 s[22:23], vcc, exec
	s_branch .LBB52_285
.LBB52_290:
	s_or_b64 exec, exec, s[8:9]
	s_xor_b64 s[2:3], s[12:13], -1
	s_and_saveexec_b64 s[8:9], s[2:3]
	s_xor_b64 s[8:9], exec, s[8:9]
	s_cbranch_execz .LBB52_295
; %bb.291:
	s_mov_b64 s[2:3], exec
	s_brev_b32 s8, -2
.LBB52_292:                             ; =>This Inner Loop Header: Depth=1
	s_ff1_i32_b64 s9, s[2:3]
	v_readlane_b32 s12, v2, s9
	s_lshl_b64 s[10:11], 1, s9
	s_min_i32 s8, s8, s12
	s_andn2_b64 s[2:3], s[2:3], s[10:11]
	s_cmp_lg_u64 s[2:3], 0
	s_cbranch_scc1 .LBB52_292
; %bb.293:
	v_mbcnt_lo_u32_b32 v0, exec_lo, 0
	v_mbcnt_hi_u32_b32 v0, exec_hi, v0
	v_cmp_eq_u32_e32 vcc, 0, v0
	s_and_saveexec_b64 s[2:3], vcc
	s_xor_b64 s[2:3], exec, s[2:3]
; %bb.294:
	v_mov_b32_e32 v0, 0
	v_mov_b32_e32 v1, s8
	ds_min_i32 v0, v1 offset:5140
.LBB52_295:
	s_or_b64 exec, exec, s[6:7]
	s_waitcnt lgkmcnt(0)
	s_barrier
	s_mov_b64 s[2:3], exec
	v_readlane_b32 s6, v54, 8
	v_readlane_b32 s7, v54, 9
	s_and_b64 s[6:7], s[2:3], s[6:7]
	s_mov_b64 exec, s[6:7]
	s_cbranch_execz .LBB52_297
; %bb.296:
	v_readlane_b32 s8, v54, 4
	v_readlane_b32 s9, v54, 5
	;; [unrolled: 1-line block ×3, first 2 shown]
	s_mul_i32 s6, s9, s26
	s_mul_hi_u32 s7, s8, s26
	v_readlane_b32 s11, v54, 1
	v_mov_b32_e32 v2, 0
	s_add_i32 s7, s7, s6
	s_mul_i32 s6, s8, s26
	s_mul_i32 s8, s11, s26
	s_mul_hi_u32 s9, s10, s26
	ds_read_b32 v0, v2 offset:5140
	s_add_i32 s9, s9, s8
	s_mul_i32 s8, s10, s26
	s_lshl_b64 s[6:7], s[6:7], 2
	v_readlane_b32 s10, v54, 6
	v_readlane_b32 s11, v54, 7
	s_add_u32 s6, s10, s6
	s_addc_u32 s7, s11, s7
	s_lshl_b64 s[8:9], s[8:9], 3
	v_readlane_b32 s10, v54, 2
	v_readlane_b32 s11, v54, 3
	s_add_u32 s8, s10, s8
	s_addc_u32 s9, s11, s9
	s_waitcnt lgkmcnt(0)
	v_ashrrev_i32_e32 v1, 31, v0
	global_store_dwordx2 v2, v[0:1], s[8:9]
	global_store_dword v2, v24, s[6:7]
.LBB52_297:
	s_or_b64 exec, exec, s[2:3]
.LBB52_298:
	s_or_saveexec_b64 s[2:3], s[4:5]
	s_mov_b64 s[4:5], 0
	s_xor_b64 exec, exec, s[2:3]
	s_cbranch_execnz .LBB52_301
.LBB52_299:
	s_or_b64 exec, exec, s[2:3]
	s_and_b64 s[2:3], s[4:5], exec
	s_andn2_saveexec_b64 s[0:1], s[0:1]
	s_cbranch_execz .LBB52_275
.LBB52_300:
	s_or_b64 s[2:3], s[2:3], exec
	s_trap 2
	s_or_b64 exec, exec, s[0:1]
	s_and_saveexec_b64 s[0:1], s[2:3]
	s_cbranch_execnz .LBB52_276
	s_branch .LBB52_277
.LBB52_301:
	s_mov_b64 s[4:5], exec
	s_trap 2
	s_branch .LBB52_299
	.section	.rodata,"a",@progbits
	.p2align	6, 0x0
	.amdhsa_kernel _ZN2at6native12_GLOBAL__N_114gatherKthValueIflLi1EEEvNS_4cuda6detail10TensorInfoIKT_T0_EES8_S8_S8_S8_NS5_IS6_S8_EENS5_IlS8_EE
		.amdhsa_group_segment_fixed_size 5144
		.amdhsa_private_segment_fixed_size 0
		.amdhsa_kernarg_size 1536
		.amdhsa_user_sgpr_count 6
		.amdhsa_user_sgpr_private_segment_buffer 1
		.amdhsa_user_sgpr_dispatch_ptr 0
		.amdhsa_user_sgpr_queue_ptr 0
		.amdhsa_user_sgpr_kernarg_segment_ptr 1
		.amdhsa_user_sgpr_dispatch_id 0
		.amdhsa_user_sgpr_flat_scratch_init 0
		.amdhsa_user_sgpr_private_segment_size 0
		.amdhsa_uses_dynamic_stack 0
		.amdhsa_system_sgpr_private_segment_wavefront_offset 0
		.amdhsa_system_sgpr_workgroup_id_x 1
		.amdhsa_system_sgpr_workgroup_id_y 1
		.amdhsa_system_sgpr_workgroup_id_z 1
		.amdhsa_system_sgpr_workgroup_info 0
		.amdhsa_system_vgpr_workitem_id 0
		.amdhsa_next_free_vgpr 55
		.amdhsa_next_free_sgpr 96
		.amdhsa_reserve_vcc 1
		.amdhsa_reserve_flat_scratch 0
		.amdhsa_float_round_mode_32 0
		.amdhsa_float_round_mode_16_64 0
		.amdhsa_float_denorm_mode_32 3
		.amdhsa_float_denorm_mode_16_64 3
		.amdhsa_dx10_clamp 1
		.amdhsa_ieee_mode 1
		.amdhsa_fp16_overflow 0
		.amdhsa_exception_fp_ieee_invalid_op 0
		.amdhsa_exception_fp_denorm_src 0
		.amdhsa_exception_fp_ieee_div_zero 0
		.amdhsa_exception_fp_ieee_overflow 0
		.amdhsa_exception_fp_ieee_underflow 0
		.amdhsa_exception_fp_ieee_inexact 0
		.amdhsa_exception_int_div_zero 0
	.end_amdhsa_kernel
	.section	.text._ZN2at6native12_GLOBAL__N_114gatherKthValueIflLi1EEEvNS_4cuda6detail10TensorInfoIKT_T0_EES8_S8_S8_S8_NS5_IS6_S8_EENS5_IlS8_EE,"axG",@progbits,_ZN2at6native12_GLOBAL__N_114gatherKthValueIflLi1EEEvNS_4cuda6detail10TensorInfoIKT_T0_EES8_S8_S8_S8_NS5_IS6_S8_EENS5_IlS8_EE,comdat
.Lfunc_end52:
	.size	_ZN2at6native12_GLOBAL__N_114gatherKthValueIflLi1EEEvNS_4cuda6detail10TensorInfoIKT_T0_EES8_S8_S8_S8_NS5_IS6_S8_EENS5_IlS8_EE, .Lfunc_end52-_ZN2at6native12_GLOBAL__N_114gatherKthValueIflLi1EEEvNS_4cuda6detail10TensorInfoIKT_T0_EES8_S8_S8_S8_NS5_IS6_S8_EENS5_IlS8_EE
                                        ; -- End function
	.set _ZN2at6native12_GLOBAL__N_114gatherKthValueIflLi1EEEvNS_4cuda6detail10TensorInfoIKT_T0_EES8_S8_S8_S8_NS5_IS6_S8_EENS5_IlS8_EE.num_vgpr, 55
	.set _ZN2at6native12_GLOBAL__N_114gatherKthValueIflLi1EEEvNS_4cuda6detail10TensorInfoIKT_T0_EES8_S8_S8_S8_NS5_IS6_S8_EENS5_IlS8_EE.num_agpr, 0
	.set _ZN2at6native12_GLOBAL__N_114gatherKthValueIflLi1EEEvNS_4cuda6detail10TensorInfoIKT_T0_EES8_S8_S8_S8_NS5_IS6_S8_EENS5_IlS8_EE.numbered_sgpr, 96
	.set _ZN2at6native12_GLOBAL__N_114gatherKthValueIflLi1EEEvNS_4cuda6detail10TensorInfoIKT_T0_EES8_S8_S8_S8_NS5_IS6_S8_EENS5_IlS8_EE.num_named_barrier, 0
	.set _ZN2at6native12_GLOBAL__N_114gatherKthValueIflLi1EEEvNS_4cuda6detail10TensorInfoIKT_T0_EES8_S8_S8_S8_NS5_IS6_S8_EENS5_IlS8_EE.private_seg_size, 0
	.set _ZN2at6native12_GLOBAL__N_114gatherKthValueIflLi1EEEvNS_4cuda6detail10TensorInfoIKT_T0_EES8_S8_S8_S8_NS5_IS6_S8_EENS5_IlS8_EE.uses_vcc, 1
	.set _ZN2at6native12_GLOBAL__N_114gatherKthValueIflLi1EEEvNS_4cuda6detail10TensorInfoIKT_T0_EES8_S8_S8_S8_NS5_IS6_S8_EENS5_IlS8_EE.uses_flat_scratch, 0
	.set _ZN2at6native12_GLOBAL__N_114gatherKthValueIflLi1EEEvNS_4cuda6detail10TensorInfoIKT_T0_EES8_S8_S8_S8_NS5_IS6_S8_EENS5_IlS8_EE.has_dyn_sized_stack, 0
	.set _ZN2at6native12_GLOBAL__N_114gatherKthValueIflLi1EEEvNS_4cuda6detail10TensorInfoIKT_T0_EES8_S8_S8_S8_NS5_IS6_S8_EENS5_IlS8_EE.has_recursion, 0
	.set _ZN2at6native12_GLOBAL__N_114gatherKthValueIflLi1EEEvNS_4cuda6detail10TensorInfoIKT_T0_EES8_S8_S8_S8_NS5_IS6_S8_EENS5_IlS8_EE.has_indirect_call, 0
	.section	.AMDGPU.csdata,"",@progbits
; Kernel info:
; codeLenInByte = 16148
; TotalNumSgprs: 100
; NumVgprs: 55
; ScratchSize: 0
; MemoryBound: 0
; FloatMode: 240
; IeeeMode: 1
; LDSByteSize: 5144 bytes/workgroup (compile time only)
; SGPRBlocks: 12
; VGPRBlocks: 13
; NumSGPRsForWavesPerEU: 100
; NumVGPRsForWavesPerEU: 55
; Occupancy: 4
; WaveLimiterHint : 1
; COMPUTE_PGM_RSRC2:SCRATCH_EN: 0
; COMPUTE_PGM_RSRC2:USER_SGPR: 6
; COMPUTE_PGM_RSRC2:TRAP_HANDLER: 0
; COMPUTE_PGM_RSRC2:TGID_X_EN: 1
; COMPUTE_PGM_RSRC2:TGID_Y_EN: 1
; COMPUTE_PGM_RSRC2:TGID_Z_EN: 1
; COMPUTE_PGM_RSRC2:TIDIG_COMP_CNT: 0
	.section	.text._ZN2at6native12_GLOBAL__N_114gatherKthValueIflLi2EEEvNS_4cuda6detail10TensorInfoIKT_T0_EES8_S8_S8_S8_NS5_IS6_S8_EENS5_IlS8_EE,"axG",@progbits,_ZN2at6native12_GLOBAL__N_114gatherKthValueIflLi2EEEvNS_4cuda6detail10TensorInfoIKT_T0_EES8_S8_S8_S8_NS5_IS6_S8_EENS5_IlS8_EE,comdat
	.globl	_ZN2at6native12_GLOBAL__N_114gatherKthValueIflLi2EEEvNS_4cuda6detail10TensorInfoIKT_T0_EES8_S8_S8_S8_NS5_IS6_S8_EENS5_IlS8_EE ; -- Begin function _ZN2at6native12_GLOBAL__N_114gatherKthValueIflLi2EEEvNS_4cuda6detail10TensorInfoIKT_T0_EES8_S8_S8_S8_NS5_IS6_S8_EENS5_IlS8_EE
	.p2align	8
	.type	_ZN2at6native12_GLOBAL__N_114gatherKthValueIflLi2EEEvNS_4cuda6detail10TensorInfoIKT_T0_EES8_S8_S8_S8_NS5_IS6_S8_EENS5_IlS8_EE,@function
_ZN2at6native12_GLOBAL__N_114gatherKthValueIflLi2EEEvNS_4cuda6detail10TensorInfoIKT_T0_EES8_S8_S8_S8_NS5_IS6_S8_EENS5_IlS8_EE: ; @_ZN2at6native12_GLOBAL__N_114gatherKthValueIflLi2EEEvNS_4cuda6detail10TensorInfoIKT_T0_EES8_S8_S8_S8_NS5_IS6_S8_EENS5_IlS8_EE
; %bb.0:
	s_load_dwordx2 s[14:15], s[4:5], 0x500
	s_load_dwordx8 s[56:63], s[4:5], 0x1a0
	s_add_u32 s12, s4, 0x500
	s_addc_u32 s13, s5, 0
	s_mov_b32 s29, 0
	s_waitcnt lgkmcnt(0)
	s_mul_i32 s0, s15, s8
	s_add_i32 s0, s0, s7
	s_mul_i32 s0, s0, s14
	s_add_i32 s28, s0, s6
	v_mov_b32_e32 v1, s28
	v_mov_b32_e32 v2, s29
	v_cmp_le_i64_e32 vcc, s[60:61], v[1:2]
	s_cbranch_vccnz .LBB53_286
; %bb.1:
	s_load_dwordx2 s[2:3], s[4:5], 0x10
	s_load_dwordx2 s[26:27], s[4:5], 0x1d0
	s_mov_b32 s0, s29
	s_waitcnt lgkmcnt(0)
	s_mov_b32 s1, s3
	s_cmp_lg_u64 s[0:1], 0
	s_cbranch_scc0 .LBB53_299
; %bb.2:
	s_ashr_i32 s0, s3, 31
	s_add_u32 s8, s2, s0
	s_mov_b32 s1, s0
	s_addc_u32 s9, s3, s0
	s_xor_b64 s[10:11], s[8:9], s[0:1]
	v_cvt_f32_u32_e32 v1, s10
	v_cvt_f32_u32_e32 v2, s11
	s_sub_u32 s7, 0, s10
	s_subb_u32 s15, 0, s11
	v_madmk_f32 v1, v2, 0x4f800000, v1
	v_rcp_f32_e32 v1, v1
	v_mul_f32_e32 v1, 0x5f7ffffc, v1
	v_mul_f32_e32 v2, 0x2f800000, v1
	v_trunc_f32_e32 v2, v2
	v_madmk_f32 v1, v2, 0xcf800000, v1
	v_cvt_u32_f32_e32 v2, v2
	v_cvt_u32_f32_e32 v1, v1
	v_readfirstlane_b32 s18, v2
	v_readfirstlane_b32 s16, v1
	s_mul_i32 s17, s7, s18
	s_mul_hi_u32 s20, s7, s16
	s_mul_i32 s19, s15, s16
	s_add_i32 s17, s20, s17
	s_add_i32 s17, s17, s19
	s_mul_i32 s21, s7, s16
	s_mul_i32 s20, s16, s17
	s_mul_hi_u32 s22, s16, s21
	s_mul_hi_u32 s19, s16, s17
	s_add_u32 s20, s22, s20
	s_addc_u32 s19, 0, s19
	s_mul_hi_u32 s23, s18, s21
	s_mul_i32 s21, s18, s21
	s_add_u32 s20, s20, s21
	s_mul_hi_u32 s22, s18, s17
	s_addc_u32 s19, s19, s23
	s_addc_u32 s20, s22, 0
	s_mul_i32 s17, s18, s17
	s_add_u32 s17, s19, s17
	s_addc_u32 s19, 0, s20
	s_add_u32 s20, s16, s17
	s_cselect_b64 s[16:17], -1, 0
	s_cmp_lg_u64 s[16:17], 0
	s_addc_u32 s18, s18, s19
	s_mul_i32 s16, s7, s18
	s_mul_hi_u32 s17, s7, s20
	s_add_i32 s16, s17, s16
	s_mul_i32 s15, s15, s20
	s_add_i32 s16, s16, s15
	s_mul_i32 s7, s7, s20
	s_mul_hi_u32 s17, s18, s7
	s_mul_i32 s19, s18, s7
	s_mul_i32 s22, s20, s16
	s_mul_hi_u32 s7, s20, s7
	s_mul_hi_u32 s21, s20, s16
	s_add_u32 s7, s7, s22
	s_addc_u32 s21, 0, s21
	s_add_u32 s7, s7, s19
	s_mul_hi_u32 s15, s18, s16
	s_addc_u32 s7, s21, s17
	s_addc_u32 s15, s15, 0
	s_mul_i32 s16, s18, s16
	s_add_u32 s7, s7, s16
	s_addc_u32 s15, 0, s15
	s_add_u32 s7, s20, s7
	s_cselect_b64 s[16:17], -1, 0
	s_cmp_lg_u64 s[16:17], 0
	s_addc_u32 s15, s18, s15
	s_add_u32 s16, s28, 0
	s_addc_u32 s17, 0, 0
	s_xor_b64 s[16:17], s[16:17], 0
	s_mul_i32 s19, s16, s15
	s_mul_hi_u32 s20, s16, s7
	s_mul_hi_u32 s18, s16, s15
	s_add_u32 s19, s20, s19
	s_addc_u32 s18, 0, s18
	s_mul_hi_u32 s21, s17, s7
	s_mul_i32 s7, s17, s7
	s_add_u32 s7, s19, s7
	s_mul_hi_u32 s20, s17, s15
	s_addc_u32 s7, s18, s21
	s_addc_u32 s18, s20, 0
	s_mul_i32 s15, s17, s15
	s_add_u32 s7, s7, s15
	s_addc_u32 s15, 0, s18
	s_mul_i32 s18, s10, s15
	s_mul_hi_u32 s19, s10, s7
	s_add_i32 s18, s19, s18
	s_mul_i32 s19, s11, s7
	s_add_i32 s22, s18, s19
	s_sub_i32 s20, s17, s22
	s_mul_i32 s18, s10, s7
	s_sub_u32 s16, s16, s18
	s_cselect_b64 s[18:19], -1, 0
	s_cmp_lg_u64 s[18:19], 0
	s_subb_u32 s23, s20, s11
	s_sub_u32 s24, s16, s10
	s_cselect_b64 s[20:21], -1, 0
	s_cmp_lg_u64 s[20:21], 0
	s_subb_u32 s20, s23, 0
	s_cmp_ge_u32 s20, s11
	s_cselect_b32 s21, -1, 0
	s_cmp_ge_u32 s24, s10
	s_cselect_b32 s23, -1, 0
	s_cmp_eq_u32 s20, s11
	s_cselect_b32 s20, s23, s21
	s_add_u32 s21, s7, 1
	s_addc_u32 s23, s15, 0
	s_add_u32 s24, s7, 2
	s_addc_u32 s25, s15, 0
	s_cmp_lg_u32 s20, 0
	s_cselect_b32 s20, s24, s21
	s_cselect_b32 s21, s25, s23
	s_cmp_lg_u64 s[18:19], 0
	s_subb_u32 s17, s17, s22
	s_cmp_ge_u32 s17, s11
	s_cselect_b32 s18, -1, 0
	s_cmp_ge_u32 s16, s10
	s_cselect_b32 s10, -1, 0
	s_cmp_eq_u32 s17, s11
	s_cselect_b32 s10, s10, s18
	s_cmp_lg_u32 s10, 0
	s_cselect_b32 s11, s21, s15
	s_cselect_b32 s10, s20, s7
	s_xor_b64 s[0:1], 0, s[0:1]
	s_xor_b64 s[10:11], s[10:11], s[0:1]
	s_sub_u32 s16, s10, s0
	s_subb_u32 s17, s11, s1
	s_cbranch_execnz .LBB53_4
.LBB53_3:
	v_cvt_f32_u32_e32 v1, s2
	s_sub_i32 s0, 0, s2
	s_mov_b32 s17, 0
	v_rcp_iflag_f32_e32 v1, v1
	v_mul_f32_e32 v1, 0x4f7ffffe, v1
	v_cvt_u32_f32_e32 v1, v1
	v_readfirstlane_b32 s1, v1
	s_mul_i32 s0, s0, s1
	s_mul_hi_u32 s0, s1, s0
	s_add_i32 s1, s1, s0
	s_mul_hi_u32 s0, s28, s1
	s_mul_i32 s7, s0, s2
	s_sub_i32 s7, s28, s7
	s_add_i32 s1, s0, 1
	s_sub_i32 s8, s7, s2
	s_cmp_ge_u32 s7, s2
	s_cselect_b32 s0, s1, s0
	s_cselect_b32 s7, s8, s7
	s_add_i32 s1, s0, 1
	s_cmp_ge_u32 s7, s2
	s_cselect_b32 s16, s1, s0
.LBB53_4:
	s_load_dwordx2 s[10:11], s[4:5], 0x370
                                        ; implicit-def: $vgpr56 : SGPR spill to VGPR lane
	s_mov_b32 s1, s27
	v_writelane_b32 v56, s26, 0
	s_mov_b32 s0, 0
	v_writelane_b32 v56, s27, 1
	s_cmp_lg_u64 s[0:1], 0
	s_waitcnt lgkmcnt(0)
	v_writelane_b32 v56, s10, 2
	v_writelane_b32 v56, s11, 3
	s_cbranch_scc0 .LBB53_300
; %bb.5:
	s_ashr_i32 s0, s27, 31
	s_add_u32 s8, s26, s0
	s_mov_b32 s1, s0
	s_addc_u32 s9, s27, s0
	s_xor_b64 s[10:11], s[8:9], s[0:1]
	v_cvt_f32_u32_e32 v1, s10
	v_cvt_f32_u32_e32 v2, s11
	s_sub_u32 s7, 0, s10
	s_subb_u32 s15, 0, s11
	v_madmk_f32 v1, v2, 0x4f800000, v1
	v_rcp_f32_e32 v1, v1
	v_mul_f32_e32 v1, 0x5f7ffffc, v1
	v_mul_f32_e32 v2, 0x2f800000, v1
	v_trunc_f32_e32 v2, v2
	v_madmk_f32 v1, v2, 0xcf800000, v1
	v_cvt_u32_f32_e32 v2, v2
	v_cvt_u32_f32_e32 v1, v1
	v_readfirstlane_b32 s20, v2
	v_readfirstlane_b32 s18, v1
	s_mul_i32 s19, s7, s20
	s_mul_hi_u32 s22, s7, s18
	s_mul_i32 s21, s15, s18
	s_add_i32 s19, s22, s19
	s_add_i32 s19, s19, s21
	s_mul_i32 s23, s7, s18
	s_mul_i32 s22, s18, s19
	s_mul_hi_u32 s24, s18, s23
	s_mul_hi_u32 s21, s18, s19
	s_add_u32 s22, s24, s22
	s_addc_u32 s21, 0, s21
	s_mul_hi_u32 s25, s20, s23
	s_mul_i32 s23, s20, s23
	s_add_u32 s22, s22, s23
	s_mul_hi_u32 s24, s20, s19
	s_addc_u32 s21, s21, s25
	s_addc_u32 s22, s24, 0
	s_mul_i32 s19, s20, s19
	s_add_u32 s19, s21, s19
	s_addc_u32 s21, 0, s22
	s_add_u32 s22, s18, s19
	s_cselect_b64 s[18:19], -1, 0
	s_cmp_lg_u64 s[18:19], 0
	s_addc_u32 s20, s20, s21
	s_mul_i32 s18, s7, s20
	s_mul_hi_u32 s19, s7, s22
	s_add_i32 s18, s19, s18
	s_mul_i32 s15, s15, s22
	s_add_i32 s18, s18, s15
	s_mul_i32 s7, s7, s22
	s_mul_hi_u32 s19, s20, s7
	s_mul_i32 s21, s20, s7
	s_mul_i32 s24, s22, s18
	s_mul_hi_u32 s7, s22, s7
	s_mul_hi_u32 s23, s22, s18
	s_add_u32 s7, s7, s24
	s_addc_u32 s23, 0, s23
	s_add_u32 s7, s7, s21
	s_mul_hi_u32 s15, s20, s18
	s_addc_u32 s7, s23, s19
	s_addc_u32 s15, s15, 0
	s_mul_i32 s18, s20, s18
	s_add_u32 s7, s7, s18
	s_addc_u32 s15, 0, s15
	s_add_u32 s7, s22, s7
	s_cselect_b64 s[18:19], -1, 0
	s_cmp_lg_u64 s[18:19], 0
	s_addc_u32 s15, s20, s15
	s_add_u32 s18, s28, 0
	s_addc_u32 s19, 0, 0
	s_xor_b64 s[18:19], s[18:19], 0
	s_mul_i32 s21, s18, s15
	s_mul_hi_u32 s22, s18, s7
	s_mul_hi_u32 s20, s18, s15
	s_add_u32 s21, s22, s21
	s_addc_u32 s20, 0, s20
	s_mul_hi_u32 s23, s19, s7
	s_mul_i32 s7, s19, s7
	s_add_u32 s7, s21, s7
	s_mul_hi_u32 s22, s19, s15
	s_addc_u32 s7, s20, s23
	s_addc_u32 s20, s22, 0
	s_mul_i32 s15, s19, s15
	s_add_u32 s7, s7, s15
	s_addc_u32 s15, 0, s20
	s_mul_i32 s20, s10, s15
	s_mul_hi_u32 s21, s10, s7
	s_add_i32 s20, s21, s20
	s_mul_i32 s21, s11, s7
	s_add_i32 s24, s20, s21
	s_sub_i32 s22, s19, s24
	s_mul_i32 s20, s10, s7
	s_sub_u32 s18, s18, s20
	s_cselect_b64 s[20:21], -1, 0
	s_cmp_lg_u64 s[20:21], 0
	s_subb_u32 s25, s22, s11
	s_sub_u32 s26, s18, s10
	s_cselect_b64 s[22:23], -1, 0
	s_cmp_lg_u64 s[22:23], 0
	s_subb_u32 s22, s25, 0
	s_cmp_ge_u32 s22, s11
	s_cselect_b32 s23, -1, 0
	s_cmp_ge_u32 s26, s10
	s_cselect_b32 s25, -1, 0
	s_cmp_eq_u32 s22, s11
	s_cselect_b32 s22, s25, s23
	s_add_u32 s23, s7, 1
	s_addc_u32 s25, s15, 0
	s_add_u32 s26, s7, 2
	s_addc_u32 s27, s15, 0
	s_cmp_lg_u32 s22, 0
	s_cselect_b32 s22, s26, s23
	s_cselect_b32 s23, s27, s25
	s_cmp_lg_u64 s[20:21], 0
	s_subb_u32 s19, s19, s24
	s_cmp_ge_u32 s19, s11
	s_cselect_b32 s20, -1, 0
	s_cmp_ge_u32 s18, s10
	s_cselect_b32 s10, -1, 0
	s_cmp_eq_u32 s19, s11
	s_cselect_b32 s10, s10, s20
	s_cmp_lg_u32 s10, 0
	s_cselect_b32 s11, s23, s15
	s_cselect_b32 s10, s22, s7
	s_xor_b64 s[0:1], 0, s[0:1]
	s_xor_b64 s[10:11], s[10:11], s[0:1]
	s_sub_u32 s0, s10, s0
	s_load_dwordx2 s[26:27], s[4:5], 0x1d0
	s_subb_u32 s1, s11, s1
	s_load_dwordx2 s[10:11], s[4:5], 0x370
	v_writelane_b32 v56, s0, 4
	v_writelane_b32 v56, s1, 5
	s_cbranch_execnz .LBB53_7
.LBB53_6:
	s_waitcnt lgkmcnt(0)
	v_cvt_f32_u32_e32 v1, s26
	s_sub_i32 s0, 0, s26
	s_mov_b32 s9, 0
	v_rcp_iflag_f32_e32 v1, v1
	v_mul_f32_e32 v1, 0x4f7ffffe, v1
	v_cvt_u32_f32_e32 v1, v1
	v_readfirstlane_b32 s1, v1
	s_mul_i32 s0, s0, s1
	s_mul_hi_u32 s0, s1, s0
	s_add_i32 s1, s1, s0
	s_mul_hi_u32 s0, s28, s1
	s_mul_i32 s7, s0, s26
	s_sub_i32 s7, s28, s7
	s_add_i32 s1, s0, 1
	s_sub_i32 s8, s7, s26
	s_cmp_ge_u32 s7, s26
	s_cselect_b32 s0, s1, s0
	s_cselect_b32 s7, s8, s7
	s_add_i32 s1, s0, 1
	s_cmp_ge_u32 s7, s26
	s_cselect_b32 s8, s1, s0
	v_writelane_b32 v56, s8, 4
	v_writelane_b32 v56, s9, 5
.LBB53_7:
	s_mov_b32 s0, 0
	s_waitcnt lgkmcnt(0)
	s_mov_b32 s1, s11
	s_cmp_lg_u64 s[0:1], 0
	s_cbranch_scc0 .LBB53_301
; %bb.8:
	s_ashr_i32 s0, s11, 31
	s_add_u32 s8, s10, s0
	s_mov_b32 s1, s0
	s_addc_u32 s9, s11, s0
	s_xor_b64 s[10:11], s[8:9], s[0:1]
	v_cvt_f32_u32_e32 v1, s10
	v_cvt_f32_u32_e32 v2, s11
	s_sub_u32 s7, 0, s10
	s_subb_u32 s15, 0, s11
	v_madmk_f32 v1, v2, 0x4f800000, v1
	v_rcp_f32_e32 v1, v1
	v_mul_f32_e32 v1, 0x5f7ffffc, v1
	v_mul_f32_e32 v2, 0x2f800000, v1
	v_trunc_f32_e32 v2, v2
	v_madmk_f32 v1, v2, 0xcf800000, v1
	v_cvt_u32_f32_e32 v2, v2
	v_cvt_u32_f32_e32 v1, v1
	v_readfirstlane_b32 s20, v2
	v_readfirstlane_b32 s18, v1
	s_mul_i32 s19, s7, s20
	s_mul_hi_u32 s22, s7, s18
	s_mul_i32 s21, s15, s18
	s_add_i32 s19, s22, s19
	s_add_i32 s19, s19, s21
	s_mul_i32 s23, s7, s18
	s_mul_i32 s22, s18, s19
	s_mul_hi_u32 s24, s18, s23
	s_mul_hi_u32 s21, s18, s19
	s_add_u32 s22, s24, s22
	s_addc_u32 s21, 0, s21
	s_mul_hi_u32 s25, s20, s23
	s_mul_i32 s23, s20, s23
	s_add_u32 s22, s22, s23
	s_mul_hi_u32 s24, s20, s19
	s_addc_u32 s21, s21, s25
	s_addc_u32 s22, s24, 0
	s_mul_i32 s19, s20, s19
	s_add_u32 s19, s21, s19
	s_addc_u32 s21, 0, s22
	s_add_u32 s22, s18, s19
	s_cselect_b64 s[18:19], -1, 0
	s_cmp_lg_u64 s[18:19], 0
	s_addc_u32 s20, s20, s21
	s_mul_i32 s18, s7, s20
	s_mul_hi_u32 s19, s7, s22
	s_add_i32 s18, s19, s18
	s_mul_i32 s15, s15, s22
	s_add_i32 s18, s18, s15
	s_mul_i32 s7, s7, s22
	s_mul_hi_u32 s19, s20, s7
	s_mul_i32 s21, s20, s7
	s_mul_i32 s24, s22, s18
	s_mul_hi_u32 s7, s22, s7
	s_mul_hi_u32 s23, s22, s18
	s_add_u32 s7, s7, s24
	s_addc_u32 s23, 0, s23
	s_add_u32 s7, s7, s21
	s_mul_hi_u32 s15, s20, s18
	s_addc_u32 s7, s23, s19
	s_addc_u32 s15, s15, 0
	s_mul_i32 s18, s20, s18
	s_add_u32 s7, s7, s18
	s_addc_u32 s15, 0, s15
	s_add_u32 s7, s22, s7
	s_cselect_b64 s[18:19], -1, 0
	s_cmp_lg_u64 s[18:19], 0
	s_addc_u32 s15, s20, s15
	s_add_u32 s18, s28, 0
	s_addc_u32 s19, 0, 0
	s_xor_b64 s[18:19], s[18:19], 0
	s_mul_i32 s21, s18, s15
	s_mul_hi_u32 s22, s18, s7
	s_mul_hi_u32 s20, s18, s15
	s_add_u32 s21, s22, s21
	s_addc_u32 s20, 0, s20
	s_mul_hi_u32 s23, s19, s7
	s_mul_i32 s7, s19, s7
	s_add_u32 s7, s21, s7
	s_mul_hi_u32 s22, s19, s15
	s_addc_u32 s7, s20, s23
	s_addc_u32 s20, s22, 0
	s_mul_i32 s15, s19, s15
	s_add_u32 s7, s7, s15
	s_addc_u32 s15, 0, s20
	s_mul_i32 s20, s10, s15
	s_mul_hi_u32 s21, s10, s7
	s_add_i32 s20, s21, s20
	s_mul_i32 s21, s11, s7
	s_add_i32 s24, s20, s21
	s_sub_i32 s22, s19, s24
	s_mul_i32 s20, s10, s7
	s_sub_u32 s18, s18, s20
	s_cselect_b64 s[20:21], -1, 0
	s_cmp_lg_u64 s[20:21], 0
	s_subb_u32 s25, s22, s11
	s_sub_u32 s26, s18, s10
	s_cselect_b64 s[22:23], -1, 0
	s_cmp_lg_u64 s[22:23], 0
	s_subb_u32 s22, s25, 0
	s_cmp_ge_u32 s22, s11
	s_cselect_b32 s23, -1, 0
	s_cmp_ge_u32 s26, s10
	s_cselect_b32 s25, -1, 0
	s_cmp_eq_u32 s22, s11
	s_cselect_b32 s22, s25, s23
	s_add_u32 s23, s7, 1
	s_addc_u32 s25, s15, 0
	s_add_u32 s26, s7, 2
	s_addc_u32 s27, s15, 0
	s_cmp_lg_u32 s22, 0
	s_cselect_b32 s22, s26, s23
	s_cselect_b32 s23, s27, s25
	s_cmp_lg_u64 s[20:21], 0
	s_subb_u32 s19, s19, s24
	s_cmp_ge_u32 s19, s11
	s_cselect_b32 s20, -1, 0
	s_cmp_ge_u32 s18, s10
	s_cselect_b32 s10, -1, 0
	s_cmp_eq_u32 s19, s11
	s_cselect_b32 s10, s10, s20
	s_cmp_lg_u32 s10, 0
	s_cselect_b32 s11, s23, s15
	s_cselect_b32 s10, s22, s7
	s_xor_b64 s[0:1], 0, s[0:1]
	s_xor_b64 s[10:11], s[10:11], s[0:1]
	s_sub_u32 s0, s10, s0
	s_subb_u32 s1, s11, s1
	s_load_dwordx2 s[10:11], s[4:5], 0x370
	v_writelane_b32 v56, s0, 6
	v_writelane_b32 v56, s1, 7
	s_load_dwordx2 s[0:1], s[4:5], 0x0
	s_cbranch_execnz .LBB53_10
.LBB53_9:
	s_waitcnt lgkmcnt(0)
	v_cvt_f32_u32_e32 v1, s10
	s_sub_i32 s7, 0, s10
	s_mov_b32 s21, 0
	s_load_dwordx2 s[18:19], s[4:5], 0x370
	v_rcp_iflag_f32_e32 v1, v1
	v_mul_f32_e32 v1, 0x4f7ffffe, v1
	v_cvt_u32_f32_e32 v1, v1
	v_readfirstlane_b32 s8, v1
	s_mul_i32 s7, s7, s8
	s_mul_hi_u32 s7, s8, s7
	s_add_i32 s8, s8, s7
	s_mul_hi_u32 s7, s28, s8
	s_mul_i32 s9, s7, s10
	s_load_dwordx2 s[10:11], s[4:5], 0x370
	s_sub_i32 s9, s28, s9
	s_add_i32 s8, s7, 1
	s_waitcnt lgkmcnt(0)
	s_sub_i32 s10, s9, s10
	s_cmp_ge_u32 s9, s18
	s_cselect_b32 s9, s10, s9
	s_load_dwordx2 s[10:11], s[4:5], 0x370
	s_cselect_b32 s7, s8, s7
	s_add_i32 s8, s7, 1
	s_waitcnt lgkmcnt(0)
	s_cmp_ge_u32 s9, s10
	s_cselect_b32 s20, s8, s7
	v_writelane_b32 v56, s20, 6
	v_writelane_b32 v56, s21, 7
.LBB53_10:
	s_load_dwordx2 s[8:9], s[4:5], 0x360
	s_mov_b32 s83, 0
	v_cmp_eq_u32_e64 s[20:21], 0, v0
	s_waitcnt lgkmcnt(0)
	v_writelane_b32 v56, s8, 8
	v_writelane_b32 v56, s9, 9
	s_load_dwordx2 s[8:9], s[4:5], 0x1c0
	s_waitcnt lgkmcnt(0)
	v_writelane_b32 v56, s8, 10
	v_writelane_b32 v56, s9, 11
	s_load_dwordx4 s[8:11], s[4:5], 0xd0
	s_mov_b64 s[18:19], exec
	v_writelane_b32 v56, s20, 12
	v_writelane_b32 v56, s21, 13
	s_and_b64 s[20:21], s[18:19], s[20:21]
	s_mov_b64 exec, s[20:21]
	s_cbranch_execz .LBB53_12
; %bb.11:
	v_mov_b32_e32 v1, 0
	v_mov_b32_e32 v3, s56
	;; [unrolled: 1-line block ×4, first 2 shown]
	ds_write_b32 v1, v1 offset:5136
	ds_write_b128 v1, v[1:4] offset:5120
.LBB53_12:
	s_or_b64 exec, exec, s[18:19]
	s_load_dwordx4 s[20:23], s[4:5], 0x430
                                        ; kill: killed $sgpr4 killed $sgpr5
	s_mul_i32 s3, s16, s3
	v_mbcnt_lo_u32_b32 v1, -1, 0
	v_mbcnt_hi_u32_b32 v33, -1, v1
	v_cmp_gt_u32_e32 vcc, 64, v0
	s_waitcnt lgkmcnt(0)
	v_writelane_b32 v56, s20, 14
	v_writelane_b32 v56, s21, 15
	;; [unrolled: 1-line block ×4, first 2 shown]
	s_load_dwordx4 s[20:23], s[4:5], 0x290
	s_mul_hi_u32 s4, s16, s2
	s_add_i32 s3, s4, s3
	s_mul_i32 s4, s17, s2
	s_add_i32 s3, s3, s4
	s_waitcnt lgkmcnt(0)
	v_writelane_b32 v56, s20, 18
	v_writelane_b32 v56, s21, 19
	;; [unrolled: 1-line block ×4, first 2 shown]
	s_mul_i32 s2, s16, s2
	s_mov_b32 s4, s28
	v_writelane_b32 v56, s4, 22
	s_sub_u32 s2, s28, s2
	v_writelane_b32 v56, s5, 23
	s_subb_u32 s3, 0, s3
	s_mul_i32 s4, s2, s11
	s_mul_hi_u32 s5, s2, s10
	s_add_i32 s4, s5, s4
	s_mul_i32 s3, s3, s10
	s_add_i32 s3, s4, s3
	s_mul_i32 s4, s16, s9
	s_mul_hi_u32 s5, s16, s8
	s_add_i32 s4, s5, s4
	s_mul_i32 s5, s17, s8
	s_add_i32 s5, s4, s5
	s_mul_i32 s4, s16, s8
	s_lshl_b64 s[8:9], s[4:5], 2
	s_mul_i32 s2, s2, s10
	s_add_u32 s4, s0, s8
	s_addc_u32 s5, s1, s9
	s_lshl_b64 s[10:11], s[2:3], 2
	s_add_u32 s94, s4, s10
	v_cmp_gt_i32_e64 s[2:3], 4, v33
	s_addc_u32 s95, s5, s11
	s_and_b64 s[92:93], vcc, s[2:3]
	v_mad_u64_u32 v[2:3], s[2:3], s62, v0, 0
	v_mov_b32_e32 v4, 0x300
	v_mov_b32_e32 v5, 0
	v_mad_u64_u32 v[6:7], s[2:3], s63, v0, v[3:4]
	v_cmp_gt_i64_e64 s[2:3], s[56:57], v[4:5]
	v_mov_b32_e32 v13, 0
	v_mov_b32_e32 v1, v13
	v_writelane_b32 v56, s2, 24
	v_writelane_b32 v56, s3, 25
	v_cmp_gt_u64_e64 s[2:3], s[56:57], v[0:1]
	v_writelane_b32 v56, s2, 26
	v_writelane_b32 v56, s3, 27
	v_cmp_gt_i64_e64 s[2:3], s[56:57], v[0:1]
	s_barrier
	v_writelane_b32 v56, s2, 28
	v_writelane_b32 v56, s3, 29
	s_load_dword s2, s[12:13], 0xc
	v_mov_b32_e32 v3, v6
	v_lshlrev_b64 v[4:5], 2, v[2:3]
	v_mov_b32_e32 v6, s95
	v_add_co_u32_e32 v16, vcc, s94, v4
	s_waitcnt lgkmcnt(0)
	s_and_b32 s33, s2, 0xffff
	s_bfe_u32 s2, s2, 0xa0006
	s_cmp_gt_u32 s33, 63
	s_cselect_b64 s[16:17], -1, 0
	s_add_u32 s3, s33, -1
	s_addc_u32 s7, 0, -1
	s_add_u32 s51, s3, s56
	v_writelane_b32 v56, s16, 30
	s_addc_u32 s81, s7, s57
	v_writelane_b32 v56, s17, 31
	s_cmp_lt_u32 s6, s14
	v_writelane_b32 v56, s3, 32
	s_cselect_b32 s3, 12, 18
	s_add_u32 s6, s12, s3
	v_writelane_b32 v56, s7, 33
	s_addc_u32 s7, s13, 0
	s_add_i32 s3, s2, -1
	s_bfe_u32 s66, s33, 0x30006
	s_and_b32 s3, s3, 0xffff
	v_writelane_b32 v56, s6, 34
	s_cmp_gt_u32 s3, 6
	v_writelane_b32 v56, s7, 35
	s_cselect_b64 s[6:7], -1, 0
	s_and_b32 s86, s2, 0x3f8
	v_writelane_b32 v56, s6, 36
	s_cmp_lg_u32 s66, 0
	v_writelane_b32 v56, s7, 37
	s_cselect_b64 s[2:3], -1, 0
	v_writelane_b32 v56, s2, 38
	v_addc_co_u32_e32 v17, vcc, v6, v5, vcc
	v_lshlrev_b64 v[6:7], v33, -1
	v_writelane_b32 v56, s3, 39
	s_add_u32 s2, s8, s10
	s_addc_u32 s3, s9, s11
	v_lshlrev_b32_e32 v36, 4, v0
	v_not_b32_e32 v34, v7
	s_add_u32 s2, s0, s2
	v_or_b32_e32 v7, 12, v36
	s_addc_u32 s3, s1, s3
	v_mad_u64_u32 v[18:19], s[0:1], s62, v7, 0
	v_or_b32_e32 v8, 8, v36
	v_mad_u64_u32 v[20:21], s[0:1], s62, v8, 0
	v_not_b32_e32 v35, v6
	v_mov_b32_e32 v6, v19
	v_mad_u64_u32 v[6:7], s[0:1], s63, v7, v[6:7]
	v_mov_b32_e32 v7, v21
	v_mad_u64_u32 v[7:8], s[0:1], s63, v8, v[7:8]
	v_mov_b32_e32 v8, s3
	v_writelane_b32 v56, s2, 40
	v_add_co_u32_e32 v10, vcc, s2, v4
	v_addc_co_u32_e32 v11, vcc, v8, v5, vcc
	v_or_b32_e32 v5, 4, v36
	v_mad_u64_u32 v[21:22], s[0:1], s62, v5, 0
	v_writelane_b32 v56, s3, 41
	v_cmp_gt_u32_e64 s[52:53], 2, v0
	v_mov_b32_e32 v4, v22
	v_mad_u64_u32 v[4:5], s[0:1], s63, v5, v[4:5]
	s_lshl_b64 s[0:1], s[62:63], 2
	v_writelane_b32 v56, s0, 42
	v_lshrrev_b32_e32 v5, 1, v0
	v_writelane_b32 v56, s1, 43
	v_lshlrev_b64 v[22:23], 4, v[2:3]
	v_mov_b32_e32 v2, s57
	v_add_co_u32_e32 v41, vcc, s56, v0
	s_mul_i32 s0, s63, s33
	s_mul_hi_u32 s1, s62, s33
	v_lshlrev_b32_e32 v14, 2, v0
	v_lshlrev_b32_e32 v9, 2, v33
	v_and_b32_e32 v5, 0x1e0, v5
	v_addc_co_u32_e32 v42, vcc, 0, v2, vcc
	v_mov_b32_e32 v2, 0xc00
	s_add_i32 s1, s1, s0
	s_mul_i32 s0, s62, s33
	v_mov_b32_e32 v27, s58
	v_writelane_b32 v56, s52, 44
	v_cmp_eq_u32_e64 s[4:5], 0, v33
	v_mov_b32_e32 v15, v13
	v_and_b32_e32 v19, 0x100, v9
	v_mov_b32_e32 v37, v6
	v_mov_b32_e32 v38, v7
	v_or_b32_e32 v39, 0xc00, v5
	s_lshl_b64 s[68:69], s[62:63], 4
	v_mov_b32_e32 v40, v4
	v_lshl_or_b32 v43, v33, 3, v2
	s_lshl_b64 s[84:85], s[0:1], 2
	s_lshl_b32 s87, s33, 2
	s_mov_b32 s88, 30
	s_mov_b64 s[70:71], 0
	s_mov_b32 s89, 0
	v_add_u32_e32 v45, 0xc00, v14
	v_bfrev_b32_e32 v46, 1
	v_mov_b32_e32 v44, 0
	v_mov_b32_e32 v47, 0
	;; [unrolled: 1-line block ×3, first 2 shown]
	v_mov_b32_e32 v24, 1.0
	v_mov_b32_e32 v26, 0
	v_writelane_b32 v56, s53, 45
                                        ; implicit-def: $sgpr74_sgpr75
                                        ; implicit-def: $sgpr10_sgpr11
                                        ; implicit-def: $sgpr76_sgpr77
                                        ; implicit-def: $sgpr72_sgpr73
                                        ; implicit-def: $sgpr78_sgpr79
                                        ; implicit-def: $sgpr60_sgpr61
	v_writelane_b32 v56, s51, 46
	s_branch .LBB53_16
.LBB53_13:                              ;   in Loop: Header=BB53_16 Depth=1
	s_or_b64 exec, exec, s[12:13]
	s_and_b64 s[2:3], s[2:3], exec
	s_andn2_b64 s[22:23], s[22:23], exec
	s_andn2_b64 s[6:7], s[6:7], exec
	s_orn2_b64 s[16:17], s[8:9], exec
.LBB53_14:                              ;   in Loop: Header=BB53_16 Depth=1
	s_or_b64 exec, exec, s[0:1]
	s_andn2_b64 s[0:1], s[60:61], exec
	s_and_b64 s[2:3], s[2:3], exec
	s_or_b64 s[60:61], s[0:1], s[2:3]
	s_andn2_b64 s[0:1], s[78:79], exec
	s_and_b64 s[2:3], s[22:23], exec
	s_or_b64 s[78:79], s[0:1], s[2:3]
	;; [unrolled: 3-line block ×3, first 2 shown]
	s_orn2_b64 s[6:7], s[16:17], exec
.LBB53_15:                              ;   in Loop: Header=BB53_16 Depth=1
	s_or_b64 exec, exec, s[14:15]
	s_and_b64 s[0:1], exec, s[6:7]
	s_or_b64 s[70:71], s[0:1], s[70:71]
	s_andn2_b64 s[0:1], s[76:77], exec
	s_and_b64 s[2:3], s[60:61], exec
	s_or_b64 s[76:77], s[0:1], s[2:3]
	s_andn2_b64 s[0:1], s[10:11], exec
	s_and_b64 s[2:3], s[78:79], exec
	;; [unrolled: 3-line block ×3, first 2 shown]
	v_mov_b32_e32 v28, v7
	s_or_b64 s[74:75], s[0:1], s[2:3]
	v_mov_b32_e32 v27, v6
	s_andn2_b64 exec, exec, s[70:71]
	s_cbranch_execz .LBB53_282
.LBB53_16:                              ; =>This Loop Header: Depth=1
                                        ;     Child Loop BB53_22 Depth 2
                                        ;     Child Loop BB53_35 Depth 2
	;; [unrolled: 1-line block ×16, first 2 shown]
	ds_read_b128 v[2:5], v13 offset:5120
	s_waitcnt lgkmcnt(0)
	v_readfirstlane_b32 s59, v3
	v_readfirstlane_b32 s58, v2
	v_cmp_gt_i64_e64 s[0:1], s[58:59], 0
	s_and_b64 vcc, exec, s[0:1]
	s_cbranch_vccnz .LBB53_43
; %bb.17:                               ;   in Loop: Header=BB53_16 Depth=1
	v_readlane_b32 s0, v56, 24
	v_readlane_b32 s1, v56, 25
	s_and_b64 vcc, exec, s[0:1]
	s_cbranch_vccz .LBB53_30
; %bb.18:                               ;   in Loop: Header=BB53_16 Depth=1
	s_mov_b64 s[0:1], 0x301
	v_cmp_gt_i64_e32 vcc, s[0:1], v[4:5]
	s_mov_b64 s[0:1], 0
	s_mov_b64 s[2:3], 0
	s_cbranch_vccz .LBB53_31
; %bb.19:                               ;   in Loop: Header=BB53_16 Depth=1
	s_mov_b64 s[2:3], exec
	v_readlane_b32 s6, v56, 26
	v_readlane_b32 s7, v56, 27
	s_and_b64 s[6:7], s[2:3], s[6:7]
	s_mov_b64 exec, s[6:7]
	s_cbranch_execz .LBB53_77
; %bb.20:                               ;   in Loop: Header=BB53_16 Depth=1
	v_readlane_b32 s6, v56, 34
	v_readlane_b32 s7, v56, 35
	s_nop 4
	global_load_ushort v6, v13, s[6:7]
	global_load_dword v7, v[16:17], off
	v_readlane_b32 s6, v56, 40
	v_readlane_b32 s7, v56, 41
	v_mov_b32_e32 v2, s6
	v_mov_b32_e32 v3, s7
	v_readlane_b32 s14, v56, 42
	v_readlane_b32 s15, v56, 43
	s_mov_b64 s[8:9], 0
	s_waitcnt vmcnt(1)
	v_readfirstlane_b32 s6, v6
	s_and_b32 s12, 0xffff, s6
	v_add_u32_e32 v4, s12, v0
	v_mad_u64_u32 v[2:3], s[6:7], s14, v4, v[2:3]
	s_mul_i32 s13, s15, s12
	s_mul_i32 s20, s14, s12
	v_mad_u64_u32 v[3:4], s[6:7], s15, v4, v[3:4]
	s_mul_hi_u32 s6, s14, s12
	v_mov_b32_e32 v5, v1
	s_add_i32 s21, s6, s13
	v_mov_b32_e32 v4, v0
	s_branch .LBB53_22
.LBB53_21:                              ;   in Loop: Header=BB53_22 Depth=2
	s_or_b64 exec, exec, s[6:7]
	v_mov_b32_e32 v7, s21
	v_add_co_u32_e32 v2, vcc, s20, v2
	v_addc_co_u32_e32 v3, vcc, v3, v7, vcc
	v_mov_b32_e32 v7, v8
	s_andn2_b64 exec, exec, s[8:9]
	s_cbranch_execz .LBB53_77
.LBB53_22:                              ;   Parent Loop BB53_16 Depth=1
                                        ; =>  This Inner Loop Header: Depth=2
	v_add_co_u32_sdwa v4, vcc, v4, v6 dst_sel:DWORD dst_unused:UNUSED_PAD src0_sel:DWORD src1_sel:WORD_0
	v_addc_co_u32_e32 v5, vcc, 0, v5, vcc
	v_cmp_gt_i64_e64 s[6:7], s[56:57], v[4:5]
	v_cmp_le_i64_e32 vcc, s[56:57], v[4:5]
	s_waitcnt lgkmcnt(0)
	v_mov_b32_e32 v9, 0
	v_mov_b32_e32 v8, 0
	s_and_saveexec_b64 s[12:13], s[6:7]
	s_cbranch_execz .LBB53_24
; %bb.23:                               ;   in Loop: Header=BB53_22 Depth=2
	global_load_dword v8, v[2:3], off
.LBB53_24:                              ;   in Loop: Header=BB53_22 Depth=2
	s_or_b64 exec, exec, s[12:13]
	s_waitcnt vmcnt(0)
	v_cmp_lt_i32_e64 s[6:7], -1, v7
	v_cndmask_b32_e64 v12, -1, v46, s[6:7]
	v_xor_b32_e32 v12, v12, v7
	v_cmp_o_f32_e64 s[6:7], v7, v7
	v_cndmask_b32_e64 v12, -1, v12, s[6:7]
	v_and_b32_e32 v12, v12, v47
	v_cmp_eq_u32_e64 s[12:13], v12, v44
	s_cmp_lg_u64 s[12:13], 0
	s_cselect_b64 s[6:7], -1, 0
	s_and_b64 s[6:7], s[4:5], s[6:7]
	s_and_saveexec_b64 s[14:15], s[6:7]
	s_cbranch_execz .LBB53_28
; %bb.25:                               ;   in Loop: Header=BB53_22 Depth=2
	s_mov_b64 s[18:19], exec
	v_mbcnt_lo_u32_b32 v9, s18, 0
	v_mbcnt_hi_u32_b32 v9, s19, v9
	s_bcnt1_i32_b64 s22, s[12:13]
	v_cmp_eq_u32_e64 s[6:7], 0, v9
                                        ; implicit-def: $vgpr12
	s_and_saveexec_b64 s[16:17], s[6:7]
; %bb.26:                               ;   in Loop: Header=BB53_22 Depth=2
	s_bcnt1_i32_b64 s6, s[18:19]
	s_mul_i32 s6, s22, s6
	v_mov_b32_e32 v12, s6
	ds_add_rtn_u32 v12, v13, v12 offset:5136
; %bb.27:                               ;   in Loop: Header=BB53_22 Depth=2
	s_or_b64 exec, exec, s[16:17]
	s_waitcnt lgkmcnt(0)
	v_readfirstlane_b32 s6, v12
	v_mov_b32_e32 v12, s6
	v_mad_u32_u24 v9, s22, v9, v12
.LBB53_28:                              ;   in Loop: Header=BB53_22 Depth=2
	s_or_b64 exec, exec, s[14:15]
	ds_bpermute_b32 v9, v19, v9
	s_and_b64 s[6:7], exec, vcc
	s_or_b64 s[8:9], s[6:7], s[8:9]
	s_and_saveexec_b64 s[6:7], s[12:13]
	s_cbranch_execz .LBB53_21
; %bb.29:                               ;   in Loop: Header=BB53_22 Depth=2
	v_and_b32_e32 v25, s12, v35
	v_and_b32_e32 v12, s13, v34
	v_bcnt_u32_b32 v25, v25, 0
	v_bcnt_u32_b32 v12, v12, v25
	v_lshlrev_b32_e32 v12, 2, v12
	s_waitcnt lgkmcnt(0)
	v_lshl_add_u32 v9, v9, 2, v12
	ds_write_b32 v9, v7
	s_branch .LBB53_21
.LBB53_30:                              ;   in Loop: Header=BB53_16 Depth=1
	s_mov_b64 s[0:1], -1
	s_mov_b64 s[2:3], 0
.LBB53_31:                              ;   in Loop: Header=BB53_16 Depth=1
	s_and_b64 vcc, exec, s[0:1]
	s_cbranch_vccz .LBB53_41
.LBB53_32:                              ;   in Loop: Header=BB53_16 Depth=1
	s_mov_b64 s[0:1], exec
	v_readlane_b32 s2, v56, 28
	v_readlane_b32 s3, v56, 29
	s_and_b64 s[2:3], s[0:1], s[2:3]
	s_mov_b64 exec, s[2:3]
	s_cbranch_execz .LBB53_38
; %bb.33:                               ;   in Loop: Header=BB53_16 Depth=1
	v_readlane_b32 s2, v56, 34
	v_readlane_b32 s3, v56, 35
	s_nop 4
	global_load_ushort v2, v13, s[2:3]
	global_load_dword v8, v[16:17], off
	s_waitcnt vmcnt(1)
	v_add_u32_sdwa v12, v2, v0 dst_sel:DWORD dst_unused:UNUSED_PAD src0_sel:WORD_0 src1_sel:DWORD
	v_cmp_gt_i64_e32 vcc, s[56:57], v[12:13]
	v_readfirstlane_b32 s6, v2
	v_mov_b32_e32 v2, v0
	s_and_saveexec_b64 s[2:3], vcc
	s_cbranch_execz .LBB53_37
; %bb.34:                               ;   in Loop: Header=BB53_16 Depth=1
	v_readlane_b32 s8, v56, 40
	v_readlane_b32 s9, v56, 41
	v_mov_b32_e32 v2, s8
	v_mov_b32_e32 v3, s9
	v_readlane_b32 s14, v56, 42
	v_mad_u64_u32 v[2:3], s[8:9], s14, v12, v[2:3]
	v_readlane_b32 s15, v56, 43
	s_and_b32 s12, s6, 0xffff
	v_mad_u64_u32 v[3:4], s[6:7], s15, v12, v[3:4]
	s_mul_i32 s6, s15, s12
	s_mul_hi_u32 s7, s14, s12
	v_mov_b32_e32 v4, v12
	v_mov_b32_e32 v7, v1
	s_add_i32 s13, s7, s6
	s_mul_i32 s14, s14, s12
	s_mov_b64 s[8:9], 0
	v_mov_b32_e32 v5, v13
	v_mov_b32_e32 v6, v0
.LBB53_35:                              ;   Parent Loop BB53_16 Depth=1
                                        ; =>  This Inner Loop Header: Depth=2
	global_load_dword v9, v[2:3], off
	v_mov_b32_e32 v30, v5
	v_mov_b32_e32 v29, v4
	v_lshlrev_b32_e32 v4, 2, v6
	v_mov_b32_e32 v6, s13
	v_add_co_u32_e32 v2, vcc, s14, v2
	s_waitcnt vmcnt(1)
	ds_write_b32 v4, v8
	v_add_co_u32_e64 v4, s[6:7], s12, v29
	v_addc_co_u32_e64 v5, s[6:7], 0, v30, s[6:7]
	v_addc_co_u32_e32 v3, vcc, v3, v6, vcc
	v_cmp_le_i64_e32 vcc, s[56:57], v[4:5]
	v_mov_b32_e32 v6, v29
	s_or_b64 s[8:9], vcc, s[8:9]
	v_mov_b32_e32 v7, v30
	s_waitcnt vmcnt(0)
	v_mov_b32_e32 v8, v9
	s_andn2_b64 exec, exec, s[8:9]
	s_cbranch_execnz .LBB53_35
; %bb.36:                               ;   in Loop: Header=BB53_16 Depth=1
	s_or_b64 exec, exec, s[8:9]
	v_subrev_u32_e32 v2, s12, v4
	v_mov_b32_e32 v8, v9
.LBB53_37:                              ;   in Loop: Header=BB53_16 Depth=1
	s_or_b64 exec, exec, s[2:3]
	v_lshlrev_b32_e32 v2, 2, v2
	s_waitcnt vmcnt(0)
	ds_write_b32 v2, v8
.LBB53_38:                              ;   in Loop: Header=BB53_16 Depth=1
	s_or_b64 exec, exec, s[0:1]
	s_waitcnt lgkmcnt(0)
	s_barrier
	s_mov_b64 s[0:1], exec
	v_readlane_b32 s2, v56, 12
	v_readlane_b32 s3, v56, 13
	s_and_b64 s[2:3], s[0:1], s[2:3]
	s_mov_b64 exec, s[2:3]
; %bb.39:                               ;   in Loop: Header=BB53_16 Depth=1
	v_mov_b32_e32 v2, s56
	v_mov_b32_e32 v3, s57
	ds_write_b64 v13, v[2:3] offset:5120
; %bb.40:                               ;   in Loop: Header=BB53_16 Depth=1
	s_or_b64 exec, exec, s[0:1]
	s_mov_b64 s[2:3], -1
	s_waitcnt lgkmcnt(0)
	s_barrier
.LBB53_41:                              ;   in Loop: Header=BB53_16 Depth=1
	s_and_b64 vcc, exec, s[2:3]
	s_cbranch_vccz .LBB53_43
; %bb.42:                               ;   in Loop: Header=BB53_16 Depth=1
	ds_read_b64 v[2:3], v13 offset:5120
	s_waitcnt lgkmcnt(0)
	v_readfirstlane_b32 s58, v2
.LBB53_43:                              ;   in Loop: Header=BB53_16 Depth=1
	s_cmp_lt_i32 s58, 1
	s_mov_b64 s[0:1], -1
                                        ; implicit-def: $vgpr2_vgpr3
                                        ; implicit-def: $vgpr6_vgpr7
	s_cbranch_scc1 .LBB53_53
; %bb.44:                               ;   in Loop: Header=BB53_16 Depth=1
	s_and_b64 vcc, exec, s[0:1]
	s_cbranch_vccnz .LBB53_67
.LBB53_45:                              ;   in Loop: Header=BB53_16 Depth=1
	s_lshl_b32 s2, s89, 6
	s_and_saveexec_b64 s[0:1], s[4:5]
	s_cbranch_execz .LBB53_47
.LBB53_46:                              ;   in Loop: Header=BB53_16 Depth=1
	v_lshl_add_u32 v12, s2, 3, v39
	ds_write_b128 v12, v[2:5]
	ds_write_b128 v12, v[6:9] offset:16
.LBB53_47:                              ;   in Loop: Header=BB53_16 Depth=1
	s_or_b64 exec, exec, s[0:1]
	s_waitcnt lgkmcnt(0)
	s_barrier
	s_and_saveexec_b64 s[0:1], s[92:93]
	s_cbranch_execz .LBB53_85
; %bb.48:                               ;   in Loop: Header=BB53_16 Depth=1
	v_readlane_b32 s6, v56, 30
	v_mov_b32_e32 v2, 0
	v_readlane_b32 s7, v56, 31
	v_mov_b32_e32 v3, 0
	s_andn2_b64 vcc, exec, s[6:7]
	s_cbranch_vccnz .LBB53_84
; %bb.49:                               ;   in Loop: Header=BB53_16 Depth=1
	v_readlane_b32 s6, v56, 36
	v_readlane_b32 s7, v56, 37
	s_andn2_b64 vcc, exec, s[6:7]
	s_cbranch_vccnz .LBB53_80
; %bb.50:                               ;   in Loop: Header=BB53_16 Depth=1
	v_mov_b32_e32 v2, 0
	v_lshl_add_u32 v4, s89, 9, v43
	v_mov_b32_e32 v3, 0
	s_mov_b32 s3, 0
.LBB53_51:                              ;   Parent Loop BB53_16 Depth=1
                                        ; =>  This Inner Loop Header: Depth=2
	ds_read2_b64 v[5:8], v4 offset1:4
	ds_read2_b64 v[29:32], v4 offset0:8 offset1:12
	ds_read2_b64 v[48:51], v4 offset0:16 offset1:20
	;; [unrolled: 1-line block ×3, first 2 shown]
	s_add_i32 s3, s3, 8
	s_waitcnt lgkmcnt(3)
	v_add_co_u32_e32 v2, vcc, v5, v2
	v_addc_co_u32_e32 v3, vcc, v6, v3, vcc
	v_add_co_u32_e32 v2, vcc, v7, v2
	v_addc_co_u32_e32 v3, vcc, v8, v3, vcc
	s_waitcnt lgkmcnt(2)
	v_add_co_u32_e32 v2, vcc, v29, v2
	v_addc_co_u32_e32 v3, vcc, v30, v3, vcc
	v_add_co_u32_e32 v2, vcc, v31, v2
	v_addc_co_u32_e32 v3, vcc, v32, v3, vcc
	;; [unrolled: 5-line block ×3, first 2 shown]
	s_waitcnt lgkmcnt(0)
	v_add_co_u32_e32 v2, vcc, v52, v2
	v_addc_co_u32_e32 v3, vcc, v53, v3, vcc
	v_add_co_u32_e32 v2, vcc, v54, v2
	v_add_u32_e32 v4, 0x100, v4
	s_cmp_eq_u32 s86, s3
	v_addc_co_u32_e32 v3, vcc, v55, v3, vcc
	s_cbranch_scc0 .LBB53_51
; %bb.52:                               ;   in Loop: Header=BB53_16 Depth=1
	s_mov_b32 s3, s86
	s_branch .LBB53_81
.LBB53_53:                              ;   in Loop: Header=BB53_16 Depth=1
	v_readlane_b32 s0, v56, 34
	v_readlane_b32 s1, v56, 35
	s_nop 4
	global_load_ushort v2, v13, s[0:1]
	s_mov_b32 s0, s83
	s_waitcnt vmcnt(0)
	v_readfirstlane_b32 s1, v2
	s_and_b32 s28, s1, 0xffff
	s_lshl_b32 s2, s28, 2
	s_mov_b32 s1, s57
	s_cmp_lg_u64 s[0:1], 0
	s_cbranch_scc0 .LBB53_76
; %bb.54:                               ;   in Loop: Header=BB53_16 Depth=1
	s_add_u32 s0, s2, 0
	s_addc_u32 s1, 0, 0
	s_xor_b64 s[0:1], s[0:1], 0
	v_cvt_f32_u32_e32 v2, s0
	v_cvt_f32_u32_e32 v3, s1
	s_sub_u32 s3, 0, s0
	s_subb_u32 s8, 0, s1
	v_mac_f32_e32 v2, 0x4f800000, v3
	v_rcp_f32_e32 v2, v2
	v_mul_f32_e32 v2, 0x5f7ffffc, v2
	v_mul_f32_e32 v3, 0x2f800000, v2
	v_trunc_f32_e32 v3, v3
	v_mac_f32_e32 v2, 0xcf800000, v3
	v_cvt_u32_f32_e32 v3, v3
	v_cvt_u32_f32_e32 v2, v2
	v_readfirstlane_b32 s9, v3
	v_readfirstlane_b32 s6, v2
	s_mul_i32 s7, s3, s9
	s_mul_hi_u32 s13, s3, s6
	s_mul_i32 s12, s8, s6
	s_add_i32 s7, s13, s7
	s_mul_i32 s14, s3, s6
	s_add_i32 s7, s7, s12
	s_mul_i32 s13, s6, s7
	s_mul_hi_u32 s15, s6, s14
	s_mul_hi_u32 s12, s6, s7
	s_add_u32 s13, s15, s13
	s_addc_u32 s12, 0, s12
	s_mul_hi_u32 s16, s9, s14
	s_mul_i32 s14, s9, s14
	s_add_u32 s13, s13, s14
	s_mul_hi_u32 s15, s9, s7
	s_addc_u32 s12, s12, s16
	s_addc_u32 s13, s15, 0
	s_mul_i32 s7, s9, s7
	s_add_u32 s7, s12, s7
	s_addc_u32 s12, 0, s13
	s_add_u32 s13, s6, s7
	s_cselect_b64 s[6:7], -1, 0
	s_cmp_lg_u64 s[6:7], 0
	s_addc_u32 s9, s9, s12
	s_mul_i32 s6, s3, s9
	s_mul_hi_u32 s7, s3, s13
	s_add_i32 s6, s7, s6
	s_mul_i32 s8, s8, s13
	s_add_i32 s6, s6, s8
	s_mul_i32 s3, s3, s13
	s_mul_hi_u32 s8, s9, s3
	s_mul_i32 s12, s9, s3
	s_mul_i32 s15, s13, s6
	s_mul_hi_u32 s3, s13, s3
	s_mul_hi_u32 s14, s13, s6
	s_add_u32 s3, s3, s15
	s_addc_u32 s14, 0, s14
	s_add_u32 s3, s3, s12
	s_mul_hi_u32 s7, s9, s6
	s_addc_u32 s3, s14, s8
	s_addc_u32 s7, s7, 0
	s_mul_i32 s6, s9, s6
	s_add_u32 s3, s3, s6
	s_addc_u32 s8, 0, s7
	s_add_u32 s3, s13, s3
	s_cselect_b64 s[6:7], -1, 0
	s_cmp_lg_u64 s[6:7], 0
	s_addc_u32 s12, s9, s8
	s_ashr_i32 s6, s57, 31
	s_add_u32 s8, s56, s6
	s_mov_b32 s7, s6
	s_addc_u32 s9, s57, s6
	s_xor_b64 s[8:9], s[8:9], s[6:7]
	s_mul_i32 s14, s8, s12
	s_mul_hi_u32 s15, s8, s3
	s_mul_hi_u32 s13, s8, s12
	s_add_u32 s14, s15, s14
	s_addc_u32 s13, 0, s13
	s_mul_hi_u32 s16, s9, s3
	s_mul_i32 s3, s9, s3
	s_add_u32 s3, s14, s3
	s_mul_hi_u32 s15, s9, s12
	s_addc_u32 s3, s13, s16
	s_addc_u32 s13, s15, 0
	s_mul_i32 s12, s9, s12
	s_add_u32 s3, s3, s12
	s_addc_u32 s12, 0, s13
	s_mul_i32 s12, s0, s12
	s_mul_hi_u32 s13, s0, s3
	s_add_i32 s12, s13, s12
	s_mul_i32 s13, s1, s3
	s_add_i32 s16, s12, s13
	s_sub_i32 s14, s9, s16
	s_mul_i32 s3, s0, s3
	s_sub_u32 s3, s8, s3
	s_cselect_b64 s[12:13], -1, 0
	s_cmp_lg_u64 s[12:13], 0
	s_subb_u32 s8, s14, s1
	s_sub_u32 s17, s3, s0
	s_cselect_b64 s[14:15], -1, 0
	s_cmp_lg_u64 s[14:15], 0
	s_subb_u32 s18, s8, 0
	s_cmp_ge_u32 s18, s1
	s_cselect_b32 s19, -1, 0
	s_cmp_ge_u32 s17, s0
	s_cselect_b32 s20, -1, 0
	s_cmp_eq_u32 s18, s1
	s_cselect_b32 s19, s20, s19
	s_cmp_lg_u64 s[14:15], 0
	s_subb_u32 s8, s8, s1
	s_sub_u32 s20, s17, s0
	s_cselect_b64 s[14:15], -1, 0
	s_cmp_lg_u64 s[14:15], 0
	s_subb_u32 s8, s8, 0
	s_cmp_lg_u32 s19, 0
	s_cselect_b32 s14, s20, s17
	s_cselect_b32 s8, s8, s18
	s_cmp_lg_u64 s[12:13], 0
	s_subb_u32 s9, s9, s16
	s_cmp_ge_u32 s9, s1
	s_cselect_b32 s12, -1, 0
	s_cmp_ge_u32 s3, s0
	s_cselect_b32 s0, -1, 0
	s_cmp_eq_u32 s9, s1
	s_cselect_b32 s0, s0, s12
	s_cmp_lg_u32 s0, 0
	s_cselect_b32 s1, s8, s9
	s_cselect_b32 s0, s14, s3
	s_xor_b64 s[0:1], s[0:1], s[6:7]
	s_sub_u32 s18, s0, s6
	s_subb_u32 s19, s1, s6
	s_cbranch_execnz .LBB53_56
.LBB53_55:                              ;   in Loop: Header=BB53_16 Depth=1
	v_cvt_f32_u32_e32 v2, s2
	s_sub_i32 s0, 0, s2
	v_rcp_iflag_f32_e32 v2, v2
	v_mul_f32_e32 v2, 0x4f7ffffe, v2
	v_cvt_u32_f32_e32 v2, v2
	v_readfirstlane_b32 s1, v2
	s_mul_i32 s0, s0, s1
	s_mul_hi_u32 s0, s1, s0
	s_add_i32 s1, s1, s0
	s_mul_hi_u32 s0, s56, s1
	s_mul_i32 s0, s0, s2
	s_sub_i32 s0, s56, s0
	s_sub_i32 s1, s0, s2
	s_cmp_ge_u32 s0, s2
	s_cselect_b32 s0, s1, s0
	s_sub_i32 s1, s0, s2
	s_cmp_ge_u32 s0, s2
	s_cselect_b32 s82, s1, s0
	s_mov_b64 s[18:19], s[82:83]
.LBB53_56:                              ;   in Loop: Header=BB53_16 Depth=1
	s_sub_u32 s20, s56, s18
	s_subb_u32 s21, s57, s19
	v_cmp_gt_i64_e32 vcc, s[20:21], v[14:15]
	v_mov_b32_e32 v2, 0
	v_mov_b32_e32 v4, 0
	;; [unrolled: 1-line block ×8, first 2 shown]
	s_and_saveexec_b64 s[22:23], vcc
	s_cbranch_execz .LBB53_60
; %bb.57:                               ;   in Loop: Header=BB53_16 Depth=1
	s_mul_i32 s0, s69, s28
	s_mul_hi_u32 s1, s68, s28
	v_mov_b32_e32 v30, v15
	s_add_i32 s0, s1, s0
	s_mov_b64 s[24:25], 0
	s_mov_b64 s[26:27], s[94:95]
	;; [unrolled: 1-line block ×6, first 2 shown]
	v_mov_b32_e32 v29, v14
.LBB53_58:                              ;   Parent Loop BB53_16 Depth=1
                                        ; =>  This Inner Loop Header: Depth=2
	v_add_co_u32_e32 v2, vcc, s26, v22
	v_mov_b32_e32 v4, s27
	v_addc_co_u32_e32 v3, vcc, v4, v23, vcc
	global_load_dword v5, v[2:3], off
	v_add_co_u32_e32 v2, vcc, s26, v21
	v_addc_co_u32_e32 v3, vcc, v4, v40, vcc
	global_load_dword v6, v[2:3], off
	v_add_co_u32_e32 v2, vcc, s26, v20
	;; [unrolled: 3-line block ×3, first 2 shown]
	v_addc_co_u32_e32 v3, vcc, v4, v37, vcc
	global_load_dword v2, v[2:3], off
	s_waitcnt vmcnt(3)
	v_cmp_lt_i32_e32 vcc, -1, v5
	v_cndmask_b32_e32 v3, -1, v46, vcc
	v_cmp_o_f32_e32 vcc, v5, v5
	v_xor_b32_e32 v3, v3, v5
	v_cndmask_b32_e32 v3, -1, v3, vcc
	s_waitcnt vmcnt(2)
	v_cmp_lt_i32_e32 vcc, -1, v6
	v_cndmask_b32_e32 v4, -1, v46, vcc
	v_cmp_o_f32_e32 vcc, v6, v6
	v_xor_b32_e32 v4, v4, v6
	v_cndmask_b32_e32 v4, -1, v4, vcc
	;; [unrolled: 6-line block ×3, first 2 shown]
	s_waitcnt vmcnt(0)
	v_cmp_lt_i32_e32 vcc, -1, v2
	v_cndmask_b32_e32 v6, -1, v46, vcc
	v_cmp_o_f32_e32 vcc, v2, v2
	v_xor_b32_e32 v2, v6, v2
	v_and_b32_e32 v6, v3, v47
	v_bfe_u32 v3, v3, s88, 2
	v_cndmask_b32_e32 v2, -1, v2, vcc
	v_cmp_eq_u32_e32 vcc, v6, v44
	v_and_b32_e32 v6, v4, v47
	v_bfe_u32 v4, v4, s88, 2
	v_cmp_eq_u32_e64 s[16:17], 0, v3
	v_cmp_eq_u32_e64 s[6:7], v6, v44
	v_and_b32_e32 v6, v5, v47
	v_bfe_u32 v5, v5, s88, 2
	s_and_b64 s[8:9], vcc, s[16:17]
	v_cmp_eq_u32_e64 s[16:17], 0, v4
	v_cmp_eq_u32_e64 s[12:13], v6, v44
	v_and_b32_e32 v6, v2, v47
	v_bfe_u32 v2, v2, s88, 2
	s_and_b64 s[40:41], s[6:7], s[16:17]
	v_cmp_eq_u32_e64 s[16:17], 0, v5
	v_cmp_eq_u32_e64 s[14:15], v6, v44
	s_and_b64 s[42:43], s[12:13], s[16:17]
	v_cmp_eq_u32_e64 s[16:17], 0, v2
	v_cndmask_b32_e64 v6, 0, 1, s[8:9]
	s_and_b64 s[44:45], s[14:15], s[16:17]
	v_cmp_ne_u32_e64 s[16:17], 0, v6
	v_cndmask_b32_e64 v6, 0, 1, s[40:41]
	s_bcnt1_i32_b64 s1, s[16:17]
	v_cmp_ne_u32_e64 s[16:17], 0, v6
	v_cndmask_b32_e64 v6, 0, 1, s[42:43]
	s_bcnt1_i32_b64 s3, s[16:17]
	;; [unrolled: 3-line block ×3, first 2 shown]
	v_cmp_ne_u32_e64 s[16:17], 0, v6
	s_bcnt1_i32_b64 s9, s[16:17]
	s_add_u32 s1, s1, s38
	s_addc_u32 s16, 0, s39
	s_add_u32 s1, s1, s3
	s_addc_u32 s3, s16, 0
	;; [unrolled: 2-line block ×3, first 2 shown]
	s_add_u32 s38, s1, s9
	v_cmp_eq_u32_e64 s[16:17], 1, v3
	s_addc_u32 s39, s3, 0
	s_and_b64 s[8:9], vcc, s[16:17]
	v_cmp_eq_u32_e64 s[16:17], 1, v4
	s_and_b64 s[40:41], s[6:7], s[16:17]
	v_cmp_eq_u32_e64 s[16:17], 1, v5
	s_and_b64 s[42:43], s[12:13], s[16:17]
	v_cmp_eq_u32_e64 s[16:17], 1, v2
	v_cndmask_b32_e64 v6, 0, 1, s[8:9]
	s_and_b64 s[44:45], s[14:15], s[16:17]
	v_cmp_ne_u32_e64 s[16:17], 0, v6
	v_cndmask_b32_e64 v6, 0, 1, s[40:41]
	s_bcnt1_i32_b64 s1, s[16:17]
	v_cmp_ne_u32_e64 s[16:17], 0, v6
	v_cndmask_b32_e64 v6, 0, 1, s[42:43]
	s_bcnt1_i32_b64 s3, s[16:17]
	;; [unrolled: 3-line block ×3, first 2 shown]
	v_cmp_ne_u32_e64 s[16:17], 0, v6
	s_bcnt1_i32_b64 s9, s[16:17]
	s_add_u32 s1, s1, s36
	s_addc_u32 s16, 0, s37
	s_add_u32 s1, s1, s3
	s_addc_u32 s3, s16, 0
	;; [unrolled: 2-line block ×3, first 2 shown]
	s_add_u32 s36, s1, s9
	v_cmp_eq_u32_e64 s[16:17], 2, v3
	s_addc_u32 s37, s3, 0
	s_and_b64 s[8:9], vcc, s[16:17]
	v_cmp_eq_u32_e64 s[16:17], 2, v4
	s_and_b64 s[40:41], s[6:7], s[16:17]
	v_cmp_eq_u32_e64 s[16:17], 2, v5
	s_and_b64 s[42:43], s[12:13], s[16:17]
	v_cmp_eq_u32_e64 s[16:17], 2, v2
	v_cndmask_b32_e64 v6, 0, 1, s[8:9]
	s_and_b64 s[44:45], s[14:15], s[16:17]
	v_cmp_ne_u32_e64 s[16:17], 0, v6
	v_cndmask_b32_e64 v6, 0, 1, s[40:41]
	s_bcnt1_i32_b64 s1, s[16:17]
	v_cmp_ne_u32_e64 s[16:17], 0, v6
	v_cndmask_b32_e64 v6, 0, 1, s[42:43]
	s_bcnt1_i32_b64 s3, s[16:17]
	;; [unrolled: 3-line block ×3, first 2 shown]
	v_cmp_ne_u32_e64 s[16:17], 0, v6
	s_bcnt1_i32_b64 s9, s[16:17]
	s_add_u32 s1, s1, s34
	s_addc_u32 s16, 0, s35
	s_add_u32 s1, s1, s3
	s_addc_u32 s3, s16, 0
	;; [unrolled: 2-line block ×3, first 2 shown]
	s_add_u32 s34, s1, s9
	v_cmp_eq_u32_e64 s[16:17], 3, v3
	s_addc_u32 s35, s3, 0
	s_and_b64 s[8:9], vcc, s[16:17]
	v_cmp_eq_u32_e32 vcc, 3, v4
	s_and_b64 s[6:7], s[6:7], vcc
	v_cmp_eq_u32_e32 vcc, 3, v5
	s_and_b64 s[12:13], s[12:13], vcc
	v_cmp_eq_u32_e32 vcc, 3, v2
	v_cndmask_b32_e64 v2, 0, 1, s[8:9]
	s_and_b64 s[14:15], s[14:15], vcc
	v_cmp_ne_u32_e32 vcc, 0, v2
	v_cndmask_b32_e64 v2, 0, 1, s[6:7]
	s_bcnt1_i32_b64 s1, vcc
	v_cmp_ne_u32_e32 vcc, 0, v2
	v_cndmask_b32_e64 v2, 0, 1, s[12:13]
	s_bcnt1_i32_b64 s3, vcc
	;; [unrolled: 3-line block ×3, first 2 shown]
	v_cmp_ne_u32_e32 vcc, 0, v2
	s_bcnt1_i32_b64 s7, vcc
	s_add_u32 s1, s1, s30
	s_addc_u32 s8, 0, s31
	s_add_u32 s1, s1, s3
	s_addc_u32 s3, s8, 0
	;; [unrolled: 2-line block ×3, first 2 shown]
	s_add_u32 s30, s1, s7
	v_add_co_u32_e32 v29, vcc, s2, v29
	s_addc_u32 s31, s3, 0
	v_addc_co_u32_e32 v30, vcc, 0, v30, vcc
	s_mul_i32 s1, s68, s28
	s_add_u32 s26, s26, s1
	v_cmp_le_i64_e32 vcc, s[20:21], v[29:30]
	s_addc_u32 s27, s27, s0
	v_mov_b32_e32 v2, s38
	v_mov_b32_e32 v4, s36
	;; [unrolled: 1-line block ×4, first 2 shown]
	s_or_b64 s[24:25], vcc, s[24:25]
	v_mov_b32_e32 v3, s39
	v_mov_b32_e32 v5, s37
	;; [unrolled: 1-line block ×4, first 2 shown]
	s_andn2_b64 exec, exec, s[24:25]
	s_cbranch_execnz .LBB53_58
; %bb.59:                               ;   in Loop: Header=BB53_16 Depth=1
	s_or_b64 exec, exec, s[24:25]
.LBB53_60:                              ;   in Loop: Header=BB53_16 Depth=1
	s_or_b64 exec, exec, s[22:23]
	v_mov_b32_e32 v12, s21
	v_add_co_u32_e32 v29, vcc, s20, v0
	v_addc_co_u32_e32 v30, vcc, 0, v12, vcc
	v_cmp_gt_i64_e32 vcc, s[56:57], v[29:30]
	s_and_saveexec_b64 s[0:1], vcc
	s_cbranch_execz .LBB53_66
; %bb.61:                               ;   in Loop: Header=BB53_16 Depth=1
	v_mul_lo_u32 v12, v30, s62
	v_mul_lo_u32 v25, v29, s63
	v_mad_u64_u32 v[31:32], s[2:3], v29, s62, 0
	v_readlane_b32 s2, v56, 40
	v_readlane_b32 s6, v56, 42
	v_add3_u32 v32, v32, v25, v12
	v_lshlrev_b64 v[31:32], 2, v[31:32]
	v_mov_b32_e32 v12, s95
	v_add_co_u32_e32 v31, vcc, s94, v31
	v_addc_co_u32_e32 v32, vcc, v12, v32, vcc
	global_load_dword v12, v[31:32], off
	v_add_co_u32_e32 v25, vcc, s28, v41
	v_addc_co_u32_e32 v31, vcc, 0, v42, vcc
	v_mov_b32_e32 v32, s19
	v_subrev_co_u32_e32 v25, vcc, s18, v25
	v_subb_co_u32_e32 v31, vcc, v31, v32, vcc
	v_readlane_b32 s3, v56, 41
	v_mul_lo_u32 v48, s6, v31
	v_mov_b32_e32 v32, s3
	v_readlane_b32 s7, v56, 43
	v_mov_b32_e32 v31, s2
	v_mul_lo_u32 v49, s7, v25
	v_mad_u64_u32 v[31:32], s[2:3], s6, v25, v[31:32]
	s_mul_i32 s2, s7, s28
	s_mul_hi_u32 s3, s6, s28
	v_add3_u32 v32, v49, v32, v48
	s_add_i32 s12, s3, s2
	s_mul_i32 s13, s6, s28
	s_mov_b64 s[2:3], 0
	s_branch .LBB53_63
.LBB53_62:                              ;   in Loop: Header=BB53_63 Depth=2
	s_or_b64 exec, exec, s[8:9]
	s_and_b64 s[6:7], exec, vcc
	s_waitcnt vmcnt(0)
	v_cmp_lt_i32_e32 vcc, -1, v12
	v_cndmask_b32_e32 v48, -1, v46, vcc
	v_xor_b32_e32 v48, v48, v12
	v_cmp_o_f32_e32 vcc, v12, v12
	v_cndmask_b32_e32 v12, -1, v48, vcc
	v_and_b32_e32 v48, v12, v47
	v_bfe_u32 v12, v12, s88, 2
	s_or_b64 s[2:3], s[6:7], s[2:3]
	v_cmp_eq_u32_e32 vcc, v48, v44
	v_cmp_eq_u32_e64 s[6:7], 0, v12
	s_and_b64 s[6:7], vcc, s[6:7]
	v_cndmask_b32_e64 v48, 0, 1, s[6:7]
	v_cmp_ne_u32_e64 s[6:7], 0, v48
	s_bcnt1_i32_b64 s6, s[6:7]
	v_add_co_u32_e64 v2, s[6:7], s6, v2
	v_addc_co_u32_e64 v3, s[6:7], 0, v3, s[6:7]
	v_cmp_eq_u32_e64 s[6:7], 1, v12
	s_and_b64 s[6:7], vcc, s[6:7]
	v_cndmask_b32_e64 v48, 0, 1, s[6:7]
	v_cmp_ne_u32_e64 s[6:7], 0, v48
	s_bcnt1_i32_b64 s6, s[6:7]
	v_add_co_u32_e64 v4, s[6:7], s6, v4
	v_addc_co_u32_e64 v5, s[6:7], 0, v5, s[6:7]
	;; [unrolled: 7-line block ×3, first 2 shown]
	v_cmp_eq_u32_e64 s[6:7], 3, v12
	s_and_b64 s[6:7], vcc, s[6:7]
	v_cndmask_b32_e64 v12, 0, 1, s[6:7]
	v_cmp_ne_u32_e32 vcc, 0, v12
	s_bcnt1_i32_b64 s6, vcc
	v_add_co_u32_e32 v8, vcc, s6, v8
	v_addc_co_u32_e32 v9, vcc, 0, v9, vcc
	v_mov_b32_e32 v12, s12
	v_add_co_u32_e32 v31, vcc, s13, v31
	v_addc_co_u32_e32 v32, vcc, v32, v12, vcc
	v_mov_b32_e32 v12, v25
	s_andn2_b64 exec, exec, s[2:3]
	s_cbranch_execz .LBB53_65
.LBB53_63:                              ;   Parent Loop BB53_16 Depth=1
                                        ; =>  This Inner Loop Header: Depth=2
	v_add_co_u32_e32 v29, vcc, s28, v29
	v_addc_co_u32_e32 v30, vcc, 0, v30, vcc
	v_cmp_gt_i64_e64 s[6:7], s[56:57], v[29:30]
	v_cmp_le_i64_e32 vcc, s[56:57], v[29:30]
	v_mov_b32_e32 v25, 0
	s_and_saveexec_b64 s[8:9], s[6:7]
	s_cbranch_execz .LBB53_62
; %bb.64:                               ;   in Loop: Header=BB53_63 Depth=2
	global_load_dword v25, v[31:32], off
	s_branch .LBB53_62
.LBB53_65:                              ;   in Loop: Header=BB53_16 Depth=1
	s_or_b64 exec, exec, s[2:3]
.LBB53_66:                              ;   in Loop: Header=BB53_16 Depth=1
	s_or_b64 exec, exec, s[0:1]
	s_branch .LBB53_45
.LBB53_67:                              ;   in Loop: Header=BB53_16 Depth=1
	v_readlane_b32 s0, v56, 34
	v_readlane_b32 s1, v56, 35
	s_mov_b32 s67, s81
	v_mov_b32_e32 v6, 0
	v_mov_b32_e32 v7, 0
	s_nop 1
	global_load_ushort v12, v13, s[0:1]
	s_waitcnt vmcnt(0)
	v_readfirstlane_b32 s0, v12
	s_and_b32 s0, 0xffff, s0
	s_lshl_b32 s59, s0, 2
	v_cvt_f32_u32_e32 v2, s59
	s_sub_i32 s1, 0, s59
	v_rcp_iflag_f32_e32 v4, v2
	v_mov_b32_e32 v2, 0
	v_mov_b32_e32 v3, 0
	v_mul_f32_e32 v4, 0x4f7ffffe, v4
	v_cvt_u32_f32_e32 v8, v4
	v_mov_b32_e32 v4, 0
	v_mov_b32_e32 v5, 0
	v_readfirstlane_b32 s2, v8
	s_mul_i32 s1, s1, s2
	s_mul_hi_u32 s1, s2, s1
	s_add_i32 s2, s2, s1
	s_mul_hi_u32 s1, s58, s2
	s_mul_i32 s2, s1, s59
	s_sub_i32 s2, s58, s2
	s_add_i32 s3, s1, 1
	s_sub_i32 s6, s2, s59
	s_cmp_ge_u32 s2, s59
	s_cselect_b32 s1, s3, s1
	s_cselect_b32 s2, s6, s2
	s_add_i32 s3, s1, 1
	s_cmp_ge_u32 s2, s59
	s_cselect_b32 s1, s3, s1
	s_mul_hi_u32 s81, s0, s1
	s_mul_i32 s80, s0, s1
	s_lshl_b64 s[2:3], s[80:81], 2
	v_cmp_gt_u64_e32 vcc, s[2:3], v[14:15]
	v_mov_b32_e32 v8, 0
	v_mov_b32_e32 v9, 0
	s_and_saveexec_b64 s[54:55], vcc
	s_cbranch_execz .LBB53_71
; %bb.68:                               ;   in Loop: Header=BB53_16 Depth=1
	v_mov_b32_e32 v30, v15
	s_lshl_b32 s81, s0, 4
	s_mov_b64 s[0:1], 0
	v_mov_b32_e32 v25, v36
	s_mov_b64 s[8:9], 0
	s_mov_b64 s[90:91], 0
	;; [unrolled: 1-line block ×4, first 2 shown]
	v_mov_b32_e32 v29, v14
.LBB53_69:                              ;   Parent Loop BB53_16 Depth=1
                                        ; =>  This Inner Loop Header: Depth=2
	ds_read_b128 v[2:5], v25
	v_add_co_u32_e32 v29, vcc, s59, v29
	v_addc_co_u32_e32 v30, vcc, 0, v30, vcc
	s_waitcnt lgkmcnt(0)
	v_cmp_lt_i32_e64 s[6:7], -1, v2
	v_cndmask_b32_e64 v6, -1, v46, s[6:7]
	v_cmp_lt_i32_e64 s[6:7], -1, v3
	v_cndmask_b32_e64 v7, -1, v46, s[6:7]
	;; [unrolled: 2-line block ×4, first 2 shown]
	v_xor_b32_e32 v7, v7, v3
	v_cmp_o_f32_e64 s[6:7], v3, v3
	v_xor_b32_e32 v3, v8, v4
	v_cmp_o_f32_e64 s[12:13], v4, v4
	;; [unrolled: 2-line block ×4, first 2 shown]
	v_cndmask_b32_e64 v2, -1, v5, s[16:17]
	v_cndmask_b32_e64 v5, -1, v7, s[6:7]
	v_and_b32_e32 v6, v2, v47
	v_bfe_u32 v2, v2, s88, 2
	v_cndmask_b32_e64 v3, -1, v3, s[12:13]
	v_and_b32_e32 v7, v5, v47
	v_bfe_u32 v5, v5, s88, 2
	v_cmp_eq_u32_e64 s[18:19], v6, v44
	v_cmp_eq_u32_e64 s[6:7], 0, v2
	v_cndmask_b32_e64 v4, -1, v4, s[14:15]
	v_and_b32_e32 v8, v3, v47
	v_bfe_u32 v3, v3, s88, 2
	v_cmp_eq_u32_e64 s[16:17], v7, v44
	v_cmp_eq_u32_e64 s[30:31], 0, v5
	s_and_b64 s[6:7], s[18:19], s[6:7]
	v_and_b32_e32 v9, v4, v47
	v_bfe_u32 v4, v4, s88, 2
	v_cmp_eq_u32_e64 s[14:15], v8, v44
	v_cmp_eq_u32_e64 s[34:35], 0, v3
	;; [unrolled: 1-line block ×5, first 2 shown]
	v_cndmask_b32_e64 v2, 0, 1, s[6:7]
	s_and_b64 s[6:7], s[16:17], s[30:31]
	v_cmp_eq_u32_e64 s[12:13], v9, v44
	v_cmp_eq_u32_e64 s[36:37], 0, v4
	;; [unrolled: 1-line block ×5, first 2 shown]
	v_cndmask_b32_e64 v3, 0, 1, s[6:7]
	s_and_b64 s[6:7], s[14:15], s[34:35]
	v_cmp_eq_u32_e64 s[44:45], 1, v4
	v_cmp_eq_u32_e64 s[52:53], 2, v4
	;; [unrolled: 1-line block ×3, first 2 shown]
	v_cndmask_b32_e64 v4, 0, 1, s[6:7]
	s_and_b64 s[6:7], s[12:13], s[36:37]
	v_cmp_eq_u32_e64 s[40:41], 1, v5
	v_cmp_eq_u32_e64 s[48:49], 2, v5
	;; [unrolled: 1-line block ×3, first 2 shown]
	v_cndmask_b32_e64 v5, 0, 1, s[6:7]
	v_cmp_ne_u32_e64 s[6:7], 0, v2
	v_cmp_ne_u32_e64 s[30:31], 0, v3
	v_cmp_ne_u32_e64 s[34:35], 0, v4
	v_cmp_ne_u32_e64 s[36:37], 0, v5
	s_bcnt1_i32_b64 s6, s[6:7]
	s_bcnt1_i32_b64 s7, s[30:31]
	s_bcnt1_i32_b64 s30, s[34:35]
	s_bcnt1_i32_b64 s31, s[36:37]
	s_add_u32 s6, s6, s28
	s_addc_u32 s28, 0, s29
	s_add_u32 s6, s6, s7
	s_addc_u32 s7, s28, 0
	s_add_u32 s6, s6, s30
	s_addc_u32 s7, s7, 0
	s_add_u32 s28, s6, s31
	s_addc_u32 s29, s7, 0
	s_and_b64 s[6:7], s[18:19], s[38:39]
	v_cndmask_b32_e64 v4, 0, 1, s[6:7]
	s_and_b64 s[6:7], s[16:17], s[40:41]
	v_cndmask_b32_e64 v5, 0, 1, s[6:7]
	s_and_b64 s[6:7], s[14:15], s[42:43]
	v_cndmask_b32_e64 v6, 0, 1, s[6:7]
	s_and_b64 s[6:7], s[12:13], s[44:45]
	v_cndmask_b32_e64 v7, 0, 1, s[6:7]
	v_cmp_ne_u32_e64 s[6:7], 0, v4
	v_cmp_ne_u32_e64 s[30:31], 0, v5
	v_cmp_ne_u32_e64 s[34:35], 0, v6
	v_cmp_ne_u32_e64 s[36:37], 0, v7
	s_bcnt1_i32_b64 s6, s[6:7]
	s_bcnt1_i32_b64 s7, s[30:31]
	s_bcnt1_i32_b64 s30, s[34:35]
	s_bcnt1_i32_b64 s31, s[36:37]
	s_add_u32 s6, s6, s64
	s_addc_u32 s34, 0, s65
	s_add_u32 s6, s6, s7
	s_addc_u32 s7, s34, 0
	s_add_u32 s6, s6, s30
	s_addc_u32 s7, s7, 0
	s_add_u32 s64, s6, s31
	s_addc_u32 s65, s7, 0
	s_and_b64 s[6:7], s[18:19], s[46:47]
	v_cndmask_b32_e64 v6, 0, 1, s[6:7]
	s_and_b64 s[6:7], s[16:17], s[48:49]
	v_cndmask_b32_e64 v7, 0, 1, s[6:7]
	s_and_b64 s[6:7], s[14:15], s[50:51]
	v_cndmask_b32_e64 v8, 0, 1, s[6:7]
	s_and_b64 s[6:7], s[12:13], s[52:53]
	;; [unrolled: 24-line block ×3, first 2 shown]
	v_cndmask_b32_e64 v32, 0, 1, s[6:7]
	v_cmp_ne_u32_e64 s[6:7], 0, v8
	v_cmp_ne_u32_e64 s[12:13], 0, v9
	v_cmp_ne_u32_e64 s[14:15], 0, v31
	v_cmp_ne_u32_e64 s[16:17], 0, v32
	s_bcnt1_i32_b64 s6, s[6:7]
	s_bcnt1_i32_b64 s7, s[12:13]
	;; [unrolled: 1-line block ×4, first 2 shown]
	s_add_u32 s6, s6, s8
	s_addc_u32 s8, 0, s9
	s_add_u32 s6, s6, s7
	s_addc_u32 s7, s8, 0
	;; [unrolled: 2-line block ×3, first 2 shown]
	v_cmp_le_u64_e32 vcc, s[2:3], v[29:30]
	s_add_u32 s8, s6, s13
	v_mov_b32_e32 v2, s28
	v_mov_b32_e32 v4, s64
	;; [unrolled: 1-line block ×3, first 2 shown]
	s_addc_u32 s9, s7, 0
	v_mov_b32_e32 v8, s8
	v_add_u32_e32 v25, s81, v25
	v_mov_b32_e32 v3, s29
	v_mov_b32_e32 v5, s65
	v_mov_b32_e32 v7, s91
	s_or_b64 s[0:1], vcc, s[0:1]
	v_mov_b32_e32 v9, s9
	s_andn2_b64 exec, exec, s[0:1]
	s_cbranch_execnz .LBB53_69
; %bb.70:                               ;   in Loop: Header=BB53_16 Depth=1
	s_or_b64 exec, exec, s[0:1]
	v_readlane_b32 s52, v56, 44
	v_readlane_b32 s53, v56, 45
	;; [unrolled: 1-line block ×3, first 2 shown]
.LBB53_71:                              ;   in Loop: Header=BB53_16 Depth=1
	s_or_b64 exec, exec, s[54:55]
	v_mov_b32_e32 v25, s3
	v_add_co_u32_e32 v29, vcc, s2, v0
	s_and_b32 s82, s58, 0x7fffffff
	v_addc_co_u32_e32 v30, vcc, 0, v25, vcc
	v_cmp_gt_u64_e32 vcc, s[82:83], v[29:30]
	s_and_saveexec_b64 s[0:1], vcc
	s_cbranch_execz .LBB53_75
; %bb.72:                               ;   in Loop: Header=BB53_16 Depth=1
	v_lshl_add_u32 v25, s80, 4, v14
	s_mov_b64 s[2:3], 0
.LBB53_73:                              ;   Parent Loop BB53_16 Depth=1
                                        ; =>  This Inner Loop Header: Depth=2
	ds_read_b32 v31, v25
	v_add_u32_e32 v25, s59, v25
	s_waitcnt lgkmcnt(0)
	v_cmp_lt_i32_e32 vcc, -1, v31
	v_cndmask_b32_e32 v32, -1, v46, vcc
	v_cmp_o_f32_e32 vcc, v31, v31
	v_xor_b32_e32 v31, v32, v31
	v_cndmask_b32_e32 v31, -1, v31, vcc
	v_and_b32_e32 v32, v31, v47
	v_bfe_u32 v31, v31, s88, 2
	v_cmp_eq_u32_e32 vcc, v32, v44
	v_cmp_eq_u32_e64 s[6:7], 0, v31
	s_and_b64 s[6:7], vcc, s[6:7]
	v_cndmask_b32_e64 v32, 0, 1, s[6:7]
	v_cmp_ne_u32_e64 s[6:7], 0, v32
	s_bcnt1_i32_b64 s6, s[6:7]
	v_add_co_u32_e64 v2, s[6:7], s6, v2
	v_addc_co_u32_e64 v3, s[6:7], 0, v3, s[6:7]
	v_cmp_eq_u32_e64 s[6:7], 1, v31
	s_and_b64 s[6:7], vcc, s[6:7]
	v_cndmask_b32_e64 v32, 0, 1, s[6:7]
	v_cmp_ne_u32_e64 s[6:7], 0, v32
	s_bcnt1_i32_b64 s6, s[6:7]
	v_add_co_u32_e64 v4, s[6:7], s6, v4
	v_addc_co_u32_e64 v5, s[6:7], 0, v5, s[6:7]
	;; [unrolled: 7-line block ×3, first 2 shown]
	v_cmp_eq_u32_e64 s[6:7], 3, v31
	s_and_b64 s[6:7], vcc, s[6:7]
	v_cndmask_b32_e64 v31, 0, 1, s[6:7]
	v_cmp_ne_u32_e32 vcc, 0, v31
	s_bcnt1_i32_b64 s6, vcc
	v_add_co_u32_e32 v8, vcc, s6, v8
	v_addc_co_u32_e32 v9, vcc, 0, v9, vcc
	v_add_co_u32_sdwa v29, vcc, v29, v12 dst_sel:DWORD dst_unused:UNUSED_PAD src0_sel:DWORD src1_sel:WORD_0
	v_addc_co_u32_e32 v30, vcc, 0, v30, vcc
	v_cmp_le_u64_e32 vcc, s[82:83], v[29:30]
	s_or_b64 s[2:3], vcc, s[2:3]
	s_andn2_b64 exec, exec, s[2:3]
	s_cbranch_execnz .LBB53_73
; %bb.74:                               ;   in Loop: Header=BB53_16 Depth=1
	s_or_b64 exec, exec, s[2:3]
.LBB53_75:                              ;   in Loop: Header=BB53_16 Depth=1
	s_or_b64 exec, exec, s[0:1]
	s_mov_b32 s81, s67
	s_lshl_b32 s2, s89, 6
	s_and_saveexec_b64 s[0:1], s[4:5]
	s_cbranch_execnz .LBB53_46
	s_branch .LBB53_47
.LBB53_76:                              ;   in Loop: Header=BB53_16 Depth=1
                                        ; implicit-def: $sgpr18_sgpr19
	s_branch .LBB53_55
.LBB53_77:                              ;   in Loop: Header=BB53_16 Depth=1
	s_or_b64 exec, exec, s[2:3]
	s_waitcnt lgkmcnt(0)
	s_barrier
	s_mov_b64 s[2:3], exec
	v_readlane_b32 s6, v56, 12
	v_readlane_b32 s7, v56, 13
	s_and_b64 s[6:7], s[2:3], s[6:7]
	s_mov_b64 exec, s[6:7]
	s_cbranch_execz .LBB53_79
; %bb.78:                               ;   in Loop: Header=BB53_16 Depth=1
	ds_read_b32 v2, v13 offset:5136
	s_waitcnt lgkmcnt(0)
	v_ashrrev_i32_e32 v3, 31, v2
	ds_write_b64 v13, v[2:3] offset:5120
.LBB53_79:                              ;   in Loop: Header=BB53_16 Depth=1
	s_or_b64 exec, exec, s[2:3]
	s_waitcnt lgkmcnt(0)
	s_barrier
	s_mov_b64 s[2:3], -1
	s_and_b64 vcc, exec, s[0:1]
	s_cbranch_vccnz .LBB53_32
	s_branch .LBB53_41
.LBB53_80:                              ;   in Loop: Header=BB53_16 Depth=1
	v_mov_b32_e32 v2, 0
	v_mov_b32_e32 v3, 0
	s_mov_b32 s3, 0
.LBB53_81:                              ;   in Loop: Header=BB53_16 Depth=1
	v_readlane_b32 s6, v56, 38
	v_readlane_b32 s7, v56, 39
	s_andn2_b64 vcc, exec, s[6:7]
	s_cbranch_vccnz .LBB53_84
; %bb.82:                               ;   in Loop: Header=BB53_16 Depth=1
	s_lshl_b32 s6, s89, 9
	s_lshl_b32 s3, s3, 5
	s_add_i32 s6, s6, s3
	v_add_u32_e32 v4, s6, v43
	s_mov_b32 s3, s66
.LBB53_83:                              ;   Parent Loop BB53_16 Depth=1
                                        ; =>  This Inner Loop Header: Depth=2
	ds_read_b64 v[5:6], v4
	s_add_i32 s3, s3, -1
	v_add_u32_e32 v4, 32, v4
	s_cmp_lg_u32 s3, 0
	s_waitcnt lgkmcnt(0)
	v_add_co_u32_e32 v2, vcc, v5, v2
	v_addc_co_u32_e32 v3, vcc, v6, v3, vcc
	s_cbranch_scc1 .LBB53_83
.LBB53_84:                              ;   in Loop: Header=BB53_16 Depth=1
	v_add_lshl_u32 v4, s2, v33, 3
	ds_write_b64 v4, v[2:3] offset:3072
.LBB53_85:                              ;   in Loop: Header=BB53_16 Depth=1
	s_or_b64 exec, exec, s[0:1]
	s_lshl_b32 s0, s2, 3
	v_mov_b32_e32 v2, s0
	s_waitcnt lgkmcnt(0)
	s_barrier
	ds_read_b128 v[6:9], v2 offset:3088
	ds_read_b128 v[2:5], v2 offset:3072
	v_cmp_eq_u64_e64 s[6:7], 1, v[27:28]
	s_lshl_b32 s54, 3, s88
	s_not_b32 s48, s54
	s_waitcnt lgkmcnt(1)
	v_readfirstlane_b32 s20, v6
	s_waitcnt lgkmcnt(0)
	v_cmp_eq_u64_e32 vcc, 1, v[2:3]
	v_readfirstlane_b32 s21, v7
	v_readfirstlane_b32 s12, v8
	;; [unrolled: 1-line block ×3, first 2 shown]
	s_and_b64 s[16:17], vcc, s[6:7]
	s_mov_b64 s[6:7], -1
	s_mov_b64 s[8:9], -1
                                        ; implicit-def: $sgpr0_sgpr1
                                        ; implicit-def: $sgpr2_sgpr3
	s_and_saveexec_b64 s[14:15], s[16:17]
	s_cbranch_execz .LBB53_119
; %bb.86:                               ;   in Loop: Header=BB53_16 Depth=1
	ds_read_b64 v[6:7], v13 offset:5120
	s_waitcnt lgkmcnt(0)
	s_barrier
	v_readfirstlane_b32 s18, v6
	v_readfirstlane_b32 s19, v7
	s_and_saveexec_b64 s[0:1], s[52:53]
; %bb.87:                               ;   in Loop: Header=BB53_16 Depth=1
	ds_write_b32 v45, v13
; %bb.88:                               ;   in Loop: Header=BB53_16 Depth=1
	s_or_b64 exec, exec, s[0:1]
	v_cmp_lt_i64_e64 s[8:9], s[18:19], 1
	v_and_b32_e32 v44, s48, v44
	v_or_b32_e32 v47, s54, v47
	s_mov_b64 s[2:3], -1
	s_mov_b64 s[0:1], 0
	s_and_b64 vcc, exec, s[8:9]
	s_mov_b64 s[8:9], 0
	s_mov_b64 s[22:23], -1
	s_waitcnt lgkmcnt(0)
	s_barrier
                                        ; implicit-def: $vgpr26
	s_cbranch_vccz .LBB53_103
; %bb.89:                               ;   in Loop: Header=BB53_16 Depth=1
	s_mov_b32 s80, s83
	s_cmp_lg_u64 s[80:81], 0
	s_cbranch_scc0 .LBB53_146
; %bb.90:                               ;   in Loop: Header=BB53_16 Depth=1
	s_add_u32 s8, s33, 0
	s_addc_u32 s9, 0, 0
	s_xor_b64 s[8:9], s[8:9], 0
	v_cvt_f32_u32_e32 v6, s8
	v_cvt_f32_u32_e32 v7, s9
	s_sub_u32 s24, 0, s8
	s_subb_u32 s25, 0, s9
	v_mac_f32_e32 v6, 0x4f800000, v7
	v_rcp_f32_e32 v6, v6
	v_mul_f32_e32 v6, 0x5f7ffffc, v6
	v_mul_f32_e32 v7, 0x2f800000, v6
	v_trunc_f32_e32 v7, v7
	v_mac_f32_e32 v6, 0xcf800000, v7
	v_cvt_u32_f32_e32 v7, v7
	v_cvt_u32_f32_e32 v6, v6
	v_readfirstlane_b32 s26, v7
	v_readfirstlane_b32 s22, v6
	s_mul_i32 s23, s24, s26
	s_mul_hi_u32 s28, s24, s22
	s_mul_i32 s27, s25, s22
	s_add_i32 s23, s28, s23
	s_mul_i32 s29, s24, s22
	s_add_i32 s23, s23, s27
	s_mul_i32 s28, s22, s23
	s_mul_hi_u32 s30, s22, s29
	s_mul_hi_u32 s27, s22, s23
	s_add_u32 s28, s30, s28
	s_addc_u32 s27, 0, s27
	s_mul_hi_u32 s31, s26, s29
	s_mul_i32 s29, s26, s29
	s_add_u32 s28, s28, s29
	s_mul_hi_u32 s30, s26, s23
	s_addc_u32 s27, s27, s31
	s_addc_u32 s28, s30, 0
	s_mul_i32 s23, s26, s23
	s_add_u32 s23, s27, s23
	s_addc_u32 s27, 0, s28
	s_add_u32 s28, s22, s23
	s_cselect_b64 s[22:23], -1, 0
	s_cmp_lg_u64 s[22:23], 0
	s_addc_u32 s26, s26, s27
	s_mul_i32 s22, s24, s26
	s_mul_hi_u32 s23, s24, s28
	s_add_i32 s22, s23, s22
	s_mul_i32 s25, s25, s28
	s_add_i32 s22, s22, s25
	s_mul_i32 s24, s24, s28
	s_mul_hi_u32 s25, s26, s24
	s_mul_i32 s27, s26, s24
	s_mul_i32 s30, s28, s22
	s_mul_hi_u32 s24, s28, s24
	s_mul_hi_u32 s29, s28, s22
	s_add_u32 s24, s24, s30
	s_addc_u32 s29, 0, s29
	s_add_u32 s24, s24, s27
	s_mul_hi_u32 s23, s26, s22
	s_addc_u32 s24, s29, s25
	s_addc_u32 s23, s23, 0
	s_mul_i32 s22, s26, s22
	s_add_u32 s22, s24, s22
	s_addc_u32 s24, 0, s23
	s_add_u32 s27, s28, s22
	s_cselect_b64 s[22:23], -1, 0
	s_cmp_lg_u64 s[22:23], 0
	s_addc_u32 s26, s26, s24
	s_ashr_i32 s22, s81, 31
	s_add_u32 s24, s51, s22
	s_mov_b32 s23, s22
	s_addc_u32 s25, s81, s22
	s_xor_b64 s[24:25], s[24:25], s[22:23]
	s_mul_i32 s29, s24, s26
	s_mul_hi_u32 s30, s24, s27
	s_mul_hi_u32 s28, s24, s26
	s_add_u32 s29, s30, s29
	s_addc_u32 s28, 0, s28
	s_mul_hi_u32 s31, s25, s27
	s_mul_i32 s27, s25, s27
	s_add_u32 s27, s29, s27
	s_mul_hi_u32 s30, s25, s26
	s_addc_u32 s27, s28, s31
	s_addc_u32 s28, s30, 0
	s_mul_i32 s26, s25, s26
	s_add_u32 s26, s27, s26
	s_addc_u32 s27, 0, s28
	s_mul_i32 s27, s8, s27
	s_mul_hi_u32 s28, s8, s26
	s_add_i32 s27, s28, s27
	s_mul_i32 s28, s9, s26
	s_add_i32 s30, s27, s28
	s_sub_i32 s28, s25, s30
	s_mul_i32 s26, s8, s26
	s_sub_u32 s24, s24, s26
	s_cselect_b64 s[26:27], -1, 0
	s_cmp_lg_u64 s[26:27], 0
	s_subb_u32 s31, s28, s9
	s_sub_u32 s34, s24, s8
	s_cselect_b64 s[28:29], -1, 0
	s_cmp_lg_u64 s[28:29], 0
	s_subb_u32 s35, s31, 0
	s_cmp_ge_u32 s35, s9
	s_cselect_b32 s36, -1, 0
	s_cmp_ge_u32 s34, s8
	s_cselect_b32 s37, -1, 0
	s_cmp_eq_u32 s35, s9
	s_cselect_b32 s36, s37, s36
	s_cmp_lg_u64 s[28:29], 0
	s_subb_u32 s31, s31, s9
	s_sub_u32 s37, s34, s8
	s_cselect_b64 s[28:29], -1, 0
	s_cmp_lg_u64 s[28:29], 0
	s_subb_u32 s28, s31, 0
	s_cmp_lg_u32 s36, 0
	s_cselect_b32 s29, s37, s34
	s_cselect_b32 s28, s28, s35
	s_cmp_lg_u64 s[26:27], 0
	s_subb_u32 s25, s25, s30
	s_cmp_ge_u32 s25, s9
	s_cselect_b32 s26, -1, 0
	s_cmp_ge_u32 s24, s8
	s_cselect_b32 s8, -1, 0
	s_cmp_eq_u32 s25, s9
	s_cselect_b32 s8, s8, s26
	s_cmp_lg_u32 s8, 0
	s_cselect_b32 s9, s28, s25
	s_cselect_b32 s8, s29, s24
	s_xor_b64 s[8:9], s[8:9], s[22:23]
	s_sub_u32 s8, s8, s22
	s_subb_u32 s9, s9, s22
	s_cbranch_execnz .LBB53_92
.LBB53_91:                              ;   in Loop: Header=BB53_16 Depth=1
	v_cvt_f32_u32_e32 v6, s33
	s_sub_i32 s8, 0, s33
	v_rcp_iflag_f32_e32 v6, v6
	v_mul_f32_e32 v6, 0x4f7ffffe, v6
	v_cvt_u32_f32_e32 v6, v6
	v_readfirstlane_b32 s9, v6
	s_mul_i32 s8, s8, s9
	s_mul_hi_u32 s8, s9, s8
	s_add_i32 s9, s9, s8
	s_mul_hi_u32 s8, s51, s9
	s_mul_i32 s8, s8, s33
	s_sub_i32 s8, s51, s8
	s_sub_i32 s9, s8, s33
	s_cmp_ge_u32 s8, s33
	s_cselect_b32 s8, s9, s8
	s_sub_i32 s9, s8, s33
	s_cmp_ge_u32 s8, s33
	s_cselect_b32 s82, s9, s8
	s_mov_b64 s[8:9], s[82:83]
.LBB53_92:                              ;   in Loop: Header=BB53_16 Depth=1
	s_sub_u32 s26, s51, s8
	s_subb_u32 s27, s81, s9
	v_cmp_gt_i64_e32 vcc, s[26:27], v[0:1]
	s_mov_b64 s[22:23], 0
	s_mov_b64 s[8:9], 0
                                        ; implicit-def: $vgpr26
	s_and_saveexec_b64 s[24:25], vcc
	s_cbranch_execz .LBB53_102
; %bb.93:                               ;   in Loop: Header=BB53_16 Depth=1
	v_mov_b32_e32 v6, v10
	v_mov_b32_e32 v9, v1
	;; [unrolled: 1-line block ×4, first 2 shown]
                                        ; implicit-def: $sgpr28_sgpr29
	s_branch .LBB53_97
.LBB53_94:                              ;   in Loop: Header=BB53_97 Depth=2
	s_or_b64 exec, exec, s[30:31]
	s_waitcnt lgkmcnt(0)
	s_barrier
	ds_read_b64 v[25:26], v13 offset:3072
	s_waitcnt lgkmcnt(0)
	s_barrier
	v_cmp_neq_f32_e32 vcc, 0, v25
	s_cbranch_vccnz .LBB53_100
; %bb.95:                               ;   in Loop: Header=BB53_97 Depth=2
	v_add_co_u32_e32 v8, vcc, s33, v8
	v_addc_co_u32_e32 v9, vcc, 0, v9, vcc
	v_mov_b32_e32 v12, s85
	v_add_co_u32_e32 v6, vcc, s84, v6
	v_addc_co_u32_e32 v7, vcc, v7, v12, vcc
	v_cmp_le_i64_e32 vcc, s[26:27], v[8:9]
	s_mov_b64 s[30:31], 0
	s_orn2_b64 s[34:35], vcc, exec
.LBB53_96:                              ;   in Loop: Header=BB53_97 Depth=2
	s_and_b64 s[34:35], exec, s[34:35]
	s_or_b64 s[8:9], s[34:35], s[8:9]
	s_andn2_b64 s[28:29], s[28:29], exec
	s_and_b64 s[30:31], s[30:31], exec
	s_or_b64 s[28:29], s[28:29], s[30:31]
	s_andn2_b64 exec, exec, s[8:9]
	s_cbranch_execz .LBB53_101
.LBB53_97:                              ;   Parent Loop BB53_16 Depth=1
                                        ; =>  This Inner Loop Header: Depth=2
	v_cmp_gt_i64_e32 vcc, s[56:57], v[8:9]
	s_and_saveexec_b64 s[30:31], vcc
	s_cbranch_execz .LBB53_94
; %bb.98:                               ;   in Loop: Header=BB53_97 Depth=2
	global_load_dword v25, v[6:7], off
	s_waitcnt vmcnt(0)
	v_cmp_lt_i32_e32 vcc, -1, v25
	v_cndmask_b32_e32 v12, -1, v46, vcc
	v_xor_b32_e32 v12, v12, v25
	v_cmp_o_f32_e32 vcc, v25, v25
	v_cndmask_b32_e32 v12, -1, v12, vcc
	v_and_b32_e32 v12, v12, v47
	v_cmp_eq_u32_e32 vcc, v12, v44
	s_and_b64 exec, exec, vcc
	s_cbranch_execz .LBB53_94
; %bb.99:                               ;   in Loop: Header=BB53_97 Depth=2
	ds_write_b64 v13, v[24:25] offset:3072
	s_branch .LBB53_94
.LBB53_100:                             ;   in Loop: Header=BB53_97 Depth=2
	s_mov_b64 s[34:35], -1
                                        ; implicit-def: $vgpr8_vgpr9
                                        ; implicit-def: $vgpr6_vgpr7
	s_mov_b64 s[30:31], -1
	s_branch .LBB53_96
.LBB53_101:                             ;   in Loop: Header=BB53_16 Depth=1
	s_or_b64 exec, exec, s[8:9]
	s_and_b64 s[8:9], s[28:29], exec
.LBB53_102:                             ;   in Loop: Header=BB53_16 Depth=1
	s_or_b64 exec, exec, s[24:25]
.LBB53_103:                             ;   in Loop: Header=BB53_16 Depth=1
	s_and_b64 vcc, exec, s[22:23]
	s_cbranch_vccz .LBB53_118
; %bb.104:                              ;   in Loop: Header=BB53_16 Depth=1
	v_readlane_b32 s0, v56, 32
	s_add_u32 s24, s18, s0
	v_readlane_b32 s0, v56, 33
	s_addc_u32 s1, s19, s0
	s_mov_b32 s0, s83
	s_cmp_lg_u64 s[0:1], 0
	s_cbranch_scc0 .LBB53_147
; %bb.105:                              ;   in Loop: Header=BB53_16 Depth=1
	s_add_u32 s2, s33, 0
	s_addc_u32 s3, 0, 0
	s_xor_b64 s[2:3], s[2:3], 0
	v_cvt_f32_u32_e32 v6, s2
	v_cvt_f32_u32_e32 v7, s3
	s_sub_u32 s0, 0, s2
	s_subb_u32 s25, 0, s3
	v_mac_f32_e32 v6, 0x4f800000, v7
	v_rcp_f32_e32 v6, v6
	v_mul_f32_e32 v6, 0x5f7ffffc, v6
	v_mul_f32_e32 v7, 0x2f800000, v6
	v_trunc_f32_e32 v7, v7
	v_mac_f32_e32 v6, 0xcf800000, v7
	v_cvt_u32_f32_e32 v7, v7
	v_cvt_u32_f32_e32 v6, v6
	v_readfirstlane_b32 s26, v7
	v_readfirstlane_b32 s22, v6
	s_mul_i32 s23, s0, s26
	s_mul_hi_u32 s28, s0, s22
	s_mul_i32 s27, s25, s22
	s_add_i32 s23, s28, s23
	s_mul_i32 s29, s0, s22
	s_add_i32 s23, s23, s27
	s_mul_i32 s28, s22, s23
	s_mul_hi_u32 s30, s22, s29
	s_mul_hi_u32 s27, s22, s23
	s_add_u32 s28, s30, s28
	s_addc_u32 s27, 0, s27
	s_mul_hi_u32 s31, s26, s29
	s_mul_i32 s29, s26, s29
	s_add_u32 s28, s28, s29
	s_mul_hi_u32 s30, s26, s23
	s_addc_u32 s27, s27, s31
	s_addc_u32 s28, s30, 0
	s_mul_i32 s23, s26, s23
	s_add_u32 s23, s27, s23
	s_addc_u32 s27, 0, s28
	s_add_u32 s28, s22, s23
	s_cselect_b64 s[22:23], -1, 0
	s_cmp_lg_u64 s[22:23], 0
	s_addc_u32 s26, s26, s27
	s_mul_i32 s22, s0, s26
	s_mul_hi_u32 s23, s0, s28
	s_add_i32 s22, s23, s22
	s_mul_i32 s25, s25, s28
	s_add_i32 s22, s22, s25
	s_mul_i32 s0, s0, s28
	s_mul_hi_u32 s25, s26, s0
	s_mul_i32 s27, s26, s0
	s_mul_i32 s30, s28, s22
	s_mul_hi_u32 s0, s28, s0
	s_mul_hi_u32 s29, s28, s22
	s_add_u32 s0, s0, s30
	s_addc_u32 s29, 0, s29
	s_add_u32 s0, s0, s27
	s_mul_hi_u32 s23, s26, s22
	s_addc_u32 s0, s29, s25
	s_addc_u32 s23, s23, 0
	s_mul_i32 s22, s26, s22
	s_add_u32 s0, s0, s22
	s_addc_u32 s25, 0, s23
	s_add_u32 s0, s28, s0
	s_cselect_b64 s[22:23], -1, 0
	s_cmp_lg_u64 s[22:23], 0
	s_addc_u32 s25, s26, s25
	s_ashr_i32 s22, s1, 31
	s_add_u32 s26, s24, s22
	s_mov_b32 s23, s22
	s_addc_u32 s27, s1, s22
	s_xor_b64 s[26:27], s[26:27], s[22:23]
	s_mul_i32 s29, s26, s25
	s_mul_hi_u32 s30, s26, s0
	s_mul_hi_u32 s28, s26, s25
	s_add_u32 s29, s30, s29
	s_addc_u32 s28, 0, s28
	s_mul_hi_u32 s31, s27, s0
	s_mul_i32 s0, s27, s0
	s_add_u32 s0, s29, s0
	s_mul_hi_u32 s30, s27, s25
	s_addc_u32 s0, s28, s31
	s_addc_u32 s28, s30, 0
	s_mul_i32 s25, s27, s25
	s_add_u32 s0, s0, s25
	s_addc_u32 s25, 0, s28
	s_mul_i32 s25, s2, s25
	s_mul_hi_u32 s28, s2, s0
	s_add_i32 s25, s28, s25
	s_mul_i32 s28, s3, s0
	s_add_i32 s25, s25, s28
	s_sub_i32 s30, s27, s25
	s_mul_i32 s0, s2, s0
	s_sub_u32 s0, s26, s0
	s_cselect_b64 s[28:29], -1, 0
	s_cmp_lg_u64 s[28:29], 0
	s_subb_u32 s26, s30, s3
	s_sub_u32 s34, s0, s2
	s_cselect_b64 s[30:31], -1, 0
	s_cmp_lg_u64 s[30:31], 0
	s_subb_u32 s35, s26, 0
	s_cmp_ge_u32 s35, s3
	s_cselect_b32 s36, -1, 0
	s_cmp_ge_u32 s34, s2
	s_cselect_b32 s37, -1, 0
	s_cmp_eq_u32 s35, s3
	s_cselect_b32 s36, s37, s36
	s_cmp_lg_u64 s[30:31], 0
	s_subb_u32 s26, s26, s3
	s_sub_u32 s37, s34, s2
	s_cselect_b64 s[30:31], -1, 0
	s_cmp_lg_u64 s[30:31], 0
	s_subb_u32 s26, s26, 0
	s_cmp_lg_u32 s36, 0
	s_cselect_b32 s30, s37, s34
	s_cselect_b32 s26, s26, s35
	s_cmp_lg_u64 s[28:29], 0
	s_subb_u32 s25, s27, s25
	s_cmp_ge_u32 s25, s3
	s_cselect_b32 s27, -1, 0
	s_cmp_ge_u32 s0, s2
	s_cselect_b32 s2, -1, 0
	s_cmp_eq_u32 s25, s3
	s_cselect_b32 s2, s2, s27
	s_cmp_lg_u32 s2, 0
	s_cselect_b32 s3, s26, s25
	s_cselect_b32 s2, s30, s0
	s_xor_b64 s[2:3], s[2:3], s[22:23]
	s_sub_u32 s2, s2, s22
	s_subb_u32 s3, s3, s22
	s_cbranch_execnz .LBB53_107
.LBB53_106:                             ;   in Loop: Header=BB53_16 Depth=1
	v_cvt_f32_u32_e32 v6, s33
	s_sub_i32 s0, 0, s33
	v_rcp_iflag_f32_e32 v6, v6
	v_mul_f32_e32 v6, 0x4f7ffffe, v6
	v_cvt_u32_f32_e32 v6, v6
	v_readfirstlane_b32 s2, v6
	s_mul_i32 s0, s0, s2
	s_mul_hi_u32 s0, s2, s0
	s_add_i32 s2, s2, s0
	s_mul_hi_u32 s0, s24, s2
	s_mul_i32 s0, s0, s33
	s_sub_i32 s0, s24, s0
	s_sub_i32 s2, s0, s33
	s_cmp_ge_u32 s0, s33
	s_cselect_b32 s0, s2, s0
	s_sub_i32 s2, s0, s33
	s_cmp_ge_u32 s0, s33
	s_cselect_b32 s82, s2, s0
	s_mov_b64 s[2:3], s[82:83]
.LBB53_107:                             ;   in Loop: Header=BB53_16 Depth=1
	s_sub_u32 s2, s24, s2
	s_subb_u32 s3, s1, s3
	v_cmp_gt_i64_e32 vcc, s[2:3], v[0:1]
                                        ; implicit-def: $vgpr26
	s_and_saveexec_b64 s[0:1], vcc
	s_cbranch_execz .LBB53_117
; %bb.108:                              ;   in Loop: Header=BB53_16 Depth=1
	v_mov_b32_e32 v7, v1
	s_mov_b64 s[22:23], 0
	v_mov_b32_e32 v8, v14
	v_mov_b32_e32 v6, v0
                                        ; implicit-def: $sgpr24_sgpr25
	s_branch .LBB53_112
.LBB53_109:                             ;   in Loop: Header=BB53_112 Depth=2
	s_or_b64 exec, exec, s[26:27]
	s_waitcnt lgkmcnt(0)
	s_barrier
	ds_read_b64 v[25:26], v13 offset:3072
	s_waitcnt lgkmcnt(0)
	s_barrier
	v_cmp_neq_f32_e32 vcc, 0, v25
	s_cbranch_vccnz .LBB53_115
; %bb.110:                              ;   in Loop: Header=BB53_112 Depth=2
	v_add_co_u32_e32 v6, vcc, s33, v6
	v_addc_co_u32_e32 v7, vcc, 0, v7, vcc
	v_cmp_le_i64_e32 vcc, s[2:3], v[6:7]
	v_add_u32_e32 v8, s87, v8
	s_mov_b64 s[26:27], 0
	s_orn2_b64 s[28:29], vcc, exec
.LBB53_111:                             ;   in Loop: Header=BB53_112 Depth=2
	s_and_b64 s[28:29], exec, s[28:29]
	s_or_b64 s[22:23], s[28:29], s[22:23]
	s_andn2_b64 s[24:25], s[24:25], exec
	s_and_b64 s[26:27], s[26:27], exec
	s_or_b64 s[24:25], s[24:25], s[26:27]
	s_andn2_b64 exec, exec, s[22:23]
	s_cbranch_execz .LBB53_116
.LBB53_112:                             ;   Parent Loop BB53_16 Depth=1
                                        ; =>  This Inner Loop Header: Depth=2
	v_cmp_gt_u64_e32 vcc, s[18:19], v[6:7]
	s_and_saveexec_b64 s[26:27], vcc
	s_cbranch_execz .LBB53_109
; %bb.113:                              ;   in Loop: Header=BB53_112 Depth=2
	ds_read_b32 v25, v8
	s_waitcnt lgkmcnt(0)
	v_cmp_lt_i32_e32 vcc, -1, v25
	v_cndmask_b32_e32 v9, -1, v46, vcc
	v_xor_b32_e32 v9, v9, v25
	v_cmp_o_f32_e32 vcc, v25, v25
	v_cndmask_b32_e32 v9, -1, v9, vcc
	v_and_b32_e32 v9, v9, v47
	v_cmp_eq_u32_e32 vcc, v9, v44
	s_and_b64 exec, exec, vcc
	s_cbranch_execz .LBB53_109
; %bb.114:                              ;   in Loop: Header=BB53_112 Depth=2
	ds_write_b64 v13, v[24:25] offset:3072
	s_branch .LBB53_109
.LBB53_115:                             ;   in Loop: Header=BB53_112 Depth=2
	s_mov_b64 s[28:29], -1
                                        ; implicit-def: $vgpr6_vgpr7
                                        ; implicit-def: $vgpr8
	s_mov_b64 s[26:27], -1
	s_branch .LBB53_111
.LBB53_116:                             ;   in Loop: Header=BB53_16 Depth=1
	s_or_b64 exec, exec, s[22:23]
	s_andn2_b64 s[2:3], s[8:9], exec
	s_and_b64 s[8:9], s[24:25], exec
	s_or_b64 s[8:9], s[2:3], s[8:9]
.LBB53_117:                             ;   in Loop: Header=BB53_16 Depth=1
	s_or_b64 exec, exec, s[0:1]
	s_mov_b64 s[2:3], 0
	s_mov_b64 s[0:1], -1
.LBB53_118:                             ;   in Loop: Header=BB53_16 Depth=1
	s_orn2_b64 s[8:9], s[8:9], exec
.LBB53_119:                             ;   in Loop: Header=BB53_16 Depth=1
	s_or_b64 exec, exec, s[14:15]
	s_andn2_b64 s[14:15], s[78:79], exec
	s_and_b64 s[0:1], s[0:1], exec
	s_or_b64 s[78:79], s[14:15], s[0:1]
	s_andn2_b64 s[0:1], s[72:73], exec
	s_and_b64 s[2:3], s[2:3], exec
	s_andn2_b64 s[60:61], s[60:61], exec
	s_or_b64 s[72:73], s[0:1], s[2:3]
                                        ; implicit-def: $vgpr6_vgpr7
	s_and_saveexec_b64 s[14:15], s[8:9]
	s_cbranch_execz .LBB53_15
; %bb.120:                              ;   in Loop: Header=BB53_16 Depth=1
	v_mov_b32_e32 v6, 1
	s_xor_b64 s[6:7], s[16:17], -1
	v_mov_b32_e32 v12, 1
	v_mov_b32_e32 v7, 0
	s_mov_b64 s[2:3], 0
	s_and_saveexec_b64 s[0:1], s[6:7]
	s_cbranch_execz .LBB53_129
; %bb.121:                              ;   in Loop: Header=BB53_16 Depth=1
	v_cmp_le_i64_e32 vcc, v[27:28], v[2:3]
	s_and_saveexec_b64 s[2:3], vcc
	s_xor_b64 s[2:3], exec, s[2:3]
	s_cbranch_execz .LBB53_126
; %bb.122:                              ;   in Loop: Header=BB53_16 Depth=1
	ds_read_b64 v[6:7], v13 offset:5120
	v_and_b32_e32 v44, s48, v44
	v_or_b32_e32 v47, s54, v47
	s_waitcnt lgkmcnt(0)
	v_cmp_ne_u64_e32 vcc, 0, v[6:7]
	s_cbranch_vccnz .LBB53_126
; %bb.123:                              ;   in Loop: Header=BB53_16 Depth=1
	s_mov_b64 s[6:7], exec
	v_readlane_b32 s8, v56, 12
	v_readlane_b32 s9, v56, 13
	s_and_b64 s[8:9], s[6:7], s[8:9]
	s_mov_b64 exec, s[8:9]
; %bb.124:                              ;   in Loop: Header=BB53_16 Depth=1
	ds_write_b64 v13, v[2:3] offset:5128
; %bb.125:                              ;   in Loop: Header=BB53_16 Depth=1
	s_or_b64 exec, exec, s[6:7]
	s_waitcnt lgkmcnt(0)
	s_barrier
.LBB53_126:                             ;   in Loop: Header=BB53_16 Depth=1
	s_or_saveexec_b64 s[2:3], s[2:3]
	s_mov_b64 s[6:7], 0
	v_mov_b32_e32 v12, 8
	s_xor_b64 exec, exec, s[2:3]
; %bb.127:                              ;   in Loop: Header=BB53_16 Depth=1
	v_sub_co_u32_e32 v27, vcc, v27, v2
	s_mov_b64 s[6:7], exec
	v_subb_co_u32_e32 v28, vcc, v28, v3, vcc
	v_mov_b32_e32 v12, 0
; %bb.128:                              ;   in Loop: Header=BB53_16 Depth=1
	s_or_b64 exec, exec, s[2:3]
	v_mov_b32_e32 v6, v27
	s_and_b64 s[2:3], s[6:7], exec
	v_mov_b32_e32 v7, v28
.LBB53_129:                             ;   in Loop: Header=BB53_16 Depth=1
	s_or_b64 exec, exec, s[0:1]
	s_mov_b64 s[16:17], -1
	s_mov_b64 s[0:1], -1
                                        ; implicit-def: $sgpr6_sgpr7
                                        ; implicit-def: $sgpr22_sgpr23
	s_and_saveexec_b64 s[8:9], s[2:3]
	s_xor_b64 s[18:19], exec, s[8:9]
	s_cbranch_execz .LBB53_277
; %bb.130:                              ;   in Loop: Header=BB53_16 Depth=1
	v_cmp_eq_u64_e32 vcc, 1, v[4:5]
	v_cmp_eq_u64_e64 s[6:7], 1, v[6:7]
                                        ; implicit-def: $sgpr22_sgpr23
	s_and_b64 s[26:27], vcc, s[6:7]
                                        ; implicit-def: $sgpr6_sgpr7
	s_and_saveexec_b64 s[24:25], s[26:27]
	s_cbranch_execz .LBB53_166
; %bb.131:                              ;   in Loop: Header=BB53_16 Depth=1
	ds_read_b64 v[2:3], v13 offset:5120
	s_waitcnt lgkmcnt(0)
	s_barrier
	v_readfirstlane_b32 s30, v2
	v_readfirstlane_b32 s31, v3
	s_and_saveexec_b64 s[0:1], s[52:53]
; %bb.132:                              ;   in Loop: Header=BB53_16 Depth=1
	ds_write_b32 v45, v13
; %bb.133:                              ;   in Loop: Header=BB53_16 Depth=1
	s_or_b64 exec, exec, s[0:1]
	v_cmp_gt_i64_e64 s[0:1], s[30:31], 0
	v_and_b32_e32 v2, s48, v44
	v_lshl_or_b32 v44, 1, s88, v2
	v_or_b32_e32 v47, s54, v47
	s_mov_b64 s[6:7], -1
	s_mov_b64 s[22:23], 0
	s_and_b64 vcc, exec, s[0:1]
	s_mov_b64 s[0:1], 0
	s_mov_b64 s[2:3], -1
	s_waitcnt lgkmcnt(0)
	s_barrier
                                        ; implicit-def: $vgpr26
	s_cbranch_vccnz .LBB53_150
; %bb.134:                              ;   in Loop: Header=BB53_16 Depth=1
	s_mov_b32 s80, s83
	s_cmp_lg_u64 s[80:81], 0
	s_cbranch_scc0 .LBB53_194
; %bb.135:                              ;   in Loop: Header=BB53_16 Depth=1
	s_add_u32 s0, s33, 0
	s_addc_u32 s1, 0, 0
	s_xor_b64 s[0:1], s[0:1], 0
	v_cvt_f32_u32_e32 v2, s0
	v_cvt_f32_u32_e32 v3, s1
	s_sub_u32 s8, 0, s0
	s_subb_u32 s9, 0, s1
	v_mac_f32_e32 v2, 0x4f800000, v3
	v_rcp_f32_e32 v2, v2
	v_mul_f32_e32 v2, 0x5f7ffffc, v2
	v_mul_f32_e32 v3, 0x2f800000, v2
	v_trunc_f32_e32 v3, v3
	v_mac_f32_e32 v2, 0xcf800000, v3
	v_cvt_u32_f32_e32 v3, v3
	v_cvt_u32_f32_e32 v2, v2
	v_readfirstlane_b32 s28, v3
	v_readfirstlane_b32 s2, v2
	s_mul_i32 s3, s8, s28
	s_mul_hi_u32 s34, s8, s2
	s_mul_i32 s29, s9, s2
	s_add_i32 s3, s34, s3
	s_mul_i32 s35, s8, s2
	s_add_i32 s3, s3, s29
	s_mul_i32 s34, s2, s3
	s_mul_hi_u32 s36, s2, s35
	s_mul_hi_u32 s29, s2, s3
	s_add_u32 s34, s36, s34
	s_addc_u32 s29, 0, s29
	s_mul_hi_u32 s37, s28, s35
	s_mul_i32 s35, s28, s35
	s_add_u32 s34, s34, s35
	s_mul_hi_u32 s36, s28, s3
	s_addc_u32 s29, s29, s37
	s_addc_u32 s34, s36, 0
	s_mul_i32 s3, s28, s3
	s_add_u32 s3, s29, s3
	s_addc_u32 s29, 0, s34
	s_add_u32 s34, s2, s3
	s_cselect_b64 s[2:3], -1, 0
	s_cmp_lg_u64 s[2:3], 0
	s_addc_u32 s28, s28, s29
	s_mul_i32 s2, s8, s28
	s_mul_hi_u32 s3, s8, s34
	s_add_i32 s2, s3, s2
	s_mul_i32 s9, s9, s34
	s_add_i32 s2, s2, s9
	s_mul_i32 s8, s8, s34
	s_mul_hi_u32 s9, s28, s8
	s_mul_i32 s29, s28, s8
	s_mul_i32 s36, s34, s2
	s_mul_hi_u32 s8, s34, s8
	s_mul_hi_u32 s35, s34, s2
	s_add_u32 s8, s8, s36
	s_addc_u32 s35, 0, s35
	s_add_u32 s8, s8, s29
	s_mul_hi_u32 s3, s28, s2
	s_addc_u32 s8, s35, s9
	s_addc_u32 s3, s3, 0
	s_mul_i32 s2, s28, s2
	s_add_u32 s2, s8, s2
	s_addc_u32 s8, 0, s3
	s_add_u32 s29, s34, s2
	s_cselect_b64 s[2:3], -1, 0
	s_cmp_lg_u64 s[2:3], 0
	s_addc_u32 s28, s28, s8
	s_ashr_i32 s2, s81, 31
	s_add_u32 s8, s51, s2
	s_mov_b32 s3, s2
	s_addc_u32 s9, s81, s2
	s_xor_b64 s[8:9], s[8:9], s[2:3]
	s_mul_i32 s35, s8, s28
	s_mul_hi_u32 s36, s8, s29
	s_mul_hi_u32 s34, s8, s28
	s_add_u32 s35, s36, s35
	s_addc_u32 s34, 0, s34
	s_mul_hi_u32 s37, s9, s29
	s_mul_i32 s29, s9, s29
	s_add_u32 s29, s35, s29
	s_mul_hi_u32 s36, s9, s28
	s_addc_u32 s29, s34, s37
	s_addc_u32 s34, s36, 0
	s_mul_i32 s28, s9, s28
	s_add_u32 s28, s29, s28
	s_addc_u32 s29, 0, s34
	s_mul_i32 s29, s0, s29
	s_mul_hi_u32 s34, s0, s28
	s_add_i32 s29, s34, s29
	s_mul_i32 s34, s1, s28
	s_add_i32 s36, s29, s34
	s_sub_i32 s34, s9, s36
	s_mul_i32 s28, s0, s28
	s_sub_u32 s8, s8, s28
	s_cselect_b64 s[28:29], -1, 0
	s_cmp_lg_u64 s[28:29], 0
	s_subb_u32 s37, s34, s1
	s_sub_u32 s38, s8, s0
	s_cselect_b64 s[34:35], -1, 0
	s_cmp_lg_u64 s[34:35], 0
	s_subb_u32 s39, s37, 0
	s_cmp_ge_u32 s39, s1
	s_cselect_b32 s40, -1, 0
	s_cmp_ge_u32 s38, s0
	s_cselect_b32 s41, -1, 0
	s_cmp_eq_u32 s39, s1
	s_cselect_b32 s40, s41, s40
	s_cmp_lg_u64 s[34:35], 0
	s_subb_u32 s37, s37, s1
	s_sub_u32 s41, s38, s0
	s_cselect_b64 s[34:35], -1, 0
	s_cmp_lg_u64 s[34:35], 0
	s_subb_u32 s34, s37, 0
	s_cmp_lg_u32 s40, 0
	s_cselect_b32 s35, s41, s38
	s_cselect_b32 s34, s34, s39
	s_cmp_lg_u64 s[28:29], 0
	s_subb_u32 s9, s9, s36
	s_cmp_ge_u32 s9, s1
	s_cselect_b32 s28, -1, 0
	s_cmp_ge_u32 s8, s0
	s_cselect_b32 s0, -1, 0
	s_cmp_eq_u32 s9, s1
	s_cselect_b32 s0, s0, s28
	s_cmp_lg_u32 s0, 0
	s_cselect_b32 s1, s34, s9
	s_cselect_b32 s0, s35, s8
	s_xor_b64 s[0:1], s[0:1], s[2:3]
	s_sub_u32 s0, s0, s2
	s_subb_u32 s1, s1, s2
	s_cbranch_execnz .LBB53_137
.LBB53_136:                             ;   in Loop: Header=BB53_16 Depth=1
	v_cvt_f32_u32_e32 v2, s33
	s_sub_i32 s0, 0, s33
	v_rcp_iflag_f32_e32 v2, v2
	v_mul_f32_e32 v2, 0x4f7ffffe, v2
	v_cvt_u32_f32_e32 v2, v2
	v_readfirstlane_b32 s1, v2
	s_mul_i32 s0, s0, s1
	s_mul_hi_u32 s0, s1, s0
	s_add_i32 s1, s1, s0
	s_mul_hi_u32 s0, s51, s1
	s_mul_i32 s0, s0, s33
	s_sub_i32 s0, s51, s0
	s_sub_i32 s1, s0, s33
	s_cmp_ge_u32 s0, s33
	s_cselect_b32 s0, s1, s0
	s_sub_i32 s1, s0, s33
	s_cmp_ge_u32 s0, s33
	s_cselect_b32 s82, s1, s0
	s_mov_b64 s[0:1], s[82:83]
.LBB53_137:                             ;   in Loop: Header=BB53_16 Depth=1
	s_sub_u32 s28, s51, s0
	s_subb_u32 s29, s81, s1
	v_cmp_gt_i64_e32 vcc, s[28:29], v[0:1]
	s_mov_b64 s[2:3], 0
	s_mov_b64 s[0:1], 0
                                        ; implicit-def: $vgpr26
	s_and_saveexec_b64 s[8:9], vcc
	s_cbranch_execz .LBB53_149
; %bb.138:                              ;   in Loop: Header=BB53_16 Depth=1
	v_mov_b32_e32 v2, v10
	v_mov_b32_e32 v9, v1
	;; [unrolled: 1-line block ×4, first 2 shown]
                                        ; implicit-def: $sgpr34_sgpr35
	s_branch .LBB53_142
.LBB53_139:                             ;   in Loop: Header=BB53_142 Depth=2
	s_or_b64 exec, exec, s[36:37]
	s_waitcnt lgkmcnt(0)
	s_barrier
	ds_read_b64 v[25:26], v13 offset:3072
	s_waitcnt lgkmcnt(0)
	s_barrier
	v_cmp_neq_f32_e32 vcc, 0, v25
	s_cbranch_vccnz .LBB53_145
; %bb.140:                              ;   in Loop: Header=BB53_142 Depth=2
	v_add_co_u32_e32 v8, vcc, s33, v8
	v_addc_co_u32_e32 v9, vcc, 0, v9, vcc
	v_mov_b32_e32 v25, s85
	v_add_co_u32_e32 v2, vcc, s84, v2
	v_addc_co_u32_e32 v3, vcc, v3, v25, vcc
	v_cmp_le_i64_e32 vcc, s[28:29], v[8:9]
	s_mov_b64 s[36:37], 0
	s_orn2_b64 s[38:39], vcc, exec
.LBB53_141:                             ;   in Loop: Header=BB53_142 Depth=2
	s_and_b64 s[38:39], exec, s[38:39]
	s_or_b64 s[0:1], s[38:39], s[0:1]
	s_andn2_b64 s[34:35], s[34:35], exec
	s_and_b64 s[36:37], s[36:37], exec
	s_or_b64 s[34:35], s[34:35], s[36:37]
	s_andn2_b64 exec, exec, s[0:1]
	s_cbranch_execz .LBB53_148
.LBB53_142:                             ;   Parent Loop BB53_16 Depth=1
                                        ; =>  This Inner Loop Header: Depth=2
	v_cmp_gt_i64_e32 vcc, s[56:57], v[8:9]
	s_and_saveexec_b64 s[36:37], vcc
	s_cbranch_execz .LBB53_139
; %bb.143:                              ;   in Loop: Header=BB53_142 Depth=2
	global_load_dword v25, v[2:3], off
	s_waitcnt vmcnt(0)
	v_cmp_lt_i32_e32 vcc, -1, v25
	v_cndmask_b32_e32 v26, -1, v46, vcc
	v_xor_b32_e32 v26, v26, v25
	v_cmp_o_f32_e32 vcc, v25, v25
	v_cndmask_b32_e32 v26, -1, v26, vcc
	v_and_b32_e32 v26, v26, v47
	v_cmp_eq_u32_e32 vcc, v26, v44
	s_and_b64 exec, exec, vcc
	s_cbranch_execz .LBB53_139
; %bb.144:                              ;   in Loop: Header=BB53_142 Depth=2
	ds_write_b64 v13, v[24:25] offset:3072
	s_branch .LBB53_139
.LBB53_145:                             ;   in Loop: Header=BB53_142 Depth=2
	s_mov_b64 s[38:39], -1
                                        ; implicit-def: $vgpr8_vgpr9
                                        ; implicit-def: $vgpr2_vgpr3
	s_mov_b64 s[36:37], -1
	s_branch .LBB53_141
.LBB53_146:                             ;   in Loop: Header=BB53_16 Depth=1
                                        ; implicit-def: $sgpr8_sgpr9
	s_andn2_b64 vcc, exec, s[22:23]
	s_cbranch_vccz .LBB53_91
	s_branch .LBB53_92
.LBB53_147:                             ;   in Loop: Header=BB53_16 Depth=1
                                        ; implicit-def: $sgpr2_sgpr3
	s_branch .LBB53_106
.LBB53_148:                             ;   in Loop: Header=BB53_16 Depth=1
	s_or_b64 exec, exec, s[0:1]
	s_and_b64 s[0:1], s[34:35], exec
.LBB53_149:                             ;   in Loop: Header=BB53_16 Depth=1
	s_or_b64 exec, exec, s[8:9]
.LBB53_150:                             ;   in Loop: Header=BB53_16 Depth=1
	s_and_b64 vcc, exec, s[2:3]
	s_cbranch_vccz .LBB53_165
; %bb.151:                              ;   in Loop: Header=BB53_16 Depth=1
	v_readlane_b32 s2, v56, 32
	s_add_u32 s22, s30, s2
	v_readlane_b32 s2, v56, 33
	s_addc_u32 s3, s31, s2
	s_mov_b32 s2, s83
	s_cmp_lg_u64 s[2:3], 0
	s_cbranch_scc0 .LBB53_195
; %bb.152:                              ;   in Loop: Header=BB53_16 Depth=1
	s_add_u32 s6, s33, 0
	s_addc_u32 s7, 0, 0
	s_xor_b64 s[6:7], s[6:7], 0
	v_cvt_f32_u32_e32 v2, s6
	v_cvt_f32_u32_e32 v3, s7
	s_sub_u32 s2, 0, s6
	s_subb_u32 s23, 0, s7
	v_mac_f32_e32 v2, 0x4f800000, v3
	v_rcp_f32_e32 v2, v2
	v_mul_f32_e32 v2, 0x5f7ffffc, v2
	v_mul_f32_e32 v3, 0x2f800000, v2
	v_trunc_f32_e32 v3, v3
	v_mac_f32_e32 v2, 0xcf800000, v3
	v_cvt_u32_f32_e32 v3, v3
	v_cvt_u32_f32_e32 v2, v2
	v_readfirstlane_b32 s28, v3
	v_readfirstlane_b32 s8, v2
	s_mul_i32 s9, s2, s28
	s_mul_hi_u32 s34, s2, s8
	s_mul_i32 s29, s23, s8
	s_add_i32 s9, s34, s9
	s_mul_i32 s35, s2, s8
	s_add_i32 s9, s9, s29
	s_mul_i32 s34, s8, s9
	s_mul_hi_u32 s36, s8, s35
	s_mul_hi_u32 s29, s8, s9
	s_add_u32 s34, s36, s34
	s_addc_u32 s29, 0, s29
	s_mul_hi_u32 s37, s28, s35
	s_mul_i32 s35, s28, s35
	s_add_u32 s34, s34, s35
	s_mul_hi_u32 s36, s28, s9
	s_addc_u32 s29, s29, s37
	s_addc_u32 s34, s36, 0
	s_mul_i32 s9, s28, s9
	s_add_u32 s9, s29, s9
	s_addc_u32 s29, 0, s34
	s_add_u32 s34, s8, s9
	s_cselect_b64 s[8:9], -1, 0
	s_cmp_lg_u64 s[8:9], 0
	s_addc_u32 s28, s28, s29
	s_mul_i32 s8, s2, s28
	s_mul_hi_u32 s9, s2, s34
	s_add_i32 s8, s9, s8
	s_mul_i32 s23, s23, s34
	s_add_i32 s8, s8, s23
	s_mul_i32 s2, s2, s34
	s_mul_hi_u32 s23, s28, s2
	s_mul_i32 s29, s28, s2
	s_mul_i32 s36, s34, s8
	s_mul_hi_u32 s2, s34, s2
	s_mul_hi_u32 s35, s34, s8
	s_add_u32 s2, s2, s36
	s_addc_u32 s35, 0, s35
	s_add_u32 s2, s2, s29
	s_mul_hi_u32 s9, s28, s8
	s_addc_u32 s2, s35, s23
	s_addc_u32 s9, s9, 0
	s_mul_i32 s8, s28, s8
	s_add_u32 s2, s2, s8
	s_addc_u32 s23, 0, s9
	s_add_u32 s2, s34, s2
	s_cselect_b64 s[8:9], -1, 0
	s_cmp_lg_u64 s[8:9], 0
	s_addc_u32 s23, s28, s23
	s_ashr_i32 s8, s3, 31
	s_add_u32 s28, s22, s8
	s_mov_b32 s9, s8
	s_addc_u32 s29, s3, s8
	s_xor_b64 s[28:29], s[28:29], s[8:9]
	s_mul_i32 s35, s28, s23
	s_mul_hi_u32 s36, s28, s2
	s_mul_hi_u32 s34, s28, s23
	s_add_u32 s35, s36, s35
	s_addc_u32 s34, 0, s34
	s_mul_hi_u32 s37, s29, s2
	s_mul_i32 s2, s29, s2
	s_add_u32 s2, s35, s2
	s_mul_hi_u32 s36, s29, s23
	s_addc_u32 s2, s34, s37
	s_addc_u32 s34, s36, 0
	s_mul_i32 s23, s29, s23
	s_add_u32 s2, s2, s23
	s_addc_u32 s23, 0, s34
	s_mul_i32 s23, s6, s23
	s_mul_hi_u32 s34, s6, s2
	s_add_i32 s23, s34, s23
	s_mul_i32 s34, s7, s2
	s_add_i32 s23, s23, s34
	s_sub_i32 s36, s29, s23
	s_mul_i32 s2, s6, s2
	s_sub_u32 s2, s28, s2
	s_cselect_b64 s[34:35], -1, 0
	s_cmp_lg_u64 s[34:35], 0
	s_subb_u32 s28, s36, s7
	s_sub_u32 s38, s2, s6
	s_cselect_b64 s[36:37], -1, 0
	s_cmp_lg_u64 s[36:37], 0
	s_subb_u32 s39, s28, 0
	s_cmp_ge_u32 s39, s7
	s_cselect_b32 s40, -1, 0
	s_cmp_ge_u32 s38, s6
	s_cselect_b32 s41, -1, 0
	s_cmp_eq_u32 s39, s7
	s_cselect_b32 s40, s41, s40
	s_cmp_lg_u64 s[36:37], 0
	s_subb_u32 s28, s28, s7
	s_sub_u32 s41, s38, s6
	s_cselect_b64 s[36:37], -1, 0
	s_cmp_lg_u64 s[36:37], 0
	s_subb_u32 s28, s28, 0
	s_cmp_lg_u32 s40, 0
	s_cselect_b32 s36, s41, s38
	s_cselect_b32 s28, s28, s39
	s_cmp_lg_u64 s[34:35], 0
	s_subb_u32 s23, s29, s23
	s_cmp_ge_u32 s23, s7
	s_cselect_b32 s29, -1, 0
	s_cmp_ge_u32 s2, s6
	s_cselect_b32 s6, -1, 0
	s_cmp_eq_u32 s23, s7
	s_cselect_b32 s6, s6, s29
	s_cmp_lg_u32 s6, 0
	s_cselect_b32 s7, s28, s23
	s_cselect_b32 s6, s36, s2
	s_xor_b64 s[6:7], s[6:7], s[8:9]
	s_sub_u32 s6, s6, s8
	s_subb_u32 s7, s7, s8
	s_cbranch_execnz .LBB53_154
.LBB53_153:                             ;   in Loop: Header=BB53_16 Depth=1
	v_cvt_f32_u32_e32 v2, s33
	s_sub_i32 s2, 0, s33
	v_rcp_iflag_f32_e32 v2, v2
	v_mul_f32_e32 v2, 0x4f7ffffe, v2
	v_cvt_u32_f32_e32 v2, v2
	v_readfirstlane_b32 s6, v2
	s_mul_i32 s2, s2, s6
	s_mul_hi_u32 s2, s6, s2
	s_add_i32 s6, s6, s2
	s_mul_hi_u32 s2, s22, s6
	s_mul_i32 s2, s2, s33
	s_sub_i32 s2, s22, s2
	s_sub_i32 s6, s2, s33
	s_cmp_ge_u32 s2, s33
	s_cselect_b32 s2, s6, s2
	s_sub_i32 s6, s2, s33
	s_cmp_ge_u32 s2, s33
	s_cselect_b32 s82, s6, s2
	s_mov_b64 s[6:7], s[82:83]
.LBB53_154:                             ;   in Loop: Header=BB53_16 Depth=1
	s_sub_u32 s6, s22, s6
	s_subb_u32 s7, s3, s7
	v_cmp_gt_i64_e32 vcc, s[6:7], v[0:1]
                                        ; implicit-def: $vgpr26
	s_and_saveexec_b64 s[2:3], vcc
	s_cbranch_execz .LBB53_164
; %bb.155:                              ;   in Loop: Header=BB53_16 Depth=1
	v_mov_b32_e32 v3, v1
	s_mov_b64 s[8:9], 0
	v_mov_b32_e32 v8, v14
	v_mov_b32_e32 v2, v0
                                        ; implicit-def: $sgpr22_sgpr23
	s_branch .LBB53_159
.LBB53_156:                             ;   in Loop: Header=BB53_159 Depth=2
	s_or_b64 exec, exec, s[28:29]
	s_waitcnt lgkmcnt(0)
	s_barrier
	ds_read_b64 v[25:26], v13 offset:3072
	s_waitcnt lgkmcnt(0)
	s_barrier
	v_cmp_eq_f32_e32 vcc, 0, v25
	s_cbranch_vccz .LBB53_162
; %bb.157:                              ;   in Loop: Header=BB53_159 Depth=2
	v_add_co_u32_e32 v2, vcc, s33, v2
	v_addc_co_u32_e32 v3, vcc, 0, v3, vcc
	v_cmp_le_i64_e32 vcc, s[6:7], v[2:3]
	v_add_u32_e32 v8, s87, v8
	s_mov_b64 s[28:29], 0
	s_orn2_b64 s[34:35], vcc, exec
.LBB53_158:                             ;   in Loop: Header=BB53_159 Depth=2
	s_and_b64 s[34:35], exec, s[34:35]
	s_or_b64 s[8:9], s[34:35], s[8:9]
	s_andn2_b64 s[22:23], s[22:23], exec
	s_and_b64 s[28:29], s[28:29], exec
	s_or_b64 s[22:23], s[22:23], s[28:29]
	s_andn2_b64 exec, exec, s[8:9]
	s_cbranch_execz .LBB53_163
.LBB53_159:                             ;   Parent Loop BB53_16 Depth=1
                                        ; =>  This Inner Loop Header: Depth=2
	v_cmp_gt_u64_e32 vcc, s[30:31], v[2:3]
	s_and_saveexec_b64 s[28:29], vcc
	s_cbranch_execz .LBB53_156
; %bb.160:                              ;   in Loop: Header=BB53_159 Depth=2
	ds_read_b32 v25, v8
	s_waitcnt lgkmcnt(0)
	v_cmp_lt_i32_e32 vcc, -1, v25
	v_cndmask_b32_e32 v9, -1, v46, vcc
	v_xor_b32_e32 v9, v9, v25
	v_cmp_o_f32_e32 vcc, v25, v25
	v_cndmask_b32_e32 v9, -1, v9, vcc
	v_and_b32_e32 v9, v9, v47
	v_cmp_eq_u32_e32 vcc, v9, v44
	s_and_b64 exec, exec, vcc
	s_cbranch_execz .LBB53_156
; %bb.161:                              ;   in Loop: Header=BB53_159 Depth=2
	ds_write_b64 v13, v[24:25] offset:3072
	s_branch .LBB53_156
.LBB53_162:                             ;   in Loop: Header=BB53_159 Depth=2
	s_mov_b64 s[34:35], -1
                                        ; implicit-def: $vgpr2_vgpr3
                                        ; implicit-def: $vgpr8
	s_mov_b64 s[28:29], -1
	s_branch .LBB53_158
.LBB53_163:                             ;   in Loop: Header=BB53_16 Depth=1
	s_or_b64 exec, exec, s[8:9]
	s_andn2_b64 s[0:1], s[0:1], exec
	s_and_b64 s[6:7], s[22:23], exec
	s_or_b64 s[0:1], s[0:1], s[6:7]
.LBB53_164:                             ;   in Loop: Header=BB53_16 Depth=1
	s_or_b64 exec, exec, s[2:3]
	s_mov_b64 s[6:7], 0
	s_mov_b64 s[22:23], -1
.LBB53_165:                             ;   in Loop: Header=BB53_16 Depth=1
	s_orn2_b64 s[0:1], s[0:1], exec
.LBB53_166:                             ;   in Loop: Header=BB53_16 Depth=1
	s_or_b64 exec, exec, s[24:25]
	s_mov_b64 s[2:3], 0
	s_and_saveexec_b64 s[24:25], s[0:1]
	s_cbranch_execz .LBB53_276
; %bb.167:                              ;   in Loop: Header=BB53_16 Depth=1
	v_mov_b32_e32 v2, 1
	s_xor_b64 s[8:9], s[26:27], -1
	v_mov_b32_e32 v12, 1
	v_mov_b32_e32 v3, 0
	s_and_saveexec_b64 s[0:1], s[8:9]
	s_cbranch_execz .LBB53_177
; %bb.168:                              ;   in Loop: Header=BB53_16 Depth=1
	v_cmp_le_i64_e32 vcc, v[6:7], v[4:5]
	s_and_saveexec_b64 s[2:3], vcc
	s_xor_b64 s[2:3], exec, s[2:3]
	s_cbranch_execz .LBB53_174
; %bb.169:                              ;   in Loop: Header=BB53_16 Depth=1
	v_and_b32_e32 v2, s48, v44
	v_lshl_or_b32 v44, 1, s88, v2
	ds_read_b64 v[2:3], v13 offset:5120
	v_or_b32_e32 v47, s54, v47
	s_waitcnt lgkmcnt(0)
	v_cmp_ne_u64_e32 vcc, 0, v[2:3]
	s_cbranch_vccnz .LBB53_173
; %bb.170:                              ;   in Loop: Header=BB53_16 Depth=1
	s_mov_b64 s[8:9], exec
	v_readlane_b32 s26, v56, 12
	v_readlane_b32 s27, v56, 13
	s_and_b64 s[26:27], s[8:9], s[26:27]
	s_mov_b64 exec, s[26:27]
; %bb.171:                              ;   in Loop: Header=BB53_16 Depth=1
	ds_write_b64 v13, v[4:5] offset:5128
; %bb.172:                              ;   in Loop: Header=BB53_16 Depth=1
	s_or_b64 exec, exec, s[8:9]
	s_waitcnt lgkmcnt(0)
	s_barrier
.LBB53_173:                             ;   in Loop: Header=BB53_16 Depth=1
                                        ; implicit-def: $vgpr2_vgpr3_vgpr4_vgpr5
.LBB53_174:                             ;   in Loop: Header=BB53_16 Depth=1
	s_or_saveexec_b64 s[2:3], s[2:3]
	s_mov_b64 s[8:9], 0
	v_mov_b32_e32 v12, 8
	s_xor_b64 exec, exec, s[2:3]
; %bb.175:                              ;   in Loop: Header=BB53_16 Depth=1
	v_sub_co_u32_e32 v6, vcc, v6, v4
	v_subb_co_u32_e32 v7, vcc, v7, v5, vcc
	v_mov_b32_e32 v12, 0
	s_mov_b64 s[8:9], exec
; %bb.176:                              ;   in Loop: Header=BB53_16 Depth=1
	s_or_b64 exec, exec, s[2:3]
	v_mov_b32_e32 v2, v6
	s_and_b64 s[2:3], s[8:9], exec
	v_mov_b32_e32 v3, v7
.LBB53_177:                             ;   in Loop: Header=BB53_16 Depth=1
	s_or_b64 exec, exec, s[0:1]
	s_mov_b64 s[0:1], -1
                                        ; implicit-def: $sgpr30_sgpr31
                                        ; implicit-def: $sgpr34_sgpr35
	s_and_saveexec_b64 s[26:27], s[2:3]
	s_cbranch_execz .LBB53_275
; %bb.178:                              ;   in Loop: Header=BB53_16 Depth=1
	s_cmp_eq_u64 s[20:21], 1
	v_cmp_eq_u64_e32 vcc, 1, v[2:3]
	s_cselect_b64 s[0:1], -1, 0
	s_and_b64 s[38:39], s[0:1], vcc
	s_mov_b64 s[0:1], -1
                                        ; implicit-def: $sgpr34_sgpr35
                                        ; implicit-def: $sgpr30_sgpr31
	s_and_saveexec_b64 s[36:37], s[38:39]
	s_cbranch_execz .LBB53_214
; %bb.179:                              ;   in Loop: Header=BB53_16 Depth=1
	ds_read_b64 v[4:5], v13 offset:5120
	s_waitcnt lgkmcnt(0)
	s_barrier
	v_readfirstlane_b32 s40, v4
	v_readfirstlane_b32 s41, v5
	s_and_saveexec_b64 s[0:1], s[52:53]
; %bb.180:                              ;   in Loop: Header=BB53_16 Depth=1
	ds_write_b32 v45, v13
; %bb.181:                              ;   in Loop: Header=BB53_16 Depth=1
	s_or_b64 exec, exec, s[0:1]
	v_cmp_gt_i64_e64 s[0:1], s[40:41], 0
	v_and_b32_e32 v4, s48, v44
	v_lshl_or_b32 v44, 2, s88, v4
	v_or_b32_e32 v47, s54, v47
	s_mov_b64 s[30:31], -1
	s_mov_b64 s[34:35], 0
	s_and_b64 vcc, exec, s[0:1]
	s_mov_b64 s[0:1], 0
	s_mov_b64 s[2:3], -1
	s_waitcnt lgkmcnt(0)
	s_barrier
                                        ; implicit-def: $vgpr26
	s_cbranch_vccnz .LBB53_198
; %bb.182:                              ;   in Loop: Header=BB53_16 Depth=1
	s_mov_b32 s80, s83
	s_cmp_lg_u64 s[80:81], 0
	s_cbranch_scc0 .LBB53_241
; %bb.183:                              ;   in Loop: Header=BB53_16 Depth=1
	s_add_u32 s0, s33, 0
	s_addc_u32 s1, 0, 0
	s_xor_b64 s[0:1], s[0:1], 0
	v_cvt_f32_u32_e32 v4, s0
	v_cvt_f32_u32_e32 v5, s1
	s_sub_u32 s8, 0, s0
	s_subb_u32 s9, 0, s1
	v_mac_f32_e32 v4, 0x4f800000, v5
	v_rcp_f32_e32 v4, v4
	v_mul_f32_e32 v4, 0x5f7ffffc, v4
	v_mul_f32_e32 v5, 0x2f800000, v4
	v_trunc_f32_e32 v5, v5
	v_mac_f32_e32 v4, 0xcf800000, v5
	v_cvt_u32_f32_e32 v5, v5
	v_cvt_u32_f32_e32 v4, v4
	v_readfirstlane_b32 s28, v5
	v_readfirstlane_b32 s2, v4
	s_mul_i32 s3, s8, s28
	s_mul_hi_u32 s42, s8, s2
	s_mul_i32 s29, s9, s2
	s_add_i32 s3, s42, s3
	s_mul_i32 s43, s8, s2
	s_add_i32 s3, s3, s29
	s_mul_i32 s42, s2, s3
	s_mul_hi_u32 s44, s2, s43
	s_mul_hi_u32 s29, s2, s3
	s_add_u32 s42, s44, s42
	s_addc_u32 s29, 0, s29
	s_mul_hi_u32 s45, s28, s43
	s_mul_i32 s43, s28, s43
	s_add_u32 s42, s42, s43
	s_mul_hi_u32 s44, s28, s3
	s_addc_u32 s29, s29, s45
	s_addc_u32 s42, s44, 0
	s_mul_i32 s3, s28, s3
	s_add_u32 s3, s29, s3
	s_addc_u32 s29, 0, s42
	s_add_u32 s42, s2, s3
	s_cselect_b64 s[2:3], -1, 0
	s_cmp_lg_u64 s[2:3], 0
	s_addc_u32 s28, s28, s29
	s_mul_i32 s2, s8, s28
	s_mul_hi_u32 s3, s8, s42
	s_add_i32 s2, s3, s2
	s_mul_i32 s9, s9, s42
	s_add_i32 s2, s2, s9
	s_mul_i32 s8, s8, s42
	s_mul_hi_u32 s9, s28, s8
	s_mul_i32 s29, s28, s8
	s_mul_i32 s44, s42, s2
	s_mul_hi_u32 s8, s42, s8
	s_mul_hi_u32 s43, s42, s2
	s_add_u32 s8, s8, s44
	s_addc_u32 s43, 0, s43
	s_add_u32 s8, s8, s29
	s_mul_hi_u32 s3, s28, s2
	s_addc_u32 s8, s43, s9
	s_addc_u32 s3, s3, 0
	s_mul_i32 s2, s28, s2
	s_add_u32 s2, s8, s2
	s_addc_u32 s8, 0, s3
	s_add_u32 s29, s42, s2
	s_cselect_b64 s[2:3], -1, 0
	s_cmp_lg_u64 s[2:3], 0
	s_addc_u32 s28, s28, s8
	s_ashr_i32 s2, s81, 31
	s_add_u32 s8, s51, s2
	s_mov_b32 s3, s2
	s_addc_u32 s9, s81, s2
	s_xor_b64 s[8:9], s[8:9], s[2:3]
	s_mul_i32 s43, s8, s28
	s_mul_hi_u32 s44, s8, s29
	s_mul_hi_u32 s42, s8, s28
	s_add_u32 s43, s44, s43
	s_addc_u32 s42, 0, s42
	s_mul_hi_u32 s45, s9, s29
	s_mul_i32 s29, s9, s29
	s_add_u32 s29, s43, s29
	s_mul_hi_u32 s44, s9, s28
	s_addc_u32 s29, s42, s45
	s_addc_u32 s42, s44, 0
	s_mul_i32 s28, s9, s28
	s_add_u32 s28, s29, s28
	s_addc_u32 s29, 0, s42
	s_mul_i32 s29, s0, s29
	s_mul_hi_u32 s42, s0, s28
	s_add_i32 s29, s42, s29
	s_mul_i32 s42, s1, s28
	s_add_i32 s44, s29, s42
	s_sub_i32 s42, s9, s44
	s_mul_i32 s28, s0, s28
	s_sub_u32 s8, s8, s28
	s_cselect_b64 s[28:29], -1, 0
	s_cmp_lg_u64 s[28:29], 0
	s_subb_u32 s45, s42, s1
	s_sub_u32 s46, s8, s0
	s_cselect_b64 s[42:43], -1, 0
	s_cmp_lg_u64 s[42:43], 0
	s_subb_u32 s47, s45, 0
	s_cmp_ge_u32 s47, s1
	s_cselect_b32 s49, -1, 0
	s_cmp_ge_u32 s46, s0
	s_cselect_b32 s50, -1, 0
	s_cmp_eq_u32 s47, s1
	s_cselect_b32 s49, s50, s49
	s_cmp_lg_u64 s[42:43], 0
	s_subb_u32 s45, s45, s1
	s_sub_u32 s50, s46, s0
	s_cselect_b64 s[42:43], -1, 0
	s_cmp_lg_u64 s[42:43], 0
	s_subb_u32 s42, s45, 0
	s_cmp_lg_u32 s49, 0
	s_cselect_b32 s43, s50, s46
	s_cselect_b32 s42, s42, s47
	s_cmp_lg_u64 s[28:29], 0
	s_subb_u32 s9, s9, s44
	s_cmp_ge_u32 s9, s1
	s_cselect_b32 s28, -1, 0
	s_cmp_ge_u32 s8, s0
	s_cselect_b32 s0, -1, 0
	s_cmp_eq_u32 s9, s1
	s_cselect_b32 s0, s0, s28
	s_cmp_lg_u32 s0, 0
	s_cselect_b32 s1, s42, s9
	s_cselect_b32 s0, s43, s8
	s_xor_b64 s[0:1], s[0:1], s[2:3]
	s_sub_u32 s0, s0, s2
	s_subb_u32 s1, s1, s2
	s_cbranch_execnz .LBB53_185
.LBB53_184:                             ;   in Loop: Header=BB53_16 Depth=1
	v_cvt_f32_u32_e32 v4, s33
	s_sub_i32 s0, 0, s33
	v_rcp_iflag_f32_e32 v4, v4
	v_mul_f32_e32 v4, 0x4f7ffffe, v4
	v_cvt_u32_f32_e32 v4, v4
	v_readfirstlane_b32 s1, v4
	s_mul_i32 s0, s0, s1
	s_mul_hi_u32 s0, s1, s0
	s_add_i32 s1, s1, s0
	s_mul_hi_u32 s0, s51, s1
	s_mul_i32 s0, s0, s33
	s_sub_i32 s0, s51, s0
	s_sub_i32 s1, s0, s33
	s_cmp_ge_u32 s0, s33
	s_cselect_b32 s0, s1, s0
	s_sub_i32 s1, s0, s33
	s_cmp_ge_u32 s0, s33
	s_cselect_b32 s82, s1, s0
	s_mov_b64 s[0:1], s[82:83]
.LBB53_185:                             ;   in Loop: Header=BB53_16 Depth=1
	s_sub_u32 s28, s51, s0
	s_subb_u32 s29, s81, s1
	v_cmp_gt_i64_e32 vcc, s[28:29], v[0:1]
	s_mov_b64 s[2:3], 0
	s_mov_b64 s[0:1], 0
                                        ; implicit-def: $vgpr26
	s_and_saveexec_b64 s[8:9], vcc
	s_cbranch_execz .LBB53_197
; %bb.186:                              ;   in Loop: Header=BB53_16 Depth=1
	v_mov_b32_e32 v4, v10
	v_mov_b32_e32 v7, v1
	;; [unrolled: 1-line block ×4, first 2 shown]
                                        ; implicit-def: $sgpr42_sgpr43
	s_branch .LBB53_190
.LBB53_187:                             ;   in Loop: Header=BB53_190 Depth=2
	s_or_b64 exec, exec, s[44:45]
	s_waitcnt lgkmcnt(0)
	s_barrier
	ds_read_b64 v[25:26], v13 offset:3072
	s_waitcnt lgkmcnt(0)
	s_barrier
	v_cmp_neq_f32_e32 vcc, 0, v25
	s_cbranch_vccnz .LBB53_193
; %bb.188:                              ;   in Loop: Header=BB53_190 Depth=2
	v_add_co_u32_e32 v6, vcc, s33, v6
	v_addc_co_u32_e32 v7, vcc, 0, v7, vcc
	v_mov_b32_e32 v8, s85
	v_add_co_u32_e32 v4, vcc, s84, v4
	v_addc_co_u32_e32 v5, vcc, v5, v8, vcc
	v_cmp_le_i64_e32 vcc, s[28:29], v[6:7]
	s_mov_b64 s[44:45], 0
	s_orn2_b64 s[46:47], vcc, exec
.LBB53_189:                             ;   in Loop: Header=BB53_190 Depth=2
	s_and_b64 s[46:47], exec, s[46:47]
	s_or_b64 s[0:1], s[46:47], s[0:1]
	s_andn2_b64 s[42:43], s[42:43], exec
	s_and_b64 s[44:45], s[44:45], exec
	s_or_b64 s[42:43], s[42:43], s[44:45]
	s_andn2_b64 exec, exec, s[0:1]
	s_cbranch_execz .LBB53_196
.LBB53_190:                             ;   Parent Loop BB53_16 Depth=1
                                        ; =>  This Inner Loop Header: Depth=2
	v_cmp_gt_i64_e32 vcc, s[56:57], v[6:7]
	s_and_saveexec_b64 s[44:45], vcc
	s_cbranch_execz .LBB53_187
; %bb.191:                              ;   in Loop: Header=BB53_190 Depth=2
	global_load_dword v25, v[4:5], off
	s_waitcnt vmcnt(0)
	v_cmp_lt_i32_e32 vcc, -1, v25
	v_cndmask_b32_e32 v8, -1, v46, vcc
	v_xor_b32_e32 v8, v8, v25
	v_cmp_o_f32_e32 vcc, v25, v25
	v_cndmask_b32_e32 v8, -1, v8, vcc
	v_and_b32_e32 v8, v8, v47
	v_cmp_eq_u32_e32 vcc, v8, v44
	s_and_b64 exec, exec, vcc
	s_cbranch_execz .LBB53_187
; %bb.192:                              ;   in Loop: Header=BB53_190 Depth=2
	ds_write_b64 v13, v[24:25] offset:3072
	s_branch .LBB53_187
.LBB53_193:                             ;   in Loop: Header=BB53_190 Depth=2
	s_mov_b64 s[46:47], -1
                                        ; implicit-def: $vgpr6_vgpr7
                                        ; implicit-def: $vgpr4_vgpr5
	s_mov_b64 s[44:45], -1
	s_branch .LBB53_189
.LBB53_194:                             ;   in Loop: Header=BB53_16 Depth=1
                                        ; implicit-def: $sgpr0_sgpr1
	s_andn2_b64 vcc, exec, s[2:3]
	s_cbranch_vccz .LBB53_136
	s_branch .LBB53_137
.LBB53_195:                             ;   in Loop: Header=BB53_16 Depth=1
                                        ; implicit-def: $sgpr6_sgpr7
	s_branch .LBB53_153
.LBB53_196:                             ;   in Loop: Header=BB53_16 Depth=1
	s_or_b64 exec, exec, s[0:1]
	s_and_b64 s[0:1], s[42:43], exec
.LBB53_197:                             ;   in Loop: Header=BB53_16 Depth=1
	s_or_b64 exec, exec, s[8:9]
.LBB53_198:                             ;   in Loop: Header=BB53_16 Depth=1
	s_and_b64 vcc, exec, s[2:3]
	s_cbranch_vccz .LBB53_213
; %bb.199:                              ;   in Loop: Header=BB53_16 Depth=1
	v_readlane_b32 s2, v56, 32
	s_add_u32 s30, s40, s2
	v_readlane_b32 s2, v56, 33
	s_addc_u32 s3, s41, s2
	s_mov_b32 s2, s83
	s_cmp_lg_u64 s[2:3], 0
	s_cbranch_scc0 .LBB53_242
; %bb.200:                              ;   in Loop: Header=BB53_16 Depth=1
	s_add_u32 s8, s33, 0
	s_addc_u32 s9, 0, 0
	s_xor_b64 s[8:9], s[8:9], 0
	v_cvt_f32_u32_e32 v4, s8
	v_cvt_f32_u32_e32 v5, s9
	s_sub_u32 s2, 0, s8
	s_subb_u32 s31, 0, s9
	v_mac_f32_e32 v4, 0x4f800000, v5
	v_rcp_f32_e32 v4, v4
	v_mul_f32_e32 v4, 0x5f7ffffc, v4
	v_mul_f32_e32 v5, 0x2f800000, v4
	v_trunc_f32_e32 v5, v5
	v_mac_f32_e32 v4, 0xcf800000, v5
	v_cvt_u32_f32_e32 v5, v5
	v_cvt_u32_f32_e32 v4, v4
	v_readfirstlane_b32 s34, v5
	v_readfirstlane_b32 s28, v4
	s_mul_i32 s29, s2, s34
	s_mul_hi_u32 s42, s2, s28
	s_mul_i32 s35, s31, s28
	s_add_i32 s29, s42, s29
	s_mul_i32 s43, s2, s28
	s_add_i32 s29, s29, s35
	s_mul_i32 s42, s28, s29
	s_mul_hi_u32 s44, s28, s43
	s_mul_hi_u32 s35, s28, s29
	s_add_u32 s42, s44, s42
	s_addc_u32 s35, 0, s35
	s_mul_hi_u32 s45, s34, s43
	s_mul_i32 s43, s34, s43
	s_add_u32 s42, s42, s43
	s_mul_hi_u32 s44, s34, s29
	s_addc_u32 s35, s35, s45
	s_addc_u32 s42, s44, 0
	s_mul_i32 s29, s34, s29
	s_add_u32 s29, s35, s29
	s_addc_u32 s35, 0, s42
	s_add_u32 s42, s28, s29
	s_cselect_b64 s[28:29], -1, 0
	s_cmp_lg_u64 s[28:29], 0
	s_addc_u32 s34, s34, s35
	s_mul_i32 s28, s2, s34
	s_mul_hi_u32 s29, s2, s42
	s_add_i32 s28, s29, s28
	s_mul_i32 s31, s31, s42
	s_add_i32 s28, s28, s31
	s_mul_i32 s2, s2, s42
	s_mul_hi_u32 s31, s34, s2
	s_mul_i32 s35, s34, s2
	s_mul_i32 s44, s42, s28
	s_mul_hi_u32 s2, s42, s2
	s_mul_hi_u32 s43, s42, s28
	s_add_u32 s2, s2, s44
	s_addc_u32 s43, 0, s43
	s_add_u32 s2, s2, s35
	s_mul_hi_u32 s29, s34, s28
	s_addc_u32 s2, s43, s31
	s_addc_u32 s29, s29, 0
	s_mul_i32 s28, s34, s28
	s_add_u32 s2, s2, s28
	s_addc_u32 s31, 0, s29
	s_add_u32 s2, s42, s2
	s_cselect_b64 s[28:29], -1, 0
	s_cmp_lg_u64 s[28:29], 0
	s_addc_u32 s31, s34, s31
	s_ashr_i32 s28, s3, 31
	s_add_u32 s34, s30, s28
	s_mov_b32 s29, s28
	s_addc_u32 s35, s3, s28
	s_xor_b64 s[34:35], s[34:35], s[28:29]
	s_mul_i32 s43, s34, s31
	s_mul_hi_u32 s44, s34, s2
	s_mul_hi_u32 s42, s34, s31
	s_add_u32 s43, s44, s43
	s_addc_u32 s42, 0, s42
	s_mul_hi_u32 s45, s35, s2
	s_mul_i32 s2, s35, s2
	s_add_u32 s2, s43, s2
	s_mul_hi_u32 s44, s35, s31
	s_addc_u32 s2, s42, s45
	s_addc_u32 s42, s44, 0
	s_mul_i32 s31, s35, s31
	s_add_u32 s2, s2, s31
	s_addc_u32 s31, 0, s42
	s_mul_i32 s31, s8, s31
	s_mul_hi_u32 s42, s8, s2
	s_add_i32 s31, s42, s31
	s_mul_i32 s42, s9, s2
	s_add_i32 s31, s31, s42
	s_sub_i32 s44, s35, s31
	s_mul_i32 s2, s8, s2
	s_sub_u32 s2, s34, s2
	s_cselect_b64 s[42:43], -1, 0
	s_cmp_lg_u64 s[42:43], 0
	s_subb_u32 s34, s44, s9
	s_sub_u32 s46, s2, s8
	s_cselect_b64 s[44:45], -1, 0
	s_cmp_lg_u64 s[44:45], 0
	s_subb_u32 s47, s34, 0
	s_cmp_ge_u32 s47, s9
	s_cselect_b32 s49, -1, 0
	s_cmp_ge_u32 s46, s8
	s_cselect_b32 s50, -1, 0
	s_cmp_eq_u32 s47, s9
	s_cselect_b32 s49, s50, s49
	s_cmp_lg_u64 s[44:45], 0
	s_subb_u32 s34, s34, s9
	s_sub_u32 s50, s46, s8
	s_cselect_b64 s[44:45], -1, 0
	s_cmp_lg_u64 s[44:45], 0
	s_subb_u32 s34, s34, 0
	s_cmp_lg_u32 s49, 0
	s_cselect_b32 s44, s50, s46
	s_cselect_b32 s34, s34, s47
	s_cmp_lg_u64 s[42:43], 0
	s_subb_u32 s31, s35, s31
	s_cmp_ge_u32 s31, s9
	s_cselect_b32 s35, -1, 0
	s_cmp_ge_u32 s2, s8
	s_cselect_b32 s8, -1, 0
	s_cmp_eq_u32 s31, s9
	s_cselect_b32 s8, s8, s35
	s_cmp_lg_u32 s8, 0
	s_cselect_b32 s9, s34, s31
	s_cselect_b32 s8, s44, s2
	s_xor_b64 s[8:9], s[8:9], s[28:29]
	s_sub_u32 s8, s8, s28
	s_subb_u32 s9, s9, s28
	s_cbranch_execnz .LBB53_202
.LBB53_201:                             ;   in Loop: Header=BB53_16 Depth=1
	v_cvt_f32_u32_e32 v4, s33
	s_sub_i32 s2, 0, s33
	v_rcp_iflag_f32_e32 v4, v4
	v_mul_f32_e32 v4, 0x4f7ffffe, v4
	v_cvt_u32_f32_e32 v4, v4
	v_readfirstlane_b32 s8, v4
	s_mul_i32 s2, s2, s8
	s_mul_hi_u32 s2, s8, s2
	s_add_i32 s8, s8, s2
	s_mul_hi_u32 s2, s30, s8
	s_mul_i32 s2, s2, s33
	s_sub_i32 s2, s30, s2
	s_sub_i32 s8, s2, s33
	s_cmp_ge_u32 s2, s33
	s_cselect_b32 s2, s8, s2
	s_sub_i32 s8, s2, s33
	s_cmp_ge_u32 s2, s33
	s_cselect_b32 s82, s8, s2
	s_mov_b64 s[8:9], s[82:83]
.LBB53_202:                             ;   in Loop: Header=BB53_16 Depth=1
	s_sub_u32 s8, s30, s8
	s_subb_u32 s9, s3, s9
	v_cmp_gt_i64_e32 vcc, s[8:9], v[0:1]
                                        ; implicit-def: $vgpr26
	s_and_saveexec_b64 s[2:3], vcc
	s_cbranch_execz .LBB53_212
; %bb.203:                              ;   in Loop: Header=BB53_16 Depth=1
	v_mov_b32_e32 v5, v1
	s_mov_b64 s[28:29], 0
	v_mov_b32_e32 v6, v14
	v_mov_b32_e32 v4, v0
                                        ; implicit-def: $sgpr30_sgpr31
	s_branch .LBB53_207
.LBB53_204:                             ;   in Loop: Header=BB53_207 Depth=2
	s_or_b64 exec, exec, s[34:35]
	s_waitcnt lgkmcnt(0)
	s_barrier
	ds_read_b64 v[25:26], v13 offset:3072
	s_waitcnt lgkmcnt(0)
	s_barrier
	v_cmp_eq_f32_e32 vcc, 0, v25
	s_cbranch_vccz .LBB53_210
; %bb.205:                              ;   in Loop: Header=BB53_207 Depth=2
	v_add_co_u32_e32 v4, vcc, s33, v4
	v_addc_co_u32_e32 v5, vcc, 0, v5, vcc
	v_cmp_le_i64_e32 vcc, s[8:9], v[4:5]
	v_add_u32_e32 v6, s87, v6
	s_mov_b64 s[34:35], 0
	s_orn2_b64 s[42:43], vcc, exec
.LBB53_206:                             ;   in Loop: Header=BB53_207 Depth=2
	s_and_b64 s[42:43], exec, s[42:43]
	s_or_b64 s[28:29], s[42:43], s[28:29]
	s_andn2_b64 s[30:31], s[30:31], exec
	s_and_b64 s[34:35], s[34:35], exec
	s_or_b64 s[30:31], s[30:31], s[34:35]
	s_andn2_b64 exec, exec, s[28:29]
	s_cbranch_execz .LBB53_211
.LBB53_207:                             ;   Parent Loop BB53_16 Depth=1
                                        ; =>  This Inner Loop Header: Depth=2
	v_cmp_gt_u64_e32 vcc, s[40:41], v[4:5]
	s_and_saveexec_b64 s[34:35], vcc
	s_cbranch_execz .LBB53_204
; %bb.208:                              ;   in Loop: Header=BB53_207 Depth=2
	ds_read_b32 v25, v6
	s_waitcnt lgkmcnt(0)
	v_cmp_lt_i32_e32 vcc, -1, v25
	v_cndmask_b32_e32 v7, -1, v46, vcc
	v_xor_b32_e32 v7, v7, v25
	v_cmp_o_f32_e32 vcc, v25, v25
	v_cndmask_b32_e32 v7, -1, v7, vcc
	v_and_b32_e32 v7, v7, v47
	v_cmp_eq_u32_e32 vcc, v7, v44
	s_and_b64 exec, exec, vcc
	s_cbranch_execz .LBB53_204
; %bb.209:                              ;   in Loop: Header=BB53_207 Depth=2
	ds_write_b64 v13, v[24:25] offset:3072
	s_branch .LBB53_204
.LBB53_210:                             ;   in Loop: Header=BB53_207 Depth=2
	s_mov_b64 s[42:43], -1
                                        ; implicit-def: $vgpr4_vgpr5
                                        ; implicit-def: $vgpr6
	s_mov_b64 s[34:35], -1
	s_branch .LBB53_206
.LBB53_211:                             ;   in Loop: Header=BB53_16 Depth=1
	s_or_b64 exec, exec, s[28:29]
	s_andn2_b64 s[0:1], s[0:1], exec
	s_and_b64 s[8:9], s[30:31], exec
	s_or_b64 s[0:1], s[0:1], s[8:9]
.LBB53_212:                             ;   in Loop: Header=BB53_16 Depth=1
	s_or_b64 exec, exec, s[2:3]
	s_mov_b64 s[30:31], 0
	s_mov_b64 s[34:35], -1
.LBB53_213:                             ;   in Loop: Header=BB53_16 Depth=1
	s_orn2_b64 s[0:1], s[0:1], exec
.LBB53_214:                             ;   in Loop: Header=BB53_16 Depth=1
	s_or_b64 exec, exec, s[36:37]
	s_mov_b64 s[2:3], 0
	s_and_saveexec_b64 s[36:37], s[0:1]
	s_cbranch_execz .LBB53_274
; %bb.215:                              ;   in Loop: Header=BB53_16 Depth=1
	v_mov_b32_e32 v4, 1
	s_xor_b64 s[8:9], s[38:39], -1
	v_mov_b32_e32 v12, 1
	v_mov_b32_e32 v5, 0
	s_and_saveexec_b64 s[0:1], s[8:9]
	s_cbranch_execz .LBB53_224
; %bb.216:                              ;   in Loop: Header=BB53_16 Depth=1
	v_cmp_ge_i64_e32 vcc, s[20:21], v[2:3]
	s_and_saveexec_b64 s[2:3], vcc
	s_xor_b64 s[2:3], exec, s[2:3]
	s_cbranch_execz .LBB53_221
; %bb.217:                              ;   in Loop: Header=BB53_16 Depth=1
	v_and_b32_e32 v4, s48, v44
	v_lshl_or_b32 v44, 2, s88, v4
	ds_read_b64 v[4:5], v13 offset:5120
	v_or_b32_e32 v47, s54, v47
	s_waitcnt lgkmcnt(0)
	v_cmp_ne_u64_e32 vcc, 0, v[4:5]
	s_cbranch_vccnz .LBB53_221
; %bb.218:                              ;   in Loop: Header=BB53_16 Depth=1
	s_mov_b64 s[8:9], exec
	v_readlane_b32 s28, v56, 12
	v_readlane_b32 s29, v56, 13
	s_and_b64 s[28:29], s[8:9], s[28:29]
	s_mov_b64 exec, s[28:29]
; %bb.219:                              ;   in Loop: Header=BB53_16 Depth=1
	v_mov_b32_e32 v4, s20
	v_mov_b32_e32 v5, s21
	ds_write_b64 v13, v[4:5] offset:5128
; %bb.220:                              ;   in Loop: Header=BB53_16 Depth=1
	s_or_b64 exec, exec, s[8:9]
	s_waitcnt lgkmcnt(0)
	s_barrier
.LBB53_221:                             ;   in Loop: Header=BB53_16 Depth=1
	s_or_saveexec_b64 s[2:3], s[2:3]
	s_mov_b64 s[8:9], 0
	v_mov_b32_e32 v12, 8
	s_xor_b64 exec, exec, s[2:3]
; %bb.222:                              ;   in Loop: Header=BB53_16 Depth=1
	v_subrev_co_u32_e32 v2, vcc, s20, v2
	v_mov_b32_e32 v4, s21
	v_subb_co_u32_e32 v3, vcc, v3, v4, vcc
	v_mov_b32_e32 v12, 0
	s_mov_b64 s[8:9], exec
; %bb.223:                              ;   in Loop: Header=BB53_16 Depth=1
	s_or_b64 exec, exec, s[2:3]
	v_mov_b32_e32 v5, v3
	s_and_b64 s[2:3], s[8:9], exec
	v_mov_b32_e32 v4, v2
.LBB53_224:                             ;   in Loop: Header=BB53_16 Depth=1
	s_or_b64 exec, exec, s[0:1]
	s_mov_b64 s[0:1], -1
                                        ; implicit-def: $sgpr46_sgpr47
                                        ; implicit-def: $sgpr44_sgpr45
	s_and_saveexec_b64 s[20:21], s[2:3]
	s_cbranch_execz .LBB53_273
; %bb.225:                              ;   in Loop: Header=BB53_16 Depth=1
	s_cmp_eq_u64 s[12:13], 1
	v_cmp_eq_u64_e32 vcc, 1, v[4:5]
	s_cselect_b64 s[0:1], -1, 0
	s_and_b64 s[38:39], s[0:1], vcc
	s_mov_b64 s[2:3], -1
                                        ; implicit-def: $sgpr46_sgpr47
                                        ; implicit-def: $sgpr44_sgpr45
	s_and_saveexec_b64 s[40:41], s[38:39]
	s_cbranch_execz .LBB53_261
; %bb.226:                              ;   in Loop: Header=BB53_16 Depth=1
	ds_read_b64 v[2:3], v13 offset:5120
	s_waitcnt lgkmcnt(0)
	s_barrier
	v_readfirstlane_b32 s42, v2
	v_readfirstlane_b32 s43, v3
	s_and_saveexec_b64 s[0:1], s[52:53]
; %bb.227:                              ;   in Loop: Header=BB53_16 Depth=1
	ds_write_b32 v45, v13
; %bb.228:                              ;   in Loop: Header=BB53_16 Depth=1
	s_or_b64 exec, exec, s[0:1]
	v_cmp_gt_i64_e64 s[0:1], s[42:43], 0
	v_or_b32_e32 v44, s54, v44
	v_or_b32_e32 v47, s54, v47
	s_mov_b64 s[44:45], -1
	s_mov_b64 s[46:47], 0
	s_and_b64 vcc, exec, s[0:1]
	s_mov_b64 s[0:1], 0
	s_waitcnt lgkmcnt(0)
	s_barrier
                                        ; implicit-def: $vgpr26
	s_cbranch_vccnz .LBB53_245
; %bb.229:                              ;   in Loop: Header=BB53_16 Depth=1
	s_mov_b32 s80, s83
	s_cmp_lg_u64 s[80:81], 0
	s_cbranch_scc0 .LBB53_280
; %bb.230:                              ;   in Loop: Header=BB53_16 Depth=1
	s_add_u32 s0, s33, 0
	s_addc_u32 s1, 0, 0
	s_xor_b64 s[0:1], s[0:1], 0
	v_cvt_f32_u32_e32 v2, s0
	v_cvt_f32_u32_e32 v3, s1
	s_sub_u32 s8, 0, s0
	s_subb_u32 s9, 0, s1
	v_mac_f32_e32 v2, 0x4f800000, v3
	v_rcp_f32_e32 v2, v2
	v_mul_f32_e32 v2, 0x5f7ffffc, v2
	v_mul_f32_e32 v3, 0x2f800000, v2
	v_trunc_f32_e32 v3, v3
	v_mac_f32_e32 v2, 0xcf800000, v3
	v_cvt_u32_f32_e32 v3, v3
	v_cvt_u32_f32_e32 v2, v2
	v_readfirstlane_b32 s28, v3
	v_readfirstlane_b32 s2, v2
	s_mul_i32 s3, s8, s28
	s_mul_hi_u32 s48, s8, s2
	s_mul_i32 s29, s9, s2
	s_add_i32 s3, s48, s3
	s_mul_i32 s49, s8, s2
	s_add_i32 s3, s3, s29
	s_mul_i32 s48, s2, s3
	s_mul_hi_u32 s50, s2, s49
	s_mul_hi_u32 s29, s2, s3
	s_add_u32 s48, s50, s48
	s_addc_u32 s29, 0, s29
	s_mul_hi_u32 s51, s28, s49
	s_mul_i32 s49, s28, s49
	s_add_u32 s48, s48, s49
	s_mul_hi_u32 s50, s28, s3
	s_addc_u32 s29, s29, s51
	s_addc_u32 s48, s50, 0
	s_mul_i32 s3, s28, s3
	s_add_u32 s3, s29, s3
	s_addc_u32 s29, 0, s48
	s_add_u32 s48, s2, s3
	s_cselect_b64 s[2:3], -1, 0
	s_cmp_lg_u64 s[2:3], 0
	s_addc_u32 s28, s28, s29
	s_mul_i32 s2, s8, s28
	s_mul_hi_u32 s3, s8, s48
	s_add_i32 s2, s3, s2
	s_mul_i32 s9, s9, s48
	s_add_i32 s2, s2, s9
	s_mul_i32 s8, s8, s48
	s_mul_hi_u32 s9, s28, s8
	s_mul_i32 s29, s28, s8
	s_mul_i32 s50, s48, s2
	s_mul_hi_u32 s8, s48, s8
	s_mul_hi_u32 s49, s48, s2
	s_add_u32 s8, s8, s50
	s_addc_u32 s49, 0, s49
	s_add_u32 s8, s8, s29
	s_mul_hi_u32 s3, s28, s2
	s_addc_u32 s8, s49, s9
	s_addc_u32 s3, s3, 0
	s_mul_i32 s2, s28, s2
	s_add_u32 s2, s8, s2
	s_addc_u32 s8, 0, s3
	s_add_u32 s29, s48, s2
	s_cselect_b64 s[2:3], -1, 0
	s_cmp_lg_u64 s[2:3], 0
	s_addc_u32 s28, s28, s8
	s_ashr_i32 s2, s81, 31
	v_readlane_b32 s8, v56, 46
	s_add_u32 s8, s8, s2
	s_mov_b32 s3, s2
	s_addc_u32 s9, s81, s2
	s_xor_b64 s[8:9], s[8:9], s[2:3]
	s_mul_i32 s49, s8, s28
	s_mul_hi_u32 s50, s8, s29
	s_mul_hi_u32 s48, s8, s28
	s_add_u32 s49, s50, s49
	s_addc_u32 s48, 0, s48
	s_mul_hi_u32 s51, s9, s29
	s_mul_i32 s29, s9, s29
	s_add_u32 s29, s49, s29
	s_mul_hi_u32 s50, s9, s28
	s_addc_u32 s29, s48, s51
	s_addc_u32 s48, s50, 0
	s_mul_i32 s28, s9, s28
	s_add_u32 s28, s29, s28
	s_addc_u32 s29, 0, s48
	s_mul_i32 s29, s0, s29
	s_mul_hi_u32 s48, s0, s28
	s_add_i32 s29, s48, s29
	s_mul_i32 s48, s1, s28
	s_add_i32 s50, s29, s48
	s_sub_i32 s48, s9, s50
	s_mul_i32 s28, s0, s28
	s_sub_u32 s8, s8, s28
	s_cselect_b64 s[28:29], -1, 0
	s_cmp_lg_u64 s[28:29], 0
	s_subb_u32 s51, s48, s1
	s_sub_u32 s52, s8, s0
	s_cselect_b64 s[48:49], -1, 0
	s_cmp_lg_u64 s[48:49], 0
	s_subb_u32 s53, s51, 0
	s_cmp_ge_u32 s53, s1
	s_cselect_b32 s55, -1, 0
	s_cmp_ge_u32 s52, s0
	s_cselect_b32 s58, -1, 0
	s_cmp_eq_u32 s53, s1
	s_cselect_b32 s55, s58, s55
	s_cmp_lg_u64 s[48:49], 0
	s_subb_u32 s51, s51, s1
	s_sub_u32 s58, s52, s0
	s_cselect_b64 s[48:49], -1, 0
	s_cmp_lg_u64 s[48:49], 0
	s_subb_u32 s48, s51, 0
	s_cmp_lg_u32 s55, 0
	s_cselect_b32 s49, s58, s52
	s_cselect_b32 s48, s48, s53
	s_cmp_lg_u64 s[28:29], 0
	s_subb_u32 s9, s9, s50
	s_cmp_ge_u32 s9, s1
	s_cselect_b32 s28, -1, 0
	s_cmp_ge_u32 s8, s0
	s_cselect_b32 s0, -1, 0
	s_cmp_eq_u32 s9, s1
	s_cselect_b32 s0, s0, s28
	s_cmp_lg_u32 s0, 0
	s_cselect_b32 s1, s48, s9
	s_cselect_b32 s0, s49, s8
	s_xor_b64 s[0:1], s[0:1], s[2:3]
	s_sub_u32 s0, s0, s2
	v_readlane_b32 s51, v56, 46
	s_subb_u32 s1, s1, s2
	s_cbranch_execnz .LBB53_232
.LBB53_231:                             ;   in Loop: Header=BB53_16 Depth=1
	v_cvt_f32_u32_e32 v2, s33
	s_sub_i32 s0, 0, s33
	v_rcp_iflag_f32_e32 v2, v2
	v_mul_f32_e32 v2, 0x4f7ffffe, v2
	v_cvt_u32_f32_e32 v2, v2
	v_readfirstlane_b32 s1, v2
	s_mul_i32 s0, s0, s1
	s_mul_hi_u32 s0, s1, s0
	s_add_i32 s1, s1, s0
	s_mul_hi_u32 s0, s51, s1
	s_mul_i32 s0, s0, s33
	s_sub_i32 s0, s51, s0
	s_sub_i32 s1, s0, s33
	s_cmp_ge_u32 s0, s33
	s_cselect_b32 s0, s1, s0
	s_sub_i32 s1, s0, s33
	s_cmp_ge_u32 s0, s33
	s_cselect_b32 s82, s1, s0
	s_mov_b64 s[0:1], s[82:83]
.LBB53_232:                             ;   in Loop: Header=BB53_16 Depth=1
	s_sub_u32 s28, s51, s0
	s_subb_u32 s29, s81, s1
	v_cmp_gt_i64_e32 vcc, s[28:29], v[0:1]
	s_mov_b64 s[2:3], 0
	s_mov_b64 s[0:1], 0
                                        ; implicit-def: $vgpr26
	s_and_saveexec_b64 s[8:9], vcc
	s_cbranch_execz .LBB53_244
; %bb.233:                              ;   in Loop: Header=BB53_16 Depth=1
	v_mov_b32_e32 v2, v10
	v_mov_b32_e32 v7, v1
	;; [unrolled: 1-line block ×4, first 2 shown]
                                        ; implicit-def: $sgpr48_sgpr49
	s_branch .LBB53_237
.LBB53_234:                             ;   in Loop: Header=BB53_237 Depth=2
	s_or_b64 exec, exec, s[50:51]
	s_waitcnt lgkmcnt(0)
	s_barrier
	ds_read_b64 v[25:26], v13 offset:3072
	s_waitcnt lgkmcnt(0)
	s_barrier
	v_cmp_neq_f32_e32 vcc, 0, v25
	s_cbranch_vccnz .LBB53_240
; %bb.235:                              ;   in Loop: Header=BB53_237 Depth=2
	v_add_co_u32_e32 v6, vcc, s33, v6
	v_addc_co_u32_e32 v7, vcc, 0, v7, vcc
	v_mov_b32_e32 v8, s85
	v_add_co_u32_e32 v2, vcc, s84, v2
	v_addc_co_u32_e32 v3, vcc, v3, v8, vcc
	v_cmp_le_i64_e32 vcc, s[28:29], v[6:7]
	s_mov_b64 s[50:51], 0
	s_orn2_b64 s[52:53], vcc, exec
.LBB53_236:                             ;   in Loop: Header=BB53_237 Depth=2
	s_and_b64 s[52:53], exec, s[52:53]
	s_or_b64 s[0:1], s[52:53], s[0:1]
	s_andn2_b64 s[48:49], s[48:49], exec
	s_and_b64 s[50:51], s[50:51], exec
	s_or_b64 s[48:49], s[48:49], s[50:51]
	s_andn2_b64 exec, exec, s[0:1]
	s_cbranch_execz .LBB53_243
.LBB53_237:                             ;   Parent Loop BB53_16 Depth=1
                                        ; =>  This Inner Loop Header: Depth=2
	v_cmp_gt_i64_e32 vcc, s[56:57], v[6:7]
	s_and_saveexec_b64 s[50:51], vcc
	s_cbranch_execz .LBB53_234
; %bb.238:                              ;   in Loop: Header=BB53_237 Depth=2
	global_load_dword v25, v[2:3], off
	s_waitcnt vmcnt(0)
	v_cmp_lt_i32_e32 vcc, -1, v25
	v_cndmask_b32_e32 v8, -1, v46, vcc
	v_xor_b32_e32 v8, v8, v25
	v_cmp_o_f32_e32 vcc, v25, v25
	v_cndmask_b32_e32 v8, -1, v8, vcc
	v_and_b32_e32 v8, v8, v47
	v_cmp_eq_u32_e32 vcc, v8, v44
	s_and_b64 exec, exec, vcc
	s_cbranch_execz .LBB53_234
; %bb.239:                              ;   in Loop: Header=BB53_237 Depth=2
	ds_write_b64 v13, v[24:25] offset:3072
	s_branch .LBB53_234
.LBB53_240:                             ;   in Loop: Header=BB53_237 Depth=2
	s_mov_b64 s[52:53], -1
                                        ; implicit-def: $vgpr6_vgpr7
                                        ; implicit-def: $vgpr2_vgpr3
	s_mov_b64 s[50:51], -1
	s_branch .LBB53_236
.LBB53_241:                             ;   in Loop: Header=BB53_16 Depth=1
                                        ; implicit-def: $sgpr0_sgpr1
	s_andn2_b64 vcc, exec, s[2:3]
	s_cbranch_vccz .LBB53_184
	s_branch .LBB53_185
.LBB53_242:                             ;   in Loop: Header=BB53_16 Depth=1
                                        ; implicit-def: $sgpr8_sgpr9
	s_branch .LBB53_201
.LBB53_243:                             ;   in Loop: Header=BB53_16 Depth=1
	s_or_b64 exec, exec, s[0:1]
	s_and_b64 s[0:1], s[48:49], exec
	v_readlane_b32 s51, v56, 46
.LBB53_244:                             ;   in Loop: Header=BB53_16 Depth=1
	s_or_b64 exec, exec, s[8:9]
	v_readlane_b32 s52, v56, 44
	v_readlane_b32 s53, v56, 45
.LBB53_245:                             ;   in Loop: Header=BB53_16 Depth=1
	s_and_b64 vcc, exec, s[2:3]
	s_cbranch_vccz .LBB53_260
; %bb.246:                              ;   in Loop: Header=BB53_16 Depth=1
	v_readlane_b32 s2, v56, 32
	s_add_u32 s44, s42, s2
	v_readlane_b32 s2, v56, 33
	s_addc_u32 s3, s43, s2
	s_mov_b32 s2, s83
	s_cmp_lg_u64 s[2:3], 0
	s_cbranch_scc0 .LBB53_281
; %bb.247:                              ;   in Loop: Header=BB53_16 Depth=1
	s_add_u32 s8, s33, 0
	s_addc_u32 s9, 0, 0
	s_xor_b64 s[8:9], s[8:9], 0
	v_cvt_f32_u32_e32 v2, s8
	v_cvt_f32_u32_e32 v3, s9
	s_sub_u32 s2, 0, s8
	s_subb_u32 s45, 0, s9
	v_mac_f32_e32 v2, 0x4f800000, v3
	v_rcp_f32_e32 v2, v2
	v_mul_f32_e32 v2, 0x5f7ffffc, v2
	v_mul_f32_e32 v3, 0x2f800000, v2
	v_trunc_f32_e32 v3, v3
	v_mac_f32_e32 v2, 0xcf800000, v3
	v_cvt_u32_f32_e32 v3, v3
	v_cvt_u32_f32_e32 v2, v2
	v_readfirstlane_b32 s46, v3
	v_readfirstlane_b32 s28, v2
	s_mul_i32 s29, s2, s46
	s_mul_hi_u32 s48, s2, s28
	s_mul_i32 s47, s45, s28
	s_add_i32 s29, s48, s29
	s_mul_i32 s49, s2, s28
	s_add_i32 s29, s29, s47
	s_mul_i32 s48, s28, s29
	s_mul_hi_u32 s50, s28, s49
	s_mul_hi_u32 s47, s28, s29
	s_add_u32 s48, s50, s48
	s_addc_u32 s47, 0, s47
	s_mul_hi_u32 s51, s46, s49
	s_mul_i32 s49, s46, s49
	s_add_u32 s48, s48, s49
	s_mul_hi_u32 s50, s46, s29
	s_addc_u32 s47, s47, s51
	s_addc_u32 s48, s50, 0
	s_mul_i32 s29, s46, s29
	s_add_u32 s29, s47, s29
	s_addc_u32 s47, 0, s48
	s_add_u32 s48, s28, s29
	s_cselect_b64 s[28:29], -1, 0
	s_cmp_lg_u64 s[28:29], 0
	s_addc_u32 s46, s46, s47
	s_mul_i32 s28, s2, s46
	s_mul_hi_u32 s29, s2, s48
	s_add_i32 s28, s29, s28
	s_mul_i32 s45, s45, s48
	s_add_i32 s28, s28, s45
	s_mul_i32 s2, s2, s48
	s_mul_hi_u32 s45, s46, s2
	s_mul_i32 s47, s46, s2
	s_mul_i32 s50, s48, s28
	s_mul_hi_u32 s2, s48, s2
	s_mul_hi_u32 s49, s48, s28
	s_add_u32 s2, s2, s50
	s_addc_u32 s49, 0, s49
	s_add_u32 s2, s2, s47
	s_mul_hi_u32 s29, s46, s28
	s_addc_u32 s2, s49, s45
	s_addc_u32 s29, s29, 0
	s_mul_i32 s28, s46, s28
	s_add_u32 s2, s2, s28
	s_addc_u32 s45, 0, s29
	s_add_u32 s2, s48, s2
	s_cselect_b64 s[28:29], -1, 0
	s_cmp_lg_u64 s[28:29], 0
	s_addc_u32 s45, s46, s45
	s_ashr_i32 s28, s3, 31
	s_add_u32 s46, s44, s28
	s_mov_b32 s29, s28
	s_addc_u32 s47, s3, s28
	s_xor_b64 s[46:47], s[46:47], s[28:29]
	s_mul_i32 s49, s46, s45
	s_mul_hi_u32 s50, s46, s2
	s_mul_hi_u32 s48, s46, s45
	s_add_u32 s49, s50, s49
	s_addc_u32 s48, 0, s48
	s_mul_hi_u32 s51, s47, s2
	s_mul_i32 s2, s47, s2
	s_add_u32 s2, s49, s2
	s_mul_hi_u32 s50, s47, s45
	s_addc_u32 s2, s48, s51
	s_addc_u32 s48, s50, 0
	s_mul_i32 s45, s47, s45
	s_add_u32 s2, s2, s45
	s_addc_u32 s45, 0, s48
	s_mul_i32 s45, s8, s45
	s_mul_hi_u32 s48, s8, s2
	s_add_i32 s45, s48, s45
	s_mul_i32 s48, s9, s2
	s_add_i32 s45, s45, s48
	s_sub_i32 s50, s47, s45
	s_mul_i32 s2, s8, s2
	s_sub_u32 s2, s46, s2
	s_cselect_b64 s[48:49], -1, 0
	s_cmp_lg_u64 s[48:49], 0
	s_subb_u32 s46, s50, s9
	s_sub_u32 s52, s2, s8
	s_cselect_b64 s[50:51], -1, 0
	s_cmp_lg_u64 s[50:51], 0
	s_subb_u32 s53, s46, 0
	s_cmp_ge_u32 s53, s9
	s_cselect_b32 s55, -1, 0
	s_cmp_ge_u32 s52, s8
	s_cselect_b32 s58, -1, 0
	s_cmp_eq_u32 s53, s9
	s_cselect_b32 s55, s58, s55
	s_cmp_lg_u64 s[50:51], 0
	s_subb_u32 s46, s46, s9
	s_sub_u32 s58, s52, s8
	s_cselect_b64 s[50:51], -1, 0
	s_cmp_lg_u64 s[50:51], 0
	s_subb_u32 s46, s46, 0
	s_cmp_lg_u32 s55, 0
	s_cselect_b32 s50, s58, s52
	s_cselect_b32 s46, s46, s53
	s_cmp_lg_u64 s[48:49], 0
	s_subb_u32 s45, s47, s45
	s_cmp_ge_u32 s45, s9
	s_cselect_b32 s47, -1, 0
	s_cmp_ge_u32 s2, s8
	s_cselect_b32 s8, -1, 0
	s_cmp_eq_u32 s45, s9
	s_cselect_b32 s8, s8, s47
	s_cmp_lg_u32 s8, 0
	s_cselect_b32 s9, s46, s45
	s_cselect_b32 s8, s50, s2
	s_xor_b64 s[8:9], s[8:9], s[28:29]
	v_readlane_b32 s52, v56, 44
	s_sub_u32 s8, s8, s28
	v_readlane_b32 s53, v56, 45
	s_subb_u32 s9, s9, s28
	s_cbranch_execnz .LBB53_249
.LBB53_248:                             ;   in Loop: Header=BB53_16 Depth=1
	v_cvt_f32_u32_e32 v2, s33
	s_sub_i32 s2, 0, s33
	v_rcp_iflag_f32_e32 v2, v2
	v_mul_f32_e32 v2, 0x4f7ffffe, v2
	v_cvt_u32_f32_e32 v2, v2
	v_readfirstlane_b32 s8, v2
	s_mul_i32 s2, s2, s8
	s_mul_hi_u32 s2, s8, s2
	s_add_i32 s8, s8, s2
	s_mul_hi_u32 s2, s44, s8
	s_mul_i32 s2, s2, s33
	s_sub_i32 s2, s44, s2
	s_sub_i32 s8, s2, s33
	s_cmp_ge_u32 s2, s33
	s_cselect_b32 s2, s8, s2
	s_sub_i32 s8, s2, s33
	s_cmp_ge_u32 s2, s33
	s_cselect_b32 s82, s8, s2
	s_mov_b64 s[8:9], s[82:83]
.LBB53_249:                             ;   in Loop: Header=BB53_16 Depth=1
	s_sub_u32 s8, s44, s8
	s_subb_u32 s9, s3, s9
	v_cmp_gt_i64_e32 vcc, s[8:9], v[0:1]
                                        ; implicit-def: $vgpr26
	s_and_saveexec_b64 s[2:3], vcc
	v_readlane_b32 s51, v56, 46
	s_cbranch_execz .LBB53_259
; %bb.250:                              ;   in Loop: Header=BB53_16 Depth=1
	v_mov_b32_e32 v3, v1
	s_mov_b64 s[28:29], 0
	v_mov_b32_e32 v6, v14
	v_mov_b32_e32 v2, v0
                                        ; implicit-def: $sgpr44_sgpr45
	s_branch .LBB53_254
.LBB53_251:                             ;   in Loop: Header=BB53_254 Depth=2
	s_or_b64 exec, exec, s[46:47]
	s_waitcnt lgkmcnt(0)
	s_barrier
	ds_read_b64 v[25:26], v13 offset:3072
	s_waitcnt lgkmcnt(0)
	s_barrier
	v_cmp_eq_f32_e32 vcc, 0, v25
	s_cbranch_vccz .LBB53_257
; %bb.252:                              ;   in Loop: Header=BB53_254 Depth=2
	v_add_co_u32_e32 v2, vcc, s33, v2
	v_addc_co_u32_e32 v3, vcc, 0, v3, vcc
	v_cmp_le_i64_e32 vcc, s[8:9], v[2:3]
	v_add_u32_e32 v6, s87, v6
	s_mov_b64 s[46:47], 0
	s_orn2_b64 s[48:49], vcc, exec
.LBB53_253:                             ;   in Loop: Header=BB53_254 Depth=2
	s_and_b64 s[48:49], exec, s[48:49]
	s_or_b64 s[28:29], s[48:49], s[28:29]
	s_andn2_b64 s[44:45], s[44:45], exec
	s_and_b64 s[46:47], s[46:47], exec
	s_or_b64 s[44:45], s[44:45], s[46:47]
	s_andn2_b64 exec, exec, s[28:29]
	s_cbranch_execz .LBB53_258
.LBB53_254:                             ;   Parent Loop BB53_16 Depth=1
                                        ; =>  This Inner Loop Header: Depth=2
	v_cmp_gt_u64_e32 vcc, s[42:43], v[2:3]
	s_and_saveexec_b64 s[46:47], vcc
	s_cbranch_execz .LBB53_251
; %bb.255:                              ;   in Loop: Header=BB53_254 Depth=2
	ds_read_b32 v25, v6
	s_waitcnt lgkmcnt(0)
	v_cmp_lt_i32_e32 vcc, -1, v25
	v_cndmask_b32_e32 v7, -1, v46, vcc
	v_xor_b32_e32 v7, v7, v25
	v_cmp_o_f32_e32 vcc, v25, v25
	v_cndmask_b32_e32 v7, -1, v7, vcc
	v_and_b32_e32 v7, v7, v47
	v_cmp_eq_u32_e32 vcc, v7, v44
	s_and_b64 exec, exec, vcc
	s_cbranch_execz .LBB53_251
; %bb.256:                              ;   in Loop: Header=BB53_254 Depth=2
	ds_write_b64 v13, v[24:25] offset:3072
	s_branch .LBB53_251
.LBB53_257:                             ;   in Loop: Header=BB53_254 Depth=2
	s_mov_b64 s[48:49], -1
                                        ; implicit-def: $vgpr2_vgpr3
                                        ; implicit-def: $vgpr6
	s_mov_b64 s[46:47], -1
	s_branch .LBB53_253
.LBB53_258:                             ;   in Loop: Header=BB53_16 Depth=1
	s_or_b64 exec, exec, s[28:29]
	s_andn2_b64 s[0:1], s[0:1], exec
	s_and_b64 s[8:9], s[44:45], exec
	s_or_b64 s[0:1], s[0:1], s[8:9]
.LBB53_259:                             ;   in Loop: Header=BB53_16 Depth=1
	s_or_b64 exec, exec, s[2:3]
	s_mov_b64 s[44:45], 0
	s_mov_b64 s[46:47], -1
.LBB53_260:                             ;   in Loop: Header=BB53_16 Depth=1
	s_orn2_b64 s[2:3], s[0:1], exec
.LBB53_261:                             ;   in Loop: Header=BB53_16 Depth=1
	s_or_b64 exec, exec, s[40:41]
	s_mov_b64 s[8:9], 0
	s_and_saveexec_b64 s[0:1], s[2:3]
	s_cbranch_execz .LBB53_272
; %bb.262:                              ;   in Loop: Header=BB53_16 Depth=1
	v_mov_b32_e32 v2, 1
	s_xor_b64 s[8:9], s[38:39], -1
	v_mov_b32_e32 v3, 0
	v_mov_b32_e32 v12, 1
	s_and_saveexec_b64 s[2:3], s[8:9]
	s_cbranch_execz .LBB53_271
; %bb.263:                              ;   in Loop: Header=BB53_16 Depth=1
	v_cmp_ge_i64_e32 vcc, s[12:13], v[4:5]
	s_and_saveexec_b64 s[8:9], vcc
	s_xor_b64 s[8:9], exec, s[8:9]
	s_cbranch_execz .LBB53_268
; %bb.264:                              ;   in Loop: Header=BB53_16 Depth=1
	ds_read_b64 v[2:3], v13 offset:5120
	v_or_b32_e32 v44, s54, v44
	v_or_b32_e32 v47, s54, v47
	s_waitcnt lgkmcnt(0)
	v_cmp_ne_u64_e32 vcc, 0, v[2:3]
	s_cbranch_vccnz .LBB53_268
; %bb.265:                              ;   in Loop: Header=BB53_16 Depth=1
	s_mov_b64 s[28:29], exec
	v_readlane_b32 s38, v56, 12
	v_readlane_b32 s39, v56, 13
	s_and_b64 s[38:39], s[28:29], s[38:39]
	s_mov_b64 exec, s[38:39]
; %bb.266:                              ;   in Loop: Header=BB53_16 Depth=1
	v_mov_b32_e32 v2, s12
	v_mov_b32_e32 v3, s13
	ds_write_b64 v13, v[2:3] offset:5128
; %bb.267:                              ;   in Loop: Header=BB53_16 Depth=1
	s_or_b64 exec, exec, s[28:29]
	s_waitcnt lgkmcnt(0)
	s_barrier
.LBB53_268:                             ;   in Loop: Header=BB53_16 Depth=1
	s_andn2_saveexec_b64 s[8:9], s[8:9]
; %bb.269:                              ;   in Loop: Header=BB53_16 Depth=1
	v_mov_b32_e32 v2, s13
	v_subrev_co_u32_e32 v4, vcc, s12, v4
	v_subb_co_u32_e32 v5, vcc, v5, v2, vcc
; %bb.270:                              ;   in Loop: Header=BB53_16 Depth=1
	s_or_b64 exec, exec, s[8:9]
	v_mov_b32_e32 v2, v4
	v_mov_b32_e32 v12, 8
	;; [unrolled: 1-line block ×3, first 2 shown]
.LBB53_271:                             ;   in Loop: Header=BB53_16 Depth=1
	s_or_b64 exec, exec, s[2:3]
	v_mov_b32_e32 v5, v3
	s_mov_b64 s[8:9], exec
	v_mov_b32_e32 v4, v2
.LBB53_272:                             ;   in Loop: Header=BB53_16 Depth=1
	s_or_b64 exec, exec, s[0:1]
	s_orn2_b64 s[0:1], s[8:9], exec
.LBB53_273:                             ;   in Loop: Header=BB53_16 Depth=1
	s_or_b64 exec, exec, s[20:21]
	s_andn2_b64 s[2:3], s[34:35], exec
	s_and_b64 s[8:9], s[46:47], exec
	s_or_b64 s[34:35], s[2:3], s[8:9]
	s_andn2_b64 s[2:3], s[30:31], exec
	s_and_b64 s[8:9], s[44:45], exec
	v_mov_b32_e32 v2, v4
	s_or_b64 s[30:31], s[2:3], s[8:9]
	s_and_b64 s[2:3], s[0:1], exec
	v_mov_b32_e32 v3, v5
.LBB53_274:                             ;   in Loop: Header=BB53_16 Depth=1
	s_or_b64 exec, exec, s[36:37]
	s_orn2_b64 s[0:1], s[2:3], exec
.LBB53_275:                             ;   in Loop: Header=BB53_16 Depth=1
	s_or_b64 exec, exec, s[26:27]
	s_andn2_b64 s[2:3], s[22:23], exec
	s_and_b64 s[8:9], s[34:35], exec
	s_or_b64 s[22:23], s[2:3], s[8:9]
	s_andn2_b64 s[2:3], s[6:7], exec
	s_and_b64 s[6:7], s[30:31], exec
	v_mov_b32_e32 v7, v3
	s_or_b64 s[6:7], s[2:3], s[6:7]
	s_and_b64 s[2:3], s[0:1], exec
	v_mov_b32_e32 v6, v2
.LBB53_276:                             ;   in Loop: Header=BB53_16 Depth=1
	s_or_b64 exec, exec, s[24:25]
	s_orn2_b64 s[0:1], s[2:3], exec
.LBB53_277:                             ;   in Loop: Header=BB53_16 Depth=1
	s_or_b64 exec, exec, s[18:19]
	s_mov_b64 s[2:3], 0
	s_and_saveexec_b64 s[8:9], s[0:1]
	s_xor_b64 s[0:1], exec, s[8:9]
	s_cbranch_execz .LBB53_14
; %bb.278:                              ;   in Loop: Header=BB53_16 Depth=1
	v_and_b32_e32 v2, 7, v12
	v_cmp_eq_u32_e32 vcc, 0, v2
	s_mov_b64 s[8:9], -1
	s_mov_b64 s[2:3], -1
	s_and_saveexec_b64 s[12:13], vcc
	s_cbranch_execz .LBB53_13
; %bb.279:                              ;   in Loop: Header=BB53_16 Depth=1
	s_xor_b32 s89, s89, 1
	s_add_i32 s16, s88, -2
	s_cmp_eq_u32 s88, 0
	s_cselect_b64 s[8:9], -1, 0
	s_xor_b64 s[2:3], exec, -1
	s_orn2_b64 s[8:9], s[8:9], exec
	s_mov_b32 s88, s16
	s_branch .LBB53_13
.LBB53_280:                             ;   in Loop: Header=BB53_16 Depth=1
                                        ; implicit-def: $sgpr0_sgpr1
	s_andn2_b64 vcc, exec, s[2:3]
	s_cbranch_vccz .LBB53_231
	s_branch .LBB53_232
.LBB53_281:                             ;   in Loop: Header=BB53_16 Depth=1
                                        ; implicit-def: $sgpr8_sgpr9
	s_branch .LBB53_248
.LBB53_282:
	s_or_b64 exec, exec, s[70:71]
	s_xor_b64 s[4:5], s[10:11], -1
	s_xor_b64 s[0:1], s[74:75], -1
	;; [unrolled: 1-line block ×3, first 2 shown]
	s_mov_b64 s[2:3], 0
	s_and_saveexec_b64 s[8:9], s[0:1]
	s_xor_b64 s[0:1], exec, s[8:9]
	s_cbranch_execnz .LBB53_287
; %bb.283:
	s_andn2_saveexec_b64 s[0:1], s[0:1]
	s_cbranch_execnz .LBB53_312
.LBB53_284:
	s_or_b64 exec, exec, s[0:1]
	s_and_saveexec_b64 s[0:1], s[2:3]
.LBB53_285:
	; divergent unreachable
.LBB53_286:
	s_endpgm
.LBB53_287:
	s_and_saveexec_b64 s[2:3], s[4:5]
	s_xor_b64 s[4:5], exec, s[2:3]
	s_cbranch_execz .LBB53_310
; %bb.288:
	s_and_saveexec_b64 s[2:3], s[6:7]
	s_xor_b64 s[2:3], exec, s[2:3]
; %bb.289:
	v_bfrev_b32_e32 v2, 1
	v_cmp_lt_i32_e32 vcc, -1, v44
	v_cndmask_b32_e64 v2, v2, -1, vcc
	v_xor_b32_e32 v26, v2, v44
; %bb.290:
	s_or_b64 exec, exec, s[2:3]
	s_mov_b64 s[2:3], exec
	v_readlane_b32 s6, v56, 12
	v_readlane_b32 s7, v56, 13
	s_and_b64 s[6:7], s[2:3], s[6:7]
	v_readlane_b32 s26, v56, 22
	v_readlane_b32 s27, v56, 23
	s_mov_b64 exec, s[6:7]
; %bb.291:
	v_mov_b32_e32 v2, 0
	v_mov_b32_e32 v3, s56
	ds_write_b32 v2, v3 offset:5140
; %bb.292:
	s_or_b64 exec, exec, s[2:3]
	s_waitcnt lgkmcnt(0)
	s_barrier
	s_mov_b64 s[6:7], exec
	v_readlane_b32 s2, v56, 28
	v_readlane_b32 s3, v56, 29
	s_and_b64 s[2:3], s[6:7], s[2:3]
	s_mov_b64 exec, s[2:3]
	s_cbranch_execz .LBB53_307
; %bb.293:
	v_mov_b32_e32 v2, 0
	ds_read_b32 v4, v2 offset:5140
	v_cmp_u_f32_e32 vcc, v26, v26
	s_mov_b64 s[8:9], 0
	s_xor_b64 s[10:11], vcc, -1
                                        ; implicit-def: $sgpr12_sgpr13
                                        ; implicit-def: $sgpr14_sgpr15
                                        ; implicit-def: $sgpr16_sgpr17
	s_waitcnt lgkmcnt(0)
	v_ashrrev_i32_e32 v5, 31, v4
	s_branch .LBB53_296
.LBB53_294:                             ;   in Loop: Header=BB53_296 Depth=1
	s_or_b64 exec, exec, s[24:25]
	s_andn2_b64 s[2:3], s[16:17], exec
	s_and_b64 s[16:17], s[20:21], exec
	s_or_b64 s[16:17], s[2:3], s[16:17]
	s_andn2_b64 s[2:3], s[14:15], exec
	s_and_b64 s[14:15], s[22:23], exec
	s_or_b64 s[14:15], s[2:3], s[14:15]
.LBB53_295:                             ;   in Loop: Header=BB53_296 Depth=1
	s_or_b64 exec, exec, s[18:19]
	s_and_b64 s[2:3], exec, s[14:15]
	s_or_b64 s[8:9], s[2:3], s[8:9]
	s_andn2_b64 s[2:3], s[12:13], exec
	s_and_b64 s[12:13], s[16:17], exec
	s_or_b64 s[12:13], s[2:3], s[12:13]
	s_andn2_b64 exec, exec, s[8:9]
	s_cbranch_execz .LBB53_302
.LBB53_296:                             ; =>This Inner Loop Header: Depth=1
	v_mov_b32_e32 v3, v1
	v_mov_b32_e32 v2, v0
	v_cmp_lt_i64_e32 vcc, v[2:3], v[4:5]
	s_or_b64 s[16:17], s[16:17], exec
	s_or_b64 s[14:15], s[14:15], exec
                                        ; implicit-def: $vgpr0_vgpr1
	s_and_saveexec_b64 s[18:19], vcc
	s_cbranch_execz .LBB53_295
; %bb.297:                              ;   in Loop: Header=BB53_296 Depth=1
	global_load_dword v0, v[10:11], off
	s_mov_b64 s[22:23], -1
	s_mov_b64 s[20:21], 0
	s_waitcnt vmcnt(0)
	v_cmp_o_f32_e64 s[2:3], v0, v0
	v_cmp_neq_f32_e32 vcc, v0, v26
	s_or_b64 s[2:3], s[2:3], s[10:11]
	s_and_b64 s[2:3], vcc, s[2:3]
                                        ; implicit-def: $vgpr0_vgpr1
	s_and_saveexec_b64 s[24:25], s[2:3]
	s_cbranch_execz .LBB53_294
; %bb.298:                              ;   in Loop: Header=BB53_296 Depth=1
	v_add_co_u32_e32 v0, vcc, s33, v2
	v_addc_co_u32_e32 v1, vcc, 0, v3, vcc
	v_cmp_le_i64_e32 vcc, s[56:57], v[0:1]
	v_mov_b32_e32 v3, s85
	v_add_co_u32_e64 v10, s[2:3], s84, v10
	s_mov_b64 s[20:21], exec
	v_addc_co_u32_e64 v11, s[2:3], v11, v3, s[2:3]
	s_orn2_b64 s[22:23], vcc, exec
	s_branch .LBB53_294
.LBB53_299:
                                        ; implicit-def: $sgpr16_sgpr17
	s_branch .LBB53_3
.LBB53_300:
                                        ; implicit-def: $sgpr0_sgpr1
                                        ; kill: killed $sgpr0_sgpr1
	s_branch .LBB53_6
.LBB53_301:
                                        ; implicit-def: $sgpr0_sgpr1
                                        ; kill: killed $sgpr0_sgpr1
	s_load_dwordx2 s[0:1], s[4:5], 0x0
	s_branch .LBB53_9
.LBB53_302:
	s_or_b64 exec, exec, s[8:9]
	s_xor_b64 s[2:3], s[12:13], -1
	s_and_saveexec_b64 s[8:9], s[2:3]
	s_xor_b64 s[8:9], exec, s[8:9]
	s_cbranch_execz .LBB53_307
; %bb.303:
	s_mov_b64 s[2:3], exec
	s_brev_b32 s8, -2
.LBB53_304:                             ; =>This Inner Loop Header: Depth=1
	s_ff1_i32_b64 s9, s[2:3]
	v_readlane_b32 s12, v2, s9
	s_lshl_b64 s[10:11], 1, s9
	s_min_i32 s8, s8, s12
	s_andn2_b64 s[2:3], s[2:3], s[10:11]
	s_cmp_lg_u64 s[2:3], 0
	s_cbranch_scc1 .LBB53_304
; %bb.305:
	v_mbcnt_lo_u32_b32 v0, exec_lo, 0
	v_mbcnt_hi_u32_b32 v0, exec_hi, v0
	v_cmp_eq_u32_e32 vcc, 0, v0
	s_and_saveexec_b64 s[2:3], vcc
	s_xor_b64 s[2:3], exec, s[2:3]
; %bb.306:
	v_mov_b32_e32 v0, 0
	v_mov_b32_e32 v1, s8
	ds_min_i32 v0, v1 offset:5140
.LBB53_307:
	s_or_b64 exec, exec, s[6:7]
	s_waitcnt lgkmcnt(0)
	s_barrier
	s_mov_b64 s[2:3], exec
	v_readlane_b32 s6, v56, 12
	v_readlane_b32 s7, v56, 13
	;; [unrolled: 1-line block ×3, first 2 shown]
	s_and_b64 s[6:7], s[2:3], s[6:7]
	v_readlane_b32 s11, v56, 3
	s_mov_b64 exec, s[6:7]
	s_cbranch_execz .LBB53_309
; %bb.308:
	v_readlane_b32 s8, v56, 0
	v_readlane_b32 s9, v56, 1
	;; [unrolled: 1-line block ×4, first 2 shown]
	s_mul_i32 s6, s12, s9
	s_mul_hi_u32 s7, s12, s8
	s_add_i32 s6, s7, s6
	s_mul_i32 s7, s13, s8
	s_add_i32 s6, s6, s7
	s_mul_i32 s7, s12, s8
	v_readlane_b32 s16, v56, 18
	s_sub_u32 s8, s26, s7
	v_readlane_b32 s18, v56, 20
	v_readlane_b32 s19, v56, 21
	s_subb_u32 s6, 0, s6
	s_mul_i32 s7, s8, s19
	s_mul_hi_u32 s9, s8, s18
	v_readlane_b32 s17, v56, 19
	s_add_i32 s7, s9, s7
	s_mul_i32 s6, s6, s18
	s_add_i32 s7, s7, s6
	s_mul_i32 s6, s8, s18
	s_mul_i32 s8, s12, s17
	s_mul_hi_u32 s9, s12, s16
	s_add_i32 s8, s9, s8
	s_mul_i32 s9, s13, s16
	s_add_i32 s9, s8, s9
	s_mul_i32 s8, s12, s16
	s_mov_b64 s[12:13], s[10:11]
	v_readlane_b32 s14, v56, 6
	v_readlane_b32 s15, v56, 7
	s_mul_i32 s10, s14, s13
	s_mul_hi_u32 s11, s14, s12
	s_add_i32 s10, s11, s10
	s_mul_i32 s11, s15, s12
	s_add_i32 s10, s10, s11
	s_mul_i32 s11, s14, s12
	v_readlane_b32 s16, v56, 14
	s_sub_u32 s12, s26, s11
	v_readlane_b32 s18, v56, 16
	v_readlane_b32 s19, v56, 17
	s_subb_u32 s10, 0, s10
	s_mul_i32 s11, s12, s19
	s_mul_hi_u32 s13, s12, s18
	v_readlane_b32 s17, v56, 15
	s_add_i32 s11, s13, s11
	s_mul_i32 s10, s10, s18
	s_add_i32 s11, s11, s10
	s_mul_i32 s10, s12, s18
	s_mul_i32 s12, s14, s17
	s_mul_hi_u32 s13, s14, s16
	s_add_i32 s12, s13, s12
	s_mul_i32 s13, s15, s16
	s_add_i32 s13, s12, s13
	s_mul_i32 s12, s14, s16
	s_lshl_b64 s[8:9], s[8:9], 2
	v_readlane_b32 s14, v56, 10
	v_readlane_b32 s15, v56, 11
	s_add_u32 s8, s14, s8
	s_addc_u32 s9, s15, s9
	s_lshl_b64 s[6:7], s[6:7], 2
	v_mov_b32_e32 v2, 0
	s_add_u32 s6, s8, s6
	ds_read_b32 v0, v2 offset:5140
	s_addc_u32 s7, s9, s7
	s_lshl_b64 s[8:9], s[12:13], 3
	v_readlane_b32 s12, v56, 8
	v_readlane_b32 s13, v56, 9
	s_add_u32 s12, s12, s8
	s_addc_u32 s13, s13, s9
	s_lshl_b64 s[8:9], s[10:11], 3
	s_add_u32 s8, s12, s8
	s_addc_u32 s9, s13, s9
	s_waitcnt lgkmcnt(0)
	v_ashrrev_i32_e32 v1, 31, v0
	global_store_dwordx2 v2, v[0:1], s[8:9]
	global_store_dword v2, v26, s[6:7]
.LBB53_309:
	s_or_b64 exec, exec, s[2:3]
.LBB53_310:
	s_or_saveexec_b64 s[2:3], s[4:5]
	s_mov_b64 s[4:5], 0
	s_xor_b64 exec, exec, s[2:3]
	s_cbranch_execnz .LBB53_313
.LBB53_311:
	s_or_b64 exec, exec, s[2:3]
	s_and_b64 s[2:3], s[4:5], exec
	s_andn2_saveexec_b64 s[0:1], s[0:1]
	s_cbranch_execz .LBB53_284
.LBB53_312:
	s_or_b64 s[2:3], s[2:3], exec
	s_trap 2
	s_or_b64 exec, exec, s[0:1]
	s_and_saveexec_b64 s[0:1], s[2:3]
	s_cbranch_execnz .LBB53_285
	s_branch .LBB53_286
.LBB53_313:
	s_mov_b64 s[4:5], exec
	s_trap 2
	s_branch .LBB53_311
	.section	.rodata,"a",@progbits
	.p2align	6, 0x0
	.amdhsa_kernel _ZN2at6native12_GLOBAL__N_114gatherKthValueIflLi2EEEvNS_4cuda6detail10TensorInfoIKT_T0_EES8_S8_S8_S8_NS5_IS6_S8_EENS5_IlS8_EE
		.amdhsa_group_segment_fixed_size 5144
		.amdhsa_private_segment_fixed_size 0
		.amdhsa_kernarg_size 1536
		.amdhsa_user_sgpr_count 6
		.amdhsa_user_sgpr_private_segment_buffer 1
		.amdhsa_user_sgpr_dispatch_ptr 0
		.amdhsa_user_sgpr_queue_ptr 0
		.amdhsa_user_sgpr_kernarg_segment_ptr 1
		.amdhsa_user_sgpr_dispatch_id 0
		.amdhsa_user_sgpr_flat_scratch_init 0
		.amdhsa_user_sgpr_private_segment_size 0
		.amdhsa_uses_dynamic_stack 0
		.amdhsa_system_sgpr_private_segment_wavefront_offset 0
		.amdhsa_system_sgpr_workgroup_id_x 1
		.amdhsa_system_sgpr_workgroup_id_y 1
		.amdhsa_system_sgpr_workgroup_id_z 1
		.amdhsa_system_sgpr_workgroup_info 0
		.amdhsa_system_vgpr_workitem_id 0
		.amdhsa_next_free_vgpr 57
		.amdhsa_next_free_sgpr 96
		.amdhsa_reserve_vcc 1
		.amdhsa_reserve_flat_scratch 0
		.amdhsa_float_round_mode_32 0
		.amdhsa_float_round_mode_16_64 0
		.amdhsa_float_denorm_mode_32 3
		.amdhsa_float_denorm_mode_16_64 3
		.amdhsa_dx10_clamp 1
		.amdhsa_ieee_mode 1
		.amdhsa_fp16_overflow 0
		.amdhsa_exception_fp_ieee_invalid_op 0
		.amdhsa_exception_fp_denorm_src 0
		.amdhsa_exception_fp_ieee_div_zero 0
		.amdhsa_exception_fp_ieee_overflow 0
		.amdhsa_exception_fp_ieee_underflow 0
		.amdhsa_exception_fp_ieee_inexact 0
		.amdhsa_exception_int_div_zero 0
	.end_amdhsa_kernel
	.section	.text._ZN2at6native12_GLOBAL__N_114gatherKthValueIflLi2EEEvNS_4cuda6detail10TensorInfoIKT_T0_EES8_S8_S8_S8_NS5_IS6_S8_EENS5_IlS8_EE,"axG",@progbits,_ZN2at6native12_GLOBAL__N_114gatherKthValueIflLi2EEEvNS_4cuda6detail10TensorInfoIKT_T0_EES8_S8_S8_S8_NS5_IS6_S8_EENS5_IlS8_EE,comdat
.Lfunc_end53:
	.size	_ZN2at6native12_GLOBAL__N_114gatherKthValueIflLi2EEEvNS_4cuda6detail10TensorInfoIKT_T0_EES8_S8_S8_S8_NS5_IS6_S8_EENS5_IlS8_EE, .Lfunc_end53-_ZN2at6native12_GLOBAL__N_114gatherKthValueIflLi2EEEvNS_4cuda6detail10TensorInfoIKT_T0_EES8_S8_S8_S8_NS5_IS6_S8_EENS5_IlS8_EE
                                        ; -- End function
	.set _ZN2at6native12_GLOBAL__N_114gatherKthValueIflLi2EEEvNS_4cuda6detail10TensorInfoIKT_T0_EES8_S8_S8_S8_NS5_IS6_S8_EENS5_IlS8_EE.num_vgpr, 57
	.set _ZN2at6native12_GLOBAL__N_114gatherKthValueIflLi2EEEvNS_4cuda6detail10TensorInfoIKT_T0_EES8_S8_S8_S8_NS5_IS6_S8_EENS5_IlS8_EE.num_agpr, 0
	.set _ZN2at6native12_GLOBAL__N_114gatherKthValueIflLi2EEEvNS_4cuda6detail10TensorInfoIKT_T0_EES8_S8_S8_S8_NS5_IS6_S8_EENS5_IlS8_EE.numbered_sgpr, 96
	.set _ZN2at6native12_GLOBAL__N_114gatherKthValueIflLi2EEEvNS_4cuda6detail10TensorInfoIKT_T0_EES8_S8_S8_S8_NS5_IS6_S8_EENS5_IlS8_EE.num_named_barrier, 0
	.set _ZN2at6native12_GLOBAL__N_114gatherKthValueIflLi2EEEvNS_4cuda6detail10TensorInfoIKT_T0_EES8_S8_S8_S8_NS5_IS6_S8_EENS5_IlS8_EE.private_seg_size, 0
	.set _ZN2at6native12_GLOBAL__N_114gatherKthValueIflLi2EEEvNS_4cuda6detail10TensorInfoIKT_T0_EES8_S8_S8_S8_NS5_IS6_S8_EENS5_IlS8_EE.uses_vcc, 1
	.set _ZN2at6native12_GLOBAL__N_114gatherKthValueIflLi2EEEvNS_4cuda6detail10TensorInfoIKT_T0_EES8_S8_S8_S8_NS5_IS6_S8_EENS5_IlS8_EE.uses_flat_scratch, 0
	.set _ZN2at6native12_GLOBAL__N_114gatherKthValueIflLi2EEEvNS_4cuda6detail10TensorInfoIKT_T0_EES8_S8_S8_S8_NS5_IS6_S8_EENS5_IlS8_EE.has_dyn_sized_stack, 0
	.set _ZN2at6native12_GLOBAL__N_114gatherKthValueIflLi2EEEvNS_4cuda6detail10TensorInfoIKT_T0_EES8_S8_S8_S8_NS5_IS6_S8_EENS5_IlS8_EE.has_recursion, 0
	.set _ZN2at6native12_GLOBAL__N_114gatherKthValueIflLi2EEEvNS_4cuda6detail10TensorInfoIKT_T0_EES8_S8_S8_S8_NS5_IS6_S8_EENS5_IlS8_EE.has_indirect_call, 0
	.section	.AMDGPU.csdata,"",@progbits
; Kernel info:
; codeLenInByte = 18464
; TotalNumSgprs: 100
; NumVgprs: 57
; ScratchSize: 0
; MemoryBound: 0
; FloatMode: 240
; IeeeMode: 1
; LDSByteSize: 5144 bytes/workgroup (compile time only)
; SGPRBlocks: 12
; VGPRBlocks: 14
; NumSGPRsForWavesPerEU: 100
; NumVGPRsForWavesPerEU: 57
; Occupancy: 4
; WaveLimiterHint : 1
; COMPUTE_PGM_RSRC2:SCRATCH_EN: 0
; COMPUTE_PGM_RSRC2:USER_SGPR: 6
; COMPUTE_PGM_RSRC2:TRAP_HANDLER: 0
; COMPUTE_PGM_RSRC2:TGID_X_EN: 1
; COMPUTE_PGM_RSRC2:TGID_Y_EN: 1
; COMPUTE_PGM_RSRC2:TGID_Z_EN: 1
; COMPUTE_PGM_RSRC2:TIDIG_COMP_CNT: 0
	.section	.text._ZN2at6native12_GLOBAL__N_114gatherKthValueIflLi3EEEvNS_4cuda6detail10TensorInfoIKT_T0_EES8_S8_S8_S8_NS5_IS6_S8_EENS5_IlS8_EE,"axG",@progbits,_ZN2at6native12_GLOBAL__N_114gatherKthValueIflLi3EEEvNS_4cuda6detail10TensorInfoIKT_T0_EES8_S8_S8_S8_NS5_IS6_S8_EENS5_IlS8_EE,comdat
	.globl	_ZN2at6native12_GLOBAL__N_114gatherKthValueIflLi3EEEvNS_4cuda6detail10TensorInfoIKT_T0_EES8_S8_S8_S8_NS5_IS6_S8_EENS5_IlS8_EE ; -- Begin function _ZN2at6native12_GLOBAL__N_114gatherKthValueIflLi3EEEvNS_4cuda6detail10TensorInfoIKT_T0_EES8_S8_S8_S8_NS5_IS6_S8_EENS5_IlS8_EE
	.p2align	8
	.type	_ZN2at6native12_GLOBAL__N_114gatherKthValueIflLi3EEEvNS_4cuda6detail10TensorInfoIKT_T0_EES8_S8_S8_S8_NS5_IS6_S8_EENS5_IlS8_EE,@function
_ZN2at6native12_GLOBAL__N_114gatherKthValueIflLi3EEEvNS_4cuda6detail10TensorInfoIKT_T0_EES8_S8_S8_S8_NS5_IS6_S8_EENS5_IlS8_EE: ; @_ZN2at6native12_GLOBAL__N_114gatherKthValueIflLi3EEEvNS_4cuda6detail10TensorInfoIKT_T0_EES8_S8_S8_S8_NS5_IS6_S8_EENS5_IlS8_EE
; %bb.0:
	s_load_dwordx2 s[18:19], s[4:5], 0x500
	s_load_dwordx8 s[56:63], s[4:5], 0x1a0
	s_add_u32 s16, s4, 0x500
	s_addc_u32 s17, s5, 0
	s_mov_b32 s43, 0
	s_waitcnt lgkmcnt(0)
	s_mul_i32 s0, s19, s8
	s_add_i32 s0, s0, s7
	s_mul_i32 s0, s0, s18
	s_add_i32 s42, s0, s6
	v_mov_b32_e32 v1, s42
	v_mov_b32_e32 v2, s43
	v_cmp_le_i64_e32 vcc, s[60:61], v[1:2]
	s_cbranch_vccnz .LBB54_303
; %bb.1:
	s_load_dwordx4 s[8:11], s[4:5], 0x10
	s_mov_b32 s0, s43
	s_waitcnt lgkmcnt(0)
	s_mov_b32 s1, s11
	s_cmp_lg_u64 s[0:1], 0
	s_cbranch_scc0 .LBB54_12
; %bb.2:
	s_ashr_i32 s0, s11, 31
	s_add_u32 s2, s10, s0
	s_mov_b32 s1, s0
	s_addc_u32 s3, s11, s0
	s_xor_b64 s[2:3], s[2:3], s[0:1]
	v_cvt_f32_u32_e32 v1, s2
	v_cvt_f32_u32_e32 v2, s3
	s_sub_u32 s7, 0, s2
	s_subb_u32 s19, 0, s3
	v_madmk_f32 v1, v2, 0x4f800000, v1
	v_rcp_f32_e32 v1, v1
	v_mul_f32_e32 v1, 0x5f7ffffc, v1
	v_mul_f32_e32 v2, 0x2f800000, v1
	v_trunc_f32_e32 v2, v2
	v_madmk_f32 v1, v2, 0xcf800000, v1
	v_cvt_u32_f32_e32 v2, v2
	v_cvt_u32_f32_e32 v1, v1
	v_readfirstlane_b32 s20, v2
	v_readfirstlane_b32 s14, v1
	s_mul_i32 s15, s7, s20
	s_mul_hi_u32 s22, s7, s14
	s_mul_i32 s21, s19, s14
	s_add_i32 s15, s22, s15
	s_add_i32 s15, s15, s21
	s_mul_i32 s23, s7, s14
	s_mul_i32 s22, s14, s15
	s_mul_hi_u32 s24, s14, s23
	s_mul_hi_u32 s21, s14, s15
	s_add_u32 s22, s24, s22
	s_addc_u32 s21, 0, s21
	s_mul_hi_u32 s25, s20, s23
	s_mul_i32 s23, s20, s23
	s_add_u32 s22, s22, s23
	s_mul_hi_u32 s24, s20, s15
	s_addc_u32 s21, s21, s25
	s_addc_u32 s22, s24, 0
	s_mul_i32 s15, s20, s15
	s_add_u32 s15, s21, s15
	s_addc_u32 s21, 0, s22
	s_add_u32 s22, s14, s15
	s_cselect_b64 s[14:15], -1, 0
	s_cmp_lg_u64 s[14:15], 0
	s_addc_u32 s20, s20, s21
	s_mul_i32 s14, s7, s20
	s_mul_hi_u32 s15, s7, s22
	s_add_i32 s14, s15, s14
	s_mul_i32 s19, s19, s22
	s_add_i32 s14, s14, s19
	s_mul_i32 s7, s7, s22
	s_mul_hi_u32 s19, s20, s7
	s_mul_i32 s21, s20, s7
	s_mul_i32 s24, s22, s14
	s_mul_hi_u32 s7, s22, s7
	s_mul_hi_u32 s23, s22, s14
	s_add_u32 s7, s7, s24
	s_addc_u32 s23, 0, s23
	s_add_u32 s7, s7, s21
	s_mul_hi_u32 s15, s20, s14
	s_addc_u32 s7, s23, s19
	s_addc_u32 s15, s15, 0
	s_mul_i32 s14, s20, s14
	s_add_u32 s7, s7, s14
	s_addc_u32 s19, 0, s15
	s_add_u32 s7, s22, s7
	s_cselect_b64 s[14:15], -1, 0
	s_cmp_lg_u64 s[14:15], 0
	s_addc_u32 s19, s20, s19
	s_add_u32 s14, s42, 0
	s_addc_u32 s15, 0, 0
	s_xor_b64 s[14:15], s[14:15], 0
	s_mul_i32 s21, s14, s19
	s_mul_hi_u32 s22, s14, s7
	s_mul_hi_u32 s20, s14, s19
	s_add_u32 s21, s22, s21
	s_addc_u32 s20, 0, s20
	s_mul_hi_u32 s23, s15, s7
	s_mul_i32 s7, s15, s7
	s_add_u32 s7, s21, s7
	s_mul_hi_u32 s22, s15, s19
	s_addc_u32 s7, s20, s23
	s_addc_u32 s20, s22, 0
	s_mul_i32 s19, s15, s19
	s_add_u32 s7, s7, s19
	s_addc_u32 s19, 0, s20
	s_mul_i32 s20, s2, s19
	s_mul_hi_u32 s21, s2, s7
	s_add_i32 s20, s21, s20
	s_mul_i32 s21, s3, s7
	s_add_i32 s24, s20, s21
	s_sub_i32 s22, s15, s24
	s_mul_i32 s20, s2, s7
	s_sub_u32 s14, s14, s20
	s_cselect_b64 s[20:21], -1, 0
	s_cmp_lg_u64 s[20:21], 0
	s_subb_u32 s25, s22, s3
	s_sub_u32 s26, s14, s2
	s_cselect_b64 s[22:23], -1, 0
	s_cmp_lg_u64 s[22:23], 0
	s_subb_u32 s22, s25, 0
	s_cmp_ge_u32 s22, s3
	s_cselect_b32 s23, -1, 0
	s_cmp_ge_u32 s26, s2
	s_cselect_b32 s25, -1, 0
	s_cmp_eq_u32 s22, s3
	s_cselect_b32 s22, s25, s23
	s_add_u32 s23, s7, 1
	s_addc_u32 s25, s19, 0
	s_add_u32 s26, s7, 2
	s_addc_u32 s27, s19, 0
	s_cmp_lg_u32 s22, 0
	s_cselect_b32 s22, s26, s23
	s_cselect_b32 s23, s27, s25
	s_cmp_lg_u64 s[20:21], 0
	s_subb_u32 s15, s15, s24
	s_cmp_ge_u32 s15, s3
	s_cselect_b32 s20, -1, 0
	s_cmp_ge_u32 s14, s2
	s_cselect_b32 s2, -1, 0
	s_cmp_eq_u32 s15, s3
	s_cselect_b32 s2, s2, s20
	s_cmp_lg_u32 s2, 0
	s_cselect_b32 s3, s23, s19
	s_cselect_b32 s2, s22, s7
	s_xor_b64 s[0:1], 0, s[0:1]
	s_xor_b64 s[2:3], s[2:3], s[0:1]
	s_sub_u32 s2, s2, s0
	s_subb_u32 s3, s3, s1
	s_cbranch_execnz .LBB54_4
.LBB54_3:
	v_cvt_f32_u32_e32 v1, s10
	s_sub_i32 s0, 0, s10
	s_mov_b32 s3, 0
	v_rcp_iflag_f32_e32 v1, v1
	v_mul_f32_e32 v1, 0x4f7ffffe, v1
	v_cvt_u32_f32_e32 v1, v1
	v_readfirstlane_b32 s1, v1
	s_mul_i32 s0, s0, s1
	s_mul_hi_u32 s0, s1, s0
	s_add_i32 s1, s1, s0
	s_mul_hi_u32 s0, s42, s1
	s_mul_i32 s2, s0, s10
	s_sub_i32 s2, s42, s2
	s_add_i32 s1, s0, 1
	s_sub_i32 s7, s2, s10
	s_cmp_ge_u32 s2, s10
	s_cselect_b32 s0, s1, s0
	s_cselect_b32 s2, s7, s2
	s_add_i32 s1, s0, 1
	s_cmp_ge_u32 s2, s10
	s_cselect_b32 s2, s1, s0
.LBB54_4:
	s_or_b64 s[0:1], s[2:3], s[8:9]
	s_mov_b32 s0, 0
	s_cmp_lg_u64 s[0:1], 0
	s_cbranch_scc0 .LBB54_13
; %bb.5:
	s_ashr_i32 s12, s9, 31
	s_add_u32 s0, s8, s12
	s_mov_b32 s13, s12
	s_addc_u32 s1, s9, s12
	s_xor_b64 s[14:15], s[0:1], s[12:13]
	v_cvt_f32_u32_e32 v1, s14
	v_cvt_f32_u32_e32 v2, s15
	s_sub_u32 s7, 0, s14
	s_subb_u32 s19, 0, s15
	v_madmk_f32 v1, v2, 0x4f800000, v1
	v_rcp_f32_e32 v1, v1
	v_mul_f32_e32 v1, 0x5f7ffffc, v1
	v_mul_f32_e32 v2, 0x2f800000, v1
	v_trunc_f32_e32 v2, v2
	v_madmk_f32 v1, v2, 0xcf800000, v1
	v_cvt_u32_f32_e32 v2, v2
	v_cvt_u32_f32_e32 v1, v1
	v_readfirstlane_b32 s22, v2
	v_readfirstlane_b32 s20, v1
	s_mul_i32 s21, s7, s22
	s_mul_hi_u32 s24, s7, s20
	s_mul_i32 s23, s19, s20
	s_add_i32 s21, s24, s21
	s_add_i32 s21, s21, s23
	s_mul_i32 s25, s7, s20
	s_mul_i32 s24, s20, s21
	s_mul_hi_u32 s26, s20, s25
	s_mul_hi_u32 s23, s20, s21
	s_add_u32 s24, s26, s24
	s_addc_u32 s23, 0, s23
	s_mul_hi_u32 s27, s22, s25
	s_mul_i32 s25, s22, s25
	s_add_u32 s24, s24, s25
	s_mul_hi_u32 s26, s22, s21
	s_addc_u32 s23, s23, s27
	s_addc_u32 s24, s26, 0
	s_mul_i32 s21, s22, s21
	s_add_u32 s21, s23, s21
	s_addc_u32 s23, 0, s24
	s_add_u32 s24, s20, s21
	s_cselect_b64 s[20:21], -1, 0
	s_cmp_lg_u64 s[20:21], 0
	s_addc_u32 s22, s22, s23
	s_mul_i32 s20, s7, s22
	s_mul_hi_u32 s21, s7, s24
	s_add_i32 s20, s21, s20
	s_mul_i32 s19, s19, s24
	s_add_i32 s20, s20, s19
	s_mul_i32 s7, s7, s24
	s_mul_hi_u32 s21, s22, s7
	s_mul_i32 s23, s22, s7
	s_mul_i32 s26, s24, s20
	s_mul_hi_u32 s7, s24, s7
	s_mul_hi_u32 s25, s24, s20
	s_add_u32 s7, s7, s26
	s_addc_u32 s25, 0, s25
	s_add_u32 s7, s7, s23
	s_mul_hi_u32 s19, s22, s20
	s_addc_u32 s7, s25, s21
	s_addc_u32 s19, s19, 0
	s_mul_i32 s20, s22, s20
	s_add_u32 s7, s7, s20
	s_addc_u32 s19, 0, s19
	s_add_u32 s7, s24, s7
	s_cselect_b64 s[20:21], -1, 0
	s_cmp_lg_u64 s[20:21], 0
	s_addc_u32 s19, s22, s19
	s_ashr_i32 s20, s3, 31
	s_add_u32 s22, s2, s20
	s_mov_b32 s21, s20
	s_addc_u32 s23, s3, s20
	s_xor_b64 s[22:23], s[22:23], s[20:21]
	s_mul_i32 s25, s22, s19
	s_mul_hi_u32 s26, s22, s7
	s_mul_hi_u32 s24, s22, s19
	s_add_u32 s25, s26, s25
	s_addc_u32 s24, 0, s24
	s_mul_hi_u32 s27, s23, s7
	s_mul_i32 s7, s23, s7
	s_add_u32 s7, s25, s7
	s_mul_hi_u32 s26, s23, s19
	s_addc_u32 s7, s24, s27
	s_addc_u32 s24, s26, 0
	s_mul_i32 s19, s23, s19
	s_add_u32 s7, s7, s19
	s_addc_u32 s19, 0, s24
	s_mul_i32 s24, s14, s19
	s_mul_hi_u32 s25, s14, s7
	s_add_i32 s24, s25, s24
	s_mul_i32 s25, s15, s7
	s_add_i32 s28, s24, s25
	s_sub_i32 s26, s23, s28
	s_mul_i32 s24, s14, s7
	s_sub_u32 s22, s22, s24
	s_cselect_b64 s[24:25], -1, 0
	s_cmp_lg_u64 s[24:25], 0
	s_subb_u32 s29, s26, s15
	s_sub_u32 s30, s22, s14
	s_cselect_b64 s[26:27], -1, 0
	s_cmp_lg_u64 s[26:27], 0
	s_subb_u32 s26, s29, 0
	s_cmp_ge_u32 s26, s15
	s_cselect_b32 s27, -1, 0
	s_cmp_ge_u32 s30, s14
	s_cselect_b32 s29, -1, 0
	s_cmp_eq_u32 s26, s15
	s_cselect_b32 s26, s29, s27
	s_add_u32 s27, s7, 1
	s_addc_u32 s29, s19, 0
	s_add_u32 s30, s7, 2
	s_addc_u32 s31, s19, 0
	s_cmp_lg_u32 s26, 0
	s_cselect_b32 s26, s30, s27
	s_cselect_b32 s27, s31, s29
	s_cmp_lg_u64 s[24:25], 0
	s_subb_u32 s23, s23, s28
	s_cmp_ge_u32 s23, s15
	s_cselect_b32 s24, -1, 0
	s_cmp_ge_u32 s22, s14
	s_cselect_b32 s14, -1, 0
	s_cmp_eq_u32 s23, s15
	s_cselect_b32 s14, s14, s24
	s_cmp_lg_u32 s14, 0
	s_cselect_b32 s15, s27, s19
	s_cselect_b32 s14, s26, s7
	s_xor_b64 s[12:13], s[20:21], s[12:13]
	s_xor_b64 s[14:15], s[14:15], s[12:13]
	s_sub_u32 s20, s14, s12
	s_subb_u32 s21, s15, s13
	s_load_dwordx4 s[24:27], s[4:5], 0x1d0
	s_cbranch_execnz .LBB54_7
.LBB54_6:
	v_cvt_f32_u32_e32 v1, s8
	s_sub_i32 s0, 0, s8
	s_mov_b32 s21, 0
	v_rcp_iflag_f32_e32 v1, v1
	v_mul_f32_e32 v1, 0x4f7ffffe, v1
	v_cvt_u32_f32_e32 v1, v1
	v_readfirstlane_b32 s1, v1
	s_mul_i32 s0, s0, s1
	s_mul_hi_u32 s0, s1, s0
	s_add_i32 s1, s1, s0
	s_mul_hi_u32 s0, s2, s1
	s_mul_i32 s7, s0, s8
	s_sub_i32 s7, s2, s7
	s_add_i32 s1, s0, 1
	s_sub_i32 s12, s7, s8
	s_cmp_ge_u32 s7, s8
	s_cselect_b32 s0, s1, s0
	s_cselect_b32 s7, s12, s7
	s_add_i32 s1, s0, 1
	s_cmp_ge_u32 s7, s8
	s_cselect_b32 s20, s1, s0
.LBB54_7:
                                        ; implicit-def: $vgpr50 : SGPR spill to VGPR lane
	s_waitcnt lgkmcnt(0)
	s_mov_b32 s1, s27
	v_writelane_b32 v50, s24, 0
	s_mov_b32 s0, 0
	v_writelane_b32 v50, s25, 1
	s_cmp_lg_u64 s[0:1], 0
	v_writelane_b32 v50, s26, 2
	v_writelane_b32 v50, s27, 3
	s_cbranch_scc0 .LBB54_14
; %bb.8:
	s_ashr_i32 s0, s27, 31
	s_add_u32 s12, s26, s0
	s_mov_b32 s1, s0
	s_addc_u32 s13, s27, s0
	s_xor_b64 s[14:15], s[12:13], s[0:1]
	v_cvt_f32_u32_e32 v1, s14
	v_cvt_f32_u32_e32 v2, s15
	s_sub_u32 s7, 0, s14
	s_subb_u32 s19, 0, s15
	v_madmk_f32 v1, v2, 0x4f800000, v1
	v_rcp_f32_e32 v1, v1
	v_mul_f32_e32 v1, 0x5f7ffffc, v1
	v_mul_f32_e32 v2, 0x2f800000, v1
	v_trunc_f32_e32 v2, v2
	v_madmk_f32 v1, v2, 0xcf800000, v1
	v_cvt_u32_f32_e32 v2, v2
	v_cvt_u32_f32_e32 v1, v1
	v_readfirstlane_b32 s24, v2
	v_readfirstlane_b32 s22, v1
	s_mul_i32 s23, s7, s24
	s_mul_hi_u32 s26, s7, s22
	s_mul_i32 s25, s19, s22
	s_add_i32 s23, s26, s23
	s_add_i32 s23, s23, s25
	s_mul_i32 s27, s7, s22
	s_mul_i32 s26, s22, s23
	s_mul_hi_u32 s28, s22, s27
	s_mul_hi_u32 s25, s22, s23
	s_add_u32 s26, s28, s26
	s_addc_u32 s25, 0, s25
	s_mul_hi_u32 s29, s24, s27
	s_mul_i32 s27, s24, s27
	s_add_u32 s26, s26, s27
	s_mul_hi_u32 s28, s24, s23
	s_addc_u32 s25, s25, s29
	s_addc_u32 s26, s28, 0
	s_mul_i32 s23, s24, s23
	s_add_u32 s23, s25, s23
	s_addc_u32 s25, 0, s26
	s_add_u32 s26, s22, s23
	s_cselect_b64 s[22:23], -1, 0
	s_cmp_lg_u64 s[22:23], 0
	s_addc_u32 s24, s24, s25
	s_mul_i32 s22, s7, s24
	s_mul_hi_u32 s23, s7, s26
	s_add_i32 s22, s23, s22
	s_mul_i32 s19, s19, s26
	s_add_i32 s22, s22, s19
	s_mul_i32 s7, s7, s26
	s_mul_hi_u32 s23, s24, s7
	s_mul_i32 s25, s24, s7
	s_mul_i32 s28, s26, s22
	s_mul_hi_u32 s7, s26, s7
	s_mul_hi_u32 s27, s26, s22
	s_add_u32 s7, s7, s28
	s_addc_u32 s27, 0, s27
	s_add_u32 s7, s7, s25
	s_mul_hi_u32 s19, s24, s22
	s_addc_u32 s7, s27, s23
	s_addc_u32 s19, s19, 0
	s_mul_i32 s22, s24, s22
	s_add_u32 s7, s7, s22
	s_addc_u32 s19, 0, s19
	s_add_u32 s7, s26, s7
	s_cselect_b64 s[22:23], -1, 0
	s_cmp_lg_u64 s[22:23], 0
	s_addc_u32 s19, s24, s19
	s_add_u32 s22, s42, 0
	s_addc_u32 s23, 0, 0
	s_xor_b64 s[22:23], s[22:23], 0
	s_mul_i32 s25, s22, s19
	s_mul_hi_u32 s26, s22, s7
	s_mul_hi_u32 s24, s22, s19
	s_add_u32 s25, s26, s25
	s_addc_u32 s24, 0, s24
	s_mul_hi_u32 s27, s23, s7
	s_mul_i32 s7, s23, s7
	s_add_u32 s7, s25, s7
	s_mul_hi_u32 s26, s23, s19
	s_addc_u32 s7, s24, s27
	s_addc_u32 s24, s26, 0
	s_mul_i32 s19, s23, s19
	s_add_u32 s7, s7, s19
	s_addc_u32 s19, 0, s24
	s_mul_i32 s24, s14, s19
	s_mul_hi_u32 s25, s14, s7
	s_add_i32 s24, s25, s24
	s_mul_i32 s25, s15, s7
	s_add_i32 s28, s24, s25
	s_sub_i32 s26, s23, s28
	s_mul_i32 s24, s14, s7
	s_sub_u32 s22, s22, s24
	s_cselect_b64 s[24:25], -1, 0
	s_cmp_lg_u64 s[24:25], 0
	s_subb_u32 s29, s26, s15
	s_sub_u32 s30, s22, s14
	s_cselect_b64 s[26:27], -1, 0
	s_cmp_lg_u64 s[26:27], 0
	s_subb_u32 s26, s29, 0
	s_cmp_ge_u32 s26, s15
	s_cselect_b32 s27, -1, 0
	s_cmp_ge_u32 s30, s14
	s_cselect_b32 s29, -1, 0
	s_cmp_eq_u32 s26, s15
	s_cselect_b32 s26, s29, s27
	s_add_u32 s27, s7, 1
	s_addc_u32 s29, s19, 0
	s_add_u32 s30, s7, 2
	s_addc_u32 s31, s19, 0
	s_cmp_lg_u32 s26, 0
	s_cselect_b32 s26, s30, s27
	s_cselect_b32 s27, s31, s29
	s_cmp_lg_u64 s[24:25], 0
	s_subb_u32 s23, s23, s28
	s_cmp_ge_u32 s23, s15
	s_cselect_b32 s24, -1, 0
	s_cmp_ge_u32 s22, s14
	s_cselect_b32 s14, -1, 0
	s_cmp_eq_u32 s23, s15
	s_cselect_b32 s14, s14, s24
	s_cmp_lg_u32 s14, 0
	s_cselect_b32 s15, s27, s19
	s_cselect_b32 s14, s26, s7
	s_load_dwordx4 s[24:27], s[4:5], 0x1d0
	s_xor_b64 s[0:1], 0, s[0:1]
	s_xor_b64 s[14:15], s[14:15], s[0:1]
	s_sub_u32 s14, s14, s0
	s_subb_u32 s15, s15, s1
	s_cbranch_execnz .LBB54_10
.LBB54_9:
	s_waitcnt lgkmcnt(0)
	v_cvt_f32_u32_e32 v1, s26
	s_sub_i32 s0, 0, s26
	s_mov_b32 s15, 0
	v_rcp_iflag_f32_e32 v1, v1
	v_mul_f32_e32 v1, 0x4f7ffffe, v1
	v_cvt_u32_f32_e32 v1, v1
	v_readfirstlane_b32 s1, v1
	s_mul_i32 s0, s0, s1
	s_mul_hi_u32 s0, s1, s0
	s_add_i32 s1, s1, s0
	s_mul_hi_u32 s0, s42, s1
	s_mul_i32 s7, s0, s26
	s_sub_i32 s7, s42, s7
	s_add_i32 s1, s0, 1
	s_sub_i32 s12, s7, s26
	s_cmp_ge_u32 s7, s26
	s_cselect_b32 s0, s1, s0
	s_cselect_b32 s7, s12, s7
	s_add_i32 s1, s0, 1
	s_cmp_ge_u32 s7, s26
	s_cselect_b32 s14, s1, s0
.LBB54_10:
	s_waitcnt lgkmcnt(0)
	s_or_b64 s[0:1], s[14:15], s[24:25]
	s_mov_b32 s0, 0
	s_cmp_lg_u64 s[0:1], 0
	v_writelane_b32 v50, s14, 4
	v_writelane_b32 v50, s15, 5
	s_cbranch_scc0 .LBB54_15
; %bb.11:
	s_ashr_i32 s12, s25, 31
	s_add_u32 s0, s24, s12
	s_mov_b32 s13, s12
	s_addc_u32 s1, s25, s12
	s_xor_b64 s[14:15], s[0:1], s[12:13]
	v_cvt_f32_u32_e32 v1, s14
	v_cvt_f32_u32_e32 v2, s15
	s_sub_u32 s7, 0, s14
	s_subb_u32 s19, 0, s15
	s_mov_b64 s[0:1], 0
	v_madmk_f32 v1, v2, 0x4f800000, v1
	v_rcp_f32_e32 v1, v1
	v_mul_f32_e32 v1, 0x5f7ffffc, v1
	v_mul_f32_e32 v2, 0x2f800000, v1
	v_trunc_f32_e32 v2, v2
	v_madmk_f32 v1, v2, 0xcf800000, v1
	v_cvt_u32_f32_e32 v2, v2
	v_cvt_u32_f32_e32 v1, v1
	v_readfirstlane_b32 s24, v2
	v_readfirstlane_b32 s22, v1
	s_mul_i32 s23, s7, s24
	s_mul_hi_u32 s26, s7, s22
	s_mul_i32 s25, s19, s22
	s_add_i32 s23, s26, s23
	s_add_i32 s23, s23, s25
	s_mul_i32 s27, s7, s22
	s_mul_i32 s26, s22, s23
	s_mul_hi_u32 s28, s22, s27
	s_mul_hi_u32 s25, s22, s23
	s_add_u32 s26, s28, s26
	s_addc_u32 s25, 0, s25
	s_mul_hi_u32 s29, s24, s27
	s_mul_i32 s27, s24, s27
	s_add_u32 s26, s26, s27
	s_mul_hi_u32 s28, s24, s23
	s_addc_u32 s25, s25, s29
	s_addc_u32 s26, s28, 0
	s_mul_i32 s23, s24, s23
	s_add_u32 s23, s25, s23
	s_addc_u32 s25, 0, s26
	s_add_u32 s26, s22, s23
	s_cselect_b64 s[22:23], -1, 0
	s_cmp_lg_u64 s[22:23], 0
	s_addc_u32 s24, s24, s25
	s_mul_i32 s22, s7, s24
	s_mul_hi_u32 s23, s7, s26
	s_add_i32 s22, s23, s22
	s_mul_i32 s19, s19, s26
	s_add_i32 s22, s22, s19
	s_mul_i32 s7, s7, s26
	s_mul_hi_u32 s23, s24, s7
	s_mul_i32 s25, s24, s7
	s_mul_i32 s28, s26, s22
	s_mul_hi_u32 s7, s26, s7
	s_mul_hi_u32 s27, s26, s22
	s_add_u32 s7, s7, s28
	s_addc_u32 s27, 0, s27
	s_add_u32 s7, s7, s25
	s_mul_hi_u32 s19, s24, s22
	s_addc_u32 s7, s27, s23
	s_addc_u32 s19, s19, 0
	s_mul_i32 s22, s24, s22
	s_add_u32 s7, s7, s22
	s_addc_u32 s19, 0, s19
	s_add_u32 s7, s26, s7
	s_cselect_b64 s[22:23], -1, 0
	s_cmp_lg_u64 s[22:23], 0
	v_readlane_b32 s22, v50, 4
	v_readlane_b32 s23, v50, 5
	s_addc_u32 s19, s24, s19
	s_ashr_i32 s22, s23, 31
	v_readlane_b32 s24, v50, 4
	v_readlane_b32 s26, v50, 4
	;; [unrolled: 1-line block ×3, first 2 shown]
	s_add_u32 s24, s24, s22
	v_readlane_b32 s27, v50, 5
	s_mov_b32 s23, s22
	s_addc_u32 s25, s27, s22
	s_xor_b64 s[24:25], s[24:25], s[22:23]
	s_mul_i32 s27, s24, s19
	s_mul_hi_u32 s28, s24, s7
	s_mul_hi_u32 s26, s24, s19
	s_add_u32 s27, s28, s27
	s_addc_u32 s26, 0, s26
	s_mul_hi_u32 s29, s25, s7
	s_mul_i32 s7, s25, s7
	s_add_u32 s7, s27, s7
	s_mul_hi_u32 s28, s25, s19
	s_addc_u32 s7, s26, s29
	s_addc_u32 s26, s28, 0
	s_mul_i32 s19, s25, s19
	s_add_u32 s7, s7, s19
	s_addc_u32 s19, 0, s26
	s_mul_i32 s26, s14, s19
	s_mul_hi_u32 s27, s14, s7
	s_add_i32 s26, s27, s26
	s_mul_i32 s27, s15, s7
	s_add_i32 s30, s26, s27
	s_sub_i32 s28, s25, s30
	s_mul_i32 s26, s14, s7
	s_sub_u32 s24, s24, s26
	s_cselect_b64 s[26:27], -1, 0
	s_cmp_lg_u64 s[26:27], 0
	s_subb_u32 s31, s28, s15
	s_sub_u32 s33, s24, s14
	s_cselect_b64 s[28:29], -1, 0
	s_cmp_lg_u64 s[28:29], 0
	s_subb_u32 s28, s31, 0
	s_cmp_ge_u32 s28, s15
	s_cselect_b32 s29, -1, 0
	s_cmp_ge_u32 s33, s14
	s_cselect_b32 s31, -1, 0
	s_cmp_eq_u32 s28, s15
	s_cselect_b32 s28, s31, s29
	s_add_u32 s29, s7, 1
	s_addc_u32 s31, s19, 0
	s_add_u32 s33, s7, 2
	s_addc_u32 s34, s19, 0
	s_cmp_lg_u32 s28, 0
	s_cselect_b32 s28, s33, s29
	s_cselect_b32 s29, s34, s31
	s_cmp_lg_u64 s[26:27], 0
	s_subb_u32 s25, s25, s30
	s_cmp_ge_u32 s25, s15
	s_cselect_b32 s26, -1, 0
	s_cmp_ge_u32 s24, s14
	s_cselect_b32 s14, -1, 0
	s_cmp_eq_u32 s25, s15
	s_cselect_b32 s14, s14, s26
	s_cmp_lg_u32 s14, 0
	s_load_dwordx4 s[24:27], s[4:5], 0x1d0
	s_cselect_b32 s15, s29, s19
	s_cselect_b32 s14, s28, s7
	s_xor_b64 s[12:13], s[22:23], s[12:13]
	s_xor_b64 s[14:15], s[14:15], s[12:13]
	s_sub_u32 s12, s14, s12
	s_subb_u32 s13, s15, s13
	v_readlane_b32 s14, v50, 4
	v_readlane_b32 s15, v50, 5
	s_branch .LBB54_16
.LBB54_12:
                                        ; implicit-def: $sgpr2_sgpr3
	s_branch .LBB54_3
.LBB54_13:
                                        ; implicit-def: $sgpr20_sgpr21
	s_load_dwordx4 s[24:27], s[4:5], 0x1d0
	s_branch .LBB54_6
.LBB54_14:
                                        ; implicit-def: $sgpr14_sgpr15
	s_branch .LBB54_9
.LBB54_15:
	s_mov_b64 s[0:1], -1
                                        ; implicit-def: $sgpr12_sgpr13
.LBB54_16:
	s_load_dwordx4 s[28:31], s[4:5], 0x370
	s_andn2_b64 vcc, exec, s[0:1]
	s_waitcnt lgkmcnt(0)
	v_writelane_b32 v50, s28, 6
	v_writelane_b32 v50, s29, 7
	;; [unrolled: 1-line block ×4, first 2 shown]
	s_cbranch_vccnz .LBB54_18
; %bb.17:
	v_cvt_f32_u32_e32 v1, s24
	s_sub_i32 s0, 0, s24
	s_mov_b32 s13, 0
	v_rcp_iflag_f32_e32 v1, v1
	v_mul_f32_e32 v1, 0x4f7ffffe, v1
	v_cvt_u32_f32_e32 v1, v1
	v_readfirstlane_b32 s1, v1
	s_mul_i32 s0, s0, s1
	s_mul_hi_u32 s0, s1, s0
	s_add_i32 s1, s1, s0
	s_mul_hi_u32 s0, s14, s1
	s_mul_i32 s7, s0, s24
	s_sub_i32 s7, s14, s7
	s_add_i32 s1, s0, 1
	s_sub_i32 s12, s7, s24
	s_cmp_ge_u32 s7, s24
	s_cselect_b32 s0, s1, s0
	s_cselect_b32 s7, s12, s7
	s_add_i32 s1, s0, 1
	s_cmp_ge_u32 s7, s24
	s_cselect_b32 s12, s1, s0
.LBB54_18:
	s_load_dwordx4 s[24:27], s[4:5], 0x370
	s_mov_b32 s0, 0
	v_writelane_b32 v50, s12, 10
	v_writelane_b32 v50, s13, 11
	s_waitcnt lgkmcnt(0)
	s_mov_b32 s1, s27
	s_cmp_lg_u64 s[0:1], 0
	s_cbranch_scc0 .LBB54_23
; %bb.19:
	s_ashr_i32 s0, s27, 31
	s_add_u32 s12, s26, s0
	s_mov_b32 s1, s0
	s_addc_u32 s13, s27, s0
	s_xor_b64 s[14:15], s[12:13], s[0:1]
	v_cvt_f32_u32_e32 v1, s14
	v_cvt_f32_u32_e32 v2, s15
	s_sub_u32 s7, 0, s14
	s_subb_u32 s19, 0, s15
	v_madmk_f32 v1, v2, 0x4f800000, v1
	v_rcp_f32_e32 v1, v1
	v_mul_f32_e32 v1, 0x5f7ffffc, v1
	v_mul_f32_e32 v2, 0x2f800000, v1
	v_trunc_f32_e32 v2, v2
	v_madmk_f32 v1, v2, 0xcf800000, v1
	v_cvt_u32_f32_e32 v2, v2
	v_cvt_u32_f32_e32 v1, v1
	v_readfirstlane_b32 s24, v2
	v_readfirstlane_b32 s22, v1
	s_mul_i32 s23, s7, s24
	s_mul_hi_u32 s26, s7, s22
	s_mul_i32 s25, s19, s22
	s_add_i32 s23, s26, s23
	s_add_i32 s23, s23, s25
	s_mul_i32 s27, s7, s22
	s_mul_i32 s26, s22, s23
	s_mul_hi_u32 s28, s22, s27
	s_mul_hi_u32 s25, s22, s23
	s_add_u32 s26, s28, s26
	s_addc_u32 s25, 0, s25
	s_mul_hi_u32 s29, s24, s27
	s_mul_i32 s27, s24, s27
	s_add_u32 s26, s26, s27
	s_mul_hi_u32 s28, s24, s23
	s_addc_u32 s25, s25, s29
	s_addc_u32 s26, s28, 0
	s_mul_i32 s23, s24, s23
	s_add_u32 s23, s25, s23
	s_addc_u32 s25, 0, s26
	s_add_u32 s26, s22, s23
	s_cselect_b64 s[22:23], -1, 0
	s_cmp_lg_u64 s[22:23], 0
	s_addc_u32 s24, s24, s25
	s_mul_i32 s22, s7, s24
	s_mul_hi_u32 s23, s7, s26
	s_add_i32 s22, s23, s22
	s_mul_i32 s19, s19, s26
	s_add_i32 s22, s22, s19
	s_mul_i32 s7, s7, s26
	s_mul_hi_u32 s23, s24, s7
	s_mul_i32 s25, s24, s7
	s_mul_i32 s28, s26, s22
	s_mul_hi_u32 s7, s26, s7
	s_mul_hi_u32 s27, s26, s22
	s_add_u32 s7, s7, s28
	s_addc_u32 s27, 0, s27
	s_add_u32 s7, s7, s25
	s_mul_hi_u32 s19, s24, s22
	s_addc_u32 s7, s27, s23
	s_addc_u32 s19, s19, 0
	s_mul_i32 s22, s24, s22
	s_add_u32 s7, s7, s22
	s_addc_u32 s19, 0, s19
	s_add_u32 s7, s26, s7
	s_cselect_b64 s[22:23], -1, 0
	s_cmp_lg_u64 s[22:23], 0
	s_addc_u32 s19, s24, s19
	s_add_u32 s22, s42, 0
	s_addc_u32 s23, 0, 0
	s_xor_b64 s[22:23], s[22:23], 0
	s_mul_i32 s25, s22, s19
	s_mul_hi_u32 s26, s22, s7
	s_mul_hi_u32 s24, s22, s19
	s_add_u32 s25, s26, s25
	s_addc_u32 s24, 0, s24
	s_mul_hi_u32 s27, s23, s7
	s_mul_i32 s7, s23, s7
	s_add_u32 s7, s25, s7
	s_mul_hi_u32 s26, s23, s19
	s_addc_u32 s7, s24, s27
	s_addc_u32 s24, s26, 0
	s_mul_i32 s19, s23, s19
	s_add_u32 s7, s7, s19
	s_addc_u32 s19, 0, s24
	s_mul_i32 s24, s14, s19
	s_mul_hi_u32 s25, s14, s7
	s_add_i32 s24, s25, s24
	s_mul_i32 s25, s15, s7
	s_add_i32 s28, s24, s25
	s_sub_i32 s26, s23, s28
	s_mul_i32 s24, s14, s7
	s_sub_u32 s22, s22, s24
	s_cselect_b64 s[24:25], -1, 0
	s_cmp_lg_u64 s[24:25], 0
	s_subb_u32 s29, s26, s15
	s_sub_u32 s30, s22, s14
	s_cselect_b64 s[26:27], -1, 0
	s_cmp_lg_u64 s[26:27], 0
	s_subb_u32 s26, s29, 0
	s_cmp_ge_u32 s26, s15
	s_cselect_b32 s27, -1, 0
	s_cmp_ge_u32 s30, s14
	s_cselect_b32 s29, -1, 0
	s_cmp_eq_u32 s26, s15
	s_cselect_b32 s26, s29, s27
	s_add_u32 s27, s7, 1
	s_addc_u32 s29, s19, 0
	s_add_u32 s30, s7, 2
	s_addc_u32 s31, s19, 0
	s_cmp_lg_u32 s26, 0
	s_cselect_b32 s26, s30, s27
	s_cselect_b32 s27, s31, s29
	s_cmp_lg_u64 s[24:25], 0
	s_subb_u32 s23, s23, s28
	s_cmp_ge_u32 s23, s15
	s_cselect_b32 s24, -1, 0
	s_cmp_ge_u32 s22, s14
	s_cselect_b32 s14, -1, 0
	s_cmp_eq_u32 s23, s15
	s_cselect_b32 s14, s14, s24
	s_cmp_lg_u32 s14, 0
	s_cselect_b32 s15, s27, s19
	s_cselect_b32 s14, s26, s7
	s_load_dwordx4 s[24:27], s[4:5], 0x370
	s_xor_b64 s[0:1], 0, s[0:1]
	s_xor_b64 s[14:15], s[14:15], s[0:1]
	s_sub_u32 s38, s14, s0
	s_subb_u32 s39, s15, s1
	s_cbranch_execnz .LBB54_21
.LBB54_20:
	s_waitcnt lgkmcnt(0)
	v_cvt_f32_u32_e32 v1, s26
	s_sub_i32 s0, 0, s26
	s_mov_b32 s39, 0
	v_rcp_iflag_f32_e32 v1, v1
	v_mul_f32_e32 v1, 0x4f7ffffe, v1
	v_cvt_u32_f32_e32 v1, v1
	v_readfirstlane_b32 s1, v1
	s_mul_i32 s0, s0, s1
	s_mul_hi_u32 s0, s1, s0
	s_add_i32 s1, s1, s0
	s_mul_hi_u32 s0, s42, s1
	s_mul_i32 s7, s0, s26
	s_sub_i32 s7, s42, s7
	s_add_i32 s1, s0, 1
	s_sub_i32 s12, s7, s26
	s_cmp_ge_u32 s7, s26
	s_cselect_b32 s0, s1, s0
	s_cselect_b32 s7, s12, s7
	s_add_i32 s1, s0, 1
	s_cmp_ge_u32 s7, s26
	s_cselect_b32 s38, s1, s0
.LBB54_21:
	s_load_dwordx2 s[0:1], s[4:5], 0xe0
	s_load_dwordx4 s[12:15], s[4:5], 0xd0
	s_waitcnt lgkmcnt(0)
	s_or_b64 s[22:23], s[38:39], s[24:25]
	s_mov_b32 s22, 0
	s_cmp_lg_u64 s[22:23], 0
	v_writelane_b32 v50, s38, 12
	v_writelane_b32 v50, s39, 13
	s_cbranch_scc0 .LBB54_24
; %bb.22:
	s_ashr_i32 s22, s25, 31
	s_add_u32 s24, s24, s22
	s_mov_b32 s23, s22
	s_addc_u32 s25, s25, s22
	s_xor_b64 s[26:27], s[24:25], s[22:23]
	v_cvt_f32_u32_e32 v1, s26
	v_cvt_f32_u32_e32 v2, s27
	s_sub_u32 s7, 0, s26
	s_subb_u32 s19, 0, s27
	s_mov_b64 s[24:25], 0
	v_madmk_f32 v1, v2, 0x4f800000, v1
	v_rcp_f32_e32 v1, v1
	v_mul_f32_e32 v1, 0x5f7ffffc, v1
	v_mul_f32_e32 v2, 0x2f800000, v1
	v_trunc_f32_e32 v2, v2
	v_madmk_f32 v1, v2, 0xcf800000, v1
	v_cvt_u32_f32_e32 v2, v2
	v_cvt_u32_f32_e32 v1, v1
	v_readfirstlane_b32 s30, v2
	v_readfirstlane_b32 s28, v1
	s_mul_i32 s29, s7, s30
	s_mul_hi_u32 s33, s7, s28
	s_mul_i32 s31, s19, s28
	s_add_i32 s29, s33, s29
	s_add_i32 s29, s29, s31
	s_mul_i32 s34, s7, s28
	s_mul_i32 s33, s28, s29
	s_mul_hi_u32 s35, s28, s34
	s_mul_hi_u32 s31, s28, s29
	s_add_u32 s33, s35, s33
	s_addc_u32 s31, 0, s31
	s_mul_hi_u32 s36, s30, s34
	s_mul_i32 s34, s30, s34
	s_add_u32 s33, s33, s34
	s_mul_hi_u32 s35, s30, s29
	s_addc_u32 s31, s31, s36
	s_addc_u32 s33, s35, 0
	s_mul_i32 s29, s30, s29
	s_add_u32 s29, s31, s29
	s_addc_u32 s31, 0, s33
	s_add_u32 s33, s28, s29
	s_cselect_b64 s[28:29], -1, 0
	s_cmp_lg_u64 s[28:29], 0
	s_addc_u32 s30, s30, s31
	s_mul_i32 s28, s7, s30
	s_mul_hi_u32 s29, s7, s33
	s_add_i32 s28, s29, s28
	s_mul_i32 s19, s19, s33
	s_add_i32 s28, s28, s19
	s_mul_i32 s7, s7, s33
	s_mul_hi_u32 s29, s30, s7
	s_mul_i32 s31, s30, s7
	s_mul_i32 s35, s33, s28
	s_mul_hi_u32 s7, s33, s7
	s_mul_hi_u32 s34, s33, s28
	s_add_u32 s7, s7, s35
	s_addc_u32 s34, 0, s34
	s_add_u32 s7, s7, s31
	s_mul_hi_u32 s19, s30, s28
	s_addc_u32 s7, s34, s29
	s_addc_u32 s19, s19, 0
	s_mul_i32 s28, s30, s28
	s_add_u32 s7, s7, s28
	s_addc_u32 s19, 0, s19
	s_add_u32 s7, s33, s7
	s_cselect_b64 s[28:29], -1, 0
	s_cmp_lg_u64 s[28:29], 0
	s_addc_u32 s19, s30, s19
	s_ashr_i32 s28, s39, 31
	s_add_u32 s30, s38, s28
	s_mov_b32 s29, s28
	s_addc_u32 s31, s39, s28
	s_xor_b64 s[30:31], s[30:31], s[28:29]
	s_mul_i32 s34, s30, s19
	s_mul_hi_u32 s35, s30, s7
	s_mul_hi_u32 s33, s30, s19
	s_add_u32 s34, s35, s34
	s_addc_u32 s33, 0, s33
	s_mul_hi_u32 s36, s31, s7
	s_mul_i32 s7, s31, s7
	s_add_u32 s7, s34, s7
	s_mul_hi_u32 s35, s31, s19
	s_addc_u32 s7, s33, s36
	s_addc_u32 s33, s35, 0
	s_mul_i32 s19, s31, s19
	s_add_u32 s7, s7, s19
	s_addc_u32 s19, 0, s33
	s_mul_i32 s33, s26, s19
	s_mul_hi_u32 s34, s26, s7
	s_add_i32 s33, s34, s33
	s_mul_i32 s34, s27, s7
	s_add_i32 s33, s33, s34
	s_sub_i32 s36, s31, s33
	s_mul_i32 s34, s26, s7
	s_sub_u32 s30, s30, s34
	s_cselect_b64 s[34:35], -1, 0
	s_cmp_lg_u64 s[34:35], 0
	s_subb_u32 s38, s36, s27
	s_sub_u32 s39, s30, s26
	s_cselect_b64 s[36:37], -1, 0
	s_cmp_lg_u64 s[36:37], 0
	s_subb_u32 s36, s38, 0
	s_cmp_ge_u32 s36, s27
	s_cselect_b32 s37, -1, 0
	s_cmp_ge_u32 s39, s26
	s_cselect_b32 s38, -1, 0
	s_cmp_eq_u32 s36, s27
	s_cselect_b32 s36, s38, s37
	s_add_u32 s37, s7, 1
	s_addc_u32 s38, s19, 0
	s_add_u32 s39, s7, 2
	s_addc_u32 s40, s19, 0
	s_cmp_lg_u32 s36, 0
	s_cselect_b32 s36, s39, s37
	s_cselect_b32 s37, s40, s38
	s_cmp_lg_u64 s[34:35], 0
	s_subb_u32 s31, s31, s33
	s_cmp_ge_u32 s31, s27
	s_cselect_b32 s33, -1, 0
	s_cmp_ge_u32 s30, s26
	s_cselect_b32 s26, -1, 0
	s_cmp_eq_u32 s31, s27
	s_cselect_b32 s26, s26, s33
	s_cmp_lg_u32 s26, 0
	s_cselect_b32 s27, s37, s19
	s_cselect_b32 s26, s36, s7
	s_xor_b64 s[22:23], s[28:29], s[22:23]
	s_xor_b64 s[26:27], s[26:27], s[22:23]
	s_sub_u32 s22, s26, s22
	s_subb_u32 s23, s27, s23
	v_writelane_b32 v50, s22, 26
	v_writelane_b32 v50, s23, 27
	s_branch .LBB54_25
.LBB54_23:
                                        ; implicit-def: $sgpr38_sgpr39
	s_branch .LBB54_20
.LBB54_24:
	s_mov_b64 s[24:25], -1
                                        ; implicit-def: $sgpr22_sgpr23
                                        ; kill: killed $sgpr22_sgpr23
.LBB54_25:
	s_load_dwordx2 s[22:23], s[4:5], 0x440
	s_load_dwordx4 s[28:31], s[4:5], 0x430
	s_andn2_b64 vcc, exec, s[24:25]
	s_waitcnt lgkmcnt(0)
	v_writelane_b32 v50, s22, 14
	v_writelane_b32 v50, s23, 15
	s_load_dwordx2 s[22:23], s[4:5], 0x2a0
	v_writelane_b32 v50, s28, 16
	v_writelane_b32 v50, s29, 17
	;; [unrolled: 1-line block ×4, first 2 shown]
	s_load_dwordx4 s[28:31], s[4:5], 0x290
	s_waitcnt lgkmcnt(0)
	v_writelane_b32 v50, s22, 20
	v_writelane_b32 v50, s23, 21
	s_load_dwordx2 s[22:23], s[4:5], 0x0
	v_writelane_b32 v50, s28, 22
	v_writelane_b32 v50, s29, 23
	;; [unrolled: 1-line block ×4, first 2 shown]
	s_cbranch_vccnz .LBB54_27
; %bb.26:
	s_load_dwordx4 s[24:27], s[4:5], 0x370
	s_waitcnt lgkmcnt(0)
	s_mov_b64 s[30:31], s[26:27]
	s_mov_b64 s[28:29], s[24:25]
	v_cvt_f32_u32_e32 v1, s28
	s_sub_i32 s7, 0, s28
	v_readlane_b32 s26, v50, 12
	s_mov_b32 s29, 0
	v_rcp_iflag_f32_e32 v1, v1
	v_readlane_b32 s27, v50, 13
	v_mul_f32_e32 v1, 0x4f7ffffe, v1
	v_cvt_u32_f32_e32 v1, v1
	v_readfirstlane_b32 s19, v1
	s_mul_i32 s7, s7, s19
	s_mul_hi_u32 s7, s19, s7
	s_add_i32 s19, s19, s7
	s_mul_hi_u32 s7, s26, s19
	s_mul_i32 s24, s7, s28
	s_sub_i32 s24, s26, s24
	s_add_i32 s19, s7, 1
	s_sub_i32 s25, s24, s28
	s_cmp_ge_u32 s24, s28
	s_cselect_b32 s7, s19, s7
	s_cselect_b32 s24, s25, s24
	s_add_i32 s19, s7, 1
	s_cmp_ge_u32 s24, s28
	s_cselect_b32 s28, s19, s7
	v_writelane_b32 v50, s28, 26
	v_writelane_b32 v50, s29, 27
.LBB54_27:
	s_load_dwordx2 s[24:25], s[4:5], 0x360
	s_mov_b32 s95, 0
	s_load_dwordx2 s[4:5], s[4:5], 0x1c0
	s_waitcnt lgkmcnt(0)
	v_writelane_b32 v50, s24, 28
	v_writelane_b32 v50, s25, 29
	;; [unrolled: 1-line block ×4, first 2 shown]
	v_cmp_eq_u32_e64 s[24:25], 0, v0
	s_mov_b64 s[4:5], exec
	v_writelane_b32 v50, s24, 32
	v_writelane_b32 v50, s25, 33
	s_and_b64 s[24:25], s[4:5], s[24:25]
	s_mov_b64 exec, s[24:25]
	s_cbranch_execz .LBB54_29
; %bb.28:
	v_mov_b32_e32 v1, 0
	v_mov_b32_e32 v3, s56
	v_mov_b32_e32 v4, s57
	v_mov_b32_e32 v2, v1
	ds_write_b32 v1, v1 offset:5136
	ds_write_b128 v1, v[1:4] offset:5120
.LBB54_29:
	s_or_b64 exec, exec, s[4:5]
	s_mul_i32 s4, s20, s9
	s_mul_hi_u32 s5, s20, s8
	s_add_i32 s4, s5, s4
	s_mul_i32 s5, s21, s8
	s_add_i32 s4, s4, s5
	s_mul_i32 s5, s20, s8
	s_sub_u32 s7, s2, s5
	s_subb_u32 s4, s3, s4
	s_mul_i32 s5, s7, s15
	s_mul_hi_u32 s8, s7, s14
	s_add_i32 s5, s8, s5
	s_mul_i32 s4, s4, s14
	s_add_i32 s5, s5, s4
	s_mul_i32 s4, s7, s14
	s_mul_i32 s7, s20, s13
	s_mul_hi_u32 s8, s20, s12
	s_add_i32 s7, s8, s7
	s_mul_i32 s8, s21, s12
	s_add_i32 s9, s7, s8
	s_mul_i32 s7, s2, s11
	s_mul_hi_u32 s11, s2, s10
	s_add_i32 s7, s11, s7
	s_mul_i32 s3, s3, s10
	s_add_i32 s7, s7, s3
	s_mul_i32 s2, s2, s10
	s_sub_u32 s2, s42, s2
	s_subb_u32 s3, 0, s7
	s_mul_i32 s1, s2, s1
	s_mul_hi_u32 s7, s2, s0
	s_mul_i32 s8, s20, s12
	s_add_i32 s1, s7, s1
	s_mul_i32 s3, s3, s0
	s_mov_b32 s10, s42
	s_add_i32 s1, s1, s3
	s_lshl_b64 s[8:9], s[8:9], 2
	v_writelane_b32 v50, s10, 34
	s_mul_i32 s0, s2, s0
	s_add_u32 s2, s22, s8
	v_writelane_b32 v50, s11, 35
	s_addc_u32 s3, s23, s9
	s_lshl_b64 s[10:11], s[4:5], 2
	s_add_u32 s2, s2, s10
	s_addc_u32 s3, s3, s11
	s_lshl_b64 s[0:1], s[0:1], 2
	v_mbcnt_lo_u32_b32 v1, -1, 0
	s_add_u32 s80, s2, s0
	v_mbcnt_hi_u32_b32 v33, -1, v1
	s_addc_u32 s81, s3, s1
	v_cmp_gt_u32_e32 vcc, 64, v0
	v_cmp_gt_i32_e64 s[2:3], 4, v33
	s_and_b64 s[74:75], vcc, s[2:3]
	v_mad_u64_u32 v[2:3], s[2:3], s62, v0, 0
	v_mov_b32_e32 v4, 0x300
	v_mov_b32_e32 v5, 0
	v_mad_u64_u32 v[6:7], s[2:3], s63, v0, v[3:4]
	v_cmp_gt_i64_e64 s[2:3], s[56:57], v[4:5]
	v_mov_b32_e32 v13, 0
	v_mov_b32_e32 v1, v13
	v_writelane_b32 v50, s2, 36
	v_writelane_b32 v50, s3, 37
	v_cmp_gt_u64_e64 s[2:3], s[56:57], v[0:1]
	s_waitcnt lgkmcnt(0)
	v_writelane_b32 v50, s2, 38
	v_writelane_b32 v50, s3, 39
	v_cmp_gt_i64_e64 s[2:3], s[56:57], v[0:1]
	s_barrier
	v_writelane_b32 v50, s2, 40
	v_writelane_b32 v50, s3, 41
	s_load_dword s2, s[16:17], 0xc
	v_mov_b32_e32 v3, v6
	v_lshlrev_b64 v[4:5], 2, v[2:3]
	v_mov_b32_e32 v6, s81
	v_add_co_u32_e32 v16, vcc, s80, v4
	s_waitcnt lgkmcnt(0)
	s_and_b32 s33, s2, 0xffff
	s_bfe_u32 s2, s2, 0xa0006
	s_cmp_gt_u32 s33, 63
	s_cselect_b64 s[12:13], -1, 0
	s_add_u32 s3, s33, -1
	s_addc_u32 s7, 0, -1
	s_add_u32 s53, s3, s56
	v_writelane_b32 v50, s12, 42
	s_addc_u32 s49, s7, s57
	v_writelane_b32 v50, s13, 43
	s_cmp_lt_u32 s6, s18
	v_writelane_b32 v50, s3, 44
	s_cselect_b32 s3, 12, 18
	s_add_u32 s92, s16, s3
	s_addc_u32 s93, s17, 0
	s_add_i32 s3, s2, -1
	s_bfe_u32 s6, s33, 0x30006
	s_and_b32 s3, s3, 0xffff
	s_cmp_gt_u32 s3, 6
	s_cselect_b64 s[12:13], -1, 0
	s_and_b32 s82, s2, 0x3f8
	v_writelane_b32 v50, s7, 45
	s_cmp_lg_u32 s6, 0
	v_writelane_b32 v50, s12, 46
	s_cselect_b64 s[2:3], -1, 0
	s_add_u32 s0, s8, s0
	v_writelane_b32 v50, s13, 47
	s_addc_u32 s1, s9, s1
	v_addc_co_u32_e32 v17, vcc, v6, v5, vcc
	v_lshlrev_b64 v[6:7], v33, -1
	v_writelane_b32 v50, s6, 48
	s_add_u32 s0, s0, s10
	v_writelane_b32 v50, s2, 49
	s_addc_u32 s1, s1, s11
	v_lshlrev_b32_e32 v36, 4, v0
	v_not_b32_e32 v34, v7
	v_writelane_b32 v50, s3, 50
	s_add_u32 s2, s22, s0
	v_or_b32_e32 v7, 12, v36
	s_addc_u32 s3, s23, s1
	v_mad_u64_u32 v[18:19], s[0:1], s62, v7, 0
	v_or_b32_e32 v8, 8, v36
	v_mad_u64_u32 v[20:21], s[0:1], s62, v8, 0
	v_not_b32_e32 v35, v6
	v_mov_b32_e32 v6, v19
	v_mad_u64_u32 v[6:7], s[0:1], s63, v7, v[6:7]
	v_mov_b32_e32 v7, v21
	v_mad_u64_u32 v[7:8], s[0:1], s63, v8, v[7:8]
	v_mov_b32_e32 v8, s3
	v_writelane_b32 v50, s2, 51
	v_add_co_u32_e32 v10, vcc, s2, v4
	v_addc_co_u32_e32 v11, vcc, v8, v5, vcc
	v_or_b32_e32 v5, 4, v36
	v_mad_u64_u32 v[21:22], s[0:1], s62, v5, 0
	v_writelane_b32 v50, s3, 52
	s_lshl_b32 s52, s33, 2
	v_mov_b32_e32 v4, v22
	v_mad_u64_u32 v[4:5], s[0:1], s63, v5, v[4:5]
	v_writelane_b32 v50, s53, 53
	v_cmp_eq_u32_e64 s[72:73], 0, v33
	v_writelane_b32 v50, s52, 54
	v_lshrrev_b32_e32 v5, 1, v0
	v_lshlrev_b64 v[22:23], 4, v[2:3]
	v_mov_b32_e32 v2, s57
	v_add_co_u32_e32 v41, vcc, s56, v0
	s_mul_i32 s0, s63, s33
	s_mul_hi_u32 s1, s62, s33
	v_writelane_b32 v50, s72, 55
	v_cmp_gt_u32_e64 s[42:43], 2, v0
	v_lshlrev_b32_e32 v14, 2, v0
	v_lshlrev_b32_e32 v9, 2, v33
	v_and_b32_e32 v5, 0x1e0, v5
	v_addc_co_u32_e32 v42, vcc, 0, v2, vcc
	v_mov_b32_e32 v2, 0xc00
	s_add_i32 s1, s1, s0
	s_mul_i32 s0, s62, s33
	v_mov_b32_e32 v27, s58
	v_writelane_b32 v50, s73, 56
	v_mov_b32_e32 v15, v13
	v_and_b32_e32 v19, 0x100, v9
	v_mov_b32_e32 v37, v6
	v_mov_b32_e32 v38, v7
	v_or_b32_e32 v39, 0xc00, v5
	s_lshl_b64 s[84:85], s[62:63], 2
	s_lshl_b64 s[10:11], s[62:63], 4
	v_mov_b32_e32 v40, v4
	v_lshl_or_b32 v43, v33, 3, v2
	s_lshl_b64 s[88:89], s[0:1], 2
	s_mov_b32 s86, 30
	s_mov_b64 s[60:61], 0
	s_mov_b32 s87, 0
	v_add_u32_e32 v45, 0xc00, v14
	v_bfrev_b32_e32 v46, 1
	v_mov_b32_e32 v44, 0
	v_mov_b32_e32 v47, 0
	;; [unrolled: 1-line block ×3, first 2 shown]
	v_mov_b32_e32 v24, 1.0
	v_mov_b32_e32 v26, 0
	v_writelane_b32 v50, s42, 57
                                        ; implicit-def: $sgpr64_sgpr65
                                        ; implicit-def: $sgpr76_sgpr77
                                        ; implicit-def: $sgpr70_sgpr71
                                        ; implicit-def: $sgpr66_sgpr67
                                        ; implicit-def: $sgpr90_sgpr91
                                        ; implicit-def: $sgpr78_sgpr79
	v_writelane_b32 v50, s43, 58
	s_branch .LBB54_33
.LBB54_30:                              ;   in Loop: Header=BB54_33 Depth=1
	s_or_b64 exec, exec, s[16:17]
	s_and_b64 s[8:9], s[8:9], exec
	s_andn2_b64 s[22:23], s[22:23], exec
	s_andn2_b64 s[6:7], s[6:7], exec
	s_orn2_b64 s[16:17], s[12:13], exec
.LBB54_31:                              ;   in Loop: Header=BB54_33 Depth=1
	s_or_b64 exec, exec, s[0:1]
	s_andn2_b64 s[0:1], s[78:79], exec
	s_and_b64 s[2:3], s[8:9], exec
	s_or_b64 s[78:79], s[0:1], s[2:3]
	s_andn2_b64 s[0:1], s[90:91], exec
	s_and_b64 s[8:9], s[22:23], exec
	s_or_b64 s[90:91], s[0:1], s[8:9]
	;; [unrolled: 3-line block ×3, first 2 shown]
	s_orn2_b64 s[6:7], s[16:17], exec
.LBB54_32:                              ;   in Loop: Header=BB54_33 Depth=1
	s_or_b64 exec, exec, s[14:15]
	s_and_b64 s[0:1], exec, s[6:7]
	s_or_b64 s[60:61], s[0:1], s[60:61]
	s_andn2_b64 s[0:1], s[70:71], exec
	s_and_b64 s[6:7], s[78:79], exec
	s_or_b64 s[70:71], s[0:1], s[6:7]
	s_andn2_b64 s[0:1], s[76:77], exec
	s_and_b64 s[6:7], s[90:91], exec
	;; [unrolled: 3-line block ×3, first 2 shown]
	v_mov_b32_e32 v28, v7
	s_or_b64 s[64:65], s[0:1], s[6:7]
	v_mov_b32_e32 v27, v6
	s_andn2_b64 exec, exec, s[60:61]
	s_cbranch_execz .LBB54_299
.LBB54_33:                              ; =>This Loop Header: Depth=1
                                        ;     Child Loop BB54_39 Depth 2
                                        ;     Child Loop BB54_52 Depth 2
	;; [unrolled: 1-line block ×16, first 2 shown]
	ds_read_b128 v[2:5], v13 offset:5120
	s_waitcnt lgkmcnt(0)
	v_readfirstlane_b32 s59, v3
	v_readfirstlane_b32 s58, v2
	v_cmp_gt_i64_e64 s[0:1], s[58:59], 0
	s_and_b64 vcc, exec, s[0:1]
	s_cbranch_vccnz .LBB54_60
; %bb.34:                               ;   in Loop: Header=BB54_33 Depth=1
	v_readlane_b32 s0, v50, 36
	v_readlane_b32 s1, v50, 37
	s_and_b64 vcc, exec, s[0:1]
	s_cbranch_vccz .LBB54_47
; %bb.35:                               ;   in Loop: Header=BB54_33 Depth=1
	s_mov_b64 s[0:1], 0x301
	v_cmp_gt_i64_e32 vcc, s[0:1], v[4:5]
	s_mov_b64 s[0:1], 0
	s_mov_b64 s[6:7], 0
	s_cbranch_vccz .LBB54_48
; %bb.36:                               ;   in Loop: Header=BB54_33 Depth=1
	v_readlane_b32 s2, v50, 38
	v_readlane_b32 s3, v50, 39
	s_and_saveexec_b64 s[8:9], s[2:3]
	s_cbranch_execz .LBB54_94
; %bb.37:                               ;   in Loop: Header=BB54_33 Depth=1
	global_load_ushort v6, v13, s[92:93]
	global_load_dword v7, v[16:17], off
	v_readlane_b32 s2, v50, 51
	v_readlane_b32 s3, v50, 52
	v_mov_b32_e32 v2, s2
	v_mov_b32_e32 v3, s3
	s_mov_b64 s[14:15], 0
	s_waitcnt vmcnt(1)
	v_readfirstlane_b32 s6, v6
	s_and_b32 s12, 0xffff, s6
	v_add_u32_e32 v4, s12, v0
	v_mad_u64_u32 v[2:3], s[6:7], s84, v4, v[2:3]
	s_mul_i32 s13, s85, s12
	s_mul_i32 s22, s84, s12
	v_mad_u64_u32 v[3:4], s[6:7], s85, v4, v[3:4]
	s_mul_hi_u32 s6, s84, s12
	v_mov_b32_e32 v5, v1
	s_add_i32 s23, s6, s13
	v_mov_b32_e32 v4, v0
	s_branch .LBB54_39
.LBB54_38:                              ;   in Loop: Header=BB54_39 Depth=2
	s_or_b64 exec, exec, s[6:7]
	v_mov_b32_e32 v7, s23
	v_add_co_u32_e32 v2, vcc, s22, v2
	v_addc_co_u32_e32 v3, vcc, v3, v7, vcc
	v_mov_b32_e32 v7, v8
	s_andn2_b64 exec, exec, s[14:15]
	s_cbranch_execz .LBB54_94
.LBB54_39:                              ;   Parent Loop BB54_33 Depth=1
                                        ; =>  This Inner Loop Header: Depth=2
	v_add_co_u32_sdwa v4, vcc, v4, v6 dst_sel:DWORD dst_unused:UNUSED_PAD src0_sel:DWORD src1_sel:WORD_0
	v_addc_co_u32_e32 v5, vcc, 0, v5, vcc
	v_cmp_gt_i64_e64 s[6:7], s[56:57], v[4:5]
	v_cmp_le_i64_e32 vcc, s[56:57], v[4:5]
	s_waitcnt lgkmcnt(0)
	v_mov_b32_e32 v9, 0
	v_mov_b32_e32 v8, 0
	s_and_saveexec_b64 s[12:13], s[6:7]
	s_cbranch_execz .LBB54_41
; %bb.40:                               ;   in Loop: Header=BB54_39 Depth=2
	global_load_dword v8, v[2:3], off
.LBB54_41:                              ;   in Loop: Header=BB54_39 Depth=2
	s_or_b64 exec, exec, s[12:13]
	s_waitcnt vmcnt(0)
	v_cmp_lt_i32_e64 s[6:7], -1, v7
	v_cndmask_b32_e64 v12, -1, v46, s[6:7]
	v_xor_b32_e32 v12, v12, v7
	v_cmp_o_f32_e64 s[6:7], v7, v7
	v_cndmask_b32_e64 v12, -1, v12, s[6:7]
	v_and_b32_e32 v12, v12, v47
	v_cmp_eq_u32_e64 s[12:13], v12, v44
	s_cmp_lg_u64 s[12:13], 0
	s_cselect_b64 s[6:7], -1, 0
	s_and_b64 s[6:7], s[72:73], s[6:7]
	s_and_saveexec_b64 s[16:17], s[6:7]
	s_cbranch_execz .LBB54_45
; %bb.42:                               ;   in Loop: Header=BB54_39 Depth=2
	s_mov_b64 s[20:21], exec
	v_mbcnt_lo_u32_b32 v9, s20, 0
	v_mbcnt_hi_u32_b32 v9, s21, v9
	s_bcnt1_i32_b64 s24, s[12:13]
	v_cmp_eq_u32_e64 s[6:7], 0, v9
                                        ; implicit-def: $vgpr12
	s_and_saveexec_b64 s[18:19], s[6:7]
; %bb.43:                               ;   in Loop: Header=BB54_39 Depth=2
	s_bcnt1_i32_b64 s6, s[20:21]
	s_mul_i32 s6, s24, s6
	v_mov_b32_e32 v12, s6
	ds_add_rtn_u32 v12, v13, v12 offset:5136
; %bb.44:                               ;   in Loop: Header=BB54_39 Depth=2
	s_or_b64 exec, exec, s[18:19]
	s_waitcnt lgkmcnt(0)
	v_readfirstlane_b32 s6, v12
	v_mov_b32_e32 v12, s6
	v_mad_u32_u24 v9, s24, v9, v12
.LBB54_45:                              ;   in Loop: Header=BB54_39 Depth=2
	s_or_b64 exec, exec, s[16:17]
	ds_bpermute_b32 v9, v19, v9
	s_and_b64 s[6:7], exec, vcc
	s_or_b64 s[14:15], s[6:7], s[14:15]
	s_and_saveexec_b64 s[6:7], s[12:13]
	s_cbranch_execz .LBB54_38
; %bb.46:                               ;   in Loop: Header=BB54_39 Depth=2
	v_and_b32_e32 v25, s12, v35
	v_and_b32_e32 v12, s13, v34
	v_bcnt_u32_b32 v25, v25, 0
	v_bcnt_u32_b32 v12, v12, v25
	v_lshlrev_b32_e32 v12, 2, v12
	s_waitcnt lgkmcnt(0)
	v_lshl_add_u32 v9, v9, 2, v12
	ds_write_b32 v9, v7
	s_branch .LBB54_38
.LBB54_47:                              ;   in Loop: Header=BB54_33 Depth=1
	s_mov_b64 s[0:1], -1
	s_mov_b64 s[6:7], 0
.LBB54_48:                              ;   in Loop: Header=BB54_33 Depth=1
	s_and_b64 vcc, exec, s[0:1]
	s_cbranch_vccz .LBB54_58
.LBB54_49:                              ;   in Loop: Header=BB54_33 Depth=1
	s_mov_b64 s[0:1], exec
	v_readlane_b32 s6, v50, 40
	v_readlane_b32 s7, v50, 41
	s_and_b64 s[6:7], s[0:1], s[6:7]
	s_mov_b64 exec, s[6:7]
	s_cbranch_execz .LBB54_55
; %bb.50:                               ;   in Loop: Header=BB54_33 Depth=1
	global_load_ushort v2, v13, s[92:93]
	global_load_dword v8, v[16:17], off
	s_waitcnt vmcnt(1)
	v_add_u32_sdwa v12, v2, v0 dst_sel:DWORD dst_unused:UNUSED_PAD src0_sel:WORD_0 src1_sel:DWORD
	v_cmp_gt_i64_e32 vcc, s[56:57], v[12:13]
	v_readfirstlane_b32 s8, v2
	v_mov_b32_e32 v2, v0
	s_and_saveexec_b64 s[6:7], vcc
	s_cbranch_execz .LBB54_54
; %bb.51:                               ;   in Loop: Header=BB54_33 Depth=1
	v_readlane_b32 s2, v50, 51
	v_readlane_b32 s3, v50, 52
	v_mov_b32_e32 v2, s2
	v_mov_b32_e32 v3, s3
	v_mad_u64_u32 v[2:3], s[12:13], s84, v12, v[2:3]
	s_and_b32 s12, s8, 0xffff
	v_mov_b32_e32 v7, v1
	v_mad_u64_u32 v[3:4], s[8:9], s85, v12, v[3:4]
	s_mul_i32 s8, s85, s12
	s_mul_hi_u32 s9, s84, s12
	v_mov_b32_e32 v4, v12
	s_add_i32 s13, s9, s8
	s_mov_b64 s[8:9], 0
	v_mov_b32_e32 v5, v13
	v_mov_b32_e32 v6, v0
.LBB54_52:                              ;   Parent Loop BB54_33 Depth=1
                                        ; =>  This Inner Loop Header: Depth=2
	global_load_dword v9, v[2:3], off
	v_mov_b32_e32 v30, v5
	s_mul_i32 s14, s84, s12
	v_mov_b32_e32 v29, v4
	v_mov_b32_e32 v5, s13
	v_add_co_u32_e32 v2, vcc, s14, v2
	v_lshlrev_b32_e32 v4, 2, v6
	v_addc_co_u32_e32 v3, vcc, v3, v5, vcc
	s_waitcnt vmcnt(1)
	ds_write_b32 v4, v8
	v_add_co_u32_e32 v4, vcc, s12, v29
	v_addc_co_u32_e32 v5, vcc, 0, v30, vcc
	v_cmp_le_i64_e32 vcc, s[56:57], v[4:5]
	v_mov_b32_e32 v6, v29
	s_or_b64 s[8:9], vcc, s[8:9]
	v_mov_b32_e32 v7, v30
	s_waitcnt vmcnt(0)
	v_mov_b32_e32 v8, v9
	s_andn2_b64 exec, exec, s[8:9]
	s_cbranch_execnz .LBB54_52
; %bb.53:                               ;   in Loop: Header=BB54_33 Depth=1
	s_or_b64 exec, exec, s[8:9]
	v_subrev_u32_e32 v2, s12, v4
	v_mov_b32_e32 v8, v9
.LBB54_54:                              ;   in Loop: Header=BB54_33 Depth=1
	s_or_b64 exec, exec, s[6:7]
	v_lshlrev_b32_e32 v2, 2, v2
	s_waitcnt vmcnt(0)
	ds_write_b32 v2, v8
.LBB54_55:                              ;   in Loop: Header=BB54_33 Depth=1
	s_or_b64 exec, exec, s[0:1]
	s_waitcnt lgkmcnt(0)
	s_barrier
	s_mov_b64 s[0:1], exec
	v_readlane_b32 s6, v50, 32
	v_readlane_b32 s7, v50, 33
	s_and_b64 s[6:7], s[0:1], s[6:7]
	s_mov_b64 exec, s[6:7]
; %bb.56:                               ;   in Loop: Header=BB54_33 Depth=1
	v_mov_b32_e32 v2, s56
	v_mov_b32_e32 v3, s57
	ds_write_b64 v13, v[2:3] offset:5120
; %bb.57:                               ;   in Loop: Header=BB54_33 Depth=1
	s_or_b64 exec, exec, s[0:1]
	s_mov_b64 s[6:7], -1
	s_waitcnt lgkmcnt(0)
	s_barrier
.LBB54_58:                              ;   in Loop: Header=BB54_33 Depth=1
	s_and_b64 vcc, exec, s[6:7]
	s_cbranch_vccz .LBB54_60
; %bb.59:                               ;   in Loop: Header=BB54_33 Depth=1
	ds_read_b64 v[2:3], v13 offset:5120
	s_waitcnt lgkmcnt(0)
	v_readfirstlane_b32 s58, v2
.LBB54_60:                              ;   in Loop: Header=BB54_33 Depth=1
	s_cmp_lt_i32 s58, 1
	s_mov_b64 s[0:1], -1
                                        ; implicit-def: $vgpr2_vgpr3
                                        ; implicit-def: $vgpr6_vgpr7
	s_cbranch_scc1 .LBB54_70
; %bb.61:                               ;   in Loop: Header=BB54_33 Depth=1
	s_and_b64 vcc, exec, s[0:1]
	s_cbranch_vccnz .LBB54_84
.LBB54_62:                              ;   in Loop: Header=BB54_33 Depth=1
	s_lshl_b32 s6, s87, 6
	s_and_saveexec_b64 s[0:1], s[72:73]
	s_cbranch_execz .LBB54_64
.LBB54_63:                              ;   in Loop: Header=BB54_33 Depth=1
	v_lshl_add_u32 v12, s6, 3, v39
	ds_write_b128 v12, v[2:5]
	ds_write_b128 v12, v[6:9] offset:16
.LBB54_64:                              ;   in Loop: Header=BB54_33 Depth=1
	s_or_b64 exec, exec, s[0:1]
	s_waitcnt lgkmcnt(0)
	s_barrier
	s_and_saveexec_b64 s[0:1], s[74:75]
	s_cbranch_execz .LBB54_102
; %bb.65:                               ;   in Loop: Header=BB54_33 Depth=1
	v_readlane_b32 s2, v50, 42
	v_mov_b32_e32 v2, 0
	v_readlane_b32 s3, v50, 43
	v_mov_b32_e32 v3, 0
	s_andn2_b64 vcc, exec, s[2:3]
	s_cbranch_vccnz .LBB54_101
; %bb.66:                               ;   in Loop: Header=BB54_33 Depth=1
	v_readlane_b32 s2, v50, 46
	v_readlane_b32 s3, v50, 47
	s_andn2_b64 vcc, exec, s[2:3]
	s_cbranch_vccnz .LBB54_97
; %bb.67:                               ;   in Loop: Header=BB54_33 Depth=1
	v_mov_b32_e32 v2, 0
	v_lshl_add_u32 v4, s87, 9, v43
	v_mov_b32_e32 v3, 0
	s_mov_b32 s7, 0
.LBB54_68:                              ;   Parent Loop BB54_33 Depth=1
                                        ; =>  This Inner Loop Header: Depth=2
	ds_read2_b64 v[5:8], v4 offset1:4
	s_add_i32 s7, s7, 8
	s_cmp_eq_u32 s82, s7
	s_waitcnt lgkmcnt(0)
	v_add_co_u32_e32 v2, vcc, v5, v2
	v_addc_co_u32_e32 v3, vcc, v6, v3, vcc
	v_add_co_u32_e32 v2, vcc, v7, v2
	v_addc_co_u32_e32 v3, vcc, v8, v3, vcc
	ds_read2_b64 v[5:8], v4 offset0:8 offset1:12
	s_waitcnt lgkmcnt(0)
	v_add_co_u32_e32 v2, vcc, v5, v2
	v_addc_co_u32_e32 v3, vcc, v6, v3, vcc
	v_add_co_u32_e32 v2, vcc, v7, v2
	v_addc_co_u32_e32 v3, vcc, v8, v3, vcc
	ds_read2_b64 v[5:8], v4 offset0:16 offset1:20
	;; [unrolled: 6-line block ×3, first 2 shown]
	v_add_u32_e32 v4, 0x100, v4
	s_waitcnt lgkmcnt(0)
	v_add_co_u32_e32 v2, vcc, v5, v2
	v_addc_co_u32_e32 v3, vcc, v6, v3, vcc
	v_add_co_u32_e32 v2, vcc, v7, v2
	v_addc_co_u32_e32 v3, vcc, v8, v3, vcc
	s_cbranch_scc0 .LBB54_68
; %bb.69:                               ;   in Loop: Header=BB54_33 Depth=1
	s_mov_b32 s7, s82
	s_branch .LBB54_98
.LBB54_70:                              ;   in Loop: Header=BB54_33 Depth=1
	global_load_ushort v2, v13, s[92:93]
	s_mov_b32 s0, s95
	s_waitcnt vmcnt(0)
	v_readfirstlane_b32 s1, v2
	s_and_b32 s28, s1, 0xffff
	s_lshl_b32 s8, s28, 2
	s_mov_b32 s1, s57
	s_cmp_lg_u64 s[0:1], 0
	s_cbranch_scc0 .LBB54_93
; %bb.71:                               ;   in Loop: Header=BB54_33 Depth=1
	s_add_u32 s0, s8, 0
	s_addc_u32 s1, 0, 0
	s_xor_b64 s[0:1], s[0:1], 0
	v_cvt_f32_u32_e32 v2, s0
	v_cvt_f32_u32_e32 v3, s1
	s_sub_u32 s9, 0, s0
	s_subb_u32 s12, 0, s1
	v_mac_f32_e32 v2, 0x4f800000, v3
	v_rcp_f32_e32 v2, v2
	v_mul_f32_e32 v2, 0x5f7ffffc, v2
	v_mul_f32_e32 v3, 0x2f800000, v2
	v_trunc_f32_e32 v3, v3
	v_mac_f32_e32 v2, 0xcf800000, v3
	v_cvt_u32_f32_e32 v3, v3
	v_cvt_u32_f32_e32 v2, v2
	v_readfirstlane_b32 s13, v3
	v_readfirstlane_b32 s6, v2
	s_mul_i32 s7, s9, s13
	s_mul_hi_u32 s15, s9, s6
	s_mul_i32 s14, s12, s6
	s_add_i32 s7, s15, s7
	s_mul_i32 s16, s9, s6
	s_add_i32 s7, s7, s14
	s_mul_i32 s15, s6, s7
	s_mul_hi_u32 s17, s6, s16
	s_mul_hi_u32 s14, s6, s7
	s_add_u32 s15, s17, s15
	s_addc_u32 s14, 0, s14
	s_mul_hi_u32 s18, s13, s16
	s_mul_i32 s16, s13, s16
	s_add_u32 s15, s15, s16
	s_mul_hi_u32 s17, s13, s7
	s_addc_u32 s14, s14, s18
	s_addc_u32 s15, s17, 0
	s_mul_i32 s7, s13, s7
	s_add_u32 s7, s14, s7
	s_addc_u32 s14, 0, s15
	s_add_u32 s15, s6, s7
	s_cselect_b64 s[6:7], -1, 0
	s_cmp_lg_u64 s[6:7], 0
	s_addc_u32 s13, s13, s14
	s_mul_i32 s6, s9, s13
	s_mul_hi_u32 s7, s9, s15
	s_add_i32 s6, s7, s6
	s_mul_i32 s12, s12, s15
	s_add_i32 s6, s6, s12
	s_mul_i32 s9, s9, s15
	s_mul_hi_u32 s12, s13, s9
	s_mul_i32 s14, s13, s9
	s_mul_i32 s17, s15, s6
	s_mul_hi_u32 s9, s15, s9
	s_mul_hi_u32 s16, s15, s6
	s_add_u32 s9, s9, s17
	s_addc_u32 s16, 0, s16
	s_add_u32 s9, s9, s14
	s_mul_hi_u32 s7, s13, s6
	s_addc_u32 s9, s16, s12
	s_addc_u32 s7, s7, 0
	s_mul_i32 s6, s13, s6
	s_add_u32 s6, s9, s6
	s_addc_u32 s9, 0, s7
	s_add_u32 s14, s15, s6
	s_cselect_b64 s[6:7], -1, 0
	s_cmp_lg_u64 s[6:7], 0
	s_addc_u32 s9, s13, s9
	s_ashr_i32 s6, s57, 31
	s_add_u32 s12, s56, s6
	s_mov_b32 s7, s6
	s_addc_u32 s13, s57, s6
	s_xor_b64 s[12:13], s[12:13], s[6:7]
	s_mul_i32 s16, s12, s9
	s_mul_hi_u32 s17, s12, s14
	s_mul_hi_u32 s15, s12, s9
	s_add_u32 s16, s17, s16
	s_addc_u32 s15, 0, s15
	s_mul_hi_u32 s18, s13, s14
	s_mul_i32 s14, s13, s14
	s_add_u32 s14, s16, s14
	s_mul_hi_u32 s17, s13, s9
	s_addc_u32 s14, s15, s18
	s_addc_u32 s15, s17, 0
	s_mul_i32 s9, s13, s9
	s_add_u32 s9, s14, s9
	s_addc_u32 s14, 0, s15
	s_mul_i32 s14, s0, s14
	s_mul_hi_u32 s15, s0, s9
	s_add_i32 s14, s15, s14
	s_mul_i32 s15, s1, s9
	s_add_i32 s18, s14, s15
	s_sub_i32 s16, s13, s18
	s_mul_i32 s9, s0, s9
	s_sub_u32 s9, s12, s9
	s_cselect_b64 s[14:15], -1, 0
	s_cmp_lg_u64 s[14:15], 0
	s_subb_u32 s12, s16, s1
	s_sub_u32 s19, s9, s0
	s_cselect_b64 s[16:17], -1, 0
	s_cmp_lg_u64 s[16:17], 0
	s_subb_u32 s20, s12, 0
	s_cmp_ge_u32 s20, s1
	s_cselect_b32 s21, -1, 0
	s_cmp_ge_u32 s19, s0
	s_cselect_b32 s22, -1, 0
	s_cmp_eq_u32 s20, s1
	s_cselect_b32 s21, s22, s21
	s_cmp_lg_u64 s[16:17], 0
	s_subb_u32 s12, s12, s1
	s_sub_u32 s22, s19, s0
	s_cselect_b64 s[16:17], -1, 0
	s_cmp_lg_u64 s[16:17], 0
	s_subb_u32 s12, s12, 0
	s_cmp_lg_u32 s21, 0
	s_cselect_b32 s16, s22, s19
	s_cselect_b32 s12, s12, s20
	s_cmp_lg_u64 s[14:15], 0
	s_subb_u32 s13, s13, s18
	s_cmp_ge_u32 s13, s1
	s_cselect_b32 s14, -1, 0
	s_cmp_ge_u32 s9, s0
	s_cselect_b32 s0, -1, 0
	s_cmp_eq_u32 s13, s1
	s_cselect_b32 s0, s0, s14
	s_cmp_lg_u32 s0, 0
	s_cselect_b32 s1, s12, s13
	s_cselect_b32 s0, s16, s9
	s_xor_b64 s[0:1], s[0:1], s[6:7]
	s_sub_u32 s18, s0, s6
	s_subb_u32 s19, s1, s6
	s_cbranch_execnz .LBB54_73
.LBB54_72:                              ;   in Loop: Header=BB54_33 Depth=1
	v_cvt_f32_u32_e32 v2, s8
	s_sub_i32 s0, 0, s8
	v_rcp_iflag_f32_e32 v2, v2
	v_mul_f32_e32 v2, 0x4f7ffffe, v2
	v_cvt_u32_f32_e32 v2, v2
	v_readfirstlane_b32 s1, v2
	s_mul_i32 s0, s0, s1
	s_mul_hi_u32 s0, s1, s0
	s_add_i32 s1, s1, s0
	s_mul_hi_u32 s0, s56, s1
	s_mul_i32 s0, s0, s8
	s_sub_i32 s0, s56, s0
	s_sub_i32 s1, s0, s8
	s_cmp_ge_u32 s0, s8
	s_cselect_b32 s0, s1, s0
	s_sub_i32 s1, s0, s8
	s_cmp_ge_u32 s0, s8
	s_cselect_b32 s94, s1, s0
	s_mov_b64 s[18:19], s[94:95]
.LBB54_73:                              ;   in Loop: Header=BB54_33 Depth=1
	s_sub_u32 s20, s56, s18
	s_subb_u32 s21, s57, s19
	v_cmp_gt_i64_e32 vcc, s[20:21], v[14:15]
	v_mov_b32_e32 v2, 0
	v_mov_b32_e32 v4, 0
	;; [unrolled: 1-line block ×8, first 2 shown]
	s_and_saveexec_b64 s[22:23], vcc
	s_cbranch_execz .LBB54_77
; %bb.74:                               ;   in Loop: Header=BB54_33 Depth=1
	s_mul_i32 s0, s11, s28
	s_mul_hi_u32 s1, s10, s28
	v_mov_b32_e32 v30, v15
	s_mov_b64 s[2:3], s[42:43]
	s_add_i32 s0, s1, s0
	s_mov_b64 s[24:25], 0
	s_mov_b64 s[26:27], s[80:81]
	;; [unrolled: 1-line block ×6, first 2 shown]
	v_mov_b32_e32 v29, v14
.LBB54_75:                              ;   Parent Loop BB54_33 Depth=1
                                        ; =>  This Inner Loop Header: Depth=2
	v_add_co_u32_e32 v2, vcc, s26, v22
	v_mov_b32_e32 v4, s27
	v_addc_co_u32_e32 v3, vcc, v4, v23, vcc
	global_load_dword v5, v[2:3], off
	v_add_co_u32_e32 v2, vcc, s26, v21
	v_addc_co_u32_e32 v3, vcc, v4, v40, vcc
	global_load_dword v6, v[2:3], off
	v_add_co_u32_e32 v2, vcc, s26, v20
	;; [unrolled: 3-line block ×3, first 2 shown]
	v_addc_co_u32_e32 v3, vcc, v4, v37, vcc
	global_load_dword v2, v[2:3], off
	s_waitcnt vmcnt(3)
	v_cmp_lt_i32_e32 vcc, -1, v5
	v_cndmask_b32_e32 v3, -1, v46, vcc
	v_cmp_o_f32_e32 vcc, v5, v5
	v_xor_b32_e32 v3, v3, v5
	v_cndmask_b32_e32 v3, -1, v3, vcc
	s_waitcnt vmcnt(2)
	v_cmp_lt_i32_e32 vcc, -1, v6
	v_cndmask_b32_e32 v4, -1, v46, vcc
	v_cmp_o_f32_e32 vcc, v6, v6
	v_xor_b32_e32 v4, v4, v6
	v_cndmask_b32_e32 v4, -1, v4, vcc
	;; [unrolled: 6-line block ×3, first 2 shown]
	s_waitcnt vmcnt(0)
	v_cmp_lt_i32_e32 vcc, -1, v2
	v_cndmask_b32_e32 v6, -1, v46, vcc
	v_cmp_o_f32_e32 vcc, v2, v2
	v_xor_b32_e32 v2, v6, v2
	v_and_b32_e32 v6, v3, v47
	v_bfe_u32 v3, v3, s86, 2
	v_cndmask_b32_e32 v2, -1, v2, vcc
	v_cmp_eq_u32_e32 vcc, v6, v44
	v_and_b32_e32 v6, v4, v47
	v_bfe_u32 v4, v4, s86, 2
	v_cmp_eq_u32_e64 s[16:17], 0, v3
	v_cmp_eq_u32_e64 s[6:7], v6, v44
	v_and_b32_e32 v6, v5, v47
	v_bfe_u32 v5, v5, s86, 2
	s_and_b64 s[40:41], vcc, s[16:17]
	v_cmp_eq_u32_e64 s[16:17], 0, v4
	v_cmp_eq_u32_e64 s[12:13], v6, v44
	v_and_b32_e32 v6, v2, v47
	v_bfe_u32 v2, v2, s86, 2
	s_and_b64 s[42:43], s[6:7], s[16:17]
	v_cmp_eq_u32_e64 s[16:17], 0, v5
	v_cmp_eq_u32_e64 s[14:15], v6, v44
	s_and_b64 s[44:45], s[12:13], s[16:17]
	v_cmp_eq_u32_e64 s[16:17], 0, v2
	v_cndmask_b32_e64 v6, 0, 1, s[40:41]
	s_and_b64 s[46:47], s[14:15], s[16:17]
	v_cmp_ne_u32_e64 s[16:17], 0, v6
	v_cndmask_b32_e64 v6, 0, 1, s[42:43]
	s_bcnt1_i32_b64 s1, s[16:17]
	v_cmp_ne_u32_e64 s[16:17], 0, v6
	v_cndmask_b32_e64 v6, 0, 1, s[44:45]
	s_bcnt1_i32_b64 s9, s[16:17]
	;; [unrolled: 3-line block ×3, first 2 shown]
	v_cmp_ne_u32_e64 s[16:17], 0, v6
	s_bcnt1_i32_b64 s16, s[16:17]
	s_add_u32 s1, s1, s38
	s_addc_u32 s17, 0, s39
	s_add_u32 s1, s1, s9
	s_addc_u32 s9, s17, 0
	;; [unrolled: 2-line block ×3, first 2 shown]
	s_add_u32 s38, s1, s16
	v_cmp_eq_u32_e64 s[16:17], 1, v3
	s_addc_u32 s39, s9, 0
	s_and_b64 s[40:41], vcc, s[16:17]
	v_cmp_eq_u32_e64 s[16:17], 1, v4
	s_and_b64 s[42:43], s[6:7], s[16:17]
	v_cmp_eq_u32_e64 s[16:17], 1, v5
	s_and_b64 s[44:45], s[12:13], s[16:17]
	v_cmp_eq_u32_e64 s[16:17], 1, v2
	v_cndmask_b32_e64 v6, 0, 1, s[40:41]
	s_and_b64 s[46:47], s[14:15], s[16:17]
	v_cmp_ne_u32_e64 s[16:17], 0, v6
	v_cndmask_b32_e64 v6, 0, 1, s[42:43]
	s_bcnt1_i32_b64 s1, s[16:17]
	v_cmp_ne_u32_e64 s[16:17], 0, v6
	v_cndmask_b32_e64 v6, 0, 1, s[44:45]
	s_bcnt1_i32_b64 s9, s[16:17]
	;; [unrolled: 3-line block ×3, first 2 shown]
	v_cmp_ne_u32_e64 s[16:17], 0, v6
	s_bcnt1_i32_b64 s16, s[16:17]
	s_add_u32 s1, s1, s36
	s_addc_u32 s17, 0, s37
	s_add_u32 s1, s1, s9
	s_addc_u32 s9, s17, 0
	;; [unrolled: 2-line block ×3, first 2 shown]
	s_add_u32 s36, s1, s16
	v_cmp_eq_u32_e64 s[16:17], 2, v3
	s_addc_u32 s37, s9, 0
	s_and_b64 s[40:41], vcc, s[16:17]
	v_cmp_eq_u32_e64 s[16:17], 2, v4
	s_and_b64 s[42:43], s[6:7], s[16:17]
	v_cmp_eq_u32_e64 s[16:17], 2, v5
	s_and_b64 s[44:45], s[12:13], s[16:17]
	v_cmp_eq_u32_e64 s[16:17], 2, v2
	v_cndmask_b32_e64 v6, 0, 1, s[40:41]
	s_and_b64 s[46:47], s[14:15], s[16:17]
	v_cmp_ne_u32_e64 s[16:17], 0, v6
	v_cndmask_b32_e64 v6, 0, 1, s[42:43]
	s_bcnt1_i32_b64 s1, s[16:17]
	v_cmp_ne_u32_e64 s[16:17], 0, v6
	v_cndmask_b32_e64 v6, 0, 1, s[44:45]
	s_bcnt1_i32_b64 s9, s[16:17]
	;; [unrolled: 3-line block ×3, first 2 shown]
	v_cmp_ne_u32_e64 s[16:17], 0, v6
	s_bcnt1_i32_b64 s16, s[16:17]
	s_add_u32 s1, s1, s34
	s_addc_u32 s17, 0, s35
	s_add_u32 s1, s1, s9
	s_addc_u32 s9, s17, 0
	;; [unrolled: 2-line block ×3, first 2 shown]
	s_add_u32 s34, s1, s16
	v_cmp_eq_u32_e64 s[16:17], 3, v3
	s_addc_u32 s35, s9, 0
	s_and_b64 s[16:17], vcc, s[16:17]
	v_cmp_eq_u32_e32 vcc, 3, v4
	s_and_b64 s[6:7], s[6:7], vcc
	v_cmp_eq_u32_e32 vcc, 3, v5
	s_and_b64 s[12:13], s[12:13], vcc
	v_cmp_eq_u32_e32 vcc, 3, v2
	v_cndmask_b32_e64 v2, 0, 1, s[16:17]
	s_and_b64 s[14:15], s[14:15], vcc
	v_cmp_ne_u32_e32 vcc, 0, v2
	v_cndmask_b32_e64 v2, 0, 1, s[6:7]
	s_bcnt1_i32_b64 s1, vcc
	v_cmp_ne_u32_e32 vcc, 0, v2
	v_cndmask_b32_e64 v2, 0, 1, s[12:13]
	s_bcnt1_i32_b64 s6, vcc
	;; [unrolled: 3-line block ×3, first 2 shown]
	v_cmp_ne_u32_e32 vcc, 0, v2
	s_bcnt1_i32_b64 s9, vcc
	s_add_u32 s1, s1, s30
	s_addc_u32 s12, 0, s31
	s_add_u32 s1, s1, s6
	s_addc_u32 s6, s12, 0
	;; [unrolled: 2-line block ×3, first 2 shown]
	s_add_u32 s30, s1, s9
	v_add_co_u32_e32 v29, vcc, s8, v29
	s_addc_u32 s31, s6, 0
	v_addc_co_u32_e32 v30, vcc, 0, v30, vcc
	s_mul_i32 s1, s10, s28
	s_add_u32 s26, s26, s1
	v_cmp_le_i64_e32 vcc, s[20:21], v[29:30]
	s_addc_u32 s27, s27, s0
	v_mov_b32_e32 v2, s38
	v_mov_b32_e32 v4, s36
	;; [unrolled: 1-line block ×4, first 2 shown]
	s_or_b64 s[24:25], vcc, s[24:25]
	v_mov_b32_e32 v3, s39
	v_mov_b32_e32 v5, s37
	;; [unrolled: 1-line block ×4, first 2 shown]
	s_andn2_b64 exec, exec, s[24:25]
	s_cbranch_execnz .LBB54_75
; %bb.76:                               ;   in Loop: Header=BB54_33 Depth=1
	s_or_b64 exec, exec, s[24:25]
	s_mov_b64 s[42:43], s[2:3]
.LBB54_77:                              ;   in Loop: Header=BB54_33 Depth=1
	s_or_b64 exec, exec, s[22:23]
	v_mov_b32_e32 v12, s21
	v_add_co_u32_e32 v29, vcc, s20, v0
	v_addc_co_u32_e32 v30, vcc, 0, v12, vcc
	v_cmp_gt_i64_e32 vcc, s[56:57], v[29:30]
	s_and_saveexec_b64 s[0:1], vcc
	s_cbranch_execz .LBB54_83
; %bb.78:                               ;   in Loop: Header=BB54_33 Depth=1
	v_mul_lo_u32 v12, v30, s62
	v_mul_lo_u32 v25, v29, s63
	v_mad_u64_u32 v[31:32], s[6:7], v29, s62, 0
	v_readlane_b32 s2, v50, 51
	v_readlane_b32 s3, v50, 52
	v_add3_u32 v32, v32, v25, v12
	v_lshlrev_b64 v[31:32], 2, v[31:32]
	v_mov_b32_e32 v12, s81
	v_add_co_u32_e32 v31, vcc, s80, v31
	v_addc_co_u32_e32 v32, vcc, v12, v32, vcc
	global_load_dword v12, v[31:32], off
	v_add_co_u32_e32 v25, vcc, s28, v41
	v_addc_co_u32_e32 v31, vcc, 0, v42, vcc
	v_mov_b32_e32 v32, s19
	v_subrev_co_u32_e32 v25, vcc, s18, v25
	v_subb_co_u32_e32 v31, vcc, v31, v32, vcc
	v_mul_lo_u32 v48, s84, v31
	v_mov_b32_e32 v32, s3
	v_mov_b32_e32 v31, s2
	v_mul_lo_u32 v49, s85, v25
	v_mad_u64_u32 v[31:32], s[6:7], s84, v25, v[31:32]
	s_mul_i32 s6, s85, s28
	s_mul_hi_u32 s7, s84, s28
	v_add3_u32 v32, v49, v32, v48
	s_add_i32 s14, s7, s6
	s_mov_b64 s[8:9], 0
	s_branch .LBB54_80
.LBB54_79:                              ;   in Loop: Header=BB54_80 Depth=2
	s_or_b64 exec, exec, s[12:13]
	s_and_b64 s[6:7], exec, vcc
	s_waitcnt vmcnt(0)
	v_cmp_lt_i32_e32 vcc, -1, v12
	v_cndmask_b32_e32 v48, -1, v46, vcc
	v_xor_b32_e32 v48, v48, v12
	v_cmp_o_f32_e32 vcc, v12, v12
	v_cndmask_b32_e32 v12, -1, v48, vcc
	v_and_b32_e32 v48, v12, v47
	v_bfe_u32 v12, v12, s86, 2
	s_or_b64 s[8:9], s[6:7], s[8:9]
	v_cmp_eq_u32_e32 vcc, v48, v44
	v_cmp_eq_u32_e64 s[6:7], 0, v12
	s_and_b64 s[6:7], vcc, s[6:7]
	v_cndmask_b32_e64 v48, 0, 1, s[6:7]
	v_cmp_ne_u32_e64 s[6:7], 0, v48
	s_bcnt1_i32_b64 s6, s[6:7]
	v_add_co_u32_e64 v2, s[6:7], s6, v2
	v_addc_co_u32_e64 v3, s[6:7], 0, v3, s[6:7]
	v_cmp_eq_u32_e64 s[6:7], 1, v12
	s_and_b64 s[6:7], vcc, s[6:7]
	v_cndmask_b32_e64 v48, 0, 1, s[6:7]
	v_cmp_ne_u32_e64 s[6:7], 0, v48
	s_bcnt1_i32_b64 s6, s[6:7]
	v_add_co_u32_e64 v4, s[6:7], s6, v4
	v_addc_co_u32_e64 v5, s[6:7], 0, v5, s[6:7]
	v_cmp_eq_u32_e64 s[6:7], 2, v12
	s_and_b64 s[6:7], vcc, s[6:7]
	v_cndmask_b32_e64 v48, 0, 1, s[6:7]
	v_cmp_ne_u32_e64 s[6:7], 0, v48
	s_bcnt1_i32_b64 s6, s[6:7]
	v_add_co_u32_e64 v6, s[6:7], s6, v6
	v_addc_co_u32_e64 v7, s[6:7], 0, v7, s[6:7]
	v_cmp_eq_u32_e64 s[6:7], 3, v12
	s_and_b64 s[6:7], vcc, s[6:7]
	v_cndmask_b32_e64 v12, 0, 1, s[6:7]
	v_cmp_ne_u32_e32 vcc, 0, v12
	s_bcnt1_i32_b64 s6, vcc
	v_add_co_u32_e32 v8, vcc, s6, v8
	v_addc_co_u32_e32 v9, vcc, 0, v9, vcc
	s_mul_i32 s6, s84, s28
	v_mov_b32_e32 v12, s14
	v_add_co_u32_e32 v31, vcc, s6, v31
	v_addc_co_u32_e32 v32, vcc, v32, v12, vcc
	v_mov_b32_e32 v12, v25
	s_andn2_b64 exec, exec, s[8:9]
	s_cbranch_execz .LBB54_82
.LBB54_80:                              ;   Parent Loop BB54_33 Depth=1
                                        ; =>  This Inner Loop Header: Depth=2
	v_add_co_u32_e32 v29, vcc, s28, v29
	v_addc_co_u32_e32 v30, vcc, 0, v30, vcc
	v_cmp_gt_i64_e64 s[6:7], s[56:57], v[29:30]
	v_cmp_le_i64_e32 vcc, s[56:57], v[29:30]
	v_mov_b32_e32 v25, 0
	s_and_saveexec_b64 s[12:13], s[6:7]
	s_cbranch_execz .LBB54_79
; %bb.81:                               ;   in Loop: Header=BB54_80 Depth=2
	global_load_dword v25, v[31:32], off
	s_branch .LBB54_79
.LBB54_82:                              ;   in Loop: Header=BB54_33 Depth=1
	s_or_b64 exec, exec, s[8:9]
.LBB54_83:                              ;   in Loop: Header=BB54_33 Depth=1
	s_or_b64 exec, exec, s[0:1]
	s_branch .LBB54_62
.LBB54_84:                              ;   in Loop: Header=BB54_33 Depth=1
	global_load_ushort v12, v13, s[92:93]
	s_mov_b32 s2, s82
	s_mov_b64 s[82:83], s[66:67]
	s_mov_b64 s[66:67], s[10:11]
	;; [unrolled: 1-line block ×6, first 2 shown]
	v_mov_b32_e32 v6, 0
	s_mov_b64 s[4:5], s[90:91]
	s_mov_b64 s[90:91], s[76:77]
	;; [unrolled: 1-line block ×4, first 2 shown]
	v_mov_b32_e32 v7, 0
	s_waitcnt vmcnt(0)
	v_readfirstlane_b32 s0, v12
	s_and_b32 s0, 0xffff, s0
	s_lshl_b32 s59, s0, 2
	v_cvt_f32_u32_e32 v2, s59
	s_sub_i32 s1, 0, s59
	v_rcp_iflag_f32_e32 v4, v2
	v_mov_b32_e32 v2, 0
	v_mov_b32_e32 v3, 0
	v_mul_f32_e32 v4, 0x4f7ffffe, v4
	v_cvt_u32_f32_e32 v8, v4
	v_mov_b32_e32 v4, 0
	v_mov_b32_e32 v5, 0
	v_readfirstlane_b32 s6, v8
	s_mul_i32 s1, s1, s6
	s_mul_hi_u32 s1, s6, s1
	s_add_i32 s6, s6, s1
	s_mul_hi_u32 s1, s58, s6
	s_mul_i32 s6, s1, s59
	s_sub_i32 s6, s58, s6
	s_add_i32 s7, s1, 1
	s_sub_i32 s8, s6, s59
	s_cmp_ge_u32 s6, s59
	s_cselect_b32 s1, s7, s1
	s_cselect_b32 s6, s8, s6
	s_add_i32 s7, s1, 1
	s_cmp_ge_u32 s6, s59
	s_cselect_b32 s1, s7, s1
	s_mul_hi_u32 s69, s0, s1
	s_mul_i32 s68, s0, s1
	s_lshl_b64 s[70:71], s[68:69], 2
	v_cmp_gt_u64_e32 vcc, s[70:71], v[14:15]
	v_mov_b32_e32 v8, 0
	v_mov_b32_e32 v9, 0
	s_and_saveexec_b64 s[54:55], vcc
	s_cbranch_execz .LBB54_88
; %bb.85:                               ;   in Loop: Header=BB54_33 Depth=1
	v_mov_b32_e32 v30, v15
	v_writelane_b32 v50, s48, 59
	s_mov_b64 s[72:73], s[74:75]
	s_mov_b64 s[74:75], s[80:81]
	s_lshl_b32 s69, s0, 4
	s_mov_b64 s[0:1], 0
	v_mov_b32_e32 v25, v36
	s_mov_b64 s[8:9], 0
	s_mov_b64 s[92:93], 0
	;; [unrolled: 1-line block ×4, first 2 shown]
	v_mov_b32_e32 v29, v14
	v_writelane_b32 v50, s49, 60
.LBB54_86:                              ;   Parent Loop BB54_33 Depth=1
                                        ; =>  This Inner Loop Header: Depth=2
	ds_read_b128 v[2:5], v25
	v_add_co_u32_e32 v29, vcc, s59, v29
	v_addc_co_u32_e32 v30, vcc, 0, v30, vcc
	s_waitcnt lgkmcnt(0)
	v_cmp_lt_i32_e64 s[6:7], -1, v2
	v_cndmask_b32_e64 v6, -1, v46, s[6:7]
	v_cmp_lt_i32_e64 s[6:7], -1, v3
	v_cndmask_b32_e64 v7, -1, v46, s[6:7]
	;; [unrolled: 2-line block ×4, first 2 shown]
	v_xor_b32_e32 v7, v7, v3
	v_cmp_o_f32_e64 s[6:7], v3, v3
	v_xor_b32_e32 v3, v8, v4
	v_cmp_o_f32_e64 s[12:13], v4, v4
	;; [unrolled: 2-line block ×4, first 2 shown]
	v_cndmask_b32_e64 v2, -1, v5, s[16:17]
	v_cndmask_b32_e64 v5, -1, v7, s[6:7]
	v_and_b32_e32 v6, v2, v47
	v_bfe_u32 v2, v2, s86, 2
	v_cndmask_b32_e64 v3, -1, v3, s[12:13]
	v_and_b32_e32 v7, v5, v47
	v_bfe_u32 v5, v5, s86, 2
	v_cmp_eq_u32_e64 s[18:19], v6, v44
	v_cmp_eq_u32_e64 s[6:7], 0, v2
	v_cndmask_b32_e64 v4, -1, v4, s[14:15]
	v_and_b32_e32 v8, v3, v47
	v_bfe_u32 v3, v3, s86, 2
	v_cmp_eq_u32_e64 s[16:17], v7, v44
	v_cmp_eq_u32_e64 s[30:31], 0, v5
	s_and_b64 s[6:7], s[18:19], s[6:7]
	v_and_b32_e32 v9, v4, v47
	v_bfe_u32 v4, v4, s86, 2
	v_cmp_eq_u32_e64 s[14:15], v8, v44
	v_cmp_eq_u32_e64 s[34:35], 0, v3
	;; [unrolled: 1-line block ×5, first 2 shown]
	v_cndmask_b32_e64 v2, 0, 1, s[6:7]
	s_and_b64 s[6:7], s[16:17], s[30:31]
	v_cmp_eq_u32_e64 s[12:13], v9, v44
	v_cmp_eq_u32_e64 s[36:37], 0, v4
	v_cmp_eq_u32_e64 s[42:43], 1, v3
	v_cmp_eq_u32_e64 s[50:51], 2, v3
	v_cmp_eq_u32_e64 s[22:23], 3, v3
	v_cndmask_b32_e64 v3, 0, 1, s[6:7]
	s_and_b64 s[6:7], s[14:15], s[34:35]
	v_cmp_eq_u32_e64 s[44:45], 1, v4
	v_cmp_eq_u32_e64 s[52:53], 2, v4
	;; [unrolled: 1-line block ×3, first 2 shown]
	v_cndmask_b32_e64 v4, 0, 1, s[6:7]
	s_and_b64 s[6:7], s[12:13], s[36:37]
	v_cmp_eq_u32_e64 s[40:41], 1, v5
	v_cmp_eq_u32_e64 s[48:49], 2, v5
	;; [unrolled: 1-line block ×3, first 2 shown]
	v_cndmask_b32_e64 v5, 0, 1, s[6:7]
	v_cmp_ne_u32_e64 s[6:7], 0, v2
	v_cmp_ne_u32_e64 s[30:31], 0, v3
	v_cmp_ne_u32_e64 s[34:35], 0, v4
	v_cmp_ne_u32_e64 s[36:37], 0, v5
	s_bcnt1_i32_b64 s6, s[6:7]
	s_bcnt1_i32_b64 s7, s[30:31]
	s_bcnt1_i32_b64 s30, s[34:35]
	s_bcnt1_i32_b64 s31, s[36:37]
	s_add_u32 s6, s6, s28
	s_addc_u32 s28, 0, s29
	s_add_u32 s6, s6, s7
	s_addc_u32 s7, s28, 0
	s_add_u32 s6, s6, s30
	s_addc_u32 s7, s7, 0
	s_add_u32 s28, s6, s31
	s_addc_u32 s29, s7, 0
	s_and_b64 s[6:7], s[18:19], s[38:39]
	v_cndmask_b32_e64 v4, 0, 1, s[6:7]
	s_and_b64 s[6:7], s[16:17], s[40:41]
	v_cndmask_b32_e64 v5, 0, 1, s[6:7]
	s_and_b64 s[6:7], s[14:15], s[42:43]
	v_cndmask_b32_e64 v6, 0, 1, s[6:7]
	s_and_b64 s[6:7], s[12:13], s[44:45]
	v_cndmask_b32_e64 v7, 0, 1, s[6:7]
	v_cmp_ne_u32_e64 s[6:7], 0, v4
	v_cmp_ne_u32_e64 s[30:31], 0, v5
	v_cmp_ne_u32_e64 s[34:35], 0, v6
	v_cmp_ne_u32_e64 s[36:37], 0, v7
	s_bcnt1_i32_b64 s6, s[6:7]
	s_bcnt1_i32_b64 s7, s[30:31]
	s_bcnt1_i32_b64 s30, s[34:35]
	s_bcnt1_i32_b64 s31, s[36:37]
	s_add_u32 s6, s6, s80
	s_addc_u32 s34, 0, s81
	s_add_u32 s6, s6, s7
	s_addc_u32 s7, s34, 0
	s_add_u32 s6, s6, s30
	s_addc_u32 s7, s7, 0
	s_add_u32 s80, s6, s31
	s_addc_u32 s81, s7, 0
	s_and_b64 s[6:7], s[18:19], s[46:47]
	v_cndmask_b32_e64 v6, 0, 1, s[6:7]
	s_and_b64 s[6:7], s[16:17], s[48:49]
	v_cndmask_b32_e64 v7, 0, 1, s[6:7]
	s_and_b64 s[6:7], s[14:15], s[50:51]
	v_cndmask_b32_e64 v8, 0, 1, s[6:7]
	s_and_b64 s[6:7], s[12:13], s[52:53]
	v_cndmask_b32_e64 v9, 0, 1, s[6:7]
	v_cmp_ne_u32_e64 s[6:7], 0, v6
	v_cmp_ne_u32_e64 s[30:31], 0, v7
	v_cmp_ne_u32_e64 s[34:35], 0, v8
	v_cmp_ne_u32_e64 s[36:37], 0, v9
	s_bcnt1_i32_b64 s6, s[6:7]
	s_bcnt1_i32_b64 s7, s[30:31]
	s_bcnt1_i32_b64 s30, s[34:35]
	s_bcnt1_i32_b64 s31, s[36:37]
	s_add_u32 s6, s6, s92
	s_addc_u32 s34, 0, s93
	s_add_u32 s6, s6, s7
	s_addc_u32 s7, s34, 0
	s_add_u32 s6, s6, s30
	s_addc_u32 s7, s7, 0
	s_add_u32 s92, s6, s31
	s_addc_u32 s93, s7, 0
	s_and_b64 s[6:7], s[18:19], s[26:27]
	v_cndmask_b32_e64 v8, 0, 1, s[6:7]
	s_and_b64 s[6:7], s[16:17], s[24:25]
	v_cndmask_b32_e64 v9, 0, 1, s[6:7]
	s_and_b64 s[6:7], s[14:15], s[22:23]
	v_cndmask_b32_e64 v31, 0, 1, s[6:7]
	s_and_b64 s[6:7], s[12:13], s[20:21]
	v_cndmask_b32_e64 v32, 0, 1, s[6:7]
	v_cmp_ne_u32_e64 s[6:7], 0, v8
	v_cmp_ne_u32_e64 s[12:13], 0, v9
	;; [unrolled: 1-line block ×4, first 2 shown]
	s_bcnt1_i32_b64 s6, s[6:7]
	s_bcnt1_i32_b64 s7, s[12:13]
	;; [unrolled: 1-line block ×4, first 2 shown]
	s_add_u32 s6, s6, s8
	s_addc_u32 s8, 0, s9
	s_add_u32 s6, s6, s7
	s_addc_u32 s7, s8, 0
	;; [unrolled: 2-line block ×3, first 2 shown]
	v_cmp_le_u64_e32 vcc, s[70:71], v[29:30]
	s_add_u32 s8, s6, s13
	v_mov_b32_e32 v2, s28
	v_mov_b32_e32 v4, s80
	;; [unrolled: 1-line block ×3, first 2 shown]
	s_addc_u32 s9, s7, 0
	v_mov_b32_e32 v8, s8
	v_add_u32_e32 v25, s69, v25
	v_mov_b32_e32 v3, s29
	v_mov_b32_e32 v5, s81
	;; [unrolled: 1-line block ×3, first 2 shown]
	s_or_b64 s[0:1], vcc, s[0:1]
	v_mov_b32_e32 v9, s9
	s_andn2_b64 exec, exec, s[0:1]
	s_cbranch_execnz .LBB54_86
; %bb.87:                               ;   in Loop: Header=BB54_33 Depth=1
	s_or_b64 exec, exec, s[0:1]
	s_mov_b64 s[80:81], s[74:75]
	s_mov_b64 s[74:75], s[72:73]
	v_readlane_b32 s42, v50, 57
	v_readlane_b32 s72, v50, 55
	;; [unrolled: 1-line block ×8, first 2 shown]
.LBB54_88:                              ;   in Loop: Header=BB54_33 Depth=1
	s_or_b64 exec, exec, s[54:55]
	v_mov_b32_e32 v25, s71
	v_add_co_u32_e32 v29, vcc, s70, v0
	s_and_b32 s94, s58, 0x7fffffff
	v_addc_co_u32_e32 v30, vcc, 0, v25, vcc
	v_cmp_gt_u64_e32 vcc, s[94:95], v[29:30]
	s_and_saveexec_b64 s[0:1], vcc
	s_mov_b64 s[92:93], s[64:65]
	s_mov_b64 s[64:65], s[76:77]
	;; [unrolled: 1-line block ×9, first 2 shown]
	s_mov_b32 s82, s2
	s_mov_b64 s[90:91], s[4:5]
	s_cbranch_execz .LBB54_92
; %bb.89:                               ;   in Loop: Header=BB54_33 Depth=1
	v_lshl_add_u32 v25, s68, 4, v14
	s_mov_b64 s[8:9], 0
.LBB54_90:                              ;   Parent Loop BB54_33 Depth=1
                                        ; =>  This Inner Loop Header: Depth=2
	ds_read_b32 v31, v25
	v_add_u32_e32 v25, s59, v25
	s_waitcnt lgkmcnt(0)
	v_cmp_lt_i32_e32 vcc, -1, v31
	v_cndmask_b32_e32 v32, -1, v46, vcc
	v_cmp_o_f32_e32 vcc, v31, v31
	v_xor_b32_e32 v31, v32, v31
	v_cndmask_b32_e32 v31, -1, v31, vcc
	v_and_b32_e32 v32, v31, v47
	v_bfe_u32 v31, v31, s86, 2
	v_cmp_eq_u32_e32 vcc, v32, v44
	v_cmp_eq_u32_e64 s[6:7], 0, v31
	s_and_b64 s[6:7], vcc, s[6:7]
	v_cndmask_b32_e64 v32, 0, 1, s[6:7]
	v_cmp_ne_u32_e64 s[6:7], 0, v32
	s_bcnt1_i32_b64 s6, s[6:7]
	v_add_co_u32_e64 v2, s[6:7], s6, v2
	v_addc_co_u32_e64 v3, s[6:7], 0, v3, s[6:7]
	v_cmp_eq_u32_e64 s[6:7], 1, v31
	s_and_b64 s[6:7], vcc, s[6:7]
	v_cndmask_b32_e64 v32, 0, 1, s[6:7]
	v_cmp_ne_u32_e64 s[6:7], 0, v32
	s_bcnt1_i32_b64 s6, s[6:7]
	v_add_co_u32_e64 v4, s[6:7], s6, v4
	v_addc_co_u32_e64 v5, s[6:7], 0, v5, s[6:7]
	;; [unrolled: 7-line block ×3, first 2 shown]
	v_cmp_eq_u32_e64 s[6:7], 3, v31
	s_and_b64 s[6:7], vcc, s[6:7]
	v_cndmask_b32_e64 v31, 0, 1, s[6:7]
	v_cmp_ne_u32_e32 vcc, 0, v31
	s_bcnt1_i32_b64 s6, vcc
	v_add_co_u32_e32 v8, vcc, s6, v8
	v_addc_co_u32_e32 v9, vcc, 0, v9, vcc
	v_add_co_u32_sdwa v29, vcc, v29, v12 dst_sel:DWORD dst_unused:UNUSED_PAD src0_sel:DWORD src1_sel:WORD_0
	v_addc_co_u32_e32 v30, vcc, 0, v30, vcc
	v_cmp_le_u64_e32 vcc, s[94:95], v[29:30]
	s_or_b64 s[8:9], vcc, s[8:9]
	s_andn2_b64 exec, exec, s[8:9]
	s_cbranch_execnz .LBB54_90
; %bb.91:                               ;   in Loop: Header=BB54_33 Depth=1
	s_or_b64 exec, exec, s[8:9]
.LBB54_92:                              ;   in Loop: Header=BB54_33 Depth=1
	s_or_b64 exec, exec, s[0:1]
	s_lshl_b32 s6, s87, 6
	s_and_saveexec_b64 s[0:1], s[72:73]
	s_cbranch_execnz .LBB54_63
	s_branch .LBB54_64
.LBB54_93:                              ;   in Loop: Header=BB54_33 Depth=1
                                        ; implicit-def: $sgpr18_sgpr19
	s_branch .LBB54_72
.LBB54_94:                              ;   in Loop: Header=BB54_33 Depth=1
	s_or_b64 exec, exec, s[8:9]
	s_waitcnt lgkmcnt(0)
	s_barrier
	s_mov_b64 s[6:7], exec
	v_readlane_b32 s8, v50, 32
	v_readlane_b32 s9, v50, 33
	s_and_b64 s[8:9], s[6:7], s[8:9]
	s_mov_b64 exec, s[8:9]
	s_cbranch_execz .LBB54_96
; %bb.95:                               ;   in Loop: Header=BB54_33 Depth=1
	ds_read_b32 v2, v13 offset:5136
	s_waitcnt lgkmcnt(0)
	v_ashrrev_i32_e32 v3, 31, v2
	ds_write_b64 v13, v[2:3] offset:5120
.LBB54_96:                              ;   in Loop: Header=BB54_33 Depth=1
	s_or_b64 exec, exec, s[6:7]
	s_waitcnt lgkmcnt(0)
	s_barrier
	s_mov_b64 s[6:7], -1
	s_and_b64 vcc, exec, s[0:1]
	s_cbranch_vccnz .LBB54_49
	s_branch .LBB54_58
.LBB54_97:                              ;   in Loop: Header=BB54_33 Depth=1
	v_mov_b32_e32 v2, 0
	v_mov_b32_e32 v3, 0
	s_mov_b32 s7, 0
.LBB54_98:                              ;   in Loop: Header=BB54_33 Depth=1
	v_readlane_b32 s2, v50, 49
	v_readlane_b32 s3, v50, 50
	s_andn2_b64 vcc, exec, s[2:3]
	s_cbranch_vccnz .LBB54_101
; %bb.99:                               ;   in Loop: Header=BB54_33 Depth=1
	s_lshl_b32 s8, s87, 9
	s_lshl_b32 s7, s7, 5
	s_add_i32 s8, s8, s7
	v_add_u32_e32 v4, s8, v43
	v_readlane_b32 s7, v50, 48
.LBB54_100:                             ;   Parent Loop BB54_33 Depth=1
                                        ; =>  This Inner Loop Header: Depth=2
	ds_read_b64 v[5:6], v4
	s_add_i32 s7, s7, -1
	v_add_u32_e32 v4, 32, v4
	s_cmp_lg_u32 s7, 0
	s_waitcnt lgkmcnt(0)
	v_add_co_u32_e32 v2, vcc, v5, v2
	v_addc_co_u32_e32 v3, vcc, v6, v3, vcc
	s_cbranch_scc1 .LBB54_100
.LBB54_101:                             ;   in Loop: Header=BB54_33 Depth=1
	v_add_lshl_u32 v4, s6, v33, 3
	ds_write_b64 v4, v[2:3] offset:3072
.LBB54_102:                             ;   in Loop: Header=BB54_33 Depth=1
	s_or_b64 exec, exec, s[0:1]
	s_lshl_b32 s0, s6, 3
	v_mov_b32_e32 v2, s0
	s_waitcnt lgkmcnt(0)
	s_barrier
	ds_read_b128 v[6:9], v2 offset:3088
	ds_read_b128 v[2:5], v2 offset:3072
	v_cmp_eq_u64_e64 s[6:7], 1, v[27:28]
	s_lshl_b32 s58, 3, s86
	s_not_b32 s50, s58
	s_waitcnt lgkmcnt(1)
	v_readfirstlane_b32 s20, v6
	s_waitcnt lgkmcnt(0)
	v_cmp_eq_u64_e32 vcc, 1, v[2:3]
	v_readfirstlane_b32 s21, v7
	v_readfirstlane_b32 s12, v8
	;; [unrolled: 1-line block ×3, first 2 shown]
	s_and_b64 s[16:17], vcc, s[6:7]
	s_mov_b64 s[6:7], -1
	s_mov_b64 s[8:9], -1
                                        ; implicit-def: $sgpr0_sgpr1
                                        ; implicit-def: $sgpr22_sgpr23
	s_and_saveexec_b64 s[14:15], s[16:17]
	s_cbranch_execz .LBB54_136
; %bb.103:                              ;   in Loop: Header=BB54_33 Depth=1
	ds_read_b64 v[6:7], v13 offset:5120
	s_waitcnt lgkmcnt(0)
	s_barrier
	v_readfirstlane_b32 s18, v6
	v_readfirstlane_b32 s19, v7
	s_and_saveexec_b64 s[0:1], s[42:43]
; %bb.104:                              ;   in Loop: Header=BB54_33 Depth=1
	ds_write_b32 v45, v13
; %bb.105:                              ;   in Loop: Header=BB54_33 Depth=1
	s_or_b64 exec, exec, s[0:1]
	v_cmp_lt_i64_e64 s[8:9], s[18:19], 1
	v_and_b32_e32 v44, s50, v44
	v_or_b32_e32 v47, s58, v47
	s_mov_b64 s[22:23], -1
	s_mov_b64 s[0:1], 0
	s_and_b64 vcc, exec, s[8:9]
	s_mov_b64 s[8:9], 0
	s_mov_b64 s[24:25], -1
	s_waitcnt lgkmcnt(0)
	s_barrier
                                        ; implicit-def: $vgpr26
	s_cbranch_vccz .LBB54_120
; %bb.106:                              ;   in Loop: Header=BB54_33 Depth=1
	s_mov_b32 s48, s95
	s_cmp_lg_u64 s[48:49], 0
	s_cbranch_scc0 .LBB54_163
; %bb.107:                              ;   in Loop: Header=BB54_33 Depth=1
	s_add_u32 s8, s33, 0
	s_addc_u32 s9, 0, 0
	s_xor_b64 s[8:9], s[8:9], 0
	v_cvt_f32_u32_e32 v6, s8
	v_cvt_f32_u32_e32 v7, s9
	s_sub_u32 s26, 0, s8
	s_subb_u32 s27, 0, s9
	v_mac_f32_e32 v6, 0x4f800000, v7
	v_rcp_f32_e32 v6, v6
	v_mul_f32_e32 v6, 0x5f7ffffc, v6
	v_mul_f32_e32 v7, 0x2f800000, v6
	v_trunc_f32_e32 v7, v7
	v_mac_f32_e32 v6, 0xcf800000, v7
	v_cvt_u32_f32_e32 v7, v7
	v_cvt_u32_f32_e32 v6, v6
	v_readfirstlane_b32 s28, v7
	v_readfirstlane_b32 s24, v6
	s_mul_i32 s25, s26, s28
	s_mul_hi_u32 s30, s26, s24
	s_mul_i32 s29, s27, s24
	s_add_i32 s25, s30, s25
	s_mul_i32 s31, s26, s24
	s_add_i32 s25, s25, s29
	s_mul_i32 s30, s24, s25
	s_mul_hi_u32 s34, s24, s31
	s_mul_hi_u32 s29, s24, s25
	s_add_u32 s30, s34, s30
	s_addc_u32 s29, 0, s29
	s_mul_hi_u32 s35, s28, s31
	s_mul_i32 s31, s28, s31
	s_add_u32 s30, s30, s31
	s_mul_hi_u32 s34, s28, s25
	s_addc_u32 s29, s29, s35
	s_addc_u32 s30, s34, 0
	s_mul_i32 s25, s28, s25
	s_add_u32 s25, s29, s25
	s_addc_u32 s29, 0, s30
	s_add_u32 s30, s24, s25
	s_cselect_b64 s[24:25], -1, 0
	s_cmp_lg_u64 s[24:25], 0
	s_addc_u32 s28, s28, s29
	s_mul_i32 s24, s26, s28
	s_mul_hi_u32 s25, s26, s30
	s_add_i32 s24, s25, s24
	s_mul_i32 s27, s27, s30
	s_add_i32 s24, s24, s27
	s_mul_i32 s26, s26, s30
	s_mul_hi_u32 s27, s28, s26
	s_mul_i32 s29, s28, s26
	s_mul_i32 s34, s30, s24
	s_mul_hi_u32 s26, s30, s26
	s_mul_hi_u32 s31, s30, s24
	s_add_u32 s26, s26, s34
	s_addc_u32 s31, 0, s31
	s_add_u32 s26, s26, s29
	s_mul_hi_u32 s25, s28, s24
	s_addc_u32 s26, s31, s27
	s_addc_u32 s25, s25, 0
	s_mul_i32 s24, s28, s24
	s_add_u32 s24, s26, s24
	s_addc_u32 s26, 0, s25
	s_add_u32 s29, s30, s24
	s_cselect_b64 s[24:25], -1, 0
	s_cmp_lg_u64 s[24:25], 0
	s_addc_u32 s28, s28, s26
	s_ashr_i32 s24, s49, 31
	s_add_u32 s26, s53, s24
	s_mov_b32 s25, s24
	s_addc_u32 s27, s49, s24
	s_xor_b64 s[26:27], s[26:27], s[24:25]
	s_mul_i32 s31, s26, s28
	s_mul_hi_u32 s34, s26, s29
	s_mul_hi_u32 s30, s26, s28
	s_add_u32 s31, s34, s31
	s_addc_u32 s30, 0, s30
	s_mul_hi_u32 s35, s27, s29
	s_mul_i32 s29, s27, s29
	s_add_u32 s29, s31, s29
	s_mul_hi_u32 s34, s27, s28
	s_addc_u32 s29, s30, s35
	s_addc_u32 s30, s34, 0
	s_mul_i32 s28, s27, s28
	s_add_u32 s28, s29, s28
	s_addc_u32 s29, 0, s30
	s_mul_i32 s29, s8, s29
	s_mul_hi_u32 s30, s8, s28
	s_add_i32 s29, s30, s29
	s_mul_i32 s30, s9, s28
	s_add_i32 s34, s29, s30
	s_sub_i32 s30, s27, s34
	s_mul_i32 s28, s8, s28
	s_sub_u32 s26, s26, s28
	s_cselect_b64 s[28:29], -1, 0
	s_cmp_lg_u64 s[28:29], 0
	s_subb_u32 s35, s30, s9
	s_sub_u32 s36, s26, s8
	s_cselect_b64 s[30:31], -1, 0
	s_cmp_lg_u64 s[30:31], 0
	s_subb_u32 s37, s35, 0
	s_cmp_ge_u32 s37, s9
	s_cselect_b32 s38, -1, 0
	s_cmp_ge_u32 s36, s8
	s_cselect_b32 s39, -1, 0
	s_cmp_eq_u32 s37, s9
	s_cselect_b32 s38, s39, s38
	s_cmp_lg_u64 s[30:31], 0
	s_subb_u32 s35, s35, s9
	s_sub_u32 s39, s36, s8
	s_cselect_b64 s[30:31], -1, 0
	s_cmp_lg_u64 s[30:31], 0
	s_subb_u32 s30, s35, 0
	s_cmp_lg_u32 s38, 0
	s_cselect_b32 s31, s39, s36
	s_cselect_b32 s30, s30, s37
	s_cmp_lg_u64 s[28:29], 0
	s_subb_u32 s27, s27, s34
	s_cmp_ge_u32 s27, s9
	s_cselect_b32 s28, -1, 0
	s_cmp_ge_u32 s26, s8
	s_cselect_b32 s8, -1, 0
	s_cmp_eq_u32 s27, s9
	s_cselect_b32 s8, s8, s28
	s_cmp_lg_u32 s8, 0
	s_cselect_b32 s9, s30, s27
	s_cselect_b32 s8, s31, s26
	s_xor_b64 s[8:9], s[8:9], s[24:25]
	s_sub_u32 s8, s8, s24
	s_subb_u32 s9, s9, s24
	s_cbranch_execnz .LBB54_109
.LBB54_108:                             ;   in Loop: Header=BB54_33 Depth=1
	v_cvt_f32_u32_e32 v6, s33
	s_sub_i32 s8, 0, s33
	v_rcp_iflag_f32_e32 v6, v6
	v_mul_f32_e32 v6, 0x4f7ffffe, v6
	v_cvt_u32_f32_e32 v6, v6
	v_readfirstlane_b32 s9, v6
	s_mul_i32 s8, s8, s9
	s_mul_hi_u32 s8, s9, s8
	s_add_i32 s9, s9, s8
	s_mul_hi_u32 s8, s53, s9
	s_mul_i32 s8, s8, s33
	s_sub_i32 s8, s53, s8
	s_sub_i32 s9, s8, s33
	s_cmp_ge_u32 s8, s33
	s_cselect_b32 s8, s9, s8
	s_sub_i32 s9, s8, s33
	s_cmp_ge_u32 s8, s33
	s_cselect_b32 s94, s9, s8
	s_mov_b64 s[8:9], s[94:95]
.LBB54_109:                             ;   in Loop: Header=BB54_33 Depth=1
	s_sub_u32 s28, s53, s8
	s_subb_u32 s29, s49, s9
	v_cmp_gt_i64_e32 vcc, s[28:29], v[0:1]
	s_mov_b64 s[24:25], 0
	s_mov_b64 s[8:9], 0
                                        ; implicit-def: $vgpr26
	s_and_saveexec_b64 s[26:27], vcc
	s_cbranch_execz .LBB54_119
; %bb.110:                              ;   in Loop: Header=BB54_33 Depth=1
	v_mov_b32_e32 v6, v10
	v_mov_b32_e32 v9, v1
	;; [unrolled: 1-line block ×4, first 2 shown]
                                        ; implicit-def: $sgpr30_sgpr31
	s_branch .LBB54_114
.LBB54_111:                             ;   in Loop: Header=BB54_114 Depth=2
	s_or_b64 exec, exec, s[34:35]
	s_waitcnt lgkmcnt(0)
	s_barrier
	ds_read_b64 v[25:26], v13 offset:3072
	s_waitcnt lgkmcnt(0)
	s_barrier
	v_cmp_neq_f32_e32 vcc, 0, v25
	s_cbranch_vccnz .LBB54_117
; %bb.112:                              ;   in Loop: Header=BB54_114 Depth=2
	v_add_co_u32_e32 v8, vcc, s33, v8
	v_addc_co_u32_e32 v9, vcc, 0, v9, vcc
	v_mov_b32_e32 v12, s89
	v_add_co_u32_e32 v6, vcc, s88, v6
	v_addc_co_u32_e32 v7, vcc, v7, v12, vcc
	v_cmp_le_i64_e32 vcc, s[28:29], v[8:9]
	s_mov_b64 s[34:35], 0
	s_orn2_b64 s[36:37], vcc, exec
.LBB54_113:                             ;   in Loop: Header=BB54_114 Depth=2
	s_and_b64 s[36:37], exec, s[36:37]
	s_or_b64 s[8:9], s[36:37], s[8:9]
	s_andn2_b64 s[30:31], s[30:31], exec
	s_and_b64 s[34:35], s[34:35], exec
	s_or_b64 s[30:31], s[30:31], s[34:35]
	s_andn2_b64 exec, exec, s[8:9]
	s_cbranch_execz .LBB54_118
.LBB54_114:                             ;   Parent Loop BB54_33 Depth=1
                                        ; =>  This Inner Loop Header: Depth=2
	v_cmp_gt_i64_e32 vcc, s[56:57], v[8:9]
	s_and_saveexec_b64 s[34:35], vcc
	s_cbranch_execz .LBB54_111
; %bb.115:                              ;   in Loop: Header=BB54_114 Depth=2
	global_load_dword v25, v[6:7], off
	s_waitcnt vmcnt(0)
	v_cmp_lt_i32_e32 vcc, -1, v25
	v_cndmask_b32_e32 v12, -1, v46, vcc
	v_xor_b32_e32 v12, v12, v25
	v_cmp_o_f32_e32 vcc, v25, v25
	v_cndmask_b32_e32 v12, -1, v12, vcc
	v_and_b32_e32 v12, v12, v47
	v_cmp_eq_u32_e32 vcc, v12, v44
	s_and_b64 exec, exec, vcc
	s_cbranch_execz .LBB54_111
; %bb.116:                              ;   in Loop: Header=BB54_114 Depth=2
	ds_write_b64 v13, v[24:25] offset:3072
	s_branch .LBB54_111
.LBB54_117:                             ;   in Loop: Header=BB54_114 Depth=2
	s_mov_b64 s[36:37], -1
                                        ; implicit-def: $vgpr8_vgpr9
                                        ; implicit-def: $vgpr6_vgpr7
	s_mov_b64 s[34:35], -1
	s_branch .LBB54_113
.LBB54_118:                             ;   in Loop: Header=BB54_33 Depth=1
	s_or_b64 exec, exec, s[8:9]
	s_and_b64 s[8:9], s[30:31], exec
.LBB54_119:                             ;   in Loop: Header=BB54_33 Depth=1
	s_or_b64 exec, exec, s[26:27]
.LBB54_120:                             ;   in Loop: Header=BB54_33 Depth=1
	s_and_b64 vcc, exec, s[24:25]
	s_cbranch_vccz .LBB54_135
; %bb.121:                              ;   in Loop: Header=BB54_33 Depth=1
	v_readlane_b32 s0, v50, 44
	s_add_u32 s26, s18, s0
	v_readlane_b32 s0, v50, 45
	s_addc_u32 s1, s19, s0
	s_mov_b32 s0, s95
	s_cmp_lg_u64 s[0:1], 0
	s_cbranch_scc0 .LBB54_164
; %bb.122:                              ;   in Loop: Header=BB54_33 Depth=1
	s_add_u32 s22, s33, 0
	s_addc_u32 s23, 0, 0
	s_xor_b64 s[22:23], s[22:23], 0
	v_cvt_f32_u32_e32 v6, s22
	v_cvt_f32_u32_e32 v7, s23
	s_sub_u32 s0, 0, s22
	s_subb_u32 s27, 0, s23
	v_mac_f32_e32 v6, 0x4f800000, v7
	v_rcp_f32_e32 v6, v6
	v_mul_f32_e32 v6, 0x5f7ffffc, v6
	v_mul_f32_e32 v7, 0x2f800000, v6
	v_trunc_f32_e32 v7, v7
	v_mac_f32_e32 v6, 0xcf800000, v7
	v_cvt_u32_f32_e32 v7, v7
	v_cvt_u32_f32_e32 v6, v6
	v_readfirstlane_b32 s28, v7
	v_readfirstlane_b32 s24, v6
	s_mul_i32 s25, s0, s28
	s_mul_hi_u32 s30, s0, s24
	s_mul_i32 s29, s27, s24
	s_add_i32 s25, s30, s25
	s_mul_i32 s31, s0, s24
	s_add_i32 s25, s25, s29
	s_mul_i32 s30, s24, s25
	s_mul_hi_u32 s34, s24, s31
	s_mul_hi_u32 s29, s24, s25
	s_add_u32 s30, s34, s30
	s_addc_u32 s29, 0, s29
	s_mul_hi_u32 s35, s28, s31
	s_mul_i32 s31, s28, s31
	s_add_u32 s30, s30, s31
	s_mul_hi_u32 s34, s28, s25
	s_addc_u32 s29, s29, s35
	s_addc_u32 s30, s34, 0
	s_mul_i32 s25, s28, s25
	s_add_u32 s25, s29, s25
	s_addc_u32 s29, 0, s30
	s_add_u32 s30, s24, s25
	s_cselect_b64 s[24:25], -1, 0
	s_cmp_lg_u64 s[24:25], 0
	s_addc_u32 s28, s28, s29
	s_mul_i32 s24, s0, s28
	s_mul_hi_u32 s25, s0, s30
	s_add_i32 s24, s25, s24
	s_mul_i32 s27, s27, s30
	s_add_i32 s24, s24, s27
	s_mul_i32 s0, s0, s30
	s_mul_hi_u32 s27, s28, s0
	s_mul_i32 s29, s28, s0
	s_mul_i32 s34, s30, s24
	s_mul_hi_u32 s0, s30, s0
	s_mul_hi_u32 s31, s30, s24
	s_add_u32 s0, s0, s34
	s_addc_u32 s31, 0, s31
	s_add_u32 s0, s0, s29
	s_mul_hi_u32 s25, s28, s24
	s_addc_u32 s0, s31, s27
	s_addc_u32 s25, s25, 0
	s_mul_i32 s24, s28, s24
	s_add_u32 s0, s0, s24
	s_addc_u32 s27, 0, s25
	s_add_u32 s0, s30, s0
	s_cselect_b64 s[24:25], -1, 0
	s_cmp_lg_u64 s[24:25], 0
	s_addc_u32 s27, s28, s27
	s_ashr_i32 s24, s1, 31
	s_add_u32 s28, s26, s24
	s_mov_b32 s25, s24
	s_addc_u32 s29, s1, s24
	s_xor_b64 s[28:29], s[28:29], s[24:25]
	s_mul_i32 s31, s28, s27
	s_mul_hi_u32 s34, s28, s0
	s_mul_hi_u32 s30, s28, s27
	s_add_u32 s31, s34, s31
	s_addc_u32 s30, 0, s30
	s_mul_hi_u32 s35, s29, s0
	s_mul_i32 s0, s29, s0
	s_add_u32 s0, s31, s0
	s_mul_hi_u32 s34, s29, s27
	s_addc_u32 s0, s30, s35
	s_addc_u32 s30, s34, 0
	s_mul_i32 s27, s29, s27
	s_add_u32 s0, s0, s27
	s_addc_u32 s27, 0, s30
	s_mul_i32 s27, s22, s27
	s_mul_hi_u32 s30, s22, s0
	s_add_i32 s27, s30, s27
	s_mul_i32 s30, s23, s0
	s_add_i32 s27, s27, s30
	s_sub_i32 s34, s29, s27
	s_mul_i32 s0, s22, s0
	s_sub_u32 s0, s28, s0
	s_cselect_b64 s[30:31], -1, 0
	s_cmp_lg_u64 s[30:31], 0
	s_subb_u32 s28, s34, s23
	s_sub_u32 s36, s0, s22
	s_cselect_b64 s[34:35], -1, 0
	s_cmp_lg_u64 s[34:35], 0
	s_subb_u32 s37, s28, 0
	s_cmp_ge_u32 s37, s23
	s_cselect_b32 s38, -1, 0
	s_cmp_ge_u32 s36, s22
	s_cselect_b32 s39, -1, 0
	s_cmp_eq_u32 s37, s23
	s_cselect_b32 s38, s39, s38
	s_cmp_lg_u64 s[34:35], 0
	s_subb_u32 s28, s28, s23
	s_sub_u32 s39, s36, s22
	s_cselect_b64 s[34:35], -1, 0
	s_cmp_lg_u64 s[34:35], 0
	s_subb_u32 s28, s28, 0
	s_cmp_lg_u32 s38, 0
	s_cselect_b32 s34, s39, s36
	s_cselect_b32 s28, s28, s37
	s_cmp_lg_u64 s[30:31], 0
	s_subb_u32 s27, s29, s27
	s_cmp_ge_u32 s27, s23
	s_cselect_b32 s29, -1, 0
	s_cmp_ge_u32 s0, s22
	s_cselect_b32 s22, -1, 0
	s_cmp_eq_u32 s27, s23
	s_cselect_b32 s22, s22, s29
	s_cmp_lg_u32 s22, 0
	s_cselect_b32 s23, s28, s27
	s_cselect_b32 s22, s34, s0
	s_xor_b64 s[22:23], s[22:23], s[24:25]
	s_sub_u32 s22, s22, s24
	s_subb_u32 s23, s23, s24
	s_cbranch_execnz .LBB54_124
.LBB54_123:                             ;   in Loop: Header=BB54_33 Depth=1
	v_cvt_f32_u32_e32 v6, s33
	s_sub_i32 s0, 0, s33
	v_rcp_iflag_f32_e32 v6, v6
	v_mul_f32_e32 v6, 0x4f7ffffe, v6
	v_cvt_u32_f32_e32 v6, v6
	v_readfirstlane_b32 s22, v6
	s_mul_i32 s0, s0, s22
	s_mul_hi_u32 s0, s22, s0
	s_add_i32 s22, s22, s0
	s_mul_hi_u32 s0, s26, s22
	s_mul_i32 s0, s0, s33
	s_sub_i32 s0, s26, s0
	s_sub_i32 s22, s0, s33
	s_cmp_ge_u32 s0, s33
	s_cselect_b32 s0, s22, s0
	s_sub_i32 s22, s0, s33
	s_cmp_ge_u32 s0, s33
	s_cselect_b32 s94, s22, s0
	s_mov_b64 s[22:23], s[94:95]
.LBB54_124:                             ;   in Loop: Header=BB54_33 Depth=1
	s_sub_u32 s22, s26, s22
	s_subb_u32 s23, s1, s23
	v_cmp_gt_i64_e32 vcc, s[22:23], v[0:1]
                                        ; implicit-def: $vgpr26
	s_and_saveexec_b64 s[0:1], vcc
	s_cbranch_execz .LBB54_134
; %bb.125:                              ;   in Loop: Header=BB54_33 Depth=1
	v_mov_b32_e32 v7, v1
	s_mov_b64 s[24:25], 0
	v_mov_b32_e32 v8, v14
	v_mov_b32_e32 v6, v0
                                        ; implicit-def: $sgpr26_sgpr27
	s_branch .LBB54_129
.LBB54_126:                             ;   in Loop: Header=BB54_129 Depth=2
	s_or_b64 exec, exec, s[28:29]
	s_waitcnt lgkmcnt(0)
	s_barrier
	ds_read_b64 v[25:26], v13 offset:3072
	s_waitcnt lgkmcnt(0)
	s_barrier
	v_cmp_neq_f32_e32 vcc, 0, v25
	s_cbranch_vccnz .LBB54_132
; %bb.127:                              ;   in Loop: Header=BB54_129 Depth=2
	v_add_co_u32_e32 v6, vcc, s33, v6
	v_addc_co_u32_e32 v7, vcc, 0, v7, vcc
	v_cmp_le_i64_e32 vcc, s[22:23], v[6:7]
	v_add_u32_e32 v8, s52, v8
	s_mov_b64 s[28:29], 0
	s_orn2_b64 s[30:31], vcc, exec
.LBB54_128:                             ;   in Loop: Header=BB54_129 Depth=2
	s_and_b64 s[30:31], exec, s[30:31]
	s_or_b64 s[24:25], s[30:31], s[24:25]
	s_andn2_b64 s[26:27], s[26:27], exec
	s_and_b64 s[28:29], s[28:29], exec
	s_or_b64 s[26:27], s[26:27], s[28:29]
	s_andn2_b64 exec, exec, s[24:25]
	s_cbranch_execz .LBB54_133
.LBB54_129:                             ;   Parent Loop BB54_33 Depth=1
                                        ; =>  This Inner Loop Header: Depth=2
	v_cmp_gt_u64_e32 vcc, s[18:19], v[6:7]
	s_and_saveexec_b64 s[28:29], vcc
	s_cbranch_execz .LBB54_126
; %bb.130:                              ;   in Loop: Header=BB54_129 Depth=2
	ds_read_b32 v25, v8
	s_waitcnt lgkmcnt(0)
	v_cmp_lt_i32_e32 vcc, -1, v25
	v_cndmask_b32_e32 v9, -1, v46, vcc
	v_xor_b32_e32 v9, v9, v25
	v_cmp_o_f32_e32 vcc, v25, v25
	v_cndmask_b32_e32 v9, -1, v9, vcc
	v_and_b32_e32 v9, v9, v47
	v_cmp_eq_u32_e32 vcc, v9, v44
	s_and_b64 exec, exec, vcc
	s_cbranch_execz .LBB54_126
; %bb.131:                              ;   in Loop: Header=BB54_129 Depth=2
	ds_write_b64 v13, v[24:25] offset:3072
	s_branch .LBB54_126
.LBB54_132:                             ;   in Loop: Header=BB54_129 Depth=2
	s_mov_b64 s[30:31], -1
                                        ; implicit-def: $vgpr6_vgpr7
                                        ; implicit-def: $vgpr8
	s_mov_b64 s[28:29], -1
	s_branch .LBB54_128
.LBB54_133:                             ;   in Loop: Header=BB54_33 Depth=1
	s_or_b64 exec, exec, s[24:25]
	s_andn2_b64 s[8:9], s[8:9], exec
	s_and_b64 s[18:19], s[26:27], exec
	s_or_b64 s[8:9], s[8:9], s[18:19]
.LBB54_134:                             ;   in Loop: Header=BB54_33 Depth=1
	s_or_b64 exec, exec, s[0:1]
	s_mov_b64 s[22:23], 0
	s_mov_b64 s[0:1], -1
.LBB54_135:                             ;   in Loop: Header=BB54_33 Depth=1
	s_orn2_b64 s[8:9], s[8:9], exec
.LBB54_136:                             ;   in Loop: Header=BB54_33 Depth=1
	s_or_b64 exec, exec, s[14:15]
	s_andn2_b64 s[14:15], s[90:91], exec
	s_and_b64 s[0:1], s[0:1], exec
	s_or_b64 s[90:91], s[14:15], s[0:1]
	s_andn2_b64 s[0:1], s[66:67], exec
	s_and_b64 s[14:15], s[22:23], exec
	s_andn2_b64 s[78:79], s[78:79], exec
	s_or_b64 s[66:67], s[0:1], s[14:15]
                                        ; implicit-def: $vgpr6_vgpr7
	s_and_saveexec_b64 s[14:15], s[8:9]
	s_cbranch_execz .LBB54_32
; %bb.137:                              ;   in Loop: Header=BB54_33 Depth=1
	v_mov_b32_e32 v6, 1
	s_xor_b64 s[6:7], s[16:17], -1
	v_mov_b32_e32 v12, 1
	v_mov_b32_e32 v7, 0
	s_mov_b64 s[8:9], 0
	s_and_saveexec_b64 s[0:1], s[6:7]
	s_cbranch_execz .LBB54_146
; %bb.138:                              ;   in Loop: Header=BB54_33 Depth=1
	v_cmp_le_i64_e32 vcc, v[27:28], v[2:3]
	s_and_saveexec_b64 s[6:7], vcc
	s_xor_b64 s[6:7], exec, s[6:7]
	s_cbranch_execz .LBB54_143
; %bb.139:                              ;   in Loop: Header=BB54_33 Depth=1
	ds_read_b64 v[6:7], v13 offset:5120
	v_and_b32_e32 v44, s50, v44
	v_or_b32_e32 v47, s58, v47
	s_waitcnt lgkmcnt(0)
	v_cmp_ne_u64_e32 vcc, 0, v[6:7]
	s_cbranch_vccnz .LBB54_143
; %bb.140:                              ;   in Loop: Header=BB54_33 Depth=1
	s_mov_b64 s[8:9], exec
	v_readlane_b32 s16, v50, 32
	v_readlane_b32 s17, v50, 33
	s_and_b64 s[16:17], s[8:9], s[16:17]
	s_mov_b64 exec, s[16:17]
; %bb.141:                              ;   in Loop: Header=BB54_33 Depth=1
	ds_write_b64 v13, v[2:3] offset:5128
; %bb.142:                              ;   in Loop: Header=BB54_33 Depth=1
	s_or_b64 exec, exec, s[8:9]
	s_waitcnt lgkmcnt(0)
	s_barrier
.LBB54_143:                             ;   in Loop: Header=BB54_33 Depth=1
	s_or_saveexec_b64 s[6:7], s[6:7]
	s_mov_b64 s[8:9], 0
	v_mov_b32_e32 v12, 8
	s_xor_b64 exec, exec, s[6:7]
; %bb.144:                              ;   in Loop: Header=BB54_33 Depth=1
	v_sub_co_u32_e32 v27, vcc, v27, v2
	v_subb_co_u32_e32 v28, vcc, v28, v3, vcc
	v_mov_b32_e32 v12, 0
	s_mov_b64 s[8:9], exec
; %bb.145:                              ;   in Loop: Header=BB54_33 Depth=1
	s_or_b64 exec, exec, s[6:7]
	v_mov_b32_e32 v6, v27
	s_and_b64 s[8:9], s[8:9], exec
	v_mov_b32_e32 v7, v28
.LBB54_146:                             ;   in Loop: Header=BB54_33 Depth=1
	s_or_b64 exec, exec, s[0:1]
	s_mov_b64 s[16:17], -1
	s_mov_b64 s[0:1], -1
                                        ; implicit-def: $sgpr6_sgpr7
                                        ; implicit-def: $sgpr22_sgpr23
	s_and_saveexec_b64 s[18:19], s[8:9]
	s_xor_b64 s[18:19], exec, s[18:19]
	s_cbranch_execz .LBB54_294
; %bb.147:                              ;   in Loop: Header=BB54_33 Depth=1
	v_cmp_eq_u64_e32 vcc, 1, v[4:5]
	v_cmp_eq_u64_e64 s[6:7], 1, v[6:7]
                                        ; implicit-def: $sgpr22_sgpr23
	s_and_b64 s[26:27], vcc, s[6:7]
                                        ; implicit-def: $sgpr6_sgpr7
	s_and_saveexec_b64 s[24:25], s[26:27]
	s_cbranch_execz .LBB54_183
; %bb.148:                              ;   in Loop: Header=BB54_33 Depth=1
	ds_read_b64 v[2:3], v13 offset:5120
	s_waitcnt lgkmcnt(0)
	s_barrier
	v_readfirstlane_b32 s30, v2
	v_readfirstlane_b32 s31, v3
	s_and_saveexec_b64 s[0:1], s[42:43]
; %bb.149:                              ;   in Loop: Header=BB54_33 Depth=1
	ds_write_b32 v45, v13
; %bb.150:                              ;   in Loop: Header=BB54_33 Depth=1
	s_or_b64 exec, exec, s[0:1]
	v_cmp_gt_i64_e64 s[0:1], s[30:31], 0
	v_and_b32_e32 v2, s50, v44
	v_lshl_or_b32 v44, 1, s86, v2
	v_or_b32_e32 v47, s58, v47
	s_mov_b64 s[6:7], -1
	s_mov_b64 s[22:23], 0
	s_and_b64 vcc, exec, s[0:1]
	s_mov_b64 s[0:1], 0
	s_mov_b64 s[8:9], -1
	s_waitcnt lgkmcnt(0)
	s_barrier
                                        ; implicit-def: $vgpr26
	s_cbranch_vccnz .LBB54_167
; %bb.151:                              ;   in Loop: Header=BB54_33 Depth=1
	s_mov_b32 s48, s95
	s_mov_b64 s[2:3], s[42:43]
	s_cmp_lg_u64 s[48:49], 0
	s_cbranch_scc0 .LBB54_211
; %bb.152:                              ;   in Loop: Header=BB54_33 Depth=1
	s_add_u32 s0, s33, 0
	s_addc_u32 s1, 0, 0
	s_xor_b64 s[0:1], s[0:1], 0
	v_cvt_f32_u32_e32 v2, s0
	v_cvt_f32_u32_e32 v3, s1
	s_sub_u32 s28, 0, s0
	s_subb_u32 s29, 0, s1
	v_mac_f32_e32 v2, 0x4f800000, v3
	v_rcp_f32_e32 v2, v2
	v_mul_f32_e32 v2, 0x5f7ffffc, v2
	v_mul_f32_e32 v3, 0x2f800000, v2
	v_trunc_f32_e32 v3, v3
	v_mac_f32_e32 v2, 0xcf800000, v3
	v_cvt_u32_f32_e32 v3, v3
	v_cvt_u32_f32_e32 v2, v2
	v_readfirstlane_b32 s34, v3
	v_readfirstlane_b32 s8, v2
	s_mul_i32 s9, s28, s34
	s_mul_hi_u32 s36, s28, s8
	s_mul_i32 s35, s29, s8
	s_add_i32 s9, s36, s9
	s_mul_i32 s37, s28, s8
	s_add_i32 s9, s9, s35
	s_mul_i32 s36, s8, s9
	s_mul_hi_u32 s38, s8, s37
	s_mul_hi_u32 s35, s8, s9
	s_add_u32 s36, s38, s36
	s_addc_u32 s35, 0, s35
	s_mul_hi_u32 s39, s34, s37
	s_mul_i32 s37, s34, s37
	s_add_u32 s36, s36, s37
	s_mul_hi_u32 s38, s34, s9
	s_addc_u32 s35, s35, s39
	s_addc_u32 s36, s38, 0
	s_mul_i32 s9, s34, s9
	s_add_u32 s9, s35, s9
	s_addc_u32 s35, 0, s36
	s_add_u32 s36, s8, s9
	s_cselect_b64 s[8:9], -1, 0
	s_cmp_lg_u64 s[8:9], 0
	s_addc_u32 s34, s34, s35
	s_mul_i32 s8, s28, s34
	s_mul_hi_u32 s9, s28, s36
	s_add_i32 s8, s9, s8
	s_mul_i32 s29, s29, s36
	s_add_i32 s8, s8, s29
	s_mul_i32 s28, s28, s36
	s_mul_hi_u32 s29, s34, s28
	s_mul_i32 s35, s34, s28
	s_mul_i32 s38, s36, s8
	s_mul_hi_u32 s28, s36, s28
	s_mul_hi_u32 s37, s36, s8
	s_add_u32 s28, s28, s38
	s_addc_u32 s37, 0, s37
	s_add_u32 s28, s28, s35
	s_mul_hi_u32 s9, s34, s8
	s_addc_u32 s28, s37, s29
	s_addc_u32 s9, s9, 0
	s_mul_i32 s8, s34, s8
	s_add_u32 s8, s28, s8
	s_addc_u32 s28, 0, s9
	s_add_u32 s35, s36, s8
	s_cselect_b64 s[8:9], -1, 0
	s_cmp_lg_u64 s[8:9], 0
	s_addc_u32 s34, s34, s28
	s_ashr_i32 s8, s49, 31
	s_add_u32 s28, s53, s8
	s_mov_b32 s9, s8
	s_addc_u32 s29, s49, s8
	s_xor_b64 s[28:29], s[28:29], s[8:9]
	s_mul_i32 s37, s28, s34
	s_mul_hi_u32 s38, s28, s35
	s_mul_hi_u32 s36, s28, s34
	s_add_u32 s37, s38, s37
	s_addc_u32 s36, 0, s36
	s_mul_hi_u32 s39, s29, s35
	s_mul_i32 s35, s29, s35
	s_add_u32 s35, s37, s35
	s_mul_hi_u32 s38, s29, s34
	s_addc_u32 s35, s36, s39
	s_addc_u32 s36, s38, 0
	s_mul_i32 s34, s29, s34
	s_add_u32 s34, s35, s34
	s_addc_u32 s35, 0, s36
	s_mul_i32 s35, s0, s35
	s_mul_hi_u32 s36, s0, s34
	s_add_i32 s35, s36, s35
	s_mul_i32 s36, s1, s34
	s_add_i32 s38, s35, s36
	s_sub_i32 s36, s29, s38
	s_mul_i32 s34, s0, s34
	s_sub_u32 s28, s28, s34
	s_cselect_b64 s[34:35], -1, 0
	s_cmp_lg_u64 s[34:35], 0
	s_subb_u32 s39, s36, s1
	s_sub_u32 s40, s28, s0
	s_cselect_b64 s[36:37], -1, 0
	s_cmp_lg_u64 s[36:37], 0
	s_subb_u32 s41, s39, 0
	s_cmp_ge_u32 s41, s1
	s_cselect_b32 s42, -1, 0
	s_cmp_ge_u32 s40, s0
	s_cselect_b32 s43, -1, 0
	s_cmp_eq_u32 s41, s1
	s_cselect_b32 s42, s43, s42
	s_cmp_lg_u64 s[36:37], 0
	s_subb_u32 s39, s39, s1
	s_sub_u32 s43, s40, s0
	s_cselect_b64 s[36:37], -1, 0
	s_cmp_lg_u64 s[36:37], 0
	s_subb_u32 s36, s39, 0
	s_cmp_lg_u32 s42, 0
	s_cselect_b32 s37, s43, s40
	s_cselect_b32 s36, s36, s41
	s_cmp_lg_u64 s[34:35], 0
	s_subb_u32 s29, s29, s38
	s_cmp_ge_u32 s29, s1
	s_cselect_b32 s34, -1, 0
	s_cmp_ge_u32 s28, s0
	s_cselect_b32 s0, -1, 0
	s_cmp_eq_u32 s29, s1
	s_cselect_b32 s0, s0, s34
	s_cmp_lg_u32 s0, 0
	s_cselect_b32 s1, s36, s29
	s_cselect_b32 s0, s37, s28
	s_xor_b64 s[0:1], s[0:1], s[8:9]
	s_sub_u32 s0, s0, s8
	s_subb_u32 s1, s1, s8
	s_cbranch_execnz .LBB54_154
.LBB54_153:                             ;   in Loop: Header=BB54_33 Depth=1
	v_cvt_f32_u32_e32 v2, s33
	s_sub_i32 s0, 0, s33
	v_rcp_iflag_f32_e32 v2, v2
	v_mul_f32_e32 v2, 0x4f7ffffe, v2
	v_cvt_u32_f32_e32 v2, v2
	v_readfirstlane_b32 s1, v2
	s_mul_i32 s0, s0, s1
	s_mul_hi_u32 s0, s1, s0
	s_add_i32 s1, s1, s0
	s_mul_hi_u32 s0, s53, s1
	s_mul_i32 s0, s0, s33
	s_sub_i32 s0, s53, s0
	s_sub_i32 s1, s0, s33
	s_cmp_ge_u32 s0, s33
	s_cselect_b32 s0, s1, s0
	s_sub_i32 s1, s0, s33
	s_cmp_ge_u32 s0, s33
	s_cselect_b32 s94, s1, s0
	s_mov_b64 s[0:1], s[94:95]
.LBB54_154:                             ;   in Loop: Header=BB54_33 Depth=1
	s_sub_u32 s34, s53, s0
	s_subb_u32 s35, s49, s1
	v_cmp_gt_i64_e32 vcc, s[34:35], v[0:1]
	s_mov_b64 s[8:9], 0
	s_mov_b64 s[0:1], 0
                                        ; implicit-def: $vgpr26
	s_and_saveexec_b64 s[28:29], vcc
	s_mov_b64 s[42:43], s[2:3]
	s_cbranch_execz .LBB54_166
; %bb.155:                              ;   in Loop: Header=BB54_33 Depth=1
	v_mov_b32_e32 v2, v10
	v_mov_b32_e32 v9, v1
	;; [unrolled: 1-line block ×4, first 2 shown]
                                        ; implicit-def: $sgpr36_sgpr37
	s_branch .LBB54_159
.LBB54_156:                             ;   in Loop: Header=BB54_159 Depth=2
	s_or_b64 exec, exec, s[38:39]
	s_waitcnt lgkmcnt(0)
	s_barrier
	ds_read_b64 v[25:26], v13 offset:3072
	s_waitcnt lgkmcnt(0)
	s_barrier
	v_cmp_neq_f32_e32 vcc, 0, v25
	s_cbranch_vccnz .LBB54_162
; %bb.157:                              ;   in Loop: Header=BB54_159 Depth=2
	v_add_co_u32_e32 v8, vcc, s33, v8
	v_addc_co_u32_e32 v9, vcc, 0, v9, vcc
	v_mov_b32_e32 v25, s89
	v_add_co_u32_e32 v2, vcc, s88, v2
	v_addc_co_u32_e32 v3, vcc, v3, v25, vcc
	v_cmp_le_i64_e32 vcc, s[34:35], v[8:9]
	s_mov_b64 s[38:39], 0
	s_orn2_b64 s[40:41], vcc, exec
.LBB54_158:                             ;   in Loop: Header=BB54_159 Depth=2
	s_and_b64 s[40:41], exec, s[40:41]
	s_or_b64 s[0:1], s[40:41], s[0:1]
	s_andn2_b64 s[36:37], s[36:37], exec
	s_and_b64 s[38:39], s[38:39], exec
	s_or_b64 s[36:37], s[36:37], s[38:39]
	s_andn2_b64 exec, exec, s[0:1]
	s_cbranch_execz .LBB54_165
.LBB54_159:                             ;   Parent Loop BB54_33 Depth=1
                                        ; =>  This Inner Loop Header: Depth=2
	v_cmp_gt_i64_e32 vcc, s[56:57], v[8:9]
	s_and_saveexec_b64 s[38:39], vcc
	s_cbranch_execz .LBB54_156
; %bb.160:                              ;   in Loop: Header=BB54_159 Depth=2
	global_load_dword v25, v[2:3], off
	s_waitcnt vmcnt(0)
	v_cmp_lt_i32_e32 vcc, -1, v25
	v_cndmask_b32_e32 v26, -1, v46, vcc
	v_xor_b32_e32 v26, v26, v25
	v_cmp_o_f32_e32 vcc, v25, v25
	v_cndmask_b32_e32 v26, -1, v26, vcc
	v_and_b32_e32 v26, v26, v47
	v_cmp_eq_u32_e32 vcc, v26, v44
	s_and_b64 exec, exec, vcc
	s_cbranch_execz .LBB54_156
; %bb.161:                              ;   in Loop: Header=BB54_159 Depth=2
	ds_write_b64 v13, v[24:25] offset:3072
	s_branch .LBB54_156
.LBB54_162:                             ;   in Loop: Header=BB54_159 Depth=2
	s_mov_b64 s[40:41], -1
                                        ; implicit-def: $vgpr8_vgpr9
                                        ; implicit-def: $vgpr2_vgpr3
	s_mov_b64 s[38:39], -1
	s_branch .LBB54_158
.LBB54_163:                             ;   in Loop: Header=BB54_33 Depth=1
                                        ; implicit-def: $sgpr8_sgpr9
	s_andn2_b64 vcc, exec, s[24:25]
	s_cbranch_vccz .LBB54_108
	s_branch .LBB54_109
.LBB54_164:                             ;   in Loop: Header=BB54_33 Depth=1
                                        ; implicit-def: $sgpr22_sgpr23
	s_branch .LBB54_123
.LBB54_165:                             ;   in Loop: Header=BB54_33 Depth=1
	s_or_b64 exec, exec, s[0:1]
	s_and_b64 s[0:1], s[36:37], exec
.LBB54_166:                             ;   in Loop: Header=BB54_33 Depth=1
	s_or_b64 exec, exec, s[28:29]
.LBB54_167:                             ;   in Loop: Header=BB54_33 Depth=1
	s_and_b64 vcc, exec, s[8:9]
	s_cbranch_vccz .LBB54_182
; %bb.168:                              ;   in Loop: Header=BB54_33 Depth=1
	v_readlane_b32 s2, v50, 44
	s_add_u32 s28, s30, s2
	v_readlane_b32 s2, v50, 45
	s_addc_u32 s7, s31, s2
	s_mov_b32 s6, s95
	s_cmp_lg_u64 s[6:7], 0
	s_cbranch_scc0 .LBB54_212
; %bb.169:                              ;   in Loop: Header=BB54_33 Depth=1
	s_add_u32 s8, s33, 0
	s_addc_u32 s9, 0, 0
	s_xor_b64 s[8:9], s[8:9], 0
	v_cvt_f32_u32_e32 v2, s8
	v_cvt_f32_u32_e32 v3, s9
	s_sub_u32 s6, 0, s8
	s_subb_u32 s29, 0, s9
	s_mov_b64 s[2:3], s[42:43]
	v_mac_f32_e32 v2, 0x4f800000, v3
	v_rcp_f32_e32 v2, v2
	v_mul_f32_e32 v2, 0x5f7ffffc, v2
	v_mul_f32_e32 v3, 0x2f800000, v2
	v_trunc_f32_e32 v3, v3
	v_mac_f32_e32 v2, 0xcf800000, v3
	v_cvt_u32_f32_e32 v3, v3
	v_cvt_u32_f32_e32 v2, v2
	v_readfirstlane_b32 s34, v3
	v_readfirstlane_b32 s22, v2
	s_mul_i32 s23, s6, s34
	s_mul_hi_u32 s36, s6, s22
	s_mul_i32 s35, s29, s22
	s_add_i32 s23, s36, s23
	s_mul_i32 s37, s6, s22
	s_add_i32 s23, s23, s35
	s_mul_i32 s36, s22, s23
	s_mul_hi_u32 s38, s22, s37
	s_mul_hi_u32 s35, s22, s23
	s_add_u32 s36, s38, s36
	s_addc_u32 s35, 0, s35
	s_mul_hi_u32 s39, s34, s37
	s_mul_i32 s37, s34, s37
	s_add_u32 s36, s36, s37
	s_mul_hi_u32 s38, s34, s23
	s_addc_u32 s35, s35, s39
	s_addc_u32 s36, s38, 0
	s_mul_i32 s23, s34, s23
	s_add_u32 s23, s35, s23
	s_addc_u32 s35, 0, s36
	s_add_u32 s36, s22, s23
	s_cselect_b64 s[22:23], -1, 0
	s_cmp_lg_u64 s[22:23], 0
	s_addc_u32 s34, s34, s35
	s_mul_i32 s22, s6, s34
	s_mul_hi_u32 s23, s6, s36
	s_add_i32 s22, s23, s22
	s_mul_i32 s29, s29, s36
	s_add_i32 s22, s22, s29
	s_mul_i32 s6, s6, s36
	s_mul_hi_u32 s29, s34, s6
	s_mul_i32 s35, s34, s6
	s_mul_i32 s38, s36, s22
	s_mul_hi_u32 s6, s36, s6
	s_mul_hi_u32 s37, s36, s22
	s_add_u32 s6, s6, s38
	s_addc_u32 s37, 0, s37
	s_add_u32 s6, s6, s35
	s_mul_hi_u32 s23, s34, s22
	s_addc_u32 s6, s37, s29
	s_addc_u32 s23, s23, 0
	s_mul_i32 s22, s34, s22
	s_add_u32 s6, s6, s22
	s_addc_u32 s29, 0, s23
	s_add_u32 s6, s36, s6
	s_cselect_b64 s[22:23], -1, 0
	s_cmp_lg_u64 s[22:23], 0
	s_addc_u32 s29, s34, s29
	s_ashr_i32 s22, s7, 31
	s_add_u32 s34, s28, s22
	s_mov_b32 s23, s22
	s_addc_u32 s35, s7, s22
	s_xor_b64 s[34:35], s[34:35], s[22:23]
	s_mul_i32 s37, s34, s29
	s_mul_hi_u32 s38, s34, s6
	s_mul_hi_u32 s36, s34, s29
	s_add_u32 s37, s38, s37
	s_addc_u32 s36, 0, s36
	s_mul_hi_u32 s39, s35, s6
	s_mul_i32 s6, s35, s6
	s_add_u32 s6, s37, s6
	s_mul_hi_u32 s38, s35, s29
	s_addc_u32 s6, s36, s39
	s_addc_u32 s36, s38, 0
	s_mul_i32 s29, s35, s29
	s_add_u32 s6, s6, s29
	s_addc_u32 s29, 0, s36
	s_mul_i32 s29, s8, s29
	s_mul_hi_u32 s36, s8, s6
	s_add_i32 s29, s36, s29
	s_mul_i32 s36, s9, s6
	s_add_i32 s29, s29, s36
	s_sub_i32 s38, s35, s29
	s_mul_i32 s6, s8, s6
	s_sub_u32 s6, s34, s6
	s_cselect_b64 s[36:37], -1, 0
	s_cmp_lg_u64 s[36:37], 0
	s_subb_u32 s34, s38, s9
	s_sub_u32 s40, s6, s8
	s_cselect_b64 s[38:39], -1, 0
	s_cmp_lg_u64 s[38:39], 0
	s_subb_u32 s41, s34, 0
	s_cmp_ge_u32 s41, s9
	s_cselect_b32 s42, -1, 0
	s_cmp_ge_u32 s40, s8
	s_cselect_b32 s43, -1, 0
	s_cmp_eq_u32 s41, s9
	s_cselect_b32 s42, s43, s42
	s_cmp_lg_u64 s[38:39], 0
	s_subb_u32 s34, s34, s9
	s_sub_u32 s43, s40, s8
	s_cselect_b64 s[38:39], -1, 0
	s_cmp_lg_u64 s[38:39], 0
	s_subb_u32 s34, s34, 0
	s_cmp_lg_u32 s42, 0
	s_cselect_b32 s38, s43, s40
	s_cselect_b32 s34, s34, s41
	s_cmp_lg_u64 s[36:37], 0
	s_subb_u32 s29, s35, s29
	s_cmp_ge_u32 s29, s9
	s_cselect_b32 s35, -1, 0
	s_cmp_ge_u32 s6, s8
	s_cselect_b32 s8, -1, 0
	s_cmp_eq_u32 s29, s9
	s_cselect_b32 s8, s8, s35
	s_cmp_lg_u32 s8, 0
	s_cselect_b32 s9, s34, s29
	s_cselect_b32 s8, s38, s6
	s_xor_b64 s[8:9], s[8:9], s[22:23]
	s_sub_u32 s8, s8, s22
	s_mov_b64 s[42:43], s[2:3]
	s_subb_u32 s9, s9, s22
	s_cbranch_execnz .LBB54_171
.LBB54_170:                             ;   in Loop: Header=BB54_33 Depth=1
	v_cvt_f32_u32_e32 v2, s33
	s_sub_i32 s6, 0, s33
	v_rcp_iflag_f32_e32 v2, v2
	v_mul_f32_e32 v2, 0x4f7ffffe, v2
	v_cvt_u32_f32_e32 v2, v2
	v_readfirstlane_b32 s8, v2
	s_mul_i32 s6, s6, s8
	s_mul_hi_u32 s6, s8, s6
	s_add_i32 s8, s8, s6
	s_mul_hi_u32 s6, s28, s8
	s_mul_i32 s6, s6, s33
	s_sub_i32 s6, s28, s6
	s_sub_i32 s8, s6, s33
	s_cmp_ge_u32 s6, s33
	s_cselect_b32 s6, s8, s6
	s_sub_i32 s8, s6, s33
	s_cmp_ge_u32 s6, s33
	s_cselect_b32 s94, s8, s6
	s_mov_b64 s[8:9], s[94:95]
.LBB54_171:                             ;   in Loop: Header=BB54_33 Depth=1
	s_sub_u32 s8, s28, s8
	s_subb_u32 s9, s7, s9
	v_cmp_gt_i64_e32 vcc, s[8:9], v[0:1]
                                        ; implicit-def: $vgpr26
	s_and_saveexec_b64 s[6:7], vcc
	s_cbranch_execz .LBB54_181
; %bb.172:                              ;   in Loop: Header=BB54_33 Depth=1
	v_mov_b32_e32 v3, v1
	s_mov_b64 s[22:23], 0
	v_mov_b32_e32 v8, v14
	v_mov_b32_e32 v2, v0
                                        ; implicit-def: $sgpr28_sgpr29
	s_branch .LBB54_176
.LBB54_173:                             ;   in Loop: Header=BB54_176 Depth=2
	s_or_b64 exec, exec, s[34:35]
	s_waitcnt lgkmcnt(0)
	s_barrier
	ds_read_b64 v[25:26], v13 offset:3072
	s_waitcnt lgkmcnt(0)
	s_barrier
	v_cmp_eq_f32_e32 vcc, 0, v25
	s_cbranch_vccz .LBB54_179
; %bb.174:                              ;   in Loop: Header=BB54_176 Depth=2
	v_add_co_u32_e32 v2, vcc, s33, v2
	v_addc_co_u32_e32 v3, vcc, 0, v3, vcc
	v_cmp_le_i64_e32 vcc, s[8:9], v[2:3]
	v_add_u32_e32 v8, s52, v8
	s_mov_b64 s[34:35], 0
	s_orn2_b64 s[36:37], vcc, exec
.LBB54_175:                             ;   in Loop: Header=BB54_176 Depth=2
	s_and_b64 s[36:37], exec, s[36:37]
	s_or_b64 s[22:23], s[36:37], s[22:23]
	s_andn2_b64 s[28:29], s[28:29], exec
	s_and_b64 s[34:35], s[34:35], exec
	s_or_b64 s[28:29], s[28:29], s[34:35]
	s_andn2_b64 exec, exec, s[22:23]
	s_cbranch_execz .LBB54_180
.LBB54_176:                             ;   Parent Loop BB54_33 Depth=1
                                        ; =>  This Inner Loop Header: Depth=2
	v_cmp_gt_u64_e32 vcc, s[30:31], v[2:3]
	s_and_saveexec_b64 s[34:35], vcc
	s_cbranch_execz .LBB54_173
; %bb.177:                              ;   in Loop: Header=BB54_176 Depth=2
	ds_read_b32 v25, v8
	s_waitcnt lgkmcnt(0)
	v_cmp_lt_i32_e32 vcc, -1, v25
	v_cndmask_b32_e32 v9, -1, v46, vcc
	v_xor_b32_e32 v9, v9, v25
	v_cmp_o_f32_e32 vcc, v25, v25
	v_cndmask_b32_e32 v9, -1, v9, vcc
	v_and_b32_e32 v9, v9, v47
	v_cmp_eq_u32_e32 vcc, v9, v44
	s_and_b64 exec, exec, vcc
	s_cbranch_execz .LBB54_173
; %bb.178:                              ;   in Loop: Header=BB54_176 Depth=2
	ds_write_b64 v13, v[24:25] offset:3072
	s_branch .LBB54_173
.LBB54_179:                             ;   in Loop: Header=BB54_176 Depth=2
	s_mov_b64 s[36:37], -1
                                        ; implicit-def: $vgpr2_vgpr3
                                        ; implicit-def: $vgpr8
	s_mov_b64 s[34:35], -1
	s_branch .LBB54_175
.LBB54_180:                             ;   in Loop: Header=BB54_33 Depth=1
	s_or_b64 exec, exec, s[22:23]
	s_andn2_b64 s[0:1], s[0:1], exec
	s_and_b64 s[8:9], s[28:29], exec
	s_or_b64 s[0:1], s[0:1], s[8:9]
.LBB54_181:                             ;   in Loop: Header=BB54_33 Depth=1
	s_or_b64 exec, exec, s[6:7]
	s_mov_b64 s[6:7], 0
	s_mov_b64 s[22:23], -1
.LBB54_182:                             ;   in Loop: Header=BB54_33 Depth=1
	s_orn2_b64 s[0:1], s[0:1], exec
.LBB54_183:                             ;   in Loop: Header=BB54_33 Depth=1
	s_or_b64 exec, exec, s[24:25]
	s_mov_b64 s[8:9], 0
	s_and_saveexec_b64 s[24:25], s[0:1]
	s_cbranch_execz .LBB54_293
; %bb.184:                              ;   in Loop: Header=BB54_33 Depth=1
	v_mov_b32_e32 v2, 1
	s_xor_b64 s[26:27], s[26:27], -1
	v_mov_b32_e32 v12, 1
	v_mov_b32_e32 v3, 0
	s_and_saveexec_b64 s[0:1], s[26:27]
	s_cbranch_execz .LBB54_194
; %bb.185:                              ;   in Loop: Header=BB54_33 Depth=1
	v_cmp_le_i64_e32 vcc, v[6:7], v[4:5]
	s_and_saveexec_b64 s[8:9], vcc
	s_xor_b64 s[8:9], exec, s[8:9]
	s_cbranch_execz .LBB54_191
; %bb.186:                              ;   in Loop: Header=BB54_33 Depth=1
	v_and_b32_e32 v2, s50, v44
	v_lshl_or_b32 v44, 1, s86, v2
	ds_read_b64 v[2:3], v13 offset:5120
	v_or_b32_e32 v47, s58, v47
	s_waitcnt lgkmcnt(0)
	v_cmp_ne_u64_e32 vcc, 0, v[2:3]
	s_cbranch_vccnz .LBB54_190
; %bb.187:                              ;   in Loop: Header=BB54_33 Depth=1
	s_mov_b64 s[26:27], exec
	v_readlane_b32 s28, v50, 32
	v_readlane_b32 s29, v50, 33
	s_and_b64 s[28:29], s[26:27], s[28:29]
	s_mov_b64 exec, s[28:29]
; %bb.188:                              ;   in Loop: Header=BB54_33 Depth=1
	ds_write_b64 v13, v[4:5] offset:5128
; %bb.189:                              ;   in Loop: Header=BB54_33 Depth=1
	s_or_b64 exec, exec, s[26:27]
	s_waitcnt lgkmcnt(0)
	s_barrier
.LBB54_190:                             ;   in Loop: Header=BB54_33 Depth=1
                                        ; implicit-def: $vgpr2_vgpr3_vgpr4_vgpr5
.LBB54_191:                             ;   in Loop: Header=BB54_33 Depth=1
	s_or_saveexec_b64 s[8:9], s[8:9]
	s_mov_b64 s[26:27], 0
	v_mov_b32_e32 v12, 8
	s_xor_b64 exec, exec, s[8:9]
; %bb.192:                              ;   in Loop: Header=BB54_33 Depth=1
	v_sub_co_u32_e32 v6, vcc, v6, v4
	v_subb_co_u32_e32 v7, vcc, v7, v5, vcc
	v_mov_b32_e32 v12, 0
	s_mov_b64 s[26:27], exec
; %bb.193:                              ;   in Loop: Header=BB54_33 Depth=1
	s_or_b64 exec, exec, s[8:9]
	v_mov_b32_e32 v2, v6
	s_and_b64 s[8:9], s[26:27], exec
	v_mov_b32_e32 v3, v7
.LBB54_194:                             ;   in Loop: Header=BB54_33 Depth=1
	s_or_b64 exec, exec, s[0:1]
	s_mov_b64 s[0:1], -1
                                        ; implicit-def: $sgpr30_sgpr31
                                        ; implicit-def: $sgpr34_sgpr35
	s_and_saveexec_b64 s[26:27], s[8:9]
	s_cbranch_execz .LBB54_292
; %bb.195:                              ;   in Loop: Header=BB54_33 Depth=1
	s_cmp_eq_u64 s[20:21], 1
	v_cmp_eq_u64_e32 vcc, 1, v[2:3]
	s_cselect_b64 s[0:1], -1, 0
	s_and_b64 s[38:39], s[0:1], vcc
	s_mov_b64 s[0:1], -1
                                        ; implicit-def: $sgpr34_sgpr35
                                        ; implicit-def: $sgpr30_sgpr31
	s_and_saveexec_b64 s[36:37], s[38:39]
	s_cbranch_execz .LBB54_231
; %bb.196:                              ;   in Loop: Header=BB54_33 Depth=1
	ds_read_b64 v[4:5], v13 offset:5120
	s_waitcnt lgkmcnt(0)
	s_barrier
	v_readfirstlane_b32 s40, v4
	v_readfirstlane_b32 s41, v5
	s_and_saveexec_b64 s[0:1], s[42:43]
; %bb.197:                              ;   in Loop: Header=BB54_33 Depth=1
	ds_write_b32 v45, v13
; %bb.198:                              ;   in Loop: Header=BB54_33 Depth=1
	s_or_b64 exec, exec, s[0:1]
	v_cmp_gt_i64_e64 s[0:1], s[40:41], 0
	v_and_b32_e32 v4, s50, v44
	v_lshl_or_b32 v44, 2, s86, v4
	v_or_b32_e32 v47, s58, v47
	s_mov_b64 s[30:31], -1
	s_mov_b64 s[34:35], 0
	s_and_b64 vcc, exec, s[0:1]
	s_mov_b64 s[0:1], 0
	s_mov_b64 s[8:9], -1
	s_waitcnt lgkmcnt(0)
	s_barrier
                                        ; implicit-def: $vgpr26
	s_cbranch_vccnz .LBB54_215
; %bb.199:                              ;   in Loop: Header=BB54_33 Depth=1
	s_mov_b32 s48, s95
	s_mov_b64 s[4:5], s[42:43]
	s_cmp_lg_u64 s[48:49], 0
	s_cbranch_scc0 .LBB54_258
; %bb.200:                              ;   in Loop: Header=BB54_33 Depth=1
	s_add_u32 s0, s33, 0
	s_addc_u32 s1, 0, 0
	s_xor_b64 s[0:1], s[0:1], 0
	v_cvt_f32_u32_e32 v4, s0
	v_cvt_f32_u32_e32 v5, s1
	s_sub_u32 s28, 0, s0
	s_subb_u32 s29, 0, s1
	s_mov_b32 s3, s49
	v_mac_f32_e32 v4, 0x4f800000, v5
	v_rcp_f32_e32 v4, v4
	v_mul_f32_e32 v4, 0x5f7ffffc, v4
	v_mul_f32_e32 v5, 0x2f800000, v4
	v_trunc_f32_e32 v5, v5
	v_mac_f32_e32 v4, 0xcf800000, v5
	v_cvt_u32_f32_e32 v5, v5
	v_cvt_u32_f32_e32 v4, v4
	v_readfirstlane_b32 s42, v5
	v_readfirstlane_b32 s8, v4
	s_mul_i32 s9, s28, s42
	s_mul_hi_u32 s44, s28, s8
	s_mul_i32 s43, s29, s8
	s_add_i32 s9, s44, s9
	s_mul_i32 s45, s28, s8
	s_add_i32 s9, s9, s43
	s_mul_i32 s44, s8, s9
	s_mul_hi_u32 s46, s8, s45
	s_mul_hi_u32 s43, s8, s9
	s_add_u32 s44, s46, s44
	s_addc_u32 s43, 0, s43
	s_mul_hi_u32 s47, s42, s45
	s_mul_i32 s45, s42, s45
	s_add_u32 s44, s44, s45
	s_mul_hi_u32 s46, s42, s9
	s_addc_u32 s43, s43, s47
	s_addc_u32 s44, s46, 0
	s_mul_i32 s9, s42, s9
	s_add_u32 s9, s43, s9
	s_addc_u32 s43, 0, s44
	s_add_u32 s44, s8, s9
	s_cselect_b64 s[8:9], -1, 0
	s_cmp_lg_u64 s[8:9], 0
	s_addc_u32 s42, s42, s43
	s_mul_i32 s8, s28, s42
	s_mul_hi_u32 s9, s28, s44
	s_add_i32 s8, s9, s8
	s_mul_i32 s29, s29, s44
	s_add_i32 s8, s8, s29
	s_mul_i32 s28, s28, s44
	s_mul_hi_u32 s29, s42, s28
	s_mul_i32 s43, s42, s28
	s_mul_i32 s46, s44, s8
	s_mul_hi_u32 s28, s44, s28
	s_mul_hi_u32 s45, s44, s8
	s_add_u32 s28, s28, s46
	s_addc_u32 s45, 0, s45
	s_add_u32 s28, s28, s43
	s_mul_hi_u32 s9, s42, s8
	s_addc_u32 s28, s45, s29
	s_addc_u32 s9, s9, 0
	s_mul_i32 s8, s42, s8
	s_add_u32 s8, s28, s8
	s_addc_u32 s28, 0, s9
	s_add_u32 s43, s44, s8
	s_cselect_b64 s[8:9], -1, 0
	s_cmp_lg_u64 s[8:9], 0
	s_addc_u32 s42, s42, s28
	s_ashr_i32 s8, s49, 31
	s_add_u32 s28, s53, s8
	s_mov_b32 s9, s8
	s_addc_u32 s29, s49, s8
	s_xor_b64 s[28:29], s[28:29], s[8:9]
	s_mul_i32 s45, s28, s42
	s_mul_hi_u32 s46, s28, s43
	s_mul_hi_u32 s44, s28, s42
	s_add_u32 s45, s46, s45
	s_addc_u32 s44, 0, s44
	s_mul_hi_u32 s47, s29, s43
	s_mul_i32 s43, s29, s43
	s_add_u32 s43, s45, s43
	s_mul_hi_u32 s46, s29, s42
	s_addc_u32 s43, s44, s47
	s_addc_u32 s44, s46, 0
	s_mul_i32 s42, s29, s42
	s_add_u32 s42, s43, s42
	s_addc_u32 s43, 0, s44
	s_mul_i32 s43, s0, s43
	s_mul_hi_u32 s44, s0, s42
	s_add_i32 s43, s44, s43
	s_mul_i32 s44, s1, s42
	s_add_i32 s46, s43, s44
	s_sub_i32 s44, s29, s46
	s_mul_i32 s42, s0, s42
	s_sub_u32 s28, s28, s42
	s_cselect_b64 s[42:43], -1, 0
	s_cmp_lg_u64 s[42:43], 0
	s_subb_u32 s47, s44, s1
	s_sub_u32 s48, s28, s0
	s_cselect_b64 s[44:45], -1, 0
	s_cmp_lg_u64 s[44:45], 0
	s_subb_u32 s49, s47, 0
	s_cmp_ge_u32 s49, s1
	s_cselect_b32 s51, -1, 0
	s_cmp_ge_u32 s48, s0
	s_cselect_b32 s52, -1, 0
	s_cmp_eq_u32 s49, s1
	s_cselect_b32 s51, s52, s51
	s_cmp_lg_u64 s[44:45], 0
	s_subb_u32 s47, s47, s1
	s_sub_u32 s52, s48, s0
	s_cselect_b64 s[44:45], -1, 0
	s_cmp_lg_u64 s[44:45], 0
	s_subb_u32 s44, s47, 0
	s_cmp_lg_u32 s51, 0
	s_cselect_b32 s45, s52, s48
	s_cselect_b32 s44, s44, s49
	s_cmp_lg_u64 s[42:43], 0
	s_subb_u32 s29, s29, s46
	s_cmp_ge_u32 s29, s1
	s_cselect_b32 s42, -1, 0
	s_cmp_ge_u32 s28, s0
	s_cselect_b32 s0, -1, 0
	s_cmp_eq_u32 s29, s1
	s_cselect_b32 s0, s0, s42
	s_cmp_lg_u32 s0, 0
	s_cselect_b32 s1, s44, s29
	s_cselect_b32 s0, s45, s28
	s_xor_b64 s[0:1], s[0:1], s[8:9]
	s_sub_u32 s0, s0, s8
	s_subb_u32 s1, s1, s8
	s_cbranch_execnz .LBB54_202
.LBB54_201:                             ;   in Loop: Header=BB54_33 Depth=1
	v_cvt_f32_u32_e32 v4, s33
	s_sub_i32 s0, 0, s33
	v_rcp_iflag_f32_e32 v4, v4
	v_mul_f32_e32 v4, 0x4f7ffffe, v4
	v_cvt_u32_f32_e32 v4, v4
	v_readfirstlane_b32 s1, v4
	s_mul_i32 s0, s0, s1
	s_mul_hi_u32 s0, s1, s0
	s_add_i32 s1, s1, s0
	s_mul_hi_u32 s0, s53, s1
	s_mul_i32 s0, s0, s33
	s_sub_i32 s0, s53, s0
	s_sub_i32 s1, s0, s33
	s_cmp_ge_u32 s0, s33
	s_cselect_b32 s0, s1, s0
	s_sub_i32 s1, s0, s33
	s_cmp_ge_u32 s0, s33
	s_cselect_b32 s94, s1, s0
	s_mov_b64 s[0:1], s[94:95]
.LBB54_202:                             ;   in Loop: Header=BB54_33 Depth=1
	s_sub_u32 s42, s53, s0
	s_subb_u32 s43, s3, s1
	v_cmp_gt_i64_e32 vcc, s[42:43], v[0:1]
	s_mov_b32 s49, s3
	s_mov_b64 s[8:9], 0
	s_mov_b64 s[0:1], 0
                                        ; implicit-def: $vgpr26
	s_and_saveexec_b64 s[28:29], vcc
	v_readlane_b32 s52, v50, 54
	s_cbranch_execz .LBB54_214
; %bb.203:                              ;   in Loop: Header=BB54_33 Depth=1
	v_mov_b32_e32 v4, v10
	v_mov_b32_e32 v7, v1
	s_mov_b32 s3, s49
	v_mov_b32_e32 v5, v11
	v_mov_b32_e32 v6, v0
                                        ; implicit-def: $sgpr44_sgpr45
	s_branch .LBB54_207
.LBB54_204:                             ;   in Loop: Header=BB54_207 Depth=2
	s_or_b64 exec, exec, s[46:47]
	s_waitcnt lgkmcnt(0)
	s_barrier
	ds_read_b64 v[25:26], v13 offset:3072
	s_waitcnt lgkmcnt(0)
	s_barrier
	v_cmp_neq_f32_e32 vcc, 0, v25
	s_cbranch_vccnz .LBB54_210
; %bb.205:                              ;   in Loop: Header=BB54_207 Depth=2
	v_add_co_u32_e32 v6, vcc, s33, v6
	v_addc_co_u32_e32 v7, vcc, 0, v7, vcc
	v_mov_b32_e32 v8, s89
	v_add_co_u32_e32 v4, vcc, s88, v4
	v_addc_co_u32_e32 v5, vcc, v5, v8, vcc
	v_cmp_le_i64_e32 vcc, s[42:43], v[6:7]
	s_mov_b64 s[46:47], 0
	s_orn2_b64 s[48:49], vcc, exec
.LBB54_206:                             ;   in Loop: Header=BB54_207 Depth=2
	s_and_b64 s[48:49], exec, s[48:49]
	s_or_b64 s[0:1], s[48:49], s[0:1]
	s_andn2_b64 s[44:45], s[44:45], exec
	s_and_b64 s[46:47], s[46:47], exec
	s_or_b64 s[44:45], s[44:45], s[46:47]
	s_andn2_b64 exec, exec, s[0:1]
	s_cbranch_execz .LBB54_213
.LBB54_207:                             ;   Parent Loop BB54_33 Depth=1
                                        ; =>  This Inner Loop Header: Depth=2
	v_cmp_gt_i64_e32 vcc, s[56:57], v[6:7]
	s_and_saveexec_b64 s[46:47], vcc
	s_cbranch_execz .LBB54_204
; %bb.208:                              ;   in Loop: Header=BB54_207 Depth=2
	global_load_dword v25, v[4:5], off
	s_waitcnt vmcnt(0)
	v_cmp_lt_i32_e32 vcc, -1, v25
	v_cndmask_b32_e32 v8, -1, v46, vcc
	v_xor_b32_e32 v8, v8, v25
	v_cmp_o_f32_e32 vcc, v25, v25
	v_cndmask_b32_e32 v8, -1, v8, vcc
	v_and_b32_e32 v8, v8, v47
	v_cmp_eq_u32_e32 vcc, v8, v44
	s_and_b64 exec, exec, vcc
	s_cbranch_execz .LBB54_204
; %bb.209:                              ;   in Loop: Header=BB54_207 Depth=2
	ds_write_b64 v13, v[24:25] offset:3072
	s_branch .LBB54_204
.LBB54_210:                             ;   in Loop: Header=BB54_207 Depth=2
	s_mov_b64 s[48:49], -1
                                        ; implicit-def: $vgpr6_vgpr7
                                        ; implicit-def: $vgpr4_vgpr5
	s_mov_b64 s[46:47], -1
	s_branch .LBB54_206
.LBB54_211:                             ;   in Loop: Header=BB54_33 Depth=1
                                        ; implicit-def: $sgpr0_sgpr1
	s_andn2_b64 vcc, exec, s[8:9]
	s_cbranch_vccz .LBB54_153
	s_branch .LBB54_154
.LBB54_212:                             ;   in Loop: Header=BB54_33 Depth=1
                                        ; implicit-def: $sgpr8_sgpr9
	s_branch .LBB54_170
.LBB54_213:                             ;   in Loop: Header=BB54_33 Depth=1
	s_or_b64 exec, exec, s[0:1]
	s_and_b64 s[0:1], s[44:45], exec
	s_mov_b32 s49, s3
.LBB54_214:                             ;   in Loop: Header=BB54_33 Depth=1
	s_or_b64 exec, exec, s[28:29]
	s_mov_b64 s[42:43], s[4:5]
.LBB54_215:                             ;   in Loop: Header=BB54_33 Depth=1
	s_and_b64 vcc, exec, s[8:9]
	s_cbranch_vccz .LBB54_230
; %bb.216:                              ;   in Loop: Header=BB54_33 Depth=1
	v_readlane_b32 s2, v50, 44
	s_add_u32 s34, s40, s2
	v_readlane_b32 s2, v50, 45
	s_addc_u32 s9, s41, s2
	s_mov_b32 s8, s95
	s_mov_b32 s3, s49
	s_cmp_lg_u64 s[8:9], 0
	s_cbranch_scc0 .LBB54_259
; %bb.217:                              ;   in Loop: Header=BB54_33 Depth=1
	s_add_u32 s28, s33, 0
	s_addc_u32 s29, 0, 0
	s_xor_b64 s[28:29], s[28:29], 0
	v_cvt_f32_u32_e32 v4, s28
	v_cvt_f32_u32_e32 v5, s29
	s_sub_u32 s8, 0, s28
	s_mov_b64 s[4:5], s[42:43]
	s_subb_u32 s35, 0, s29
	v_mac_f32_e32 v4, 0x4f800000, v5
	v_rcp_f32_e32 v4, v4
	v_mul_f32_e32 v4, 0x5f7ffffc, v4
	v_mul_f32_e32 v5, 0x2f800000, v4
	v_trunc_f32_e32 v5, v5
	v_mac_f32_e32 v4, 0xcf800000, v5
	v_cvt_u32_f32_e32 v5, v5
	v_cvt_u32_f32_e32 v4, v4
	v_readfirstlane_b32 s42, v5
	v_readfirstlane_b32 s30, v4
	s_mul_i32 s31, s8, s42
	s_mul_hi_u32 s44, s8, s30
	s_mul_i32 s43, s35, s30
	s_add_i32 s31, s44, s31
	s_mul_i32 s45, s8, s30
	s_add_i32 s31, s31, s43
	s_mul_i32 s44, s30, s31
	s_mul_hi_u32 s46, s30, s45
	s_mul_hi_u32 s43, s30, s31
	s_add_u32 s44, s46, s44
	s_addc_u32 s43, 0, s43
	s_mul_hi_u32 s47, s42, s45
	s_mul_i32 s45, s42, s45
	s_add_u32 s44, s44, s45
	s_mul_hi_u32 s46, s42, s31
	s_addc_u32 s43, s43, s47
	s_addc_u32 s44, s46, 0
	s_mul_i32 s31, s42, s31
	s_add_u32 s31, s43, s31
	s_addc_u32 s43, 0, s44
	s_add_u32 s44, s30, s31
	s_cselect_b64 s[30:31], -1, 0
	s_cmp_lg_u64 s[30:31], 0
	s_addc_u32 s42, s42, s43
	s_mul_i32 s30, s8, s42
	s_mul_hi_u32 s31, s8, s44
	s_add_i32 s30, s31, s30
	s_mul_i32 s35, s35, s44
	s_add_i32 s30, s30, s35
	s_mul_i32 s8, s8, s44
	s_mul_hi_u32 s35, s42, s8
	s_mul_i32 s43, s42, s8
	s_mul_i32 s46, s44, s30
	s_mul_hi_u32 s8, s44, s8
	s_mul_hi_u32 s45, s44, s30
	s_add_u32 s8, s8, s46
	s_addc_u32 s45, 0, s45
	s_add_u32 s8, s8, s43
	s_mul_hi_u32 s31, s42, s30
	s_addc_u32 s8, s45, s35
	s_addc_u32 s31, s31, 0
	s_mul_i32 s30, s42, s30
	s_add_u32 s8, s8, s30
	s_addc_u32 s35, 0, s31
	s_add_u32 s8, s44, s8
	s_cselect_b64 s[30:31], -1, 0
	s_cmp_lg_u64 s[30:31], 0
	s_addc_u32 s35, s42, s35
	s_ashr_i32 s30, s9, 31
	s_add_u32 s42, s34, s30
	s_mov_b32 s31, s30
	s_addc_u32 s43, s9, s30
	s_xor_b64 s[42:43], s[42:43], s[30:31]
	s_mul_i32 s45, s42, s35
	s_mul_hi_u32 s46, s42, s8
	s_mul_hi_u32 s44, s42, s35
	s_add_u32 s45, s46, s45
	s_addc_u32 s44, 0, s44
	s_mul_hi_u32 s47, s43, s8
	s_mul_i32 s8, s43, s8
	s_add_u32 s8, s45, s8
	s_mul_hi_u32 s46, s43, s35
	s_addc_u32 s8, s44, s47
	s_addc_u32 s44, s46, 0
	s_mul_i32 s35, s43, s35
	s_add_u32 s8, s8, s35
	s_addc_u32 s35, 0, s44
	s_mul_i32 s35, s28, s35
	s_mul_hi_u32 s44, s28, s8
	s_add_i32 s35, s44, s35
	s_mul_i32 s44, s29, s8
	s_add_i32 s35, s35, s44
	s_sub_i32 s46, s43, s35
	s_mul_i32 s8, s28, s8
	s_sub_u32 s8, s42, s8
	s_cselect_b64 s[44:45], -1, 0
	s_cmp_lg_u64 s[44:45], 0
	s_subb_u32 s42, s46, s29
	s_sub_u32 s48, s8, s28
	s_cselect_b64 s[46:47], -1, 0
	s_cmp_lg_u64 s[46:47], 0
	s_subb_u32 s49, s42, 0
	s_cmp_ge_u32 s49, s29
	s_cselect_b32 s51, -1, 0
	s_cmp_ge_u32 s48, s28
	s_cselect_b32 s52, -1, 0
	s_cmp_eq_u32 s49, s29
	s_cselect_b32 s51, s52, s51
	s_cmp_lg_u64 s[46:47], 0
	s_subb_u32 s42, s42, s29
	s_sub_u32 s52, s48, s28
	s_cselect_b64 s[46:47], -1, 0
	s_cmp_lg_u64 s[46:47], 0
	s_subb_u32 s42, s42, 0
	s_cmp_lg_u32 s51, 0
	s_cselect_b32 s46, s52, s48
	s_cselect_b32 s42, s42, s49
	s_cmp_lg_u64 s[44:45], 0
	s_subb_u32 s35, s43, s35
	s_cmp_ge_u32 s35, s29
	s_cselect_b32 s43, -1, 0
	s_cmp_ge_u32 s8, s28
	s_cselect_b32 s28, -1, 0
	s_cmp_eq_u32 s35, s29
	s_cselect_b32 s28, s28, s43
	s_cmp_lg_u32 s28, 0
	s_cselect_b32 s29, s42, s35
	s_cselect_b32 s28, s46, s8
	s_xor_b64 s[28:29], s[28:29], s[30:31]
	s_sub_u32 s28, s28, s30
	v_readlane_b32 s52, v50, 54
	s_mov_b64 s[42:43], s[4:5]
	s_subb_u32 s29, s29, s30
	s_cbranch_execnz .LBB54_219
.LBB54_218:                             ;   in Loop: Header=BB54_33 Depth=1
	v_cvt_f32_u32_e32 v4, s33
	s_sub_i32 s8, 0, s33
	v_rcp_iflag_f32_e32 v4, v4
	v_mul_f32_e32 v4, 0x4f7ffffe, v4
	v_cvt_u32_f32_e32 v4, v4
	v_readfirstlane_b32 s28, v4
	s_mul_i32 s8, s8, s28
	s_mul_hi_u32 s8, s28, s8
	s_add_i32 s28, s28, s8
	s_mul_hi_u32 s8, s34, s28
	s_mul_i32 s8, s8, s33
	s_sub_i32 s8, s34, s8
	s_sub_i32 s28, s8, s33
	s_cmp_ge_u32 s8, s33
	s_cselect_b32 s8, s28, s8
	s_sub_i32 s28, s8, s33
	s_cmp_ge_u32 s8, s33
	s_cselect_b32 s94, s28, s8
	s_mov_b64 s[28:29], s[94:95]
.LBB54_219:                             ;   in Loop: Header=BB54_33 Depth=1
	s_sub_u32 s28, s34, s28
	s_subb_u32 s29, s9, s29
	v_cmp_gt_i64_e32 vcc, s[28:29], v[0:1]
                                        ; implicit-def: $vgpr26
	s_and_saveexec_b64 s[8:9], vcc
	s_mov_b32 s49, s3
	s_cbranch_execz .LBB54_229
; %bb.220:                              ;   in Loop: Header=BB54_33 Depth=1
	v_mov_b32_e32 v5, v1
	s_mov_b64 s[2:3], s[42:43]
	s_mov_b64 s[30:31], 0
	v_mov_b32_e32 v6, v14
	v_mov_b32_e32 v4, v0
                                        ; implicit-def: $sgpr34_sgpr35
	s_branch .LBB54_224
.LBB54_221:                             ;   in Loop: Header=BB54_224 Depth=2
	s_or_b64 exec, exec, s[42:43]
	s_waitcnt lgkmcnt(0)
	s_barrier
	ds_read_b64 v[25:26], v13 offset:3072
	s_waitcnt lgkmcnt(0)
	s_barrier
	v_cmp_eq_f32_e32 vcc, 0, v25
	s_cbranch_vccz .LBB54_227
; %bb.222:                              ;   in Loop: Header=BB54_224 Depth=2
	v_add_co_u32_e32 v4, vcc, s33, v4
	v_addc_co_u32_e32 v5, vcc, 0, v5, vcc
	v_cmp_le_i64_e32 vcc, s[28:29], v[4:5]
	v_add_u32_e32 v6, s52, v6
	s_mov_b64 s[42:43], 0
	s_orn2_b64 s[44:45], vcc, exec
.LBB54_223:                             ;   in Loop: Header=BB54_224 Depth=2
	s_and_b64 s[44:45], exec, s[44:45]
	s_or_b64 s[30:31], s[44:45], s[30:31]
	s_andn2_b64 s[34:35], s[34:35], exec
	s_and_b64 s[42:43], s[42:43], exec
	s_or_b64 s[34:35], s[34:35], s[42:43]
	s_andn2_b64 exec, exec, s[30:31]
	s_cbranch_execz .LBB54_228
.LBB54_224:                             ;   Parent Loop BB54_33 Depth=1
                                        ; =>  This Inner Loop Header: Depth=2
	v_cmp_gt_u64_e32 vcc, s[40:41], v[4:5]
	s_and_saveexec_b64 s[42:43], vcc
	s_cbranch_execz .LBB54_221
; %bb.225:                              ;   in Loop: Header=BB54_224 Depth=2
	ds_read_b32 v25, v6
	s_waitcnt lgkmcnt(0)
	v_cmp_lt_i32_e32 vcc, -1, v25
	v_cndmask_b32_e32 v7, -1, v46, vcc
	v_xor_b32_e32 v7, v7, v25
	v_cmp_o_f32_e32 vcc, v25, v25
	v_cndmask_b32_e32 v7, -1, v7, vcc
	v_and_b32_e32 v7, v7, v47
	v_cmp_eq_u32_e32 vcc, v7, v44
	s_and_b64 exec, exec, vcc
	s_cbranch_execz .LBB54_221
; %bb.226:                              ;   in Loop: Header=BB54_224 Depth=2
	ds_write_b64 v13, v[24:25] offset:3072
	s_branch .LBB54_221
.LBB54_227:                             ;   in Loop: Header=BB54_224 Depth=2
	s_mov_b64 s[44:45], -1
                                        ; implicit-def: $vgpr4_vgpr5
                                        ; implicit-def: $vgpr6
	s_mov_b64 s[42:43], -1
	s_branch .LBB54_223
.LBB54_228:                             ;   in Loop: Header=BB54_33 Depth=1
	s_or_b64 exec, exec, s[30:31]
	s_andn2_b64 s[0:1], s[0:1], exec
	s_and_b64 s[28:29], s[34:35], exec
	s_or_b64 s[0:1], s[0:1], s[28:29]
	s_mov_b64 s[42:43], s[2:3]
.LBB54_229:                             ;   in Loop: Header=BB54_33 Depth=1
	s_or_b64 exec, exec, s[8:9]
	s_mov_b64 s[30:31], 0
	s_mov_b64 s[34:35], -1
.LBB54_230:                             ;   in Loop: Header=BB54_33 Depth=1
	s_orn2_b64 s[0:1], s[0:1], exec
.LBB54_231:                             ;   in Loop: Header=BB54_33 Depth=1
	s_or_b64 exec, exec, s[36:37]
	s_mov_b64 s[8:9], 0
	s_and_saveexec_b64 s[36:37], s[0:1]
	s_cbranch_execz .LBB54_291
; %bb.232:                              ;   in Loop: Header=BB54_33 Depth=1
	v_mov_b32_e32 v4, 1
	s_xor_b64 s[28:29], s[38:39], -1
	v_mov_b32_e32 v12, 1
	v_mov_b32_e32 v5, 0
	s_and_saveexec_b64 s[0:1], s[28:29]
	s_cbranch_execz .LBB54_241
; %bb.233:                              ;   in Loop: Header=BB54_33 Depth=1
	v_cmp_ge_i64_e32 vcc, s[20:21], v[2:3]
	s_and_saveexec_b64 s[8:9], vcc
	s_xor_b64 s[8:9], exec, s[8:9]
	s_cbranch_execz .LBB54_238
; %bb.234:                              ;   in Loop: Header=BB54_33 Depth=1
	v_and_b32_e32 v4, s50, v44
	v_lshl_or_b32 v44, 2, s86, v4
	ds_read_b64 v[4:5], v13 offset:5120
	v_or_b32_e32 v47, s58, v47
	s_waitcnt lgkmcnt(0)
	v_cmp_ne_u64_e32 vcc, 0, v[4:5]
	s_cbranch_vccnz .LBB54_238
; %bb.235:                              ;   in Loop: Header=BB54_33 Depth=1
	s_mov_b64 s[28:29], exec
	v_readlane_b32 s38, v50, 32
	v_readlane_b32 s39, v50, 33
	s_and_b64 s[38:39], s[28:29], s[38:39]
	s_mov_b64 exec, s[38:39]
; %bb.236:                              ;   in Loop: Header=BB54_33 Depth=1
	v_mov_b32_e32 v4, s20
	v_mov_b32_e32 v5, s21
	ds_write_b64 v13, v[4:5] offset:5128
; %bb.237:                              ;   in Loop: Header=BB54_33 Depth=1
	s_or_b64 exec, exec, s[28:29]
	s_waitcnt lgkmcnt(0)
	s_barrier
.LBB54_238:                             ;   in Loop: Header=BB54_33 Depth=1
	s_or_saveexec_b64 s[8:9], s[8:9]
	s_mov_b64 s[28:29], 0
	v_mov_b32_e32 v12, 8
	s_xor_b64 exec, exec, s[8:9]
; %bb.239:                              ;   in Loop: Header=BB54_33 Depth=1
	v_subrev_co_u32_e32 v2, vcc, s20, v2
	v_mov_b32_e32 v4, s21
	v_subb_co_u32_e32 v3, vcc, v3, v4, vcc
	v_mov_b32_e32 v12, 0
	s_mov_b64 s[28:29], exec
; %bb.240:                              ;   in Loop: Header=BB54_33 Depth=1
	s_or_b64 exec, exec, s[8:9]
	v_mov_b32_e32 v5, v3
	s_and_b64 s[8:9], s[28:29], exec
	v_mov_b32_e32 v4, v2
.LBB54_241:                             ;   in Loop: Header=BB54_33 Depth=1
	s_or_b64 exec, exec, s[0:1]
	s_mov_b64 s[0:1], -1
                                        ; implicit-def: $sgpr46_sgpr47
                                        ; implicit-def: $sgpr44_sgpr45
	s_and_saveexec_b64 s[20:21], s[8:9]
	s_cbranch_execz .LBB54_290
; %bb.242:                              ;   in Loop: Header=BB54_33 Depth=1
	s_cmp_eq_u64 s[12:13], 1
	v_cmp_eq_u64_e32 vcc, 1, v[4:5]
	s_cselect_b64 s[0:1], -1, 0
	s_and_b64 s[38:39], s[0:1], vcc
	s_mov_b64 s[8:9], -1
                                        ; implicit-def: $sgpr46_sgpr47
                                        ; implicit-def: $sgpr44_sgpr45
	s_and_saveexec_b64 s[40:41], s[38:39]
	s_cbranch_execz .LBB54_278
; %bb.243:                              ;   in Loop: Header=BB54_33 Depth=1
	ds_read_b64 v[2:3], v13 offset:5120
	s_mov_b64 s[2:3], s[42:43]
	s_mov_b64 s[4:5], s[2:3]
	s_waitcnt lgkmcnt(0)
	s_barrier
	v_readfirstlane_b32 s42, v2
	v_readfirstlane_b32 s43, v3
	s_and_saveexec_b64 s[0:1], s[2:3]
; %bb.244:                              ;   in Loop: Header=BB54_33 Depth=1
	ds_write_b32 v45, v13
; %bb.245:                              ;   in Loop: Header=BB54_33 Depth=1
	s_or_b64 exec, exec, s[0:1]
	v_cmp_gt_i64_e64 s[0:1], s[42:43], 0
	v_or_b32_e32 v44, s58, v44
	v_or_b32_e32 v47, s58, v47
	s_mov_b64 s[44:45], -1
	s_mov_b64 s[46:47], 0
	s_and_b64 vcc, exec, s[0:1]
	s_mov_b64 s[0:1], 0
	s_waitcnt lgkmcnt(0)
	s_barrier
                                        ; implicit-def: $vgpr26
	s_cbranch_vccnz .LBB54_262
; %bb.246:                              ;   in Loop: Header=BB54_33 Depth=1
	s_mov_b32 s48, s95
	s_cmp_lg_u64 s[48:49], 0
	s_mov_b32 s55, s49
	s_cbranch_scc0 .LBB54_297
; %bb.247:                              ;   in Loop: Header=BB54_33 Depth=1
	s_add_u32 s0, s33, 0
	s_addc_u32 s1, 0, 0
	s_xor_b64 s[0:1], s[0:1], 0
	v_cvt_f32_u32_e32 v2, s0
	v_cvt_f32_u32_e32 v3, s1
	s_sub_u32 s28, 0, s0
	s_subb_u32 s29, 0, s1
	v_readlane_b32 s2, v50, 53
	v_mac_f32_e32 v2, 0x4f800000, v3
	v_rcp_f32_e32 v2, v2
	s_mov_b32 s3, s55
	v_mul_f32_e32 v2, 0x5f7ffffc, v2
	v_mul_f32_e32 v3, 0x2f800000, v2
	v_trunc_f32_e32 v3, v3
	v_mac_f32_e32 v2, 0xcf800000, v3
	v_cvt_u32_f32_e32 v3, v3
	v_cvt_u32_f32_e32 v2, v2
	v_readfirstlane_b32 s48, v3
	v_readfirstlane_b32 s8, v2
	s_mul_i32 s9, s28, s48
	s_mul_hi_u32 s50, s28, s8
	s_mul_i32 s49, s29, s8
	s_add_i32 s9, s50, s9
	s_mul_i32 s51, s28, s8
	s_add_i32 s9, s9, s49
	s_mul_i32 s50, s8, s9
	s_mul_hi_u32 s52, s8, s51
	s_mul_hi_u32 s49, s8, s9
	s_add_u32 s50, s52, s50
	s_addc_u32 s49, 0, s49
	s_mul_hi_u32 s53, s48, s51
	s_mul_i32 s51, s48, s51
	s_add_u32 s50, s50, s51
	s_mul_hi_u32 s52, s48, s9
	s_addc_u32 s49, s49, s53
	s_addc_u32 s50, s52, 0
	s_mul_i32 s9, s48, s9
	s_add_u32 s9, s49, s9
	s_addc_u32 s49, 0, s50
	s_add_u32 s50, s8, s9
	s_cselect_b64 s[8:9], -1, 0
	s_cmp_lg_u64 s[8:9], 0
	s_addc_u32 s48, s48, s49
	s_mul_i32 s8, s28, s48
	s_mul_hi_u32 s9, s28, s50
	s_add_i32 s8, s9, s8
	s_mul_i32 s29, s29, s50
	s_add_i32 s8, s8, s29
	s_mul_i32 s28, s28, s50
	s_mul_hi_u32 s29, s48, s28
	s_mul_i32 s49, s48, s28
	s_mul_i32 s52, s50, s8
	s_mul_hi_u32 s28, s50, s28
	s_mul_hi_u32 s51, s50, s8
	s_add_u32 s28, s28, s52
	s_addc_u32 s51, 0, s51
	s_add_u32 s28, s28, s49
	s_mul_hi_u32 s9, s48, s8
	s_addc_u32 s28, s51, s29
	s_addc_u32 s9, s9, 0
	s_mul_i32 s8, s48, s8
	s_add_u32 s8, s28, s8
	s_addc_u32 s28, 0, s9
	s_add_u32 s49, s50, s8
	s_cselect_b64 s[8:9], -1, 0
	s_cmp_lg_u64 s[8:9], 0
	s_addc_u32 s48, s48, s28
	s_ashr_i32 s8, s55, 31
	s_add_u32 s28, s2, s8
	s_mov_b32 s9, s8
	s_addc_u32 s29, s55, s8
	s_xor_b64 s[28:29], s[28:29], s[8:9]
	s_mul_i32 s51, s28, s48
	s_mul_hi_u32 s52, s28, s49
	s_mul_hi_u32 s50, s28, s48
	s_add_u32 s51, s52, s51
	s_addc_u32 s50, 0, s50
	s_mul_hi_u32 s53, s29, s49
	s_mul_i32 s49, s29, s49
	s_add_u32 s49, s51, s49
	s_mul_hi_u32 s52, s29, s48
	s_addc_u32 s49, s50, s53
	s_addc_u32 s50, s52, 0
	s_mul_i32 s48, s29, s48
	s_add_u32 s48, s49, s48
	s_addc_u32 s49, 0, s50
	s_mul_i32 s49, s0, s49
	s_mul_hi_u32 s50, s0, s48
	s_add_i32 s49, s50, s49
	s_mul_i32 s50, s1, s48
	s_add_i32 s52, s49, s50
	s_sub_i32 s50, s29, s52
	s_mul_i32 s48, s0, s48
	s_sub_u32 s28, s28, s48
	s_cselect_b64 s[48:49], -1, 0
	s_cmp_lg_u64 s[48:49], 0
	s_subb_u32 s53, s50, s1
	s_sub_u32 s54, s28, s0
	s_cselect_b64 s[50:51], -1, 0
	s_cmp_lg_u64 s[50:51], 0
	s_subb_u32 s55, s53, 0
	s_cmp_ge_u32 s55, s1
	s_cselect_b32 s59, -1, 0
	s_cmp_ge_u32 s54, s0
	s_cselect_b32 s68, -1, 0
	s_cmp_eq_u32 s55, s1
	s_cselect_b32 s59, s68, s59
	s_cmp_lg_u64 s[50:51], 0
	s_subb_u32 s53, s53, s1
	s_sub_u32 s68, s54, s0
	s_cselect_b64 s[50:51], -1, 0
	s_cmp_lg_u64 s[50:51], 0
	s_subb_u32 s50, s53, 0
	s_cmp_lg_u32 s59, 0
	s_cselect_b32 s51, s68, s54
	s_cselect_b32 s50, s50, s55
	s_cmp_lg_u64 s[48:49], 0
	s_subb_u32 s29, s29, s52
	s_cmp_ge_u32 s29, s1
	s_cselect_b32 s48, -1, 0
	s_cmp_ge_u32 s28, s0
	s_cselect_b32 s0, -1, 0
	s_cmp_eq_u32 s29, s1
	s_cselect_b32 s0, s0, s48
	s_cmp_lg_u32 s0, 0
	s_cselect_b32 s1, s50, s29
	s_cselect_b32 s0, s51, s28
	s_xor_b64 s[0:1], s[0:1], s[8:9]
	s_sub_u32 s0, s0, s8
	v_readlane_b32 s53, v50, 53
	s_subb_u32 s1, s1, s8
	s_cbranch_execnz .LBB54_249
.LBB54_248:                             ;   in Loop: Header=BB54_33 Depth=1
	v_cvt_f32_u32_e32 v2, s33
	s_sub_i32 s0, 0, s33
	v_rcp_iflag_f32_e32 v2, v2
	v_mul_f32_e32 v2, 0x4f7ffffe, v2
	v_cvt_u32_f32_e32 v2, v2
	v_readfirstlane_b32 s1, v2
	s_mul_i32 s0, s0, s1
	s_mul_hi_u32 s0, s1, s0
	s_add_i32 s1, s1, s0
	s_mul_hi_u32 s0, s53, s1
	s_mul_i32 s0, s0, s33
	s_sub_i32 s0, s53, s0
	s_sub_i32 s1, s0, s33
	s_cmp_ge_u32 s0, s33
	s_cselect_b32 s0, s1, s0
	s_sub_i32 s1, s0, s33
	s_cmp_ge_u32 s0, s33
	s_cselect_b32 s94, s1, s0
	s_mov_b64 s[0:1], s[94:95]
.LBB54_249:                             ;   in Loop: Header=BB54_33 Depth=1
	s_sub_u32 s48, s53, s0
	s_subb_u32 s49, s3, s1
	v_cmp_gt_i64_e32 vcc, s[48:49], v[0:1]
	s_mov_b64 s[8:9], 0
	s_mov_b64 s[0:1], 0
                                        ; implicit-def: $vgpr26
	s_and_saveexec_b64 s[28:29], vcc
	s_cbranch_execz .LBB54_261
; %bb.250:                              ;   in Loop: Header=BB54_33 Depth=1
	v_mov_b32_e32 v2, v10
	v_mov_b32_e32 v7, v1
	;; [unrolled: 1-line block ×4, first 2 shown]
                                        ; implicit-def: $sgpr50_sgpr51
	s_branch .LBB54_254
.LBB54_251:                             ;   in Loop: Header=BB54_254 Depth=2
	s_or_b64 exec, exec, s[52:53]
	s_waitcnt lgkmcnt(0)
	s_barrier
	ds_read_b64 v[25:26], v13 offset:3072
	s_waitcnt lgkmcnt(0)
	s_barrier
	v_cmp_neq_f32_e32 vcc, 0, v25
	s_cbranch_vccnz .LBB54_257
; %bb.252:                              ;   in Loop: Header=BB54_254 Depth=2
	v_add_co_u32_e32 v6, vcc, s33, v6
	v_addc_co_u32_e32 v7, vcc, 0, v7, vcc
	v_mov_b32_e32 v8, s89
	v_add_co_u32_e32 v2, vcc, s88, v2
	v_addc_co_u32_e32 v3, vcc, v3, v8, vcc
	v_cmp_le_i64_e32 vcc, s[48:49], v[6:7]
	s_mov_b64 s[52:53], 0
	s_orn2_b64 s[54:55], vcc, exec
.LBB54_253:                             ;   in Loop: Header=BB54_254 Depth=2
	s_and_b64 s[54:55], exec, s[54:55]
	s_or_b64 s[0:1], s[54:55], s[0:1]
	s_andn2_b64 s[50:51], s[50:51], exec
	s_and_b64 s[52:53], s[52:53], exec
	s_or_b64 s[50:51], s[50:51], s[52:53]
	s_andn2_b64 exec, exec, s[0:1]
	s_cbranch_execz .LBB54_260
.LBB54_254:                             ;   Parent Loop BB54_33 Depth=1
                                        ; =>  This Inner Loop Header: Depth=2
	v_cmp_gt_i64_e32 vcc, s[56:57], v[6:7]
	s_and_saveexec_b64 s[52:53], vcc
	s_cbranch_execz .LBB54_251
; %bb.255:                              ;   in Loop: Header=BB54_254 Depth=2
	global_load_dword v25, v[2:3], off
	s_waitcnt vmcnt(0)
	v_cmp_lt_i32_e32 vcc, -1, v25
	v_cndmask_b32_e32 v8, -1, v46, vcc
	v_xor_b32_e32 v8, v8, v25
	v_cmp_o_f32_e32 vcc, v25, v25
	v_cndmask_b32_e32 v8, -1, v8, vcc
	v_and_b32_e32 v8, v8, v47
	v_cmp_eq_u32_e32 vcc, v8, v44
	s_and_b64 exec, exec, vcc
	s_cbranch_execz .LBB54_251
; %bb.256:                              ;   in Loop: Header=BB54_254 Depth=2
	ds_write_b64 v13, v[24:25] offset:3072
	s_branch .LBB54_251
.LBB54_257:                             ;   in Loop: Header=BB54_254 Depth=2
	s_mov_b64 s[54:55], -1
                                        ; implicit-def: $vgpr6_vgpr7
                                        ; implicit-def: $vgpr2_vgpr3
	s_mov_b64 s[52:53], -1
	s_branch .LBB54_253
.LBB54_258:                             ;   in Loop: Header=BB54_33 Depth=1
	s_mov_b32 s3, s49
                                        ; implicit-def: $sgpr0_sgpr1
	s_andn2_b64 vcc, exec, s[8:9]
	s_cbranch_vccz .LBB54_201
	s_branch .LBB54_202
.LBB54_259:                             ;   in Loop: Header=BB54_33 Depth=1
                                        ; implicit-def: $sgpr28_sgpr29
	s_branch .LBB54_218
.LBB54_260:                             ;   in Loop: Header=BB54_33 Depth=1
	s_or_b64 exec, exec, s[0:1]
	s_and_b64 s[0:1], s[50:51], exec
	v_readlane_b32 s53, v50, 53
.LBB54_261:                             ;   in Loop: Header=BB54_33 Depth=1
	s_or_b64 exec, exec, s[28:29]
	s_mov_b32 s49, s3
	v_readlane_b32 s52, v50, 54
.LBB54_262:                             ;   in Loop: Header=BB54_33 Depth=1
	s_and_b64 vcc, exec, s[8:9]
	s_cbranch_vccz .LBB54_277
; %bb.263:                              ;   in Loop: Header=BB54_33 Depth=1
	v_readlane_b32 s2, v50, 44
	s_add_u32 s46, s42, s2
	v_readlane_b32 s2, v50, 45
	s_addc_u32 s9, s43, s2
	s_mov_b32 s8, s95
	s_mov_b32 s3, s49
	s_cmp_lg_u64 s[8:9], 0
	s_cbranch_scc0 .LBB54_298
; %bb.264:                              ;   in Loop: Header=BB54_33 Depth=1
	s_add_u32 s28, s33, 0
	s_addc_u32 s29, 0, 0
	s_xor_b64 s[28:29], s[28:29], 0
	v_cvt_f32_u32_e32 v2, s28
	v_cvt_f32_u32_e32 v3, s29
	s_sub_u32 s8, 0, s28
	s_subb_u32 s47, 0, s29
	v_mac_f32_e32 v2, 0x4f800000, v3
	v_rcp_f32_e32 v2, v2
	v_mul_f32_e32 v2, 0x5f7ffffc, v2
	v_mul_f32_e32 v3, 0x2f800000, v2
	v_trunc_f32_e32 v3, v3
	v_mac_f32_e32 v2, 0xcf800000, v3
	v_cvt_u32_f32_e32 v3, v3
	v_cvt_u32_f32_e32 v2, v2
	v_readfirstlane_b32 s48, v3
	v_readfirstlane_b32 s44, v2
	s_mul_i32 s45, s8, s48
	s_mul_hi_u32 s50, s8, s44
	s_mul_i32 s49, s47, s44
	s_add_i32 s45, s50, s45
	s_mul_i32 s51, s8, s44
	s_add_i32 s45, s45, s49
	s_mul_i32 s50, s44, s45
	s_mul_hi_u32 s52, s44, s51
	s_mul_hi_u32 s49, s44, s45
	s_add_u32 s50, s52, s50
	s_addc_u32 s49, 0, s49
	s_mul_hi_u32 s53, s48, s51
	s_mul_i32 s51, s48, s51
	s_add_u32 s50, s50, s51
	s_mul_hi_u32 s52, s48, s45
	s_addc_u32 s49, s49, s53
	s_addc_u32 s50, s52, 0
	s_mul_i32 s45, s48, s45
	s_add_u32 s45, s49, s45
	s_addc_u32 s49, 0, s50
	s_add_u32 s50, s44, s45
	s_cselect_b64 s[44:45], -1, 0
	s_cmp_lg_u64 s[44:45], 0
	s_addc_u32 s48, s48, s49
	s_mul_i32 s44, s8, s48
	s_mul_hi_u32 s45, s8, s50
	s_add_i32 s44, s45, s44
	s_mul_i32 s47, s47, s50
	s_add_i32 s44, s44, s47
	s_mul_i32 s8, s8, s50
	s_mul_hi_u32 s47, s48, s8
	s_mul_i32 s49, s48, s8
	s_mul_i32 s52, s50, s44
	s_mul_hi_u32 s8, s50, s8
	s_mul_hi_u32 s51, s50, s44
	s_add_u32 s8, s8, s52
	s_addc_u32 s51, 0, s51
	s_add_u32 s8, s8, s49
	s_mul_hi_u32 s45, s48, s44
	s_addc_u32 s8, s51, s47
	s_addc_u32 s45, s45, 0
	s_mul_i32 s44, s48, s44
	s_add_u32 s8, s8, s44
	s_addc_u32 s47, 0, s45
	s_add_u32 s8, s50, s8
	s_cselect_b64 s[44:45], -1, 0
	s_cmp_lg_u64 s[44:45], 0
	s_addc_u32 s47, s48, s47
	s_ashr_i32 s44, s9, 31
	s_add_u32 s48, s46, s44
	s_mov_b32 s45, s44
	s_addc_u32 s49, s9, s44
	s_xor_b64 s[48:49], s[48:49], s[44:45]
	s_mul_i32 s51, s48, s47
	s_mul_hi_u32 s52, s48, s8
	s_mul_hi_u32 s50, s48, s47
	s_add_u32 s51, s52, s51
	s_addc_u32 s50, 0, s50
	s_mul_hi_u32 s53, s49, s8
	s_mul_i32 s8, s49, s8
	s_add_u32 s8, s51, s8
	s_mul_hi_u32 s52, s49, s47
	s_addc_u32 s8, s50, s53
	s_addc_u32 s50, s52, 0
	s_mul_i32 s47, s49, s47
	s_add_u32 s8, s8, s47
	s_addc_u32 s47, 0, s50
	s_mul_i32 s47, s28, s47
	s_mul_hi_u32 s50, s28, s8
	s_add_i32 s47, s50, s47
	s_mul_i32 s50, s29, s8
	s_add_i32 s47, s47, s50
	s_sub_i32 s52, s49, s47
	s_mul_i32 s8, s28, s8
	s_sub_u32 s8, s48, s8
	s_cselect_b64 s[50:51], -1, 0
	s_cmp_lg_u64 s[50:51], 0
	s_subb_u32 s48, s52, s29
	s_sub_u32 s54, s8, s28
	s_cselect_b64 s[52:53], -1, 0
	s_cmp_lg_u64 s[52:53], 0
	s_subb_u32 s55, s48, 0
	s_cmp_ge_u32 s55, s29
	s_cselect_b32 s59, -1, 0
	s_cmp_ge_u32 s54, s28
	s_cselect_b32 s68, -1, 0
	s_cmp_eq_u32 s55, s29
	s_cselect_b32 s59, s68, s59
	s_cmp_lg_u64 s[52:53], 0
	s_subb_u32 s48, s48, s29
	s_sub_u32 s68, s54, s28
	s_cselect_b64 s[52:53], -1, 0
	s_cmp_lg_u64 s[52:53], 0
	s_subb_u32 s48, s48, 0
	s_cmp_lg_u32 s59, 0
	s_cselect_b32 s52, s68, s54
	s_cselect_b32 s48, s48, s55
	s_cmp_lg_u64 s[50:51], 0
	s_subb_u32 s47, s49, s47
	s_cmp_ge_u32 s47, s29
	s_cselect_b32 s49, -1, 0
	s_cmp_ge_u32 s8, s28
	s_cselect_b32 s28, -1, 0
	s_cmp_eq_u32 s47, s29
	s_cselect_b32 s28, s28, s49
	s_cmp_lg_u32 s28, 0
	s_cselect_b32 s29, s48, s47
	s_cselect_b32 s28, s52, s8
	s_xor_b64 s[28:29], s[28:29], s[44:45]
	s_sub_u32 s28, s28, s44
	v_readlane_b32 s52, v50, 54
	s_subb_u32 s29, s29, s44
	s_cbranch_execnz .LBB54_266
.LBB54_265:                             ;   in Loop: Header=BB54_33 Depth=1
	v_cvt_f32_u32_e32 v2, s33
	s_sub_i32 s8, 0, s33
	v_rcp_iflag_f32_e32 v2, v2
	v_mul_f32_e32 v2, 0x4f7ffffe, v2
	v_cvt_u32_f32_e32 v2, v2
	v_readfirstlane_b32 s28, v2
	s_mul_i32 s8, s8, s28
	s_mul_hi_u32 s8, s28, s8
	s_add_i32 s28, s28, s8
	s_mul_hi_u32 s8, s46, s28
	s_mul_i32 s8, s8, s33
	s_sub_i32 s8, s46, s8
	s_sub_i32 s28, s8, s33
	s_cmp_ge_u32 s8, s33
	s_cselect_b32 s8, s28, s8
	s_sub_i32 s28, s8, s33
	s_cmp_ge_u32 s8, s33
	s_cselect_b32 s94, s28, s8
	s_mov_b64 s[28:29], s[94:95]
.LBB54_266:                             ;   in Loop: Header=BB54_33 Depth=1
	s_sub_u32 s28, s46, s28
	s_subb_u32 s29, s9, s29
	v_cmp_gt_i64_e32 vcc, s[28:29], v[0:1]
                                        ; implicit-def: $vgpr26
	s_and_saveexec_b64 s[8:9], vcc
	v_readlane_b32 s53, v50, 53
	s_cbranch_execz .LBB54_276
; %bb.267:                              ;   in Loop: Header=BB54_33 Depth=1
	v_mov_b32_e32 v3, v1
	s_mov_b64 s[44:45], 0
	v_mov_b32_e32 v6, v14
	v_mov_b32_e32 v2, v0
                                        ; implicit-def: $sgpr46_sgpr47
	s_branch .LBB54_271
.LBB54_268:                             ;   in Loop: Header=BB54_271 Depth=2
	s_or_b64 exec, exec, s[48:49]
	s_waitcnt lgkmcnt(0)
	s_barrier
	ds_read_b64 v[25:26], v13 offset:3072
	s_waitcnt lgkmcnt(0)
	s_barrier
	v_cmp_eq_f32_e32 vcc, 0, v25
	s_cbranch_vccz .LBB54_274
; %bb.269:                              ;   in Loop: Header=BB54_271 Depth=2
	v_add_co_u32_e32 v2, vcc, s33, v2
	v_addc_co_u32_e32 v3, vcc, 0, v3, vcc
	v_cmp_le_i64_e32 vcc, s[28:29], v[2:3]
	v_add_u32_e32 v6, s52, v6
	s_mov_b64 s[48:49], 0
	s_orn2_b64 s[50:51], vcc, exec
.LBB54_270:                             ;   in Loop: Header=BB54_271 Depth=2
	s_and_b64 s[50:51], exec, s[50:51]
	s_or_b64 s[44:45], s[50:51], s[44:45]
	s_andn2_b64 s[46:47], s[46:47], exec
	s_and_b64 s[48:49], s[48:49], exec
	s_or_b64 s[46:47], s[46:47], s[48:49]
	s_andn2_b64 exec, exec, s[44:45]
	s_cbranch_execz .LBB54_275
.LBB54_271:                             ;   Parent Loop BB54_33 Depth=1
                                        ; =>  This Inner Loop Header: Depth=2
	v_cmp_gt_u64_e32 vcc, s[42:43], v[2:3]
	s_and_saveexec_b64 s[48:49], vcc
	s_cbranch_execz .LBB54_268
; %bb.272:                              ;   in Loop: Header=BB54_271 Depth=2
	ds_read_b32 v25, v6
	s_waitcnt lgkmcnt(0)
	v_cmp_lt_i32_e32 vcc, -1, v25
	v_cndmask_b32_e32 v7, -1, v46, vcc
	v_xor_b32_e32 v7, v7, v25
	v_cmp_o_f32_e32 vcc, v25, v25
	v_cndmask_b32_e32 v7, -1, v7, vcc
	v_and_b32_e32 v7, v7, v47
	v_cmp_eq_u32_e32 vcc, v7, v44
	s_and_b64 exec, exec, vcc
	s_cbranch_execz .LBB54_268
; %bb.273:                              ;   in Loop: Header=BB54_271 Depth=2
	ds_write_b64 v13, v[24:25] offset:3072
	s_branch .LBB54_268
.LBB54_274:                             ;   in Loop: Header=BB54_271 Depth=2
	s_mov_b64 s[50:51], -1
                                        ; implicit-def: $vgpr2_vgpr3
                                        ; implicit-def: $vgpr6
	s_mov_b64 s[48:49], -1
	s_branch .LBB54_270
.LBB54_275:                             ;   in Loop: Header=BB54_33 Depth=1
	s_or_b64 exec, exec, s[44:45]
	s_andn2_b64 s[0:1], s[0:1], exec
	s_and_b64 s[28:29], s[46:47], exec
	s_or_b64 s[0:1], s[0:1], s[28:29]
.LBB54_276:                             ;   in Loop: Header=BB54_33 Depth=1
	s_or_b64 exec, exec, s[8:9]
	s_mov_b64 s[44:45], 0
	s_mov_b64 s[46:47], -1
	s_mov_b32 s49, s3
.LBB54_277:                             ;   in Loop: Header=BB54_33 Depth=1
	s_orn2_b64 s[8:9], s[0:1], exec
	s_mov_b64 s[42:43], s[4:5]
.LBB54_278:                             ;   in Loop: Header=BB54_33 Depth=1
	s_or_b64 exec, exec, s[40:41]
	s_mov_b64 s[28:29], 0
	s_and_saveexec_b64 s[0:1], s[8:9]
	s_cbranch_execz .LBB54_289
; %bb.279:                              ;   in Loop: Header=BB54_33 Depth=1
	v_mov_b32_e32 v2, 1
	s_xor_b64 s[28:29], s[38:39], -1
	v_mov_b32_e32 v3, 0
	v_mov_b32_e32 v12, 1
	s_and_saveexec_b64 s[8:9], s[28:29]
	s_cbranch_execz .LBB54_288
; %bb.280:                              ;   in Loop: Header=BB54_33 Depth=1
	v_cmp_ge_i64_e32 vcc, s[12:13], v[4:5]
	s_and_saveexec_b64 s[28:29], vcc
	s_xor_b64 s[28:29], exec, s[28:29]
	s_cbranch_execz .LBB54_285
; %bb.281:                              ;   in Loop: Header=BB54_33 Depth=1
	ds_read_b64 v[2:3], v13 offset:5120
	v_or_b32_e32 v44, s58, v44
	v_or_b32_e32 v47, s58, v47
	s_waitcnt lgkmcnt(0)
	v_cmp_ne_u64_e32 vcc, 0, v[2:3]
	s_cbranch_vccnz .LBB54_285
; %bb.282:                              ;   in Loop: Header=BB54_33 Depth=1
	s_mov_b64 s[38:39], exec
	v_readlane_b32 s40, v50, 32
	v_readlane_b32 s41, v50, 33
	s_and_b64 s[40:41], s[38:39], s[40:41]
	s_mov_b64 exec, s[40:41]
; %bb.283:                              ;   in Loop: Header=BB54_33 Depth=1
	v_mov_b32_e32 v2, s12
	v_mov_b32_e32 v3, s13
	ds_write_b64 v13, v[2:3] offset:5128
; %bb.284:                              ;   in Loop: Header=BB54_33 Depth=1
	s_or_b64 exec, exec, s[38:39]
	s_waitcnt lgkmcnt(0)
	s_barrier
.LBB54_285:                             ;   in Loop: Header=BB54_33 Depth=1
	s_andn2_saveexec_b64 s[28:29], s[28:29]
; %bb.286:                              ;   in Loop: Header=BB54_33 Depth=1
	v_mov_b32_e32 v2, s13
	v_subrev_co_u32_e32 v4, vcc, s12, v4
	v_subb_co_u32_e32 v5, vcc, v5, v2, vcc
; %bb.287:                              ;   in Loop: Header=BB54_33 Depth=1
	s_or_b64 exec, exec, s[28:29]
	v_mov_b32_e32 v2, v4
	v_mov_b32_e32 v12, 8
	;; [unrolled: 1-line block ×3, first 2 shown]
.LBB54_288:                             ;   in Loop: Header=BB54_33 Depth=1
	s_or_b64 exec, exec, s[8:9]
	v_mov_b32_e32 v5, v3
	s_mov_b64 s[28:29], exec
	v_mov_b32_e32 v4, v2
.LBB54_289:                             ;   in Loop: Header=BB54_33 Depth=1
	s_or_b64 exec, exec, s[0:1]
	s_orn2_b64 s[0:1], s[28:29], exec
.LBB54_290:                             ;   in Loop: Header=BB54_33 Depth=1
	s_or_b64 exec, exec, s[20:21]
	s_andn2_b64 s[8:9], s[34:35], exec
	s_and_b64 s[12:13], s[46:47], exec
	s_or_b64 s[34:35], s[8:9], s[12:13]
	s_andn2_b64 s[8:9], s[30:31], exec
	s_and_b64 s[12:13], s[44:45], exec
	v_mov_b32_e32 v2, v4
	s_or_b64 s[30:31], s[8:9], s[12:13]
	s_and_b64 s[8:9], s[0:1], exec
	v_mov_b32_e32 v3, v5
.LBB54_291:                             ;   in Loop: Header=BB54_33 Depth=1
	s_or_b64 exec, exec, s[36:37]
	s_orn2_b64 s[0:1], s[8:9], exec
.LBB54_292:                             ;   in Loop: Header=BB54_33 Depth=1
	s_or_b64 exec, exec, s[26:27]
	s_andn2_b64 s[8:9], s[22:23], exec
	s_and_b64 s[12:13], s[34:35], exec
	s_or_b64 s[22:23], s[8:9], s[12:13]
	s_andn2_b64 s[6:7], s[6:7], exec
	s_and_b64 s[8:9], s[30:31], exec
	v_mov_b32_e32 v7, v3
	s_or_b64 s[6:7], s[6:7], s[8:9]
	s_and_b64 s[8:9], s[0:1], exec
	v_mov_b32_e32 v6, v2
.LBB54_293:                             ;   in Loop: Header=BB54_33 Depth=1
	s_or_b64 exec, exec, s[24:25]
	s_orn2_b64 s[0:1], s[8:9], exec
.LBB54_294:                             ;   in Loop: Header=BB54_33 Depth=1
	s_or_b64 exec, exec, s[18:19]
	s_mov_b64 s[8:9], 0
	s_and_saveexec_b64 s[12:13], s[0:1]
	s_xor_b64 s[0:1], exec, s[12:13]
	s_cbranch_execz .LBB54_31
; %bb.295:                              ;   in Loop: Header=BB54_33 Depth=1
	v_and_b32_e32 v2, 7, v12
	v_cmp_eq_u32_e32 vcc, 0, v2
	s_mov_b64 s[12:13], -1
	s_mov_b64 s[8:9], -1
	s_and_saveexec_b64 s[16:17], vcc
	s_cbranch_execz .LBB54_30
; %bb.296:                              ;   in Loop: Header=BB54_33 Depth=1
	s_xor_b32 s87, s87, 1
	s_add_i32 s18, s86, -2
	s_cmp_eq_u32 s86, 0
	s_cselect_b64 s[12:13], -1, 0
	s_xor_b64 s[8:9], exec, -1
	s_orn2_b64 s[12:13], s[12:13], exec
	s_mov_b32 s86, s18
	s_branch .LBB54_30
.LBB54_297:                             ;   in Loop: Header=BB54_33 Depth=1
	s_mov_b32 s3, s55
                                        ; implicit-def: $sgpr0_sgpr1
	s_andn2_b64 vcc, exec, s[8:9]
	s_cbranch_vccz .LBB54_248
	s_branch .LBB54_249
.LBB54_298:                             ;   in Loop: Header=BB54_33 Depth=1
                                        ; implicit-def: $sgpr28_sgpr29
	s_branch .LBB54_265
.LBB54_299:
	s_or_b64 exec, exec, s[60:61]
	s_xor_b64 s[4:5], s[76:77], -1
	s_xor_b64 s[0:1], s[64:65], -1
	;; [unrolled: 1-line block ×3, first 2 shown]
	s_mov_b64 s[2:3], 0
	s_and_saveexec_b64 s[8:9], s[0:1]
	s_xor_b64 s[0:1], exec, s[8:9]
	s_cbranch_execnz .LBB54_304
; %bb.300:
	s_andn2_saveexec_b64 s[0:1], s[0:1]
	s_cbranch_execnz .LBB54_326
.LBB54_301:
	s_or_b64 exec, exec, s[0:1]
	s_and_saveexec_b64 s[0:1], s[2:3]
.LBB54_302:
	; divergent unreachable
.LBB54_303:
	s_endpgm
.LBB54_304:
	s_and_saveexec_b64 s[2:3], s[4:5]
	s_xor_b64 s[4:5], exec, s[2:3]
	s_cbranch_execz .LBB54_324
; %bb.305:
	s_and_saveexec_b64 s[2:3], s[6:7]
	s_xor_b64 s[2:3], exec, s[2:3]
; %bb.306:
	v_bfrev_b32_e32 v2, 1
	v_cmp_lt_i32_e32 vcc, -1, v44
	v_cndmask_b32_e64 v2, v2, -1, vcc
	v_xor_b32_e32 v26, v2, v44
; %bb.307:
	s_or_b64 exec, exec, s[2:3]
	s_mov_b64 s[2:3], exec
	v_readlane_b32 s6, v50, 32
	v_readlane_b32 s7, v50, 33
	s_and_b64 s[6:7], s[2:3], s[6:7]
	v_readlane_b32 s26, v50, 34
	v_readlane_b32 s27, v50, 35
	s_mov_b64 exec, s[6:7]
; %bb.308:
	v_mov_b32_e32 v2, 0
	v_mov_b32_e32 v3, s56
	ds_write_b32 v2, v3 offset:5140
; %bb.309:
	s_or_b64 exec, exec, s[2:3]
	s_waitcnt lgkmcnt(0)
	s_barrier
	s_mov_b64 s[6:7], exec
	v_readlane_b32 s2, v50, 40
	v_readlane_b32 s3, v50, 41
	s_and_b64 s[2:3], s[6:7], s[2:3]
	s_mov_b64 exec, s[2:3]
	s_cbranch_execz .LBB54_321
; %bb.310:
	v_mov_b32_e32 v2, 0
	ds_read_b32 v4, v2 offset:5140
	v_cmp_u_f32_e32 vcc, v26, v26
	s_mov_b64 s[8:9], 0
	s_xor_b64 s[10:11], vcc, -1
                                        ; implicit-def: $sgpr12_sgpr13
                                        ; implicit-def: $sgpr14_sgpr15
                                        ; implicit-def: $sgpr16_sgpr17
	s_waitcnt lgkmcnt(0)
	v_ashrrev_i32_e32 v5, 31, v4
	s_branch .LBB54_313
.LBB54_311:                             ;   in Loop: Header=BB54_313 Depth=1
	s_or_b64 exec, exec, s[24:25]
	s_andn2_b64 s[2:3], s[16:17], exec
	s_and_b64 s[16:17], s[20:21], exec
	s_or_b64 s[16:17], s[2:3], s[16:17]
	s_andn2_b64 s[2:3], s[14:15], exec
	s_and_b64 s[14:15], s[22:23], exec
	s_or_b64 s[14:15], s[2:3], s[14:15]
.LBB54_312:                             ;   in Loop: Header=BB54_313 Depth=1
	s_or_b64 exec, exec, s[18:19]
	s_and_b64 s[2:3], exec, s[14:15]
	s_or_b64 s[8:9], s[2:3], s[8:9]
	s_andn2_b64 s[2:3], s[12:13], exec
	s_and_b64 s[12:13], s[16:17], exec
	s_or_b64 s[12:13], s[2:3], s[12:13]
	s_andn2_b64 exec, exec, s[8:9]
	s_cbranch_execz .LBB54_316
.LBB54_313:                             ; =>This Inner Loop Header: Depth=1
	v_mov_b32_e32 v3, v1
	v_mov_b32_e32 v2, v0
	v_cmp_lt_i64_e32 vcc, v[2:3], v[4:5]
	s_or_b64 s[16:17], s[16:17], exec
	s_or_b64 s[14:15], s[14:15], exec
                                        ; implicit-def: $vgpr0_vgpr1
	s_and_saveexec_b64 s[18:19], vcc
	s_cbranch_execz .LBB54_312
; %bb.314:                              ;   in Loop: Header=BB54_313 Depth=1
	global_load_dword v0, v[10:11], off
	s_mov_b64 s[22:23], -1
	s_mov_b64 s[20:21], 0
	s_waitcnt vmcnt(0)
	v_cmp_o_f32_e64 s[2:3], v0, v0
	v_cmp_neq_f32_e32 vcc, v0, v26
	s_or_b64 s[2:3], s[2:3], s[10:11]
	s_and_b64 s[2:3], vcc, s[2:3]
                                        ; implicit-def: $vgpr0_vgpr1
	s_and_saveexec_b64 s[24:25], s[2:3]
	s_cbranch_execz .LBB54_311
; %bb.315:                              ;   in Loop: Header=BB54_313 Depth=1
	v_add_co_u32_e32 v0, vcc, s33, v2
	v_addc_co_u32_e32 v1, vcc, 0, v3, vcc
	v_cmp_le_i64_e32 vcc, s[56:57], v[0:1]
	v_mov_b32_e32 v3, s89
	v_add_co_u32_e64 v10, s[2:3], s88, v10
	s_mov_b64 s[20:21], exec
	v_addc_co_u32_e64 v11, s[2:3], v11, v3, s[2:3]
	s_orn2_b64 s[22:23], vcc, exec
	s_branch .LBB54_311
.LBB54_316:
	s_or_b64 exec, exec, s[8:9]
	s_xor_b64 s[2:3], s[12:13], -1
	s_and_saveexec_b64 s[8:9], s[2:3]
	s_xor_b64 s[8:9], exec, s[8:9]
	s_cbranch_execz .LBB54_321
; %bb.317:
	s_mov_b64 s[2:3], exec
	s_brev_b32 s8, -2
.LBB54_318:                             ; =>This Inner Loop Header: Depth=1
	s_ff1_i32_b64 s9, s[2:3]
	v_readlane_b32 s12, v2, s9
	s_lshl_b64 s[10:11], 1, s9
	s_min_i32 s8, s8, s12
	s_andn2_b64 s[2:3], s[2:3], s[10:11]
	s_cmp_lg_u64 s[2:3], 0
	s_cbranch_scc1 .LBB54_318
; %bb.319:
	v_mbcnt_lo_u32_b32 v0, exec_lo, 0
	v_mbcnt_hi_u32_b32 v0, exec_hi, v0
	v_cmp_eq_u32_e32 vcc, 0, v0
	s_and_saveexec_b64 s[2:3], vcc
	s_xor_b64 s[2:3], exec, s[2:3]
; %bb.320:
	v_mov_b32_e32 v0, 0
	v_mov_b32_e32 v1, s8
	ds_min_i32 v0, v1 offset:5140
.LBB54_321:
	s_or_b64 exec, exec, s[6:7]
	s_waitcnt lgkmcnt(0)
	s_barrier
	s_mov_b64 s[2:3], exec
	v_readlane_b32 s6, v50, 32
	v_readlane_b32 s7, v50, 33
	s_and_b64 s[6:7], s[2:3], s[6:7]
	s_mov_b64 exec, s[6:7]
	s_cbranch_execz .LBB54_323
; %bb.322:
	v_readlane_b32 s20, v50, 6
	v_readlane_b32 s22, v50, 8
	;; [unrolled: 1-line block ×5, first 2 shown]
	s_mul_i32 s6, s24, s23
	s_mul_hi_u32 s7, s24, s22
	s_add_i32 s6, s7, s6
	s_mul_i32 s7, s25, s22
	s_add_i32 s6, s6, s7
	s_mul_i32 s7, s24, s22
	v_readlane_b32 s10, v50, 14
	s_sub_u32 s8, s26, s7
	v_readlane_b32 s11, v50, 15
	s_subb_u32 s6, 0, s6
	s_mul_i32 s7, s8, s11
	s_mul_hi_u32 s9, s8, s10
	v_readlane_b32 s12, v50, 0
	s_add_i32 s7, s9, s7
	s_mul_i32 s6, s6, s10
	v_readlane_b32 s13, v50, 1
	v_readlane_b32 s18, v50, 10
	s_add_i32 s7, s7, s6
	s_mul_i32 s6, s8, s10
	v_readlane_b32 s19, v50, 11
	s_mul_i32 s8, s18, s13
	s_mul_hi_u32 s9, s18, s12
	s_add_i32 s8, s9, s8
	s_mul_i32 s9, s19, s12
	s_add_i32 s8, s8, s9
	s_mul_i32 s9, s18, s12
	v_readlane_b32 s16, v50, 4
	v_readlane_b32 s28, v50, 22
	;; [unrolled: 1-line block ×3, first 2 shown]
	s_sub_u32 s10, s16, s9
	v_readlane_b32 s30, v50, 24
	v_readlane_b32 s31, v50, 25
	s_subb_u32 s8, s17, s8
	s_mul_i32 s9, s10, s31
	s_mul_hi_u32 s11, s10, s30
	v_readlane_b32 s14, v50, 2
	v_readlane_b32 s15, v50, 3
	v_readlane_b32 s29, v50, 23
	s_add_i32 s9, s11, s9
	s_mul_i32 s8, s8, s30
	s_add_i32 s9, s9, s8
	s_mul_i32 s8, s10, s30
	s_mul_i32 s10, s18, s29
	s_mul_hi_u32 s11, s18, s28
	s_mul_i32 s12, s16, s15
	s_mul_hi_u32 s13, s16, s14
	s_add_i32 s10, s11, s10
	s_mul_i32 s11, s19, s28
	s_add_i32 s12, s13, s12
	s_mul_i32 s13, s17, s14
	s_add_i32 s11, s10, s11
	s_add_i32 s12, s12, s13
	s_mul_i32 s13, s16, s14
	v_readlane_b32 s16, v50, 20
	s_sub_u32 s14, s26, s13
	v_readlane_b32 s17, v50, 21
	s_subb_u32 s12, 0, s12
	s_mul_i32 s13, s14, s17
	s_mul_hi_u32 s15, s14, s16
	v_readlane_b32 s21, v50, 7
	s_mul_i32 s10, s18, s28
	s_add_i32 s13, s15, s13
	s_mul_i32 s12, s12, s16
	v_readlane_b32 s18, v50, 26
	s_add_i32 s13, s13, s12
	s_mul_i32 s12, s14, s16
	v_readlane_b32 s19, v50, 27
	s_mul_i32 s14, s18, s21
	s_mul_hi_u32 s15, s18, s20
	s_add_i32 s14, s15, s14
	s_mul_i32 s15, s19, s20
	s_add_i32 s14, s14, s15
	s_mul_i32 s15, s18, s20
	v_readlane_b32 s20, v50, 16
	s_sub_u32 s16, s24, s15
	v_readlane_b32 s22, v50, 18
	v_readlane_b32 s23, v50, 19
	s_subb_u32 s14, s25, s14
	s_mul_i32 s15, s16, s23
	s_mul_hi_u32 s17, s16, s22
	v_readlane_b32 s21, v50, 17
	s_add_i32 s15, s17, s15
	s_mul_i32 s14, s14, s22
	s_add_i32 s15, s15, s14
	s_mul_i32 s14, s16, s22
	s_mul_i32 s16, s18, s21
	s_mul_hi_u32 s17, s18, s20
	s_add_i32 s16, s17, s16
	s_mul_i32 s17, s19, s20
	s_add_i32 s17, s16, s17
	s_mul_i32 s16, s18, s20
	s_lshl_b64 s[10:11], s[10:11], 2
	v_readlane_b32 s18, v50, 30
	v_readlane_b32 s19, v50, 31
	s_add_u32 s10, s18, s10
	s_addc_u32 s11, s19, s11
	s_lshl_b64 s[8:9], s[8:9], 2
	s_add_u32 s10, s10, s8
	s_addc_u32 s11, s11, s9
	s_lshl_b64 s[8:9], s[12:13], 2
	;; [unrolled: 3-line block ×3, first 2 shown]
	v_readlane_b32 s12, v50, 28
	v_mov_b32_e32 v2, 0
	v_readlane_b32 s13, v50, 29
	s_add_u32 s12, s12, s10
	ds_read_b32 v0, v2 offset:5140
	s_addc_u32 s13, s13, s11
	s_lshl_b64 s[10:11], s[14:15], 3
	s_add_u32 s10, s12, s10
	s_addc_u32 s11, s13, s11
	s_lshl_b64 s[6:7], s[6:7], 3
	s_add_u32 s6, s10, s6
	s_addc_u32 s7, s11, s7
	s_waitcnt lgkmcnt(0)
	v_ashrrev_i32_e32 v1, 31, v0
	global_store_dwordx2 v2, v[0:1], s[6:7]
	global_store_dword v2, v26, s[8:9]
.LBB54_323:
	s_or_b64 exec, exec, s[2:3]
.LBB54_324:
	s_or_saveexec_b64 s[2:3], s[4:5]
	s_mov_b64 s[4:5], 0
	s_xor_b64 exec, exec, s[2:3]
	s_cbranch_execnz .LBB54_327
.LBB54_325:
	s_or_b64 exec, exec, s[2:3]
	s_and_b64 s[2:3], s[4:5], exec
	s_andn2_saveexec_b64 s[0:1], s[0:1]
	s_cbranch_execz .LBB54_301
.LBB54_326:
	s_or_b64 s[2:3], s[2:3], exec
	s_trap 2
	s_or_b64 exec, exec, s[0:1]
	s_and_saveexec_b64 s[0:1], s[2:3]
	s_cbranch_execnz .LBB54_302
	s_branch .LBB54_303
.LBB54_327:
	s_mov_b64 s[4:5], exec
	s_trap 2
	s_branch .LBB54_325
	.section	.rodata,"a",@progbits
	.p2align	6, 0x0
	.amdhsa_kernel _ZN2at6native12_GLOBAL__N_114gatherKthValueIflLi3EEEvNS_4cuda6detail10TensorInfoIKT_T0_EES8_S8_S8_S8_NS5_IS6_S8_EENS5_IlS8_EE
		.amdhsa_group_segment_fixed_size 5144
		.amdhsa_private_segment_fixed_size 0
		.amdhsa_kernarg_size 1536
		.amdhsa_user_sgpr_count 6
		.amdhsa_user_sgpr_private_segment_buffer 1
		.amdhsa_user_sgpr_dispatch_ptr 0
		.amdhsa_user_sgpr_queue_ptr 0
		.amdhsa_user_sgpr_kernarg_segment_ptr 1
		.amdhsa_user_sgpr_dispatch_id 0
		.amdhsa_user_sgpr_flat_scratch_init 0
		.amdhsa_user_sgpr_private_segment_size 0
		.amdhsa_uses_dynamic_stack 0
		.amdhsa_system_sgpr_private_segment_wavefront_offset 0
		.amdhsa_system_sgpr_workgroup_id_x 1
		.amdhsa_system_sgpr_workgroup_id_y 1
		.amdhsa_system_sgpr_workgroup_id_z 1
		.amdhsa_system_sgpr_workgroup_info 0
		.amdhsa_system_vgpr_workitem_id 0
		.amdhsa_next_free_vgpr 51
		.amdhsa_next_free_sgpr 96
		.amdhsa_reserve_vcc 1
		.amdhsa_reserve_flat_scratch 0
		.amdhsa_float_round_mode_32 0
		.amdhsa_float_round_mode_16_64 0
		.amdhsa_float_denorm_mode_32 3
		.amdhsa_float_denorm_mode_16_64 3
		.amdhsa_dx10_clamp 1
		.amdhsa_ieee_mode 1
		.amdhsa_fp16_overflow 0
		.amdhsa_exception_fp_ieee_invalid_op 0
		.amdhsa_exception_fp_denorm_src 0
		.amdhsa_exception_fp_ieee_div_zero 0
		.amdhsa_exception_fp_ieee_overflow 0
		.amdhsa_exception_fp_ieee_underflow 0
		.amdhsa_exception_fp_ieee_inexact 0
		.amdhsa_exception_int_div_zero 0
	.end_amdhsa_kernel
	.section	.text._ZN2at6native12_GLOBAL__N_114gatherKthValueIflLi3EEEvNS_4cuda6detail10TensorInfoIKT_T0_EES8_S8_S8_S8_NS5_IS6_S8_EENS5_IlS8_EE,"axG",@progbits,_ZN2at6native12_GLOBAL__N_114gatherKthValueIflLi3EEEvNS_4cuda6detail10TensorInfoIKT_T0_EES8_S8_S8_S8_NS5_IS6_S8_EENS5_IlS8_EE,comdat
.Lfunc_end54:
	.size	_ZN2at6native12_GLOBAL__N_114gatherKthValueIflLi3EEEvNS_4cuda6detail10TensorInfoIKT_T0_EES8_S8_S8_S8_NS5_IS6_S8_EENS5_IlS8_EE, .Lfunc_end54-_ZN2at6native12_GLOBAL__N_114gatherKthValueIflLi3EEEvNS_4cuda6detail10TensorInfoIKT_T0_EES8_S8_S8_S8_NS5_IS6_S8_EENS5_IlS8_EE
                                        ; -- End function
	.set _ZN2at6native12_GLOBAL__N_114gatherKthValueIflLi3EEEvNS_4cuda6detail10TensorInfoIKT_T0_EES8_S8_S8_S8_NS5_IS6_S8_EENS5_IlS8_EE.num_vgpr, 51
	.set _ZN2at6native12_GLOBAL__N_114gatherKthValueIflLi3EEEvNS_4cuda6detail10TensorInfoIKT_T0_EES8_S8_S8_S8_NS5_IS6_S8_EENS5_IlS8_EE.num_agpr, 0
	.set _ZN2at6native12_GLOBAL__N_114gatherKthValueIflLi3EEEvNS_4cuda6detail10TensorInfoIKT_T0_EES8_S8_S8_S8_NS5_IS6_S8_EENS5_IlS8_EE.numbered_sgpr, 96
	.set _ZN2at6native12_GLOBAL__N_114gatherKthValueIflLi3EEEvNS_4cuda6detail10TensorInfoIKT_T0_EES8_S8_S8_S8_NS5_IS6_S8_EENS5_IlS8_EE.num_named_barrier, 0
	.set _ZN2at6native12_GLOBAL__N_114gatherKthValueIflLi3EEEvNS_4cuda6detail10TensorInfoIKT_T0_EES8_S8_S8_S8_NS5_IS6_S8_EENS5_IlS8_EE.private_seg_size, 0
	.set _ZN2at6native12_GLOBAL__N_114gatherKthValueIflLi3EEEvNS_4cuda6detail10TensorInfoIKT_T0_EES8_S8_S8_S8_NS5_IS6_S8_EENS5_IlS8_EE.uses_vcc, 1
	.set _ZN2at6native12_GLOBAL__N_114gatherKthValueIflLi3EEEvNS_4cuda6detail10TensorInfoIKT_T0_EES8_S8_S8_S8_NS5_IS6_S8_EENS5_IlS8_EE.uses_flat_scratch, 0
	.set _ZN2at6native12_GLOBAL__N_114gatherKthValueIflLi3EEEvNS_4cuda6detail10TensorInfoIKT_T0_EES8_S8_S8_S8_NS5_IS6_S8_EENS5_IlS8_EE.has_dyn_sized_stack, 0
	.set _ZN2at6native12_GLOBAL__N_114gatherKthValueIflLi3EEEvNS_4cuda6detail10TensorInfoIKT_T0_EES8_S8_S8_S8_NS5_IS6_S8_EENS5_IlS8_EE.has_recursion, 0
	.set _ZN2at6native12_GLOBAL__N_114gatherKthValueIflLi3EEEvNS_4cuda6detail10TensorInfoIKT_T0_EES8_S8_S8_S8_NS5_IS6_S8_EENS5_IlS8_EE.has_indirect_call, 0
	.section	.AMDGPU.csdata,"",@progbits
; Kernel info:
; codeLenInByte = 21064
; TotalNumSgprs: 100
; NumVgprs: 51
; ScratchSize: 0
; MemoryBound: 0
; FloatMode: 240
; IeeeMode: 1
; LDSByteSize: 5144 bytes/workgroup (compile time only)
; SGPRBlocks: 12
; VGPRBlocks: 12
; NumSGPRsForWavesPerEU: 100
; NumVGPRsForWavesPerEU: 51
; Occupancy: 4
; WaveLimiterHint : 1
; COMPUTE_PGM_RSRC2:SCRATCH_EN: 0
; COMPUTE_PGM_RSRC2:USER_SGPR: 6
; COMPUTE_PGM_RSRC2:TRAP_HANDLER: 0
; COMPUTE_PGM_RSRC2:TGID_X_EN: 1
; COMPUTE_PGM_RSRC2:TGID_Y_EN: 1
; COMPUTE_PGM_RSRC2:TGID_Z_EN: 1
; COMPUTE_PGM_RSRC2:TIDIG_COMP_CNT: 0
	.section	.text._ZN2at6native12_GLOBAL__N_114gatherKthValueIflLin1EEEvNS_4cuda6detail10TensorInfoIKT_T0_EES8_S8_S8_S8_NS5_IS6_S8_EENS5_IlS8_EE,"axG",@progbits,_ZN2at6native12_GLOBAL__N_114gatherKthValueIflLin1EEEvNS_4cuda6detail10TensorInfoIKT_T0_EES8_S8_S8_S8_NS5_IS6_S8_EENS5_IlS8_EE,comdat
	.globl	_ZN2at6native12_GLOBAL__N_114gatherKthValueIflLin1EEEvNS_4cuda6detail10TensorInfoIKT_T0_EES8_S8_S8_S8_NS5_IS6_S8_EENS5_IlS8_EE ; -- Begin function _ZN2at6native12_GLOBAL__N_114gatherKthValueIflLin1EEEvNS_4cuda6detail10TensorInfoIKT_T0_EES8_S8_S8_S8_NS5_IS6_S8_EENS5_IlS8_EE
	.p2align	8
	.type	_ZN2at6native12_GLOBAL__N_114gatherKthValueIflLin1EEEvNS_4cuda6detail10TensorInfoIKT_T0_EES8_S8_S8_S8_NS5_IS6_S8_EENS5_IlS8_EE,@function
_ZN2at6native12_GLOBAL__N_114gatherKthValueIflLin1EEEvNS_4cuda6detail10TensorInfoIKT_T0_EES8_S8_S8_S8_NS5_IS6_S8_EENS5_IlS8_EE: ; @_ZN2at6native12_GLOBAL__N_114gatherKthValueIflLin1EEEvNS_4cuda6detail10TensorInfoIKT_T0_EES8_S8_S8_S8_NS5_IS6_S8_EENS5_IlS8_EE
; %bb.0:
	s_load_dwordx2 s[12:13], s[4:5], 0x500
	s_load_dwordx8 s[56:63], s[4:5], 0x1a0
	s_add_u32 s10, s4, 0x500
	s_addc_u32 s11, s5, 0
	s_mov_b32 s1, 0
	s_waitcnt lgkmcnt(0)
	s_mul_i32 s0, s13, s8
	s_add_i32 s0, s0, s7
	s_mul_i32 s0, s0, s12
	s_add_i32 s0, s0, s6
	v_mov_b32_e32 v2, s1
	v_mov_b32_e32 v1, s0
	v_cmp_le_i64_e32 vcc, s[60:61], v[1:2]
	s_cbranch_vccnz .LBB55_302
; %bb.1:
	s_load_dword s13, s[4:5], 0x198
	s_mov_b64 s[2:3], 0
	s_mov_b64 s[8:9], s[0:1]
	s_waitcnt lgkmcnt(0)
	s_cmp_lt_i32 s13, 2
	s_cbranch_scc1 .LBB55_9
; %bb.2:
	s_mov_b32 s14, 0
	s_add_i32 s2, s13, -1
	s_mov_b32 s3, s14
	s_add_i32 s7, s13, 1
	s_lshl_b64 s[2:3], s[2:3], 3
	s_add_u32 s2, s4, s2
	s_addc_u32 s3, s5, s3
	s_add_u32 s16, s2, 8
	s_addc_u32 s17, s3, 0
	s_mov_b64 s[2:3], 0
	s_mov_b64 s[18:19], s[0:1]
.LBB55_3:                               ; =>This Inner Loop Header: Depth=1
	s_load_dwordx2 s[20:21], s[16:17], 0x0
	s_waitcnt lgkmcnt(0)
	s_or_b64 s[8:9], s[18:19], s[20:21]
	s_mov_b32 s15, s9
	s_cmp_lg_u64 s[14:15], 0
	s_cbranch_scc0 .LBB55_8
; %bb.4:                                ;   in Loop: Header=BB55_3 Depth=1
	s_ashr_i32 s8, s21, 31
	s_add_u32 s22, s20, s8
	s_mov_b32 s9, s8
	s_addc_u32 s23, s21, s8
	s_xor_b64 s[22:23], s[22:23], s[8:9]
	v_cvt_f32_u32_e32 v1, s22
	v_cvt_f32_u32_e32 v2, s23
	s_sub_u32 s13, 0, s22
	s_subb_u32 s15, 0, s23
	v_mac_f32_e32 v1, 0x4f800000, v2
	v_rcp_f32_e32 v1, v1
	v_mul_f32_e32 v1, 0x5f7ffffc, v1
	v_mul_f32_e32 v2, 0x2f800000, v1
	v_trunc_f32_e32 v2, v2
	v_mac_f32_e32 v1, 0xcf800000, v2
	v_cvt_u32_f32_e32 v2, v2
	v_cvt_u32_f32_e32 v1, v1
	v_readfirstlane_b32 s26, v2
	v_readfirstlane_b32 s24, v1
	s_mul_i32 s25, s13, s26
	s_mul_hi_u32 s28, s13, s24
	s_mul_i32 s27, s15, s24
	s_add_i32 s25, s28, s25
	s_add_i32 s25, s25, s27
	s_mul_i32 s29, s13, s24
	s_mul_i32 s28, s24, s25
	s_mul_hi_u32 s30, s24, s29
	s_mul_hi_u32 s27, s24, s25
	s_add_u32 s28, s30, s28
	s_addc_u32 s27, 0, s27
	s_mul_hi_u32 s31, s26, s29
	s_mul_i32 s29, s26, s29
	s_add_u32 s28, s28, s29
	s_mul_hi_u32 s30, s26, s25
	s_addc_u32 s27, s27, s31
	s_addc_u32 s28, s30, 0
	s_mul_i32 s25, s26, s25
	s_add_u32 s25, s27, s25
	s_addc_u32 s27, 0, s28
	s_add_u32 s28, s24, s25
	s_cselect_b64 s[24:25], -1, 0
	s_cmp_lg_u64 s[24:25], 0
	s_addc_u32 s26, s26, s27
	s_mul_i32 s24, s13, s26
	s_mul_hi_u32 s25, s13, s28
	s_add_i32 s24, s25, s24
	s_mul_i32 s15, s15, s28
	s_add_i32 s24, s24, s15
	s_mul_i32 s13, s13, s28
	s_mul_hi_u32 s25, s26, s13
	s_mul_i32 s27, s26, s13
	s_mul_i32 s30, s28, s24
	s_mul_hi_u32 s13, s28, s13
	s_mul_hi_u32 s29, s28, s24
	s_add_u32 s13, s13, s30
	s_addc_u32 s29, 0, s29
	s_add_u32 s13, s13, s27
	s_mul_hi_u32 s15, s26, s24
	s_addc_u32 s13, s29, s25
	s_addc_u32 s15, s15, 0
	s_mul_i32 s24, s26, s24
	s_add_u32 s13, s13, s24
	s_addc_u32 s15, 0, s15
	s_add_u32 s13, s28, s13
	s_cselect_b64 s[24:25], -1, 0
	s_cmp_lg_u64 s[24:25], 0
	s_addc_u32 s15, s26, s15
	s_ashr_i32 s24, s19, 31
	s_add_u32 s26, s18, s24
	s_mov_b32 s25, s24
	s_addc_u32 s27, s19, s24
	s_xor_b64 s[26:27], s[26:27], s[24:25]
	s_mul_i32 s29, s26, s15
	s_mul_hi_u32 s30, s26, s13
	s_mul_hi_u32 s28, s26, s15
	s_add_u32 s29, s30, s29
	s_addc_u32 s28, 0, s28
	s_mul_hi_u32 s31, s27, s13
	s_mul_i32 s13, s27, s13
	s_add_u32 s13, s29, s13
	s_mul_hi_u32 s30, s27, s15
	s_addc_u32 s13, s28, s31
	s_addc_u32 s28, s30, 0
	s_mul_i32 s15, s27, s15
	s_add_u32 s13, s13, s15
	s_addc_u32 s15, 0, s28
	s_mul_i32 s28, s22, s15
	s_mul_hi_u32 s29, s22, s13
	s_add_i32 s28, s29, s28
	s_mul_i32 s29, s23, s13
	s_add_i32 s33, s28, s29
	s_sub_i32 s30, s27, s33
	s_mul_i32 s28, s22, s13
	s_sub_u32 s26, s26, s28
	s_cselect_b64 s[28:29], -1, 0
	s_cmp_lg_u64 s[28:29], 0
	s_subb_u32 s34, s30, s23
	s_sub_u32 s35, s26, s22
	s_cselect_b64 s[30:31], -1, 0
	s_cmp_lg_u64 s[30:31], 0
	s_subb_u32 s30, s34, 0
	s_cmp_ge_u32 s30, s23
	s_cselect_b32 s31, -1, 0
	s_cmp_ge_u32 s35, s22
	s_cselect_b32 s34, -1, 0
	s_cmp_eq_u32 s30, s23
	s_cselect_b32 s30, s34, s31
	s_add_u32 s31, s13, 1
	s_addc_u32 s34, s15, 0
	s_add_u32 s35, s13, 2
	s_addc_u32 s36, s15, 0
	s_cmp_lg_u32 s30, 0
	s_cselect_b32 s30, s35, s31
	s_cselect_b32 s31, s36, s34
	s_cmp_lg_u64 s[28:29], 0
	s_subb_u32 s27, s27, s33
	s_cmp_ge_u32 s27, s23
	s_cselect_b32 s28, -1, 0
	s_cmp_ge_u32 s26, s22
	s_cselect_b32 s22, -1, 0
	s_cmp_eq_u32 s27, s23
	s_cselect_b32 s22, s22, s28
	s_cmp_lg_u32 s22, 0
	s_cselect_b32 s23, s31, s15
	s_cselect_b32 s22, s30, s13
	s_xor_b64 s[8:9], s[24:25], s[8:9]
	s_xor_b64 s[22:23], s[22:23], s[8:9]
	s_sub_u32 s8, s22, s8
	s_subb_u32 s9, s23, s9
	s_cbranch_execnz .LBB55_6
.LBB55_5:                               ;   in Loop: Header=BB55_3 Depth=1
	v_cvt_f32_u32_e32 v1, s20
	s_sub_i32 s8, 0, s20
	v_rcp_iflag_f32_e32 v1, v1
	v_mul_f32_e32 v1, 0x4f7ffffe, v1
	v_cvt_u32_f32_e32 v1, v1
	v_readfirstlane_b32 s9, v1
	s_mul_i32 s8, s8, s9
	s_mul_hi_u32 s8, s9, s8
	s_add_i32 s9, s9, s8
	s_mul_hi_u32 s8, s18, s9
	s_mul_i32 s13, s8, s20
	s_sub_i32 s13, s18, s13
	s_add_i32 s9, s8, 1
	s_sub_i32 s15, s13, s20
	s_cmp_ge_u32 s13, s20
	s_cselect_b32 s8, s9, s8
	s_cselect_b32 s13, s15, s13
	s_add_i32 s9, s8, 1
	s_cmp_ge_u32 s13, s20
	s_cselect_b32 s8, s9, s8
	s_mov_b32 s9, s14
.LBB55_6:                               ;   in Loop: Header=BB55_3 Depth=1
	s_mul_i32 s13, s8, s21
	s_mul_hi_u32 s15, s8, s20
	s_load_dwordx2 s[22:23], s[16:17], 0xc8
	s_add_i32 s13, s15, s13
	s_mul_i32 s15, s9, s20
	s_add_i32 s13, s13, s15
	s_mul_i32 s15, s8, s20
	s_sub_u32 s15, s18, s15
	s_subb_u32 s13, s19, s13
	s_waitcnt lgkmcnt(0)
	s_mul_i32 s13, s22, s13
	s_mul_hi_u32 s18, s22, s15
	s_add_i32 s13, s18, s13
	s_mul_i32 s18, s23, s15
	s_add_i32 s13, s13, s18
	s_mul_i32 s15, s22, s15
	s_add_u32 s2, s15, s2
	s_addc_u32 s3, s13, s3
	s_add_i32 s7, s7, -1
	s_add_u32 s16, s16, -8
	s_addc_u32 s17, s17, -1
	s_cmp_gt_u32 s7, 2
	s_cbranch_scc0 .LBB55_9
; %bb.7:                                ;   in Loop: Header=BB55_3 Depth=1
	s_mov_b64 s[18:19], s[8:9]
	s_branch .LBB55_3
.LBB55_8:                               ;   in Loop: Header=BB55_3 Depth=1
                                        ; implicit-def: $sgpr8_sgpr9
	s_branch .LBB55_5
.LBB55_9:
	s_load_dword s13, s[4:5], 0x358
	s_load_dwordx2 s[14:15], s[4:5], 0xd0
	s_add_u32 s16, s4, 0x1c0
	s_addc_u32 s17, s5, 0
	s_mov_b64 s[44:45], 0
	s_waitcnt lgkmcnt(0)
	s_cmp_lt_i32 s13, 2
	s_mov_b64 s[28:29], s[0:1]
	s_cbranch_scc1 .LBB55_17
; %bb.10:
	s_mov_b32 s18, 0
	s_add_i32 s20, s13, -1
	s_mov_b32 s21, s18
	s_add_i32 s7, s13, 1
	s_lshl_b64 s[20:21], s[20:21], 3
	s_add_u32 s13, s16, s20
	s_addc_u32 s19, s17, s21
	s_add_u32 s20, s13, 8
	s_addc_u32 s21, s19, 0
	s_mov_b64 s[22:23], s[0:1]
.LBB55_11:                              ; =>This Inner Loop Header: Depth=1
	s_load_dwordx2 s[24:25], s[20:21], 0x0
	s_waitcnt lgkmcnt(0)
	s_or_b64 s[26:27], s[22:23], s[24:25]
	s_mov_b32 s19, s27
	s_cmp_lg_u64 s[18:19], 0
	s_cbranch_scc0 .LBB55_16
; %bb.12:                               ;   in Loop: Header=BB55_11 Depth=1
	s_ashr_i32 s26, s25, 31
	s_add_u32 s28, s24, s26
	s_mov_b32 s27, s26
	s_addc_u32 s29, s25, s26
	s_xor_b64 s[28:29], s[28:29], s[26:27]
	v_cvt_f32_u32_e32 v1, s28
	v_cvt_f32_u32_e32 v2, s29
	s_sub_u32 s13, 0, s28
	s_subb_u32 s19, 0, s29
	v_mac_f32_e32 v1, 0x4f800000, v2
	v_rcp_f32_e32 v1, v1
	v_mul_f32_e32 v1, 0x5f7ffffc, v1
	v_mul_f32_e32 v2, 0x2f800000, v1
	v_trunc_f32_e32 v2, v2
	v_mac_f32_e32 v1, 0xcf800000, v2
	v_cvt_u32_f32_e32 v2, v2
	v_cvt_u32_f32_e32 v1, v1
	v_readfirstlane_b32 s33, v2
	v_readfirstlane_b32 s30, v1
	s_mul_i32 s31, s13, s33
	s_mul_hi_u32 s35, s13, s30
	s_mul_i32 s34, s19, s30
	s_add_i32 s31, s35, s31
	s_add_i32 s31, s31, s34
	s_mul_i32 s36, s13, s30
	s_mul_i32 s35, s30, s31
	s_mul_hi_u32 s37, s30, s36
	s_mul_hi_u32 s34, s30, s31
	s_add_u32 s35, s37, s35
	s_addc_u32 s34, 0, s34
	s_mul_hi_u32 s38, s33, s36
	s_mul_i32 s36, s33, s36
	s_add_u32 s35, s35, s36
	s_mul_hi_u32 s37, s33, s31
	s_addc_u32 s34, s34, s38
	s_addc_u32 s35, s37, 0
	s_mul_i32 s31, s33, s31
	s_add_u32 s31, s34, s31
	s_addc_u32 s34, 0, s35
	s_add_u32 s35, s30, s31
	s_cselect_b64 s[30:31], -1, 0
	s_cmp_lg_u64 s[30:31], 0
	s_addc_u32 s33, s33, s34
	s_mul_i32 s30, s13, s33
	s_mul_hi_u32 s31, s13, s35
	s_add_i32 s30, s31, s30
	s_mul_i32 s19, s19, s35
	s_add_i32 s30, s30, s19
	s_mul_i32 s13, s13, s35
	s_mul_hi_u32 s31, s33, s13
	s_mul_i32 s34, s33, s13
	s_mul_i32 s37, s35, s30
	s_mul_hi_u32 s13, s35, s13
	s_mul_hi_u32 s36, s35, s30
	s_add_u32 s13, s13, s37
	s_addc_u32 s36, 0, s36
	s_add_u32 s13, s13, s34
	s_mul_hi_u32 s19, s33, s30
	s_addc_u32 s13, s36, s31
	s_addc_u32 s19, s19, 0
	s_mul_i32 s30, s33, s30
	s_add_u32 s13, s13, s30
	s_addc_u32 s19, 0, s19
	s_add_u32 s13, s35, s13
	s_cselect_b64 s[30:31], -1, 0
	s_cmp_lg_u64 s[30:31], 0
	s_addc_u32 s19, s33, s19
	s_ashr_i32 s30, s23, 31
	s_add_u32 s34, s22, s30
	s_mov_b32 s31, s30
	s_addc_u32 s35, s23, s30
	s_xor_b64 s[34:35], s[34:35], s[30:31]
	s_mul_i32 s36, s34, s19
	s_mul_hi_u32 s37, s34, s13
	s_mul_hi_u32 s33, s34, s19
	s_add_u32 s36, s37, s36
	s_addc_u32 s33, 0, s33
	s_mul_hi_u32 s38, s35, s13
	s_mul_i32 s13, s35, s13
	s_add_u32 s13, s36, s13
	s_mul_hi_u32 s37, s35, s19
	s_addc_u32 s13, s33, s38
	s_addc_u32 s33, s37, 0
	s_mul_i32 s19, s35, s19
	s_add_u32 s13, s13, s19
	s_addc_u32 s19, 0, s33
	s_mul_i32 s33, s28, s19
	s_mul_hi_u32 s36, s28, s13
	s_add_i32 s33, s36, s33
	s_mul_i32 s36, s29, s13
	s_add_i32 s33, s33, s36
	s_sub_i32 s38, s35, s33
	s_mul_i32 s36, s28, s13
	s_sub_u32 s34, s34, s36
	s_cselect_b64 s[36:37], -1, 0
	s_cmp_lg_u64 s[36:37], 0
	s_subb_u32 s40, s38, s29
	s_sub_u32 s41, s34, s28
	s_cselect_b64 s[38:39], -1, 0
	s_cmp_lg_u64 s[38:39], 0
	s_subb_u32 s38, s40, 0
	s_cmp_ge_u32 s38, s29
	s_cselect_b32 s39, -1, 0
	s_cmp_ge_u32 s41, s28
	s_cselect_b32 s40, -1, 0
	s_cmp_eq_u32 s38, s29
	s_cselect_b32 s38, s40, s39
	s_add_u32 s39, s13, 1
	s_addc_u32 s40, s19, 0
	s_add_u32 s41, s13, 2
	s_addc_u32 s42, s19, 0
	s_cmp_lg_u32 s38, 0
	s_cselect_b32 s38, s41, s39
	s_cselect_b32 s39, s42, s40
	s_cmp_lg_u64 s[36:37], 0
	s_subb_u32 s33, s35, s33
	s_cmp_ge_u32 s33, s29
	s_cselect_b32 s35, -1, 0
	s_cmp_ge_u32 s34, s28
	s_cselect_b32 s28, -1, 0
	s_cmp_eq_u32 s33, s29
	s_cselect_b32 s28, s28, s35
	s_cmp_lg_u32 s28, 0
	s_cselect_b32 s29, s39, s19
	s_cselect_b32 s28, s38, s13
	s_xor_b64 s[26:27], s[30:31], s[26:27]
	s_xor_b64 s[28:29], s[28:29], s[26:27]
	s_sub_u32 s28, s28, s26
	s_subb_u32 s29, s29, s27
	s_cbranch_execnz .LBB55_14
.LBB55_13:                              ;   in Loop: Header=BB55_11 Depth=1
	v_cvt_f32_u32_e32 v1, s24
	s_sub_i32 s13, 0, s24
	s_mov_b32 s29, s18
	v_rcp_iflag_f32_e32 v1, v1
	v_mul_f32_e32 v1, 0x4f7ffffe, v1
	v_cvt_u32_f32_e32 v1, v1
	v_readfirstlane_b32 s19, v1
	s_mul_i32 s13, s13, s19
	s_mul_hi_u32 s13, s19, s13
	s_add_i32 s19, s19, s13
	s_mul_hi_u32 s13, s22, s19
	s_mul_i32 s26, s13, s24
	s_sub_i32 s26, s22, s26
	s_add_i32 s19, s13, 1
	s_sub_i32 s27, s26, s24
	s_cmp_ge_u32 s26, s24
	s_cselect_b32 s13, s19, s13
	s_cselect_b32 s26, s27, s26
	s_add_i32 s19, s13, 1
	s_cmp_ge_u32 s26, s24
	s_cselect_b32 s28, s19, s13
.LBB55_14:                              ;   in Loop: Header=BB55_11 Depth=1
	s_mul_i32 s13, s28, s25
	s_mul_hi_u32 s19, s28, s24
	s_load_dwordx2 s[26:27], s[20:21], 0xc8
	s_add_i32 s13, s19, s13
	s_mul_i32 s19, s29, s24
	s_add_i32 s13, s13, s19
	s_mul_i32 s19, s28, s24
	s_sub_u32 s19, s22, s19
	s_subb_u32 s13, s23, s13
	s_waitcnt lgkmcnt(0)
	s_mul_i32 s13, s26, s13
	s_mul_hi_u32 s22, s26, s19
	s_add_i32 s13, s22, s13
	s_mul_i32 s22, s27, s19
	s_add_i32 s13, s13, s22
	s_mul_i32 s19, s26, s19
	s_add_u32 s44, s19, s44
	s_addc_u32 s45, s13, s45
	s_add_i32 s7, s7, -1
	s_add_u32 s20, s20, -8
	s_addc_u32 s21, s21, -1
	s_cmp_gt_u32 s7, 2
	s_cbranch_scc0 .LBB55_17
; %bb.15:                               ;   in Loop: Header=BB55_11 Depth=1
	s_mov_b64 s[22:23], s[28:29]
	s_branch .LBB55_11
.LBB55_16:                              ;   in Loop: Header=BB55_11 Depth=1
                                        ; implicit-def: $sgpr28_sgpr29
	s_branch .LBB55_13
.LBB55_17:
                                        ; implicit-def: $vgpr58 : SGPR spill to VGPR lane
	s_load_dword s18, s[4:5], 0x4f8
	s_load_dwordx2 s[20:21], s[16:17], 0xd0
	v_writelane_b32 v58, s44, 0
	v_writelane_b32 v58, s45, 1
	;; [unrolled: 1-line block ×3, first 2 shown]
	s_add_u32 s13, s4, 0x360
	v_writelane_b32 v58, s29, 3
                                        ; kill: killed $sgpr16 killed $sgpr17
	s_addc_u32 s17, s5, 0
	s_waitcnt lgkmcnt(0)
	v_writelane_b32 v58, s20, 4
	s_cmp_lt_i32 s18, 2
	s_mov_b64 s[64:65], 0
	v_writelane_b32 v58, s21, 5
	s_cbranch_scc1 .LBB55_25
; %bb.18:
	s_mov_b32 s16, 0
	s_add_i32 s7, s18, 1
	s_add_i32 s18, s18, -1
	s_mov_b32 s19, s16
	s_lshl_b64 s[18:19], s[18:19], 3
	s_add_u32 s13, s13, s18
	s_addc_u32 s17, s17, s19
	s_add_u32 s18, s13, 8
	s_addc_u32 s19, s17, 0
.LBB55_19:                              ; =>This Inner Loop Header: Depth=1
	s_load_dwordx2 s[20:21], s[18:19], 0x0
	s_waitcnt lgkmcnt(0)
	s_or_b64 s[22:23], s[0:1], s[20:21]
	s_mov_b32 s17, s23
	s_cmp_lg_u64 s[16:17], 0
	s_cbranch_scc0 .LBB55_24
; %bb.20:                               ;   in Loop: Header=BB55_19 Depth=1
	s_ashr_i32 s22, s21, 31
	s_add_u32 s24, s20, s22
	s_mov_b32 s23, s22
	s_addc_u32 s25, s21, s22
	s_xor_b64 s[24:25], s[24:25], s[22:23]
	v_cvt_f32_u32_e32 v1, s24
	v_cvt_f32_u32_e32 v2, s25
	s_sub_u32 s13, 0, s24
	s_subb_u32 s17, 0, s25
	v_mac_f32_e32 v1, 0x4f800000, v2
	v_rcp_f32_e32 v1, v1
	v_mul_f32_e32 v1, 0x5f7ffffc, v1
	v_mul_f32_e32 v2, 0x2f800000, v1
	v_trunc_f32_e32 v2, v2
	v_mac_f32_e32 v1, 0xcf800000, v2
	v_cvt_u32_f32_e32 v2, v2
	v_cvt_u32_f32_e32 v1, v1
	v_readfirstlane_b32 s28, v2
	v_readfirstlane_b32 s26, v1
	s_mul_i32 s27, s13, s28
	s_mul_hi_u32 s30, s13, s26
	s_mul_i32 s29, s17, s26
	s_add_i32 s27, s30, s27
	s_add_i32 s27, s27, s29
	s_mul_i32 s31, s13, s26
	s_mul_i32 s30, s26, s27
	s_mul_hi_u32 s33, s26, s31
	s_mul_hi_u32 s29, s26, s27
	s_add_u32 s30, s33, s30
	s_addc_u32 s29, 0, s29
	s_mul_hi_u32 s34, s28, s31
	s_mul_i32 s31, s28, s31
	s_add_u32 s30, s30, s31
	s_mul_hi_u32 s33, s28, s27
	s_addc_u32 s29, s29, s34
	s_addc_u32 s30, s33, 0
	s_mul_i32 s27, s28, s27
	s_add_u32 s27, s29, s27
	s_addc_u32 s29, 0, s30
	s_add_u32 s30, s26, s27
	s_cselect_b64 s[26:27], -1, 0
	s_cmp_lg_u64 s[26:27], 0
	s_addc_u32 s28, s28, s29
	s_mul_i32 s26, s13, s28
	s_mul_hi_u32 s27, s13, s30
	s_add_i32 s26, s27, s26
	s_mul_i32 s17, s17, s30
	s_add_i32 s26, s26, s17
	s_mul_i32 s13, s13, s30
	s_mul_hi_u32 s27, s28, s13
	s_mul_i32 s29, s28, s13
	s_mul_i32 s33, s30, s26
	s_mul_hi_u32 s13, s30, s13
	s_mul_hi_u32 s31, s30, s26
	s_add_u32 s13, s13, s33
	s_addc_u32 s31, 0, s31
	s_add_u32 s13, s13, s29
	s_mul_hi_u32 s17, s28, s26
	s_addc_u32 s13, s31, s27
	s_addc_u32 s17, s17, 0
	s_mul_i32 s26, s28, s26
	s_add_u32 s13, s13, s26
	s_addc_u32 s17, 0, s17
	s_add_u32 s13, s30, s13
	s_cselect_b64 s[26:27], -1, 0
	s_cmp_lg_u64 s[26:27], 0
	s_addc_u32 s17, s28, s17
	s_ashr_i32 s26, s1, 31
	s_add_u32 s28, s0, s26
	s_mov_b32 s27, s26
	s_addc_u32 s29, s1, s26
	s_xor_b64 s[28:29], s[28:29], s[26:27]
	s_mul_i32 s31, s28, s17
	s_mul_hi_u32 s33, s28, s13
	s_mul_hi_u32 s30, s28, s17
	s_add_u32 s31, s33, s31
	s_addc_u32 s30, 0, s30
	s_mul_hi_u32 s34, s29, s13
	s_mul_i32 s13, s29, s13
	s_add_u32 s13, s31, s13
	s_mul_hi_u32 s33, s29, s17
	s_addc_u32 s13, s30, s34
	s_addc_u32 s30, s33, 0
	s_mul_i32 s17, s29, s17
	s_add_u32 s13, s13, s17
	s_addc_u32 s17, 0, s30
	s_mul_i32 s30, s24, s17
	s_mul_hi_u32 s31, s24, s13
	s_add_i32 s30, s31, s30
	s_mul_i32 s31, s25, s13
	s_add_i32 s33, s30, s31
	s_sub_i32 s34, s29, s33
	s_mul_i32 s30, s24, s13
	s_sub_u32 s28, s28, s30
	s_cselect_b64 s[30:31], -1, 0
	s_cmp_lg_u64 s[30:31], 0
	s_subb_u32 s36, s34, s25
	s_sub_u32 s37, s28, s24
	s_cselect_b64 s[34:35], -1, 0
	s_cmp_lg_u64 s[34:35], 0
	s_subb_u32 s34, s36, 0
	s_cmp_ge_u32 s34, s25
	s_cselect_b32 s35, -1, 0
	s_cmp_ge_u32 s37, s24
	s_cselect_b32 s36, -1, 0
	s_cmp_eq_u32 s34, s25
	s_cselect_b32 s34, s36, s35
	s_add_u32 s35, s13, 1
	s_addc_u32 s36, s17, 0
	s_add_u32 s37, s13, 2
	s_addc_u32 s38, s17, 0
	s_cmp_lg_u32 s34, 0
	s_cselect_b32 s34, s37, s35
	s_cselect_b32 s35, s38, s36
	s_cmp_lg_u64 s[30:31], 0
	s_subb_u32 s29, s29, s33
	s_cmp_ge_u32 s29, s25
	s_cselect_b32 s30, -1, 0
	s_cmp_ge_u32 s28, s24
	s_cselect_b32 s24, -1, 0
	s_cmp_eq_u32 s29, s25
	s_cselect_b32 s24, s24, s30
	s_cmp_lg_u32 s24, 0
	s_cselect_b32 s25, s35, s17
	s_cselect_b32 s24, s34, s13
	s_xor_b64 s[22:23], s[26:27], s[22:23]
	s_xor_b64 s[24:25], s[24:25], s[22:23]
	s_sub_u32 s68, s24, s22
	s_subb_u32 s69, s25, s23
	s_cbranch_execnz .LBB55_22
.LBB55_21:                              ;   in Loop: Header=BB55_19 Depth=1
	v_cvt_f32_u32_e32 v1, s20
	s_sub_i32 s13, 0, s20
	s_mov_b32 s69, s16
	v_rcp_iflag_f32_e32 v1, v1
	v_mul_f32_e32 v1, 0x4f7ffffe, v1
	v_cvt_u32_f32_e32 v1, v1
	v_readfirstlane_b32 s17, v1
	s_mul_i32 s13, s13, s17
	s_mul_hi_u32 s13, s17, s13
	s_add_i32 s17, s17, s13
	s_mul_hi_u32 s13, s0, s17
	s_mul_i32 s22, s13, s20
	s_sub_i32 s22, s0, s22
	s_add_i32 s17, s13, 1
	s_sub_i32 s23, s22, s20
	s_cmp_ge_u32 s22, s20
	s_cselect_b32 s13, s17, s13
	s_cselect_b32 s22, s23, s22
	s_add_i32 s17, s13, 1
	s_cmp_ge_u32 s22, s20
	s_cselect_b32 s68, s17, s13
.LBB55_22:                              ;   in Loop: Header=BB55_19 Depth=1
	s_mul_i32 s13, s68, s21
	s_mul_hi_u32 s17, s68, s20
	s_load_dwordx2 s[22:23], s[18:19], 0xc8
	s_add_i32 s13, s17, s13
	s_mul_i32 s17, s69, s20
	s_add_i32 s13, s13, s17
	s_mul_i32 s17, s68, s20
	s_sub_u32 s0, s0, s17
	s_subb_u32 s1, s1, s13
	s_waitcnt lgkmcnt(0)
	s_mul_i32 s1, s22, s1
	s_mul_hi_u32 s13, s22, s0
	s_add_i32 s1, s13, s1
	s_mul_i32 s13, s23, s0
	s_add_i32 s1, s1, s13
	s_mul_i32 s0, s22, s0
	s_add_u32 s64, s0, s64
	s_addc_u32 s65, s1, s65
	s_add_i32 s7, s7, -1
	s_add_u32 s18, s18, -8
	s_addc_u32 s19, s19, -1
	s_cmp_gt_u32 s7, 2
	s_cbranch_scc0 .LBB55_26
; %bb.23:                               ;   in Loop: Header=BB55_19 Depth=1
	s_mov_b64 s[0:1], s[68:69]
	s_branch .LBB55_19
.LBB55_24:                              ;   in Loop: Header=BB55_19 Depth=1
                                        ; implicit-def: $sgpr68_sgpr69
	s_branch .LBB55_21
.LBB55_25:
	s_mov_b64 s[68:69], s[0:1]
.LBB55_26:
	s_load_dwordx2 s[0:1], s[4:5], 0x430
	s_mov_b32 s77, 0
                                        ; kill: killed $sgpr4 killed $sgpr5
	s_waitcnt lgkmcnt(0)
	v_writelane_b32 v58, s0, 6
	v_writelane_b32 v58, s1, 7
	s_load_dwordx2 s[0:1], s[4:5], 0x0
	s_load_dwordx2 s[16:17], s[4:5], 0x1c0
	s_waitcnt lgkmcnt(0)
	v_writelane_b32 v58, s16, 8
	v_writelane_b32 v58, s17, 9
	s_load_dwordx2 s[16:17], s[4:5], 0x360
	s_waitcnt lgkmcnt(0)
	v_writelane_b32 v58, s16, 10
	v_writelane_b32 v58, s17, 11
	v_cmp_eq_u32_e64 s[16:17], 0, v0
	s_mov_b64 s[4:5], exec
	v_writelane_b32 v58, s16, 12
	v_writelane_b32 v58, s17, 13
	s_and_b64 s[16:17], s[4:5], s[16:17]
	s_mov_b64 exec, s[16:17]
	s_cbranch_execz .LBB55_28
; %bb.27:
	v_mov_b32_e32 v1, 0
	v_mov_b32_e32 v3, s56
	;; [unrolled: 1-line block ×4, first 2 shown]
	ds_write_b32 v1, v1 offset:5136
	ds_write_b128 v1, v[1:4] offset:5120
.LBB55_28:
	s_or_b64 exec, exec, s[4:5]
	s_mul_i32 s4, s14, s9
	s_mul_hi_u32 s5, s14, s8
	s_add_i32 s4, s5, s4
	s_mul_i32 s5, s15, s8
	s_add_i32 s5, s4, s5
	s_mul_i32 s4, s14, s8
	s_lshl_b64 s[8:9], s[4:5], 2
	s_add_u32 s14, s0, s8
	v_mbcnt_lo_u32_b32 v1, -1, 0
	s_addc_u32 s15, s1, s9
	s_lshl_b64 s[80:81], s[2:3], 2
	v_mbcnt_hi_u32_b32 v41, -1, v1
	s_add_u32 s4, s14, s80
	v_cmp_gt_u32_e32 vcc, 64, v0
	v_cmp_gt_i32_e64 s[2:3], 4, v41
	s_addc_u32 s5, s15, s81
	s_and_b64 s[60:61], vcc, s[2:3]
	v_mad_u64_u32 v[4:5], s[2:3], s62, v0, 0
	v_mov_b32_e32 v13, 0
	v_mov_b32_e32 v1, v13
	v_mad_u64_u32 v[5:6], s[2:3], s63, v0, v[5:6]
	v_cmp_gt_u64_e64 s[2:3], s[56:57], v[0:1]
	s_waitcnt lgkmcnt(0)
	v_writelane_b32 v58, s2, 14
	v_writelane_b32 v58, s3, 15
	;; [unrolled: 1-line block ×3, first 2 shown]
	v_cmp_gt_i64_e64 s[2:3], s[56:57], v[0:1]
	v_writelane_b32 v58, s4, 17
	v_writelane_b32 v58, s2, 18
	s_barrier
	v_writelane_b32 v58, s3, 19
	s_load_dword s2, s[10:11], 0xc
	v_mov_b32_e32 v2, 0x300
	v_mov_b32_e32 v3, 0
	v_cmp_gt_i64_e64 s[94:95], s[56:57], v[2:3]
	v_lshlrev_b64 v[2:3], 2, v[4:5]
	s_waitcnt lgkmcnt(0)
	s_and_b32 s33, s2, 0xffff
	v_add_co_u32_e32 v16, vcc, s4, v2
	s_bfe_u32 s4, s2, 0xa0006
	s_cmp_gt_u32 s33, 63
	s_cselect_b64 s[2:3], -1, 0
	v_writelane_b32 v58, s2, 20
	v_writelane_b32 v58, s3, 21
	s_add_u32 s2, s33, -1
	s_addc_u32 s3, 0, -1
	v_mov_b32_e32 v6, s5
	s_add_u32 s73, s2, s56
	v_addc_co_u32_e32 v17, vcc, v6, v3, vcc
	v_lshlrev_b64 v[6:7], v41, -1
	s_addc_u32 s53, s3, s57
	s_cmp_lt_u32 s6, s12
	v_not_b32_e32 v45, v6
	v_writelane_b32 v58, s2, 22
	v_lshrrev_b32_e32 v6, 1, v0
	s_cselect_b32 s2, 12, 18
	v_and_b32_e32 v6, 0x1e0, v6
	s_add_u32 s48, s10, s2
	v_not_b32_e32 v44, v7
	v_or_b32_e32 v46, 0xc00, v6
	s_addc_u32 s49, s11, 0
	s_add_i32 s2, s4, -1
	v_lshlrev_b32_e32 v47, 4, v0
	v_mov_b32_e32 v6, s14
	s_bfe_u32 s5, s33, 0x30006
	s_and_b32 s2, s2, 0xffff
	v_or_b32_e32 v9, 12, v47
	v_mov_b32_e32 v7, s15
	v_writelane_b32 v58, s3, 23
	s_cmp_gt_u32 s2, 6
	v_mad_u64_u32 v[18:19], s[2:3], s62, v9, v[6:7]
	v_lshlrev_b32_e32 v8, 2, v41
	s_cselect_b64 s[2:3], -1, 0
	v_and_b32_e32 v43, 0x100, v8
	v_writelane_b32 v58, s2, 24
	v_mov_b32_e32 v8, v19
	v_writelane_b32 v58, s3, 25
	v_mad_u64_u32 v[8:9], s[2:3], s63, v9, v[8:9]
	v_or_b32_e32 v9, 8, v47
	v_mad_u64_u32 v[20:21], s[2:3], s62, v9, v[6:7]
	s_and_b32 s74, s4, 0x3f8
	s_cmp_lg_u32 s5, 0
	v_writelane_b32 v58, s5, 26
	s_cselect_b64 s[2:3], -1, 0
	v_writelane_b32 v58, s2, 27
	v_mov_b32_e32 v19, v8
	v_mov_b32_e32 v8, v21
	v_writelane_b32 v58, s3, 28
	v_mad_u64_u32 v[8:9], s[2:3], s63, v9, v[8:9]
	v_or_b32_e32 v9, 4, v47
	v_mad_u64_u32 v[22:23], s[2:3], s62, v9, v[6:7]
	s_add_u32 s4, s8, s80
	s_addc_u32 s5, s9, s81
	s_add_u32 s4, s0, s4
	v_mov_b32_e32 v6, v23
	s_addc_u32 s5, s1, s5
	v_mad_u64_u32 v[6:7], s[2:3], s63, v9, v[6:7]
	v_writelane_b32 v58, s4, 29
	v_writelane_b32 v58, s5, 30
	s_lshl_b64 s[2:3], s[62:63], 2
	v_writelane_b32 v58, s2, 31
	v_writelane_b32 v58, s3, 32
	s_lshl_b64 s[2:3], s[62:63], 4
	v_lshlrev_b64 v[4:5], 4, v[4:5]
	s_add_u32 s0, s0, s80
	s_addc_u32 s1, s1, s81
	v_mov_b32_e32 v23, v6
	v_mov_b32_e32 v6, s15
	v_add_co_u32_e32 v24, vcc, s14, v4
	s_add_u32 s0, s0, s8
	v_addc_co_u32_e32 v25, vcc, v6, v5, vcc
	s_addc_u32 s1, s1, s9
	v_mov_b32_e32 v4, s1
	v_add_co_u32_e32 v10, vcc, s0, v2
	v_writelane_b32 v58, s2, 33
	v_addc_co_u32_e32 v11, vcc, v4, v3, vcc
	v_writelane_b32 v58, s3, 34
	v_mov_b32_e32 v2, s57
	v_add_co_u32_e32 v48, vcc, s56, v0
	s_mul_i32 s0, s63, s33
	s_mul_hi_u32 s1, s62, s33
	v_lshlrev_b32_e32 v14, 2, v0
	v_addc_co_u32_e32 v50, vcc, 0, v2, vcc
	v_mov_b32_e32 v2, 0xc00
	s_add_i32 s1, s1, s0
	s_mul_i32 s0, s62, s33
	v_mov_b32_e32 v29, s58
	v_writelane_b32 v58, s73, 35
	v_cmp_eq_u32_e64 s[82:83], 0, v41
	v_cmp_gt_u32_e64 s[92:93], 2, v0
	v_add_u32_e32 v42, 0xc00, v14
	v_mov_b32_e32 v15, v13
	v_mov_b32_e32 v21, v8
	v_lshl_or_b32 v51, v41, 3, v2
	s_lshl_b64 s[78:79], s[0:1], 2
	s_lshl_b32 s5, s33, 2
	s_mov_b32 s4, 30
	s_mov_b64 s[66:67], 0
                                        ; implicit-def: $sgpr0_sgpr1
	s_mov_b32 s52, 0
	v_bfrev_b32_e32 v52, 1
	v_mov_b32_e32 v49, 0
	v_mov_b32_e32 v53, 0
	;; [unrolled: 1-line block ×3, first 2 shown]
	v_mov_b32_e32 v26, 1.0
	v_mov_b32_e32 v28, 0
	v_writelane_b32 v58, s48, 36
                                        ; implicit-def: $sgpr42_sgpr43
                                        ; kill: killed $sgpr0_sgpr1
                                        ; implicit-def: $sgpr0_sgpr1
                                        ; kill: killed $sgpr0_sgpr1
                                        ; implicit-def: $sgpr70_sgpr71
                                        ; implicit-def: $sgpr54_sgpr55
                                        ; implicit-def: $sgpr90_sgpr91
	v_writelane_b32 v58, s49, 37
	s_branch .LBB55_32
.LBB55_29:                              ;   in Loop: Header=BB55_32 Depth=1
	s_or_b64 exec, exec, s[16:17]
	s_and_b64 s[8:9], s[8:9], exec
	s_andn2_b64 s[22:23], s[22:23], exec
	s_andn2_b64 s[6:7], s[6:7], exec
	s_orn2_b64 s[16:17], s[12:13], exec
.LBB55_30:                              ;   in Loop: Header=BB55_32 Depth=1
	s_or_b64 exec, exec, s[0:1]
	s_andn2_b64 s[0:1], s[58:59], exec
	s_and_b64 s[8:9], s[8:9], exec
	s_or_b64 s[58:59], s[0:1], s[8:9]
	s_andn2_b64 s[0:1], s[70:71], exec
	s_and_b64 s[8:9], s[22:23], exec
	s_or_b64 s[70:71], s[0:1], s[8:9]
	s_andn2_b64 s[0:1], s[90:91], exec
	s_and_b64 s[2:3], s[6:7], exec
	s_or_b64 s[90:91], s[0:1], s[2:3]
	s_orn2_b64 s[6:7], s[16:17], exec
.LBB55_31:                              ;   in Loop: Header=BB55_32 Depth=1
	s_or_b64 exec, exec, s[14:15]
	s_and_b64 s[0:1], exec, s[6:7]
	s_or_b64 s[66:67], s[0:1], s[66:67]
	v_readlane_b32 s0, v58, 38
	v_readlane_b32 s1, v58, 39
	s_andn2_b64 s[0:1], s[0:1], exec
	s_and_b64 s[6:7], s[58:59], exec
	s_or_b64 s[0:1], s[0:1], s[6:7]
	v_writelane_b32 v58, s0, 38
	v_writelane_b32 v58, s1, 39
	v_readlane_b32 s0, v58, 40
	v_readlane_b32 s1, v58, 41
	s_andn2_b64 s[0:1], s[0:1], exec
	s_and_b64 s[6:7], s[70:71], exec
	s_or_b64 s[0:1], s[0:1], s[6:7]
	s_mov_b64 s[2:3], s[90:91]
	v_writelane_b32 v58, s0, 40
	v_writelane_b32 v58, s1, 41
	s_andn2_b64 s[0:1], s[42:43], exec
	s_and_b64 s[6:7], s[2:3], exec
	v_mov_b32_e32 v30, v7
	s_mov_b64 s[90:91], s[58:59]
	s_mov_b64 s[54:55], s[70:71]
	;; [unrolled: 1-line block ×3, first 2 shown]
	s_or_b64 s[42:43], s[0:1], s[6:7]
	v_mov_b32_e32 v29, v6
	s_andn2_b64 exec, exec, s[66:67]
	s_cbranch_execz .LBB55_298
.LBB55_32:                              ; =>This Loop Header: Depth=1
                                        ;     Child Loop BB55_38 Depth 2
                                        ;     Child Loop BB55_51 Depth 2
	;; [unrolled: 1-line block ×16, first 2 shown]
	ds_read_b128 v[2:5], v13 offset:5120
	s_waitcnt lgkmcnt(0)
	v_readfirstlane_b32 s59, v3
	v_readfirstlane_b32 s58, v2
	v_cmp_gt_i64_e64 s[0:1], s[58:59], 0
	s_and_b64 vcc, exec, s[0:1]
	s_cbranch_vccnz .LBB55_59
; %bb.33:                               ;   in Loop: Header=BB55_32 Depth=1
	s_and_b64 vcc, exec, s[94:95]
	s_cbranch_vccz .LBB55_46
; %bb.34:                               ;   in Loop: Header=BB55_32 Depth=1
	s_mov_b64 s[0:1], 0x301
	v_cmp_gt_i64_e32 vcc, s[0:1], v[4:5]
	s_mov_b64 s[0:1], 0
	s_mov_b64 s[6:7], 0
	s_cbranch_vccz .LBB55_47
; %bb.35:                               ;   in Loop: Header=BB55_32 Depth=1
	v_readlane_b32 s2, v58, 14
	v_readlane_b32 s3, v58, 15
	s_and_saveexec_b64 s[8:9], s[2:3]
	s_cbranch_execz .LBB55_93
; %bb.36:                               ;   in Loop: Header=BB55_32 Depth=1
	global_load_ushort v6, v13, s[48:49]
	global_load_dword v7, v[16:17], off
	v_readlane_b32 s2, v58, 29
	v_readlane_b32 s3, v58, 30
	v_mov_b32_e32 v2, s2
	v_mov_b32_e32 v3, s3
	v_readlane_b32 s2, v58, 31
	v_readlane_b32 s3, v58, 32
	s_mov_b64 s[14:15], 0
	s_waitcnt vmcnt(1)
	v_readfirstlane_b32 s6, v6
	s_and_b32 s12, 0xffff, s6
	v_add_u32_e32 v4, s12, v0
	v_mad_u64_u32 v[2:3], s[6:7], s2, v4, v[2:3]
	s_mul_i32 s13, s3, s12
	s_mul_i32 s22, s2, s12
	v_mad_u64_u32 v[3:4], s[6:7], s3, v4, v[3:4]
	s_mul_hi_u32 s6, s2, s12
	v_mov_b32_e32 v5, v1
	s_add_i32 s23, s6, s13
	v_mov_b32_e32 v4, v0
	s_branch .LBB55_38
.LBB55_37:                              ;   in Loop: Header=BB55_38 Depth=2
	s_or_b64 exec, exec, s[6:7]
	v_mov_b32_e32 v7, s23
	v_add_co_u32_e32 v2, vcc, s22, v2
	v_addc_co_u32_e32 v3, vcc, v3, v7, vcc
	v_mov_b32_e32 v7, v8
	s_andn2_b64 exec, exec, s[14:15]
	s_cbranch_execz .LBB55_93
.LBB55_38:                              ;   Parent Loop BB55_32 Depth=1
                                        ; =>  This Inner Loop Header: Depth=2
	v_add_co_u32_sdwa v4, vcc, v4, v6 dst_sel:DWORD dst_unused:UNUSED_PAD src0_sel:DWORD src1_sel:WORD_0
	v_addc_co_u32_e32 v5, vcc, 0, v5, vcc
	v_cmp_gt_i64_e64 s[6:7], s[56:57], v[4:5]
	v_cmp_le_i64_e32 vcc, s[56:57], v[4:5]
	s_waitcnt lgkmcnt(0)
	v_mov_b32_e32 v9, 0
	v_mov_b32_e32 v8, 0
	s_and_saveexec_b64 s[12:13], s[6:7]
	s_cbranch_execz .LBB55_40
; %bb.39:                               ;   in Loop: Header=BB55_38 Depth=2
	global_load_dword v8, v[2:3], off
.LBB55_40:                              ;   in Loop: Header=BB55_38 Depth=2
	s_or_b64 exec, exec, s[12:13]
	s_waitcnt vmcnt(0)
	v_cmp_lt_i32_e64 s[6:7], -1, v7
	v_cndmask_b32_e64 v12, -1, v52, s[6:7]
	v_xor_b32_e32 v12, v12, v7
	v_cmp_o_f32_e64 s[6:7], v7, v7
	v_cndmask_b32_e64 v12, -1, v12, s[6:7]
	v_and_b32_e32 v12, v12, v53
	v_cmp_eq_u32_e64 s[12:13], v12, v49
	s_cmp_lg_u64 s[12:13], 0
	s_cselect_b64 s[6:7], -1, 0
	s_and_b64 s[6:7], s[82:83], s[6:7]
	s_and_saveexec_b64 s[16:17], s[6:7]
	s_cbranch_execz .LBB55_44
; %bb.41:                               ;   in Loop: Header=BB55_38 Depth=2
	s_mov_b64 s[20:21], exec
	v_mbcnt_lo_u32_b32 v9, s20, 0
	v_mbcnt_hi_u32_b32 v9, s21, v9
	s_bcnt1_i32_b64 s24, s[12:13]
	v_cmp_eq_u32_e64 s[6:7], 0, v9
                                        ; implicit-def: $vgpr12
	s_and_saveexec_b64 s[18:19], s[6:7]
; %bb.42:                               ;   in Loop: Header=BB55_38 Depth=2
	s_bcnt1_i32_b64 s6, s[20:21]
	s_mul_i32 s6, s24, s6
	v_mov_b32_e32 v12, s6
	ds_add_rtn_u32 v12, v13, v12 offset:5136
; %bb.43:                               ;   in Loop: Header=BB55_38 Depth=2
	s_or_b64 exec, exec, s[18:19]
	s_waitcnt lgkmcnt(0)
	v_readfirstlane_b32 s6, v12
	v_mov_b32_e32 v12, s6
	v_mad_u32_u24 v9, s24, v9, v12
.LBB55_44:                              ;   in Loop: Header=BB55_38 Depth=2
	s_or_b64 exec, exec, s[16:17]
	ds_bpermute_b32 v9, v43, v9
	s_and_b64 s[6:7], exec, vcc
	s_or_b64 s[14:15], s[6:7], s[14:15]
	s_and_saveexec_b64 s[6:7], s[12:13]
	s_cbranch_execz .LBB55_37
; %bb.45:                               ;   in Loop: Header=BB55_38 Depth=2
	v_and_b32_e32 v27, s12, v45
	v_and_b32_e32 v12, s13, v44
	v_bcnt_u32_b32 v27, v27, 0
	v_bcnt_u32_b32 v12, v12, v27
	v_lshlrev_b32_e32 v12, 2, v12
	s_waitcnt lgkmcnt(0)
	v_lshl_add_u32 v9, v9, 2, v12
	ds_write_b32 v9, v7
	s_branch .LBB55_37
.LBB55_46:                              ;   in Loop: Header=BB55_32 Depth=1
	s_mov_b64 s[0:1], -1
	s_mov_b64 s[6:7], 0
.LBB55_47:                              ;   in Loop: Header=BB55_32 Depth=1
	s_and_b64 vcc, exec, s[0:1]
	s_cbranch_vccz .LBB55_57
.LBB55_48:                              ;   in Loop: Header=BB55_32 Depth=1
	s_mov_b64 s[0:1], exec
	v_readlane_b32 s6, v58, 18
	v_readlane_b32 s7, v58, 19
	s_and_b64 s[6:7], s[0:1], s[6:7]
	s_mov_b64 exec, s[6:7]
	s_cbranch_execz .LBB55_54
; %bb.49:                               ;   in Loop: Header=BB55_32 Depth=1
	global_load_ushort v2, v13, s[48:49]
	global_load_dword v8, v[16:17], off
	s_waitcnt vmcnt(1)
	v_add_u32_sdwa v12, v2, v0 dst_sel:DWORD dst_unused:UNUSED_PAD src0_sel:WORD_0 src1_sel:DWORD
	v_cmp_gt_i64_e32 vcc, s[56:57], v[12:13]
	v_readfirstlane_b32 s6, v2
	v_mov_b32_e32 v2, v0
	s_and_saveexec_b64 s[8:9], vcc
	s_cbranch_execz .LBB55_53
; %bb.50:                               ;   in Loop: Header=BB55_32 Depth=1
	v_readlane_b32 s2, v58, 29
	v_readlane_b32 s3, v58, 30
	v_mov_b32_e32 v2, s2
	v_mov_b32_e32 v3, s3
	v_readlane_b32 s2, v58, 31
	v_mad_u64_u32 v[2:3], s[12:13], s2, v12, v[2:3]
	v_readlane_b32 s3, v58, 32
	s_and_b32 s14, s6, 0xffff
	v_mad_u64_u32 v[3:4], s[6:7], s3, v12, v[3:4]
	s_mul_i32 s6, s3, s14
	s_mul_hi_u32 s7, s2, s14
	v_mov_b32_e32 v4, v12
	v_mov_b32_e32 v7, v1
	s_add_i32 s15, s7, s6
	s_mul_i32 s16, s2, s14
	s_mov_b64 s[12:13], 0
	v_mov_b32_e32 v5, v13
	v_mov_b32_e32 v6, v0
.LBB55_51:                              ;   Parent Loop BB55_32 Depth=1
                                        ; =>  This Inner Loop Header: Depth=2
	global_load_dword v9, v[2:3], off
	v_mov_b32_e32 v32, v5
	v_mov_b32_e32 v31, v4
	v_lshlrev_b32_e32 v4, 2, v6
	v_mov_b32_e32 v6, s15
	v_add_co_u32_e32 v2, vcc, s16, v2
	s_waitcnt vmcnt(1)
	ds_write_b32 v4, v8
	v_add_co_u32_e64 v4, s[6:7], s14, v31
	v_addc_co_u32_e64 v5, s[6:7], 0, v32, s[6:7]
	v_addc_co_u32_e32 v3, vcc, v3, v6, vcc
	v_cmp_le_i64_e32 vcc, s[56:57], v[4:5]
	v_mov_b32_e32 v6, v31
	s_or_b64 s[12:13], vcc, s[12:13]
	v_mov_b32_e32 v7, v32
	s_waitcnt vmcnt(0)
	v_mov_b32_e32 v8, v9
	s_andn2_b64 exec, exec, s[12:13]
	s_cbranch_execnz .LBB55_51
; %bb.52:                               ;   in Loop: Header=BB55_32 Depth=1
	s_or_b64 exec, exec, s[12:13]
	v_subrev_u32_e32 v2, s14, v4
	v_mov_b32_e32 v8, v9
.LBB55_53:                              ;   in Loop: Header=BB55_32 Depth=1
	s_or_b64 exec, exec, s[8:9]
	v_lshlrev_b32_e32 v2, 2, v2
	s_waitcnt vmcnt(0)
	ds_write_b32 v2, v8
.LBB55_54:                              ;   in Loop: Header=BB55_32 Depth=1
	s_or_b64 exec, exec, s[0:1]
	s_waitcnt lgkmcnt(0)
	s_barrier
	s_mov_b64 s[0:1], exec
	v_readlane_b32 s6, v58, 12
	v_readlane_b32 s7, v58, 13
	s_and_b64 s[6:7], s[0:1], s[6:7]
	s_mov_b64 exec, s[6:7]
; %bb.55:                               ;   in Loop: Header=BB55_32 Depth=1
	v_mov_b32_e32 v2, s56
	v_mov_b32_e32 v3, s57
	ds_write_b64 v13, v[2:3] offset:5120
; %bb.56:                               ;   in Loop: Header=BB55_32 Depth=1
	s_or_b64 exec, exec, s[0:1]
	s_waitcnt lgkmcnt(0)
	s_barrier
	s_mov_b64 s[6:7], -1
.LBB55_57:                              ;   in Loop: Header=BB55_32 Depth=1
	s_and_b64 vcc, exec, s[6:7]
	s_cbranch_vccz .LBB55_59
; %bb.58:                               ;   in Loop: Header=BB55_32 Depth=1
	ds_read_b64 v[2:3], v13 offset:5120
	s_waitcnt lgkmcnt(0)
	v_readfirstlane_b32 s58, v2
.LBB55_59:                              ;   in Loop: Header=BB55_32 Depth=1
	s_cmp_lt_i32 s58, 1
	s_mov_b64 s[0:1], -1
                                        ; implicit-def: $vgpr2_vgpr3
                                        ; implicit-def: $vgpr6_vgpr7
	s_cbranch_scc1 .LBB55_69
; %bb.60:                               ;   in Loop: Header=BB55_32 Depth=1
	s_and_b64 vcc, exec, s[0:1]
	s_cbranch_vccnz .LBB55_83
.LBB55_61:                              ;   in Loop: Header=BB55_32 Depth=1
	s_lshl_b32 s6, s52, 6
	s_and_saveexec_b64 s[0:1], s[82:83]
	s_mov_b64 s[58:59], s[90:91]
	s_cbranch_execz .LBB55_63
.LBB55_62:                              ;   in Loop: Header=BB55_32 Depth=1
	v_lshl_add_u32 v12, s6, 3, v46
	ds_write_b128 v12, v[2:5]
	ds_write_b128 v12, v[6:9] offset:16
.LBB55_63:                              ;   in Loop: Header=BB55_32 Depth=1
	s_or_b64 exec, exec, s[0:1]
	s_waitcnt lgkmcnt(0)
	s_barrier
	s_and_saveexec_b64 s[0:1], s[60:61]
	s_cbranch_execz .LBB55_101
; %bb.64:                               ;   in Loop: Header=BB55_32 Depth=1
	v_readlane_b32 s2, v58, 20
	v_mov_b32_e32 v2, 0
	v_readlane_b32 s3, v58, 21
	v_mov_b32_e32 v3, 0
	s_andn2_b64 vcc, exec, s[2:3]
	s_cbranch_vccnz .LBB55_100
; %bb.65:                               ;   in Loop: Header=BB55_32 Depth=1
	v_readlane_b32 s2, v58, 24
	v_readlane_b32 s3, v58, 25
	s_andn2_b64 vcc, exec, s[2:3]
	s_cbranch_vccnz .LBB55_96
; %bb.66:                               ;   in Loop: Header=BB55_32 Depth=1
	v_mov_b32_e32 v2, 0
	v_lshl_add_u32 v4, s52, 9, v51
	v_mov_b32_e32 v3, 0
	s_mov_b32 s7, 0
.LBB55_67:                              ;   Parent Loop BB55_32 Depth=1
                                        ; =>  This Inner Loop Header: Depth=2
	ds_read2_b64 v[5:8], v4 offset1:4
	ds_read2_b64 v[31:34], v4 offset0:8 offset1:12
	ds_read2_b64 v[35:38], v4 offset0:16 offset1:20
	;; [unrolled: 1-line block ×3, first 2 shown]
	s_add_i32 s7, s7, 8
	s_waitcnt lgkmcnt(3)
	v_add_co_u32_e32 v2, vcc, v5, v2
	v_addc_co_u32_e32 v3, vcc, v6, v3, vcc
	v_add_co_u32_e32 v2, vcc, v7, v2
	v_addc_co_u32_e32 v3, vcc, v8, v3, vcc
	s_waitcnt lgkmcnt(2)
	v_add_co_u32_e32 v2, vcc, v31, v2
	v_addc_co_u32_e32 v3, vcc, v32, v3, vcc
	v_add_co_u32_e32 v2, vcc, v33, v2
	v_addc_co_u32_e32 v3, vcc, v34, v3, vcc
	;; [unrolled: 5-line block ×3, first 2 shown]
	s_waitcnt lgkmcnt(0)
	v_add_co_u32_e32 v2, vcc, v54, v2
	v_addc_co_u32_e32 v3, vcc, v55, v3, vcc
	v_add_co_u32_e32 v2, vcc, v56, v2
	v_add_u32_e32 v4, 0x100, v4
	s_cmp_eq_u32 s74, s7
	v_addc_co_u32_e32 v3, vcc, v57, v3, vcc
	s_cbranch_scc0 .LBB55_67
; %bb.68:                               ;   in Loop: Header=BB55_32 Depth=1
	s_mov_b32 s7, s74
	s_branch .LBB55_97
.LBB55_69:                              ;   in Loop: Header=BB55_32 Depth=1
	global_load_ushort v2, v13, s[48:49]
	s_mov_b32 s0, s77
	s_waitcnt vmcnt(0)
	v_readfirstlane_b32 s1, v2
	s_and_b32 s28, s1, 0xffff
	s_lshl_b32 s8, s28, 2
	s_mov_b32 s1, s57
	s_cmp_lg_u64 s[0:1], 0
	s_cbranch_scc0 .LBB55_92
; %bb.70:                               ;   in Loop: Header=BB55_32 Depth=1
	s_add_u32 s0, s8, 0
	s_addc_u32 s1, 0, 0
	s_xor_b64 s[0:1], s[0:1], 0
	v_cvt_f32_u32_e32 v2, s0
	v_cvt_f32_u32_e32 v3, s1
	s_sub_u32 s9, 0, s0
	s_subb_u32 s12, 0, s1
	v_mac_f32_e32 v2, 0x4f800000, v3
	v_rcp_f32_e32 v2, v2
	v_mul_f32_e32 v2, 0x5f7ffffc, v2
	v_mul_f32_e32 v3, 0x2f800000, v2
	v_trunc_f32_e32 v3, v3
	v_mac_f32_e32 v2, 0xcf800000, v3
	v_cvt_u32_f32_e32 v3, v3
	v_cvt_u32_f32_e32 v2, v2
	v_readfirstlane_b32 s13, v3
	v_readfirstlane_b32 s6, v2
	s_mul_i32 s7, s9, s13
	s_mul_hi_u32 s15, s9, s6
	s_mul_i32 s14, s12, s6
	s_add_i32 s7, s15, s7
	s_mul_i32 s16, s9, s6
	s_add_i32 s7, s7, s14
	s_mul_i32 s15, s6, s7
	s_mul_hi_u32 s17, s6, s16
	s_mul_hi_u32 s14, s6, s7
	s_add_u32 s15, s17, s15
	s_addc_u32 s14, 0, s14
	s_mul_hi_u32 s18, s13, s16
	s_mul_i32 s16, s13, s16
	s_add_u32 s15, s15, s16
	s_mul_hi_u32 s17, s13, s7
	s_addc_u32 s14, s14, s18
	s_addc_u32 s15, s17, 0
	s_mul_i32 s7, s13, s7
	s_add_u32 s7, s14, s7
	s_addc_u32 s14, 0, s15
	s_add_u32 s15, s6, s7
	s_cselect_b64 s[6:7], -1, 0
	s_cmp_lg_u64 s[6:7], 0
	s_addc_u32 s13, s13, s14
	s_mul_i32 s6, s9, s13
	s_mul_hi_u32 s7, s9, s15
	s_add_i32 s6, s7, s6
	s_mul_i32 s12, s12, s15
	s_add_i32 s6, s6, s12
	s_mul_i32 s9, s9, s15
	s_mul_hi_u32 s12, s13, s9
	s_mul_i32 s14, s13, s9
	s_mul_i32 s17, s15, s6
	s_mul_hi_u32 s9, s15, s9
	s_mul_hi_u32 s16, s15, s6
	s_add_u32 s9, s9, s17
	s_addc_u32 s16, 0, s16
	s_add_u32 s9, s9, s14
	s_mul_hi_u32 s7, s13, s6
	s_addc_u32 s9, s16, s12
	s_addc_u32 s7, s7, 0
	s_mul_i32 s6, s13, s6
	s_add_u32 s6, s9, s6
	s_addc_u32 s9, 0, s7
	s_add_u32 s14, s15, s6
	s_cselect_b64 s[6:7], -1, 0
	s_cmp_lg_u64 s[6:7], 0
	s_addc_u32 s9, s13, s9
	s_ashr_i32 s6, s57, 31
	s_add_u32 s12, s56, s6
	s_mov_b32 s7, s6
	s_addc_u32 s13, s57, s6
	s_xor_b64 s[12:13], s[12:13], s[6:7]
	s_mul_i32 s16, s12, s9
	s_mul_hi_u32 s17, s12, s14
	s_mul_hi_u32 s15, s12, s9
	s_add_u32 s16, s17, s16
	s_addc_u32 s15, 0, s15
	s_mul_hi_u32 s18, s13, s14
	s_mul_i32 s14, s13, s14
	s_add_u32 s14, s16, s14
	s_mul_hi_u32 s17, s13, s9
	s_addc_u32 s14, s15, s18
	s_addc_u32 s15, s17, 0
	s_mul_i32 s9, s13, s9
	s_add_u32 s9, s14, s9
	s_addc_u32 s14, 0, s15
	s_mul_i32 s14, s0, s14
	s_mul_hi_u32 s15, s0, s9
	s_add_i32 s14, s15, s14
	s_mul_i32 s15, s1, s9
	s_add_i32 s18, s14, s15
	s_sub_i32 s16, s13, s18
	s_mul_i32 s9, s0, s9
	s_sub_u32 s9, s12, s9
	s_cselect_b64 s[14:15], -1, 0
	s_cmp_lg_u64 s[14:15], 0
	s_subb_u32 s12, s16, s1
	s_sub_u32 s19, s9, s0
	s_cselect_b64 s[16:17], -1, 0
	s_cmp_lg_u64 s[16:17], 0
	s_subb_u32 s20, s12, 0
	s_cmp_ge_u32 s20, s1
	s_cselect_b32 s21, -1, 0
	s_cmp_ge_u32 s19, s0
	s_cselect_b32 s22, -1, 0
	s_cmp_eq_u32 s20, s1
	s_cselect_b32 s21, s22, s21
	s_cmp_lg_u64 s[16:17], 0
	s_subb_u32 s12, s12, s1
	s_sub_u32 s22, s19, s0
	s_cselect_b64 s[16:17], -1, 0
	s_cmp_lg_u64 s[16:17], 0
	s_subb_u32 s12, s12, 0
	s_cmp_lg_u32 s21, 0
	s_cselect_b32 s16, s22, s19
	s_cselect_b32 s12, s12, s20
	s_cmp_lg_u64 s[14:15], 0
	s_subb_u32 s13, s13, s18
	s_cmp_ge_u32 s13, s1
	s_cselect_b32 s14, -1, 0
	s_cmp_ge_u32 s9, s0
	s_cselect_b32 s0, -1, 0
	s_cmp_eq_u32 s13, s1
	s_cselect_b32 s0, s0, s14
	s_cmp_lg_u32 s0, 0
	s_cselect_b32 s1, s12, s13
	s_cselect_b32 s0, s16, s9
	s_xor_b64 s[0:1], s[0:1], s[6:7]
	s_sub_u32 s18, s0, s6
	s_subb_u32 s19, s1, s6
	s_cbranch_execnz .LBB55_72
.LBB55_71:                              ;   in Loop: Header=BB55_32 Depth=1
	v_cvt_f32_u32_e32 v2, s8
	s_sub_i32 s0, 0, s8
	v_rcp_iflag_f32_e32 v2, v2
	v_mul_f32_e32 v2, 0x4f7ffffe, v2
	v_cvt_u32_f32_e32 v2, v2
	v_readfirstlane_b32 s1, v2
	s_mul_i32 s0, s0, s1
	s_mul_hi_u32 s0, s1, s0
	s_add_i32 s1, s1, s0
	s_mul_hi_u32 s0, s56, s1
	s_mul_i32 s0, s0, s8
	s_sub_i32 s0, s56, s0
	s_sub_i32 s1, s0, s8
	s_cmp_ge_u32 s0, s8
	s_cselect_b32 s0, s1, s0
	s_sub_i32 s1, s0, s8
	s_cmp_ge_u32 s0, s8
	s_cselect_b32 s76, s1, s0
	s_mov_b64 s[18:19], s[76:77]
.LBB55_72:                              ;   in Loop: Header=BB55_32 Depth=1
	s_sub_u32 s20, s56, s18
	s_subb_u32 s21, s57, s19
	v_cmp_gt_i64_e32 vcc, s[20:21], v[14:15]
	v_mov_b32_e32 v2, 0
	v_mov_b32_e32 v4, 0
	;; [unrolled: 1-line block ×8, first 2 shown]
	s_and_saveexec_b64 s[22:23], vcc
	s_cbranch_execz .LBB55_76
; %bb.73:                               ;   in Loop: Header=BB55_32 Depth=1
	v_readlane_b32 s2, v58, 33
	v_readlane_b32 s3, v58, 34
	s_mul_i32 s0, s3, s28
	s_mul_hi_u32 s1, s2, s28
	v_mov_b32_e32 v32, v25
	v_mov_b32_e32 v34, v23
	;; [unrolled: 1-line block ×5, first 2 shown]
	s_mov_b64 s[46:47], s[42:43]
	s_add_i32 s0, s1, s0
	s_mul_i32 s1, s2, s28
	s_mov_b64 s[24:25], 0
	v_mov_b32_e32 v31, v24
	v_mov_b32_e32 v33, v22
	;; [unrolled: 1-line block ×4, first 2 shown]
	s_mov_b64 s[26:27], 0
	s_mov_b64 s[30:31], 0
	;; [unrolled: 1-line block ×4, first 2 shown]
	v_mov_b32_e32 v39, v14
.LBB55_74:                              ;   Parent Loop BB55_32 Depth=1
                                        ; =>  This Inner Loop Header: Depth=2
	v_add_co_u32_e32 v2, vcc, s80, v31
	v_mov_b32_e32 v4, s81
	v_addc_co_u32_e32 v3, vcc, v32, v4, vcc
	global_load_dword v5, v[2:3], off
	v_add_co_u32_e32 v2, vcc, s80, v33
	v_addc_co_u32_e32 v3, vcc, v34, v4, vcc
	global_load_dword v6, v[2:3], off
	v_add_co_u32_e32 v2, vcc, s80, v35
	;; [unrolled: 3-line block ×3, first 2 shown]
	v_addc_co_u32_e32 v3, vcc, v38, v4, vcc
	global_load_dword v2, v[2:3], off
	s_waitcnt vmcnt(3)
	v_cmp_lt_i32_e32 vcc, -1, v5
	v_cndmask_b32_e32 v3, -1, v52, vcc
	v_cmp_o_f32_e32 vcc, v5, v5
	v_xor_b32_e32 v3, v3, v5
	v_cndmask_b32_e32 v3, -1, v3, vcc
	s_waitcnt vmcnt(2)
	v_cmp_lt_i32_e32 vcc, -1, v6
	v_cndmask_b32_e32 v4, -1, v52, vcc
	v_cmp_o_f32_e32 vcc, v6, v6
	v_xor_b32_e32 v4, v4, v6
	v_cndmask_b32_e32 v4, -1, v4, vcc
	;; [unrolled: 6-line block ×3, first 2 shown]
	s_waitcnt vmcnt(0)
	v_cmp_lt_i32_e32 vcc, -1, v2
	v_cndmask_b32_e32 v6, -1, v52, vcc
	v_cmp_o_f32_e32 vcc, v2, v2
	v_xor_b32_e32 v2, v6, v2
	v_and_b32_e32 v6, v3, v53
	v_bfe_u32 v3, v3, s4, 2
	v_cndmask_b32_e32 v2, -1, v2, vcc
	v_cmp_eq_u32_e32 vcc, v6, v49
	v_and_b32_e32 v6, v4, v53
	v_bfe_u32 v4, v4, s4, 2
	v_cmp_eq_u32_e64 s[16:17], 0, v3
	v_cmp_eq_u32_e64 s[6:7], v6, v49
	v_and_b32_e32 v6, v5, v53
	v_bfe_u32 v5, v5, s4, 2
	s_and_b64 s[38:39], vcc, s[16:17]
	v_cmp_eq_u32_e64 s[16:17], 0, v4
	v_cmp_eq_u32_e64 s[12:13], v6, v49
	v_and_b32_e32 v6, v2, v53
	v_bfe_u32 v2, v2, s4, 2
	s_and_b64 s[40:41], s[6:7], s[16:17]
	v_cmp_eq_u32_e64 s[16:17], 0, v5
	v_cmp_eq_u32_e64 s[14:15], v6, v49
	s_and_b64 s[42:43], s[12:13], s[16:17]
	v_cmp_eq_u32_e64 s[16:17], 0, v2
	v_cndmask_b32_e64 v6, 0, 1, s[38:39]
	s_and_b64 s[44:45], s[14:15], s[16:17]
	v_cmp_ne_u32_e64 s[16:17], 0, v6
	v_cndmask_b32_e64 v6, 0, 1, s[40:41]
	s_bcnt1_i32_b64 s9, s[16:17]
	v_cmp_ne_u32_e64 s[16:17], 0, v6
	v_cndmask_b32_e64 v6, 0, 1, s[42:43]
	s_bcnt1_i32_b64 s29, s[16:17]
	;; [unrolled: 3-line block ×3, first 2 shown]
	v_cmp_ne_u32_e64 s[16:17], 0, v6
	s_bcnt1_i32_b64 s16, s[16:17]
	s_add_u32 s9, s9, s36
	s_addc_u32 s17, 0, s37
	s_add_u32 s9, s9, s29
	s_addc_u32 s17, s17, 0
	;; [unrolled: 2-line block ×4, first 2 shown]
	v_cmp_eq_u32_e64 s[16:17], 1, v3
	s_and_b64 s[38:39], vcc, s[16:17]
	v_cmp_eq_u32_e64 s[16:17], 1, v4
	s_and_b64 s[40:41], s[6:7], s[16:17]
	v_cmp_eq_u32_e64 s[16:17], 1, v5
	s_and_b64 s[42:43], s[12:13], s[16:17]
	v_cmp_eq_u32_e64 s[16:17], 1, v2
	v_cndmask_b32_e64 v6, 0, 1, s[38:39]
	s_and_b64 s[44:45], s[14:15], s[16:17]
	v_cmp_ne_u32_e64 s[16:17], 0, v6
	v_cndmask_b32_e64 v6, 0, 1, s[40:41]
	s_bcnt1_i32_b64 s9, s[16:17]
	v_cmp_ne_u32_e64 s[16:17], 0, v6
	v_cndmask_b32_e64 v6, 0, 1, s[42:43]
	s_bcnt1_i32_b64 s29, s[16:17]
	;; [unrolled: 3-line block ×3, first 2 shown]
	v_cmp_ne_u32_e64 s[16:17], 0, v6
	s_bcnt1_i32_b64 s16, s[16:17]
	s_add_u32 s9, s9, s34
	s_addc_u32 s17, 0, s35
	s_add_u32 s9, s9, s29
	s_addc_u32 s17, s17, 0
	;; [unrolled: 2-line block ×4, first 2 shown]
	v_cmp_eq_u32_e64 s[16:17], 2, v3
	s_and_b64 s[38:39], vcc, s[16:17]
	v_cmp_eq_u32_e64 s[16:17], 2, v4
	s_and_b64 s[40:41], s[6:7], s[16:17]
	v_cmp_eq_u32_e64 s[16:17], 2, v5
	s_and_b64 s[42:43], s[12:13], s[16:17]
	v_cmp_eq_u32_e64 s[16:17], 2, v2
	v_cndmask_b32_e64 v6, 0, 1, s[38:39]
	s_and_b64 s[44:45], s[14:15], s[16:17]
	v_cmp_ne_u32_e64 s[16:17], 0, v6
	v_cndmask_b32_e64 v6, 0, 1, s[40:41]
	s_bcnt1_i32_b64 s9, s[16:17]
	v_cmp_ne_u32_e64 s[16:17], 0, v6
	v_cndmask_b32_e64 v6, 0, 1, s[42:43]
	s_bcnt1_i32_b64 s29, s[16:17]
	;; [unrolled: 3-line block ×3, first 2 shown]
	v_cmp_ne_u32_e64 s[16:17], 0, v6
	s_bcnt1_i32_b64 s16, s[16:17]
	s_add_u32 s9, s9, s30
	s_addc_u32 s17, 0, s31
	s_add_u32 s9, s9, s29
	s_addc_u32 s17, s17, 0
	s_add_u32 s9, s9, s38
	s_addc_u32 s17, s17, 0
	s_add_u32 s30, s9, s16
	s_addc_u32 s31, s17, 0
	v_cmp_eq_u32_e64 s[16:17], 3, v3
	s_and_b64 s[16:17], vcc, s[16:17]
	v_cmp_eq_u32_e32 vcc, 3, v4
	s_and_b64 s[6:7], s[6:7], vcc
	v_cmp_eq_u32_e32 vcc, 3, v5
	s_and_b64 s[12:13], s[12:13], vcc
	v_cmp_eq_u32_e32 vcc, 3, v2
	v_cndmask_b32_e64 v2, 0, 1, s[16:17]
	s_and_b64 s[14:15], s[14:15], vcc
	v_cmp_ne_u32_e32 vcc, 0, v2
	v_cndmask_b32_e64 v2, 0, 1, s[6:7]
	s_bcnt1_i32_b64 s9, vcc
	v_cmp_ne_u32_e32 vcc, 0, v2
	v_cndmask_b32_e64 v2, 0, 1, s[12:13]
	s_bcnt1_i32_b64 s6, vcc
	v_cmp_ne_u32_e32 vcc, 0, v2
	v_cndmask_b32_e64 v2, 0, 1, s[14:15]
	s_bcnt1_i32_b64 s7, vcc
	v_cmp_ne_u32_e32 vcc, 0, v2
	s_bcnt1_i32_b64 s12, vcc
	v_add_co_u32_e32 v39, vcc, s8, v39
	v_addc_co_u32_e32 v40, vcc, 0, v40, vcc
	v_add_co_u32_e32 v37, vcc, s1, v37
	v_mov_b32_e32 v2, s0
	v_addc_co_u32_e32 v38, vcc, v38, v2, vcc
	s_add_u32 s9, s9, s26
	v_add_co_u32_e32 v35, vcc, s1, v35
	s_addc_u32 s13, 0, s27
	v_addc_co_u32_e32 v36, vcc, v36, v2, vcc
	s_add_u32 s6, s9, s6
	v_add_co_u32_e32 v33, vcc, s1, v33
	s_addc_u32 s9, s13, 0
	;; [unrolled: 4-line block ×3, first 2 shown]
	v_addc_co_u32_e32 v32, vcc, v32, v2, vcc
	s_add_u32 s26, s6, s12
	v_cmp_le_i64_e32 vcc, s[20:21], v[39:40]
	s_addc_u32 s27, s7, 0
	v_mov_b32_e32 v2, s36
	v_mov_b32_e32 v4, s34
	;; [unrolled: 1-line block ×4, first 2 shown]
	s_or_b64 s[24:25], vcc, s[24:25]
	v_mov_b32_e32 v3, s37
	v_mov_b32_e32 v5, s35
	;; [unrolled: 1-line block ×4, first 2 shown]
	s_andn2_b64 exec, exec, s[24:25]
	s_cbranch_execnz .LBB55_74
; %bb.75:                               ;   in Loop: Header=BB55_32 Depth=1
	s_or_b64 exec, exec, s[24:25]
	s_mov_b64 s[42:43], s[46:47]
.LBB55_76:                              ;   in Loop: Header=BB55_32 Depth=1
	s_or_b64 exec, exec, s[22:23]
	v_mov_b32_e32 v12, s21
	v_add_co_u32_e32 v31, vcc, s20, v0
	v_addc_co_u32_e32 v32, vcc, 0, v12, vcc
	v_cmp_gt_i64_e32 vcc, s[56:57], v[31:32]
	s_and_saveexec_b64 s[0:1], vcc
	s_cbranch_execz .LBB55_82
; %bb.77:                               ;   in Loop: Header=BB55_32 Depth=1
	v_mul_lo_u32 v12, v32, s62
	v_mul_lo_u32 v27, v31, s63
	v_mad_u64_u32 v[33:34], s[6:7], v31, s62, 0
	v_readlane_b32 s6, v58, 16
	v_readlane_b32 s2, v58, 29
	v_add3_u32 v34, v34, v27, v12
	v_lshlrev_b64 v[33:34], 2, v[33:34]
	v_mov_b32_e32 v12, s6
	v_readlane_b32 s6, v58, 17
	v_add_co_u32_e32 v33, vcc, s6, v33
	v_addc_co_u32_e32 v34, vcc, v12, v34, vcc
	global_load_dword v12, v[33:34], off
	v_add_co_u32_e32 v27, vcc, s28, v48
	v_addc_co_u32_e32 v33, vcc, 0, v50, vcc
	v_mov_b32_e32 v34, s19
	v_subrev_co_u32_e32 v27, vcc, s18, v27
	v_subb_co_u32_e32 v33, vcc, v33, v34, vcc
	v_readlane_b32 s8, v58, 31
	v_readlane_b32 s3, v58, 30
	v_mul_lo_u32 v35, s8, v33
	v_mov_b32_e32 v34, s3
	v_readlane_b32 s9, v58, 32
	v_mov_b32_e32 v33, s2
	v_mul_lo_u32 v36, s9, v27
	v_mad_u64_u32 v[33:34], s[6:7], s8, v27, v[33:34]
	s_mul_i32 s6, s9, s28
	s_mul_hi_u32 s7, s8, s28
	v_add3_u32 v34, v36, v34, v35
	s_add_i32 s14, s7, s6
	s_mul_i32 s15, s8, s28
	s_mov_b64 s[8:9], 0
	s_branch .LBB55_79
.LBB55_78:                              ;   in Loop: Header=BB55_79 Depth=2
	s_or_b64 exec, exec, s[12:13]
	s_and_b64 s[6:7], exec, vcc
	s_waitcnt vmcnt(0)
	v_cmp_lt_i32_e32 vcc, -1, v12
	v_cndmask_b32_e32 v35, -1, v52, vcc
	v_xor_b32_e32 v35, v35, v12
	v_cmp_o_f32_e32 vcc, v12, v12
	v_cndmask_b32_e32 v12, -1, v35, vcc
	v_and_b32_e32 v35, v12, v53
	v_bfe_u32 v12, v12, s4, 2
	s_or_b64 s[8:9], s[6:7], s[8:9]
	v_cmp_eq_u32_e32 vcc, v35, v49
	v_cmp_eq_u32_e64 s[6:7], 0, v12
	s_and_b64 s[6:7], vcc, s[6:7]
	v_cndmask_b32_e64 v35, 0, 1, s[6:7]
	v_cmp_ne_u32_e64 s[6:7], 0, v35
	s_bcnt1_i32_b64 s6, s[6:7]
	v_add_co_u32_e64 v2, s[6:7], s6, v2
	v_addc_co_u32_e64 v3, s[6:7], 0, v3, s[6:7]
	v_cmp_eq_u32_e64 s[6:7], 1, v12
	s_and_b64 s[6:7], vcc, s[6:7]
	v_cndmask_b32_e64 v35, 0, 1, s[6:7]
	v_cmp_ne_u32_e64 s[6:7], 0, v35
	s_bcnt1_i32_b64 s6, s[6:7]
	v_add_co_u32_e64 v4, s[6:7], s6, v4
	v_addc_co_u32_e64 v5, s[6:7], 0, v5, s[6:7]
	;; [unrolled: 7-line block ×3, first 2 shown]
	v_cmp_eq_u32_e64 s[6:7], 3, v12
	s_and_b64 s[6:7], vcc, s[6:7]
	v_cndmask_b32_e64 v12, 0, 1, s[6:7]
	v_cmp_ne_u32_e32 vcc, 0, v12
	s_bcnt1_i32_b64 s6, vcc
	v_add_co_u32_e32 v8, vcc, s6, v8
	v_addc_co_u32_e32 v9, vcc, 0, v9, vcc
	v_mov_b32_e32 v12, s14
	v_add_co_u32_e32 v33, vcc, s15, v33
	v_addc_co_u32_e32 v34, vcc, v34, v12, vcc
	v_mov_b32_e32 v12, v27
	s_andn2_b64 exec, exec, s[8:9]
	s_cbranch_execz .LBB55_81
.LBB55_79:                              ;   Parent Loop BB55_32 Depth=1
                                        ; =>  This Inner Loop Header: Depth=2
	v_add_co_u32_e32 v31, vcc, s28, v31
	v_addc_co_u32_e32 v32, vcc, 0, v32, vcc
	v_cmp_gt_i64_e64 s[6:7], s[56:57], v[31:32]
	v_cmp_le_i64_e32 vcc, s[56:57], v[31:32]
	v_mov_b32_e32 v27, 0
	s_and_saveexec_b64 s[12:13], s[6:7]
	s_cbranch_execz .LBB55_78
; %bb.80:                               ;   in Loop: Header=BB55_79 Depth=2
	global_load_dword v27, v[33:34], off
	s_branch .LBB55_78
.LBB55_81:                              ;   in Loop: Header=BB55_32 Depth=1
	s_or_b64 exec, exec, s[8:9]
.LBB55_82:                              ;   in Loop: Header=BB55_32 Depth=1
	s_or_b64 exec, exec, s[0:1]
	s_branch .LBB55_61
.LBB55_83:                              ;   in Loop: Header=BB55_32 Depth=1
	global_load_ushort v12, v13, s[48:49]
	v_mov_b32_e32 v6, 0
	v_mov_b32_e32 v7, 0
	s_waitcnt vmcnt(0)
	v_readfirstlane_b32 s0, v12
	s_and_b32 s6, 0xffff, s0
	s_lshl_b32 s59, s6, 2
	v_cvt_f32_u32_e32 v2, s59
	s_sub_i32 s0, 0, s59
	v_rcp_iflag_f32_e32 v4, v2
	v_mov_b32_e32 v2, 0
	v_mov_b32_e32 v3, 0
	v_mul_f32_e32 v4, 0x4f7ffffe, v4
	v_cvt_u32_f32_e32 v8, v4
	v_mov_b32_e32 v4, 0
	v_mov_b32_e32 v5, 0
	v_readfirstlane_b32 s1, v8
	s_mul_i32 s0, s0, s1
	s_mul_hi_u32 s0, s1, s0
	s_add_i32 s1, s1, s0
	s_mul_hi_u32 s0, s58, s1
	s_mul_i32 s1, s0, s59
	s_sub_i32 s1, s58, s1
	s_add_i32 s7, s0, 1
	s_sub_i32 s8, s1, s59
	s_cmp_ge_u32 s1, s59
	s_cselect_b32 s0, s7, s0
	s_cselect_b32 s1, s8, s1
	s_add_i32 s7, s0, 1
	s_cmp_ge_u32 s1, s59
	s_cselect_b32 s0, s7, s0
	s_mul_hi_u32 s1, s6, s0
	s_mul_i32 s0, s6, s0
	s_lshl_b64 s[8:9], s[0:1], 2
	v_cmp_gt_u64_e32 vcc, s[8:9], v[14:15]
	v_mov_b32_e32 v8, 0
	v_mov_b32_e32 v9, 0
	s_and_saveexec_b64 s[84:85], vcc
	s_cbranch_execz .LBB55_87
; %bb.84:                               ;   in Loop: Header=BB55_32 Depth=1
	v_mov_b32_e32 v32, v15
	s_mov_b32 s76, s52
	s_mov_b64 s[10:11], s[42:43]
	s_mov_b32 s75, s53
	s_mov_b64 s[2:3], s[68:69]
	s_mov_b64 s[68:69], s[60:61]
	;; [unrolled: 1-line block ×3, first 2 shown]
	s_lshl_b32 s1, s6, 4
	s_mov_b64 s[28:29], 0
	v_mov_b32_e32 v27, v47
	s_mov_b64 s[72:73], 0
	s_mov_b64 s[82:83], 0
	;; [unrolled: 1-line block ×4, first 2 shown]
	v_mov_b32_e32 v31, v14
.LBB55_85:                              ;   Parent Loop BB55_32 Depth=1
                                        ; =>  This Inner Loop Header: Depth=2
	ds_read_b128 v[2:5], v27
	v_add_co_u32_e32 v31, vcc, s59, v31
	v_addc_co_u32_e32 v32, vcc, 0, v32, vcc
	s_waitcnt lgkmcnt(0)
	v_cmp_lt_i32_e64 s[6:7], -1, v2
	v_cndmask_b32_e64 v6, -1, v52, s[6:7]
	v_cmp_lt_i32_e64 s[6:7], -1, v3
	v_cndmask_b32_e64 v7, -1, v52, s[6:7]
	;; [unrolled: 2-line block ×4, first 2 shown]
	v_xor_b32_e32 v7, v7, v3
	v_cmp_o_f32_e64 s[6:7], v3, v3
	v_xor_b32_e32 v3, v8, v4
	v_cmp_o_f32_e64 s[12:13], v4, v4
	;; [unrolled: 2-line block ×4, first 2 shown]
	v_cndmask_b32_e64 v2, -1, v5, s[16:17]
	v_cndmask_b32_e64 v5, -1, v7, s[6:7]
	v_and_b32_e32 v6, v2, v53
	v_bfe_u32 v2, v2, s4, 2
	v_cndmask_b32_e64 v3, -1, v3, s[12:13]
	v_and_b32_e32 v7, v5, v53
	v_bfe_u32 v5, v5, s4, 2
	v_cmp_eq_u32_e64 s[18:19], v6, v49
	v_cmp_eq_u32_e64 s[6:7], 0, v2
	v_cndmask_b32_e64 v4, -1, v4, s[14:15]
	v_and_b32_e32 v8, v3, v53
	v_bfe_u32 v3, v3, s4, 2
	v_cmp_eq_u32_e64 s[16:17], v7, v49
	v_cmp_eq_u32_e64 s[30:31], 0, v5
	s_and_b64 s[6:7], s[18:19], s[6:7]
	v_and_b32_e32 v9, v4, v53
	v_bfe_u32 v4, v4, s4, 2
	v_cmp_eq_u32_e64 s[14:15], v8, v49
	v_cmp_eq_u32_e64 s[34:35], 0, v3
	;; [unrolled: 1-line block ×5, first 2 shown]
	v_cndmask_b32_e64 v2, 0, 1, s[6:7]
	s_and_b64 s[6:7], s[16:17], s[30:31]
	v_cmp_eq_u32_e64 s[12:13], v9, v49
	v_cmp_eq_u32_e64 s[36:37], 0, v4
	v_cmp_eq_u32_e64 s[42:43], 1, v3
	v_cmp_eq_u32_e64 s[50:51], 2, v3
	v_cmp_eq_u32_e64 s[22:23], 3, v3
	v_cndmask_b32_e64 v3, 0, 1, s[6:7]
	s_and_b64 s[6:7], s[14:15], s[34:35]
	v_cmp_eq_u32_e64 s[44:45], 1, v4
	v_cmp_eq_u32_e64 s[52:53], 2, v4
	;; [unrolled: 1-line block ×3, first 2 shown]
	v_cndmask_b32_e64 v4, 0, 1, s[6:7]
	s_and_b64 s[6:7], s[12:13], s[36:37]
	v_cmp_eq_u32_e64 s[40:41], 1, v5
	v_cmp_eq_u32_e64 s[48:49], 2, v5
	;; [unrolled: 1-line block ×3, first 2 shown]
	v_cndmask_b32_e64 v5, 0, 1, s[6:7]
	v_cmp_ne_u32_e64 s[6:7], 0, v2
	v_cmp_ne_u32_e64 s[30:31], 0, v3
	v_cmp_ne_u32_e64 s[34:35], 0, v4
	v_cmp_ne_u32_e64 s[36:37], 0, v5
	s_bcnt1_i32_b64 s6, s[6:7]
	s_bcnt1_i32_b64 s7, s[30:31]
	s_bcnt1_i32_b64 s30, s[34:35]
	s_bcnt1_i32_b64 s31, s[36:37]
	s_add_u32 s6, s6, s86
	s_addc_u32 s34, 0, s87
	s_add_u32 s6, s6, s7
	s_addc_u32 s7, s34, 0
	s_add_u32 s6, s6, s30
	s_addc_u32 s7, s7, 0
	s_add_u32 s86, s6, s31
	s_addc_u32 s87, s7, 0
	s_and_b64 s[6:7], s[18:19], s[38:39]
	v_cndmask_b32_e64 v4, 0, 1, s[6:7]
	s_and_b64 s[6:7], s[16:17], s[40:41]
	v_cndmask_b32_e64 v5, 0, 1, s[6:7]
	s_and_b64 s[6:7], s[14:15], s[42:43]
	v_cndmask_b32_e64 v6, 0, 1, s[6:7]
	s_and_b64 s[6:7], s[12:13], s[44:45]
	v_cndmask_b32_e64 v7, 0, 1, s[6:7]
	v_cmp_ne_u32_e64 s[6:7], 0, v4
	v_cmp_ne_u32_e64 s[30:31], 0, v5
	v_cmp_ne_u32_e64 s[34:35], 0, v6
	v_cmp_ne_u32_e64 s[36:37], 0, v7
	s_bcnt1_i32_b64 s6, s[6:7]
	s_bcnt1_i32_b64 s7, s[30:31]
	s_bcnt1_i32_b64 s30, s[34:35]
	s_bcnt1_i32_b64 s31, s[36:37]
	s_add_u32 s6, s6, s88
	s_addc_u32 s34, 0, s89
	s_add_u32 s6, s6, s7
	s_addc_u32 s7, s34, 0
	s_add_u32 s6, s6, s30
	s_addc_u32 s7, s7, 0
	s_add_u32 s88, s6, s31
	s_addc_u32 s89, s7, 0
	s_and_b64 s[6:7], s[18:19], s[46:47]
	v_cndmask_b32_e64 v6, 0, 1, s[6:7]
	s_and_b64 s[6:7], s[16:17], s[48:49]
	v_cndmask_b32_e64 v7, 0, 1, s[6:7]
	s_and_b64 s[6:7], s[14:15], s[50:51]
	v_cndmask_b32_e64 v8, 0, 1, s[6:7]
	s_and_b64 s[6:7], s[12:13], s[52:53]
	;; [unrolled: 24-line block ×3, first 2 shown]
	v_cndmask_b32_e64 v34, 0, 1, s[6:7]
	v_cmp_ne_u32_e64 s[6:7], 0, v8
	v_cmp_ne_u32_e64 s[12:13], 0, v9
	;; [unrolled: 1-line block ×4, first 2 shown]
	s_bcnt1_i32_b64 s6, s[6:7]
	s_bcnt1_i32_b64 s7, s[12:13]
	;; [unrolled: 1-line block ×4, first 2 shown]
	s_add_u32 s6, s6, s72
	s_addc_u32 s14, 0, s73
	s_add_u32 s6, s6, s7
	s_addc_u32 s7, s14, 0
	;; [unrolled: 2-line block ×3, first 2 shown]
	v_cmp_le_u64_e32 vcc, s[8:9], v[31:32]
	s_add_u32 s72, s6, s13
	v_mov_b32_e32 v2, s86
	v_mov_b32_e32 v4, s88
	;; [unrolled: 1-line block ×3, first 2 shown]
	s_addc_u32 s73, s7, 0
	v_mov_b32_e32 v8, s72
	v_add_u32_e32 v27, s1, v27
	v_mov_b32_e32 v3, s87
	v_mov_b32_e32 v5, s89
	;; [unrolled: 1-line block ×3, first 2 shown]
	s_or_b64 s[28:29], vcc, s[28:29]
	v_mov_b32_e32 v9, s73
	s_andn2_b64 exec, exec, s[28:29]
	s_cbranch_execnz .LBB55_85
; %bb.86:                               ;   in Loop: Header=BB55_32 Depth=1
	s_or_b64 exec, exec, s[28:29]
	v_readlane_b32 s48, v58, 36
	s_mov_b64 s[82:83], s[60:61]
	s_mov_b64 s[60:61], s[68:69]
	;; [unrolled: 1-line block ×3, first 2 shown]
	v_readlane_b32 s73, v58, 35
	s_mov_b32 s53, s75
	v_readlane_b32 s49, v58, 37
	s_mov_b64 s[42:43], s[10:11]
	s_mov_b32 s52, s76
.LBB55_87:                              ;   in Loop: Header=BB55_32 Depth=1
	s_or_b64 exec, exec, s[84:85]
	v_mov_b32_e32 v27, s9
	v_add_co_u32_e32 v31, vcc, s8, v0
	s_and_b32 s76, s58, 0x7fffffff
	v_addc_co_u32_e32 v32, vcc, 0, v27, vcc
	v_cmp_gt_u64_e32 vcc, s[76:77], v[31:32]
	s_and_saveexec_b64 s[8:9], vcc
	s_cbranch_execz .LBB55_91
; %bb.88:                               ;   in Loop: Header=BB55_32 Depth=1
	v_lshl_add_u32 v27, s0, 4, v14
	s_mov_b64 s[0:1], 0
.LBB55_89:                              ;   Parent Loop BB55_32 Depth=1
                                        ; =>  This Inner Loop Header: Depth=2
	ds_read_b32 v33, v27
	v_add_co_u32_sdwa v31, vcc, v31, v12 dst_sel:DWORD dst_unused:UNUSED_PAD src0_sel:DWORD src1_sel:WORD_0
	v_addc_co_u32_e32 v32, vcc, 0, v32, vcc
	s_waitcnt lgkmcnt(0)
	v_cmp_lt_i32_e64 s[6:7], -1, v33
	v_cndmask_b32_e64 v34, -1, v52, s[6:7]
	v_xor_b32_e32 v34, v34, v33
	v_cmp_o_f32_e64 s[6:7], v33, v33
	v_cndmask_b32_e64 v33, -1, v34, s[6:7]
	v_and_b32_e32 v34, v33, v53
	v_bfe_u32 v33, v33, s4, 2
	v_cmp_eq_u32_e64 s[6:7], v34, v49
	v_cmp_eq_u32_e64 s[12:13], 0, v33
	;; [unrolled: 1-line block ×3, first 2 shown]
	s_and_b64 s[12:13], s[6:7], s[12:13]
	v_cmp_eq_u32_e64 s[16:17], 2, v33
	v_cmp_eq_u32_e64 s[18:19], 3, v33
	v_cndmask_b32_e64 v33, 0, 1, s[12:13]
	s_and_b64 s[12:13], s[6:7], s[14:15]
	v_cndmask_b32_e64 v34, 0, 1, s[12:13]
	s_and_b64 s[12:13], s[6:7], s[16:17]
	s_and_b64 s[6:7], s[6:7], s[18:19]
	v_cndmask_b32_e64 v35, 0, 1, s[12:13]
	v_cndmask_b32_e64 v36, 0, 1, s[6:7]
	v_cmp_le_u64_e32 vcc, s[76:77], v[31:32]
	v_cmp_ne_u32_e64 s[6:7], 0, v33
	v_cmp_ne_u32_e64 s[12:13], 0, v34
	;; [unrolled: 1-line block ×4, first 2 shown]
	s_bcnt1_i32_b64 s6, s[6:7]
	s_bcnt1_i32_b64 s7, s[12:13]
	;; [unrolled: 1-line block ×4, first 2 shown]
	s_or_b64 s[0:1], vcc, s[0:1]
	v_add_co_u32_e32 v2, vcc, s6, v2
	v_addc_co_u32_e32 v3, vcc, 0, v3, vcc
	v_add_co_u32_e32 v4, vcc, s7, v4
	v_addc_co_u32_e32 v5, vcc, 0, v5, vcc
	;; [unrolled: 2-line block ×3, first 2 shown]
	v_add_co_u32_e32 v8, vcc, s13, v8
	v_add_u32_e32 v27, s59, v27
	v_addc_co_u32_e32 v9, vcc, 0, v9, vcc
	s_andn2_b64 exec, exec, s[0:1]
	s_cbranch_execnz .LBB55_89
; %bb.90:                               ;   in Loop: Header=BB55_32 Depth=1
	s_or_b64 exec, exec, s[0:1]
.LBB55_91:                              ;   in Loop: Header=BB55_32 Depth=1
	s_or_b64 exec, exec, s[8:9]
	s_lshl_b32 s6, s52, 6
	s_and_saveexec_b64 s[0:1], s[82:83]
	s_mov_b64 s[58:59], s[90:91]
	s_cbranch_execnz .LBB55_62
	s_branch .LBB55_63
.LBB55_92:                              ;   in Loop: Header=BB55_32 Depth=1
                                        ; implicit-def: $sgpr18_sgpr19
	s_branch .LBB55_71
.LBB55_93:                              ;   in Loop: Header=BB55_32 Depth=1
	s_or_b64 exec, exec, s[8:9]
	s_waitcnt lgkmcnt(0)
	s_barrier
	s_mov_b64 s[6:7], exec
	v_readlane_b32 s8, v58, 12
	v_readlane_b32 s9, v58, 13
	s_and_b64 s[8:9], s[6:7], s[8:9]
	s_mov_b64 exec, s[8:9]
	s_cbranch_execz .LBB55_95
; %bb.94:                               ;   in Loop: Header=BB55_32 Depth=1
	ds_read_b32 v2, v13 offset:5136
	s_waitcnt lgkmcnt(0)
	v_ashrrev_i32_e32 v3, 31, v2
	ds_write_b64 v13, v[2:3] offset:5120
.LBB55_95:                              ;   in Loop: Header=BB55_32 Depth=1
	s_or_b64 exec, exec, s[6:7]
	s_waitcnt lgkmcnt(0)
	s_barrier
	s_mov_b64 s[6:7], -1
	s_and_b64 vcc, exec, s[0:1]
	s_cbranch_vccnz .LBB55_48
	s_branch .LBB55_57
.LBB55_96:                              ;   in Loop: Header=BB55_32 Depth=1
	v_mov_b32_e32 v2, 0
	v_mov_b32_e32 v3, 0
	s_mov_b32 s7, 0
.LBB55_97:                              ;   in Loop: Header=BB55_32 Depth=1
	v_readlane_b32 s2, v58, 27
	v_readlane_b32 s3, v58, 28
	s_andn2_b64 vcc, exec, s[2:3]
	s_cbranch_vccnz .LBB55_100
; %bb.98:                               ;   in Loop: Header=BB55_32 Depth=1
	s_lshl_b32 s8, s52, 9
	s_lshl_b32 s7, s7, 5
	s_add_i32 s8, s8, s7
	v_add_u32_e32 v4, s8, v51
	v_readlane_b32 s7, v58, 26
.LBB55_99:                              ;   Parent Loop BB55_32 Depth=1
                                        ; =>  This Inner Loop Header: Depth=2
	ds_read_b64 v[5:6], v4
	s_add_i32 s7, s7, -1
	v_add_u32_e32 v4, 32, v4
	s_cmp_lg_u32 s7, 0
	s_waitcnt lgkmcnt(0)
	v_add_co_u32_e32 v2, vcc, v5, v2
	v_addc_co_u32_e32 v3, vcc, v6, v3, vcc
	s_cbranch_scc1 .LBB55_99
.LBB55_100:                             ;   in Loop: Header=BB55_32 Depth=1
	v_add_lshl_u32 v4, s6, v41, 3
	ds_write_b64 v4, v[2:3] offset:3072
.LBB55_101:                             ;   in Loop: Header=BB55_32 Depth=1
	s_or_b64 exec, exec, s[0:1]
	s_lshl_b32 s0, s6, 3
	v_mov_b32_e32 v2, s0
	s_waitcnt lgkmcnt(0)
	s_barrier
	ds_read_b128 v[6:9], v2 offset:3088
	ds_read_b128 v[2:5], v2 offset:3072
	v_cmp_eq_u64_e64 s[6:7], 1, v[29:30]
	s_lshl_b32 s72, 3, s4
	s_not_b32 s50, s72
	s_waitcnt lgkmcnt(1)
	v_readfirstlane_b32 s20, v6
	s_waitcnt lgkmcnt(0)
	v_cmp_eq_u64_e32 vcc, 1, v[2:3]
	v_readfirstlane_b32 s21, v7
	v_readfirstlane_b32 s12, v8
	;; [unrolled: 1-line block ×3, first 2 shown]
	s_and_b64 s[16:17], vcc, s[6:7]
	s_mov_b64 s[6:7], -1
	s_mov_b64 s[18:19], -1
                                        ; implicit-def: $sgpr8_sgpr9
                                        ; implicit-def: $sgpr0_sgpr1
	s_and_saveexec_b64 s[14:15], s[16:17]
	s_cbranch_execz .LBB55_135
; %bb.102:                              ;   in Loop: Header=BB55_32 Depth=1
	ds_read_b64 v[6:7], v13 offset:5120
	s_waitcnt lgkmcnt(0)
	s_barrier
	v_readfirstlane_b32 s18, v6
	v_readfirstlane_b32 s19, v7
	s_and_saveexec_b64 s[0:1], s[92:93]
; %bb.103:                              ;   in Loop: Header=BB55_32 Depth=1
	ds_write_b32 v42, v13
; %bb.104:                              ;   in Loop: Header=BB55_32 Depth=1
	s_or_b64 exec, exec, s[0:1]
	v_cmp_lt_i64_e64 s[22:23], s[18:19], 1
	v_and_b32_e32 v49, s50, v49
	v_or_b32_e32 v53, s72, v53
	s_mov_b64 s[0:1], -1
	s_mov_b64 s[8:9], 0
	s_and_b64 vcc, exec, s[22:23]
	s_mov_b64 s[22:23], 0
	s_mov_b64 s[24:25], -1
	s_waitcnt lgkmcnt(0)
	s_barrier
                                        ; implicit-def: $vgpr28
	s_cbranch_vccz .LBB55_119
; %bb.105:                              ;   in Loop: Header=BB55_32 Depth=1
	s_mov_b32 s2, s52
	s_mov_b32 s52, s77
	s_cmp_lg_u64 s[52:53], 0
	s_cbranch_scc0 .LBB55_162
; %bb.106:                              ;   in Loop: Header=BB55_32 Depth=1
	s_add_u32 s22, s33, 0
	s_addc_u32 s23, 0, 0
	s_xor_b64 s[22:23], s[22:23], 0
	v_cvt_f32_u32_e32 v6, s22
	v_cvt_f32_u32_e32 v7, s23
	s_sub_u32 s26, 0, s22
	s_subb_u32 s27, 0, s23
	v_mac_f32_e32 v6, 0x4f800000, v7
	v_rcp_f32_e32 v6, v6
	v_mul_f32_e32 v6, 0x5f7ffffc, v6
	v_mul_f32_e32 v7, 0x2f800000, v6
	v_trunc_f32_e32 v7, v7
	v_mac_f32_e32 v6, 0xcf800000, v7
	v_cvt_u32_f32_e32 v7, v7
	v_cvt_u32_f32_e32 v6, v6
	v_readfirstlane_b32 s28, v7
	v_readfirstlane_b32 s24, v6
	s_mul_i32 s25, s26, s28
	s_mul_hi_u32 s30, s26, s24
	s_mul_i32 s29, s27, s24
	s_add_i32 s25, s30, s25
	s_mul_i32 s31, s26, s24
	s_add_i32 s25, s25, s29
	s_mul_i32 s30, s24, s25
	s_mul_hi_u32 s34, s24, s31
	s_mul_hi_u32 s29, s24, s25
	s_add_u32 s30, s34, s30
	s_addc_u32 s29, 0, s29
	s_mul_hi_u32 s35, s28, s31
	s_mul_i32 s31, s28, s31
	s_add_u32 s30, s30, s31
	s_mul_hi_u32 s34, s28, s25
	s_addc_u32 s29, s29, s35
	s_addc_u32 s30, s34, 0
	s_mul_i32 s25, s28, s25
	s_add_u32 s25, s29, s25
	s_addc_u32 s29, 0, s30
	s_add_u32 s30, s24, s25
	s_cselect_b64 s[24:25], -1, 0
	s_cmp_lg_u64 s[24:25], 0
	s_addc_u32 s28, s28, s29
	s_mul_i32 s24, s26, s28
	s_mul_hi_u32 s25, s26, s30
	s_add_i32 s24, s25, s24
	s_mul_i32 s27, s27, s30
	s_add_i32 s24, s24, s27
	s_mul_i32 s26, s26, s30
	s_mul_hi_u32 s27, s28, s26
	s_mul_i32 s29, s28, s26
	s_mul_i32 s34, s30, s24
	s_mul_hi_u32 s26, s30, s26
	s_mul_hi_u32 s31, s30, s24
	s_add_u32 s26, s26, s34
	s_addc_u32 s31, 0, s31
	s_add_u32 s26, s26, s29
	s_mul_hi_u32 s25, s28, s24
	s_addc_u32 s26, s31, s27
	s_addc_u32 s25, s25, 0
	s_mul_i32 s24, s28, s24
	s_add_u32 s24, s26, s24
	s_addc_u32 s26, 0, s25
	s_add_u32 s29, s30, s24
	s_cselect_b64 s[24:25], -1, 0
	s_cmp_lg_u64 s[24:25], 0
	s_addc_u32 s28, s28, s26
	s_ashr_i32 s24, s53, 31
	s_add_u32 s26, s73, s24
	s_mov_b32 s25, s24
	s_addc_u32 s27, s53, s24
	s_xor_b64 s[26:27], s[26:27], s[24:25]
	s_mul_i32 s31, s26, s28
	s_mul_hi_u32 s34, s26, s29
	s_mul_hi_u32 s30, s26, s28
	s_add_u32 s31, s34, s31
	s_addc_u32 s30, 0, s30
	s_mul_hi_u32 s35, s27, s29
	s_mul_i32 s29, s27, s29
	s_add_u32 s29, s31, s29
	s_mul_hi_u32 s34, s27, s28
	s_addc_u32 s29, s30, s35
	s_addc_u32 s30, s34, 0
	s_mul_i32 s28, s27, s28
	s_add_u32 s28, s29, s28
	s_addc_u32 s29, 0, s30
	s_mul_i32 s29, s22, s29
	s_mul_hi_u32 s30, s22, s28
	s_add_i32 s29, s30, s29
	s_mul_i32 s30, s23, s28
	s_add_i32 s34, s29, s30
	s_sub_i32 s30, s27, s34
	s_mul_i32 s28, s22, s28
	s_sub_u32 s26, s26, s28
	s_cselect_b64 s[28:29], -1, 0
	s_cmp_lg_u64 s[28:29], 0
	s_subb_u32 s35, s30, s23
	s_sub_u32 s36, s26, s22
	s_cselect_b64 s[30:31], -1, 0
	s_cmp_lg_u64 s[30:31], 0
	s_subb_u32 s37, s35, 0
	s_cmp_ge_u32 s37, s23
	s_cselect_b32 s38, -1, 0
	s_cmp_ge_u32 s36, s22
	s_cselect_b32 s39, -1, 0
	s_cmp_eq_u32 s37, s23
	s_cselect_b32 s38, s39, s38
	s_cmp_lg_u64 s[30:31], 0
	s_subb_u32 s35, s35, s23
	s_sub_u32 s39, s36, s22
	s_cselect_b64 s[30:31], -1, 0
	s_cmp_lg_u64 s[30:31], 0
	s_subb_u32 s30, s35, 0
	s_cmp_lg_u32 s38, 0
	s_cselect_b32 s31, s39, s36
	s_cselect_b32 s30, s30, s37
	s_cmp_lg_u64 s[28:29], 0
	s_subb_u32 s27, s27, s34
	s_cmp_ge_u32 s27, s23
	s_cselect_b32 s28, -1, 0
	s_cmp_ge_u32 s26, s22
	s_cselect_b32 s22, -1, 0
	s_cmp_eq_u32 s27, s23
	s_cselect_b32 s22, s22, s28
	s_cmp_lg_u32 s22, 0
	s_cselect_b32 s23, s30, s27
	s_cselect_b32 s22, s31, s26
	s_xor_b64 s[22:23], s[22:23], s[24:25]
	s_sub_u32 s22, s22, s24
	s_subb_u32 s23, s23, s24
	s_mov_b32 s52, s2
	s_cbranch_execnz .LBB55_108
.LBB55_107:                             ;   in Loop: Header=BB55_32 Depth=1
	v_cvt_f32_u32_e32 v6, s33
	s_sub_i32 s22, 0, s33
	v_rcp_iflag_f32_e32 v6, v6
	v_mul_f32_e32 v6, 0x4f7ffffe, v6
	v_cvt_u32_f32_e32 v6, v6
	v_readfirstlane_b32 s23, v6
	s_mul_i32 s22, s22, s23
	s_mul_hi_u32 s22, s23, s22
	s_add_i32 s23, s23, s22
	s_mul_hi_u32 s22, s73, s23
	s_mul_i32 s22, s22, s33
	s_sub_i32 s22, s73, s22
	s_sub_i32 s23, s22, s33
	s_cmp_ge_u32 s22, s33
	s_cselect_b32 s22, s23, s22
	s_sub_i32 s23, s22, s33
	s_cmp_ge_u32 s22, s33
	s_cselect_b32 s76, s23, s22
	s_mov_b64 s[22:23], s[76:77]
.LBB55_108:                             ;   in Loop: Header=BB55_32 Depth=1
	s_sub_u32 s28, s73, s22
	s_subb_u32 s29, s53, s23
	v_cmp_gt_i64_e32 vcc, s[28:29], v[0:1]
	s_mov_b64 s[24:25], 0
	s_mov_b64 s[22:23], 0
                                        ; implicit-def: $vgpr28
	s_and_saveexec_b64 s[26:27], vcc
	s_cbranch_execz .LBB55_118
; %bb.109:                              ;   in Loop: Header=BB55_32 Depth=1
	v_mov_b32_e32 v6, v10
	v_mov_b32_e32 v9, v1
	;; [unrolled: 1-line block ×4, first 2 shown]
                                        ; implicit-def: $sgpr30_sgpr31
	s_branch .LBB55_113
.LBB55_110:                             ;   in Loop: Header=BB55_113 Depth=2
	s_or_b64 exec, exec, s[34:35]
	s_waitcnt lgkmcnt(0)
	s_barrier
	ds_read_b64 v[27:28], v13 offset:3072
	s_waitcnt lgkmcnt(0)
	s_barrier
	v_cmp_neq_f32_e32 vcc, 0, v27
	s_cbranch_vccnz .LBB55_116
; %bb.111:                              ;   in Loop: Header=BB55_113 Depth=2
	v_add_co_u32_e32 v8, vcc, s33, v8
	v_addc_co_u32_e32 v9, vcc, 0, v9, vcc
	v_mov_b32_e32 v12, s79
	v_add_co_u32_e32 v6, vcc, s78, v6
	v_addc_co_u32_e32 v7, vcc, v7, v12, vcc
	v_cmp_le_i64_e32 vcc, s[28:29], v[8:9]
	s_mov_b64 s[34:35], 0
	s_orn2_b64 s[36:37], vcc, exec
.LBB55_112:                             ;   in Loop: Header=BB55_113 Depth=2
	s_and_b64 s[36:37], exec, s[36:37]
	s_or_b64 s[22:23], s[36:37], s[22:23]
	s_andn2_b64 s[30:31], s[30:31], exec
	s_and_b64 s[34:35], s[34:35], exec
	s_or_b64 s[30:31], s[30:31], s[34:35]
	s_andn2_b64 exec, exec, s[22:23]
	s_cbranch_execz .LBB55_117
.LBB55_113:                             ;   Parent Loop BB55_32 Depth=1
                                        ; =>  This Inner Loop Header: Depth=2
	v_cmp_gt_i64_e32 vcc, s[56:57], v[8:9]
	s_and_saveexec_b64 s[34:35], vcc
	s_cbranch_execz .LBB55_110
; %bb.114:                              ;   in Loop: Header=BB55_113 Depth=2
	global_load_dword v27, v[6:7], off
	s_waitcnt vmcnt(0)
	v_cmp_lt_i32_e32 vcc, -1, v27
	v_cndmask_b32_e32 v12, -1, v52, vcc
	v_xor_b32_e32 v12, v12, v27
	v_cmp_o_f32_e32 vcc, v27, v27
	v_cndmask_b32_e32 v12, -1, v12, vcc
	v_and_b32_e32 v12, v12, v53
	v_cmp_eq_u32_e32 vcc, v12, v49
	s_and_b64 exec, exec, vcc
	s_cbranch_execz .LBB55_110
; %bb.115:                              ;   in Loop: Header=BB55_113 Depth=2
	ds_write_b64 v13, v[26:27] offset:3072
	s_branch .LBB55_110
.LBB55_116:                             ;   in Loop: Header=BB55_113 Depth=2
	s_mov_b64 s[36:37], -1
                                        ; implicit-def: $vgpr8_vgpr9
                                        ; implicit-def: $vgpr6_vgpr7
	s_mov_b64 s[34:35], -1
	s_branch .LBB55_112
.LBB55_117:                             ;   in Loop: Header=BB55_32 Depth=1
	s_or_b64 exec, exec, s[22:23]
	s_and_b64 s[22:23], s[30:31], exec
.LBB55_118:                             ;   in Loop: Header=BB55_32 Depth=1
	s_or_b64 exec, exec, s[26:27]
.LBB55_119:                             ;   in Loop: Header=BB55_32 Depth=1
	s_and_b64 vcc, exec, s[24:25]
	s_cbranch_vccz .LBB55_134
; %bb.120:                              ;   in Loop: Header=BB55_32 Depth=1
	v_readlane_b32 s0, v58, 22
	s_add_u32 s26, s18, s0
	v_readlane_b32 s0, v58, 23
	s_addc_u32 s1, s19, s0
	s_mov_b32 s0, s77
	s_cmp_lg_u64 s[0:1], 0
	s_cbranch_scc0 .LBB55_163
; %bb.121:                              ;   in Loop: Header=BB55_32 Depth=1
	s_add_u32 s8, s33, 0
	s_addc_u32 s9, 0, 0
	s_xor_b64 s[8:9], s[8:9], 0
	v_cvt_f32_u32_e32 v6, s8
	v_cvt_f32_u32_e32 v7, s9
	s_sub_u32 s0, 0, s8
	s_subb_u32 s27, 0, s9
	v_mac_f32_e32 v6, 0x4f800000, v7
	v_rcp_f32_e32 v6, v6
	v_mul_f32_e32 v6, 0x5f7ffffc, v6
	v_mul_f32_e32 v7, 0x2f800000, v6
	v_trunc_f32_e32 v7, v7
	v_mac_f32_e32 v6, 0xcf800000, v7
	v_cvt_u32_f32_e32 v7, v7
	v_cvt_u32_f32_e32 v6, v6
	v_readfirstlane_b32 s28, v7
	v_readfirstlane_b32 s24, v6
	s_mul_i32 s25, s0, s28
	s_mul_hi_u32 s30, s0, s24
	s_mul_i32 s29, s27, s24
	s_add_i32 s25, s30, s25
	s_mul_i32 s31, s0, s24
	s_add_i32 s25, s25, s29
	s_mul_i32 s30, s24, s25
	s_mul_hi_u32 s34, s24, s31
	s_mul_hi_u32 s29, s24, s25
	s_add_u32 s30, s34, s30
	s_addc_u32 s29, 0, s29
	s_mul_hi_u32 s35, s28, s31
	s_mul_i32 s31, s28, s31
	s_add_u32 s30, s30, s31
	s_mul_hi_u32 s34, s28, s25
	s_addc_u32 s29, s29, s35
	s_addc_u32 s30, s34, 0
	s_mul_i32 s25, s28, s25
	s_add_u32 s25, s29, s25
	s_addc_u32 s29, 0, s30
	s_add_u32 s30, s24, s25
	s_cselect_b64 s[24:25], -1, 0
	s_cmp_lg_u64 s[24:25], 0
	s_addc_u32 s28, s28, s29
	s_mul_i32 s24, s0, s28
	s_mul_hi_u32 s25, s0, s30
	s_add_i32 s24, s25, s24
	s_mul_i32 s27, s27, s30
	s_add_i32 s24, s24, s27
	s_mul_i32 s0, s0, s30
	s_mul_hi_u32 s27, s28, s0
	s_mul_i32 s29, s28, s0
	s_mul_i32 s34, s30, s24
	s_mul_hi_u32 s0, s30, s0
	s_mul_hi_u32 s31, s30, s24
	s_add_u32 s0, s0, s34
	s_addc_u32 s31, 0, s31
	s_add_u32 s0, s0, s29
	s_mul_hi_u32 s25, s28, s24
	s_addc_u32 s0, s31, s27
	s_addc_u32 s25, s25, 0
	s_mul_i32 s24, s28, s24
	s_add_u32 s0, s0, s24
	s_addc_u32 s27, 0, s25
	s_add_u32 s0, s30, s0
	s_cselect_b64 s[24:25], -1, 0
	s_cmp_lg_u64 s[24:25], 0
	s_addc_u32 s27, s28, s27
	s_ashr_i32 s24, s1, 31
	s_add_u32 s28, s26, s24
	s_mov_b32 s25, s24
	s_addc_u32 s29, s1, s24
	s_xor_b64 s[28:29], s[28:29], s[24:25]
	s_mul_i32 s31, s28, s27
	s_mul_hi_u32 s34, s28, s0
	s_mul_hi_u32 s30, s28, s27
	s_add_u32 s31, s34, s31
	s_addc_u32 s30, 0, s30
	s_mul_hi_u32 s35, s29, s0
	s_mul_i32 s0, s29, s0
	s_add_u32 s0, s31, s0
	s_mul_hi_u32 s34, s29, s27
	s_addc_u32 s0, s30, s35
	s_addc_u32 s30, s34, 0
	s_mul_i32 s27, s29, s27
	s_add_u32 s0, s0, s27
	s_addc_u32 s27, 0, s30
	s_mul_i32 s27, s8, s27
	s_mul_hi_u32 s30, s8, s0
	s_add_i32 s27, s30, s27
	s_mul_i32 s30, s9, s0
	s_add_i32 s27, s27, s30
	s_sub_i32 s34, s29, s27
	s_mul_i32 s0, s8, s0
	s_sub_u32 s0, s28, s0
	s_cselect_b64 s[30:31], -1, 0
	s_cmp_lg_u64 s[30:31], 0
	s_subb_u32 s28, s34, s9
	s_sub_u32 s36, s0, s8
	s_cselect_b64 s[34:35], -1, 0
	s_cmp_lg_u64 s[34:35], 0
	s_subb_u32 s37, s28, 0
	s_cmp_ge_u32 s37, s9
	s_cselect_b32 s38, -1, 0
	s_cmp_ge_u32 s36, s8
	s_cselect_b32 s39, -1, 0
	s_cmp_eq_u32 s37, s9
	s_cselect_b32 s38, s39, s38
	s_cmp_lg_u64 s[34:35], 0
	s_subb_u32 s28, s28, s9
	s_sub_u32 s39, s36, s8
	s_cselect_b64 s[34:35], -1, 0
	s_cmp_lg_u64 s[34:35], 0
	s_subb_u32 s28, s28, 0
	s_cmp_lg_u32 s38, 0
	s_cselect_b32 s34, s39, s36
	s_cselect_b32 s28, s28, s37
	s_cmp_lg_u64 s[30:31], 0
	s_subb_u32 s27, s29, s27
	s_cmp_ge_u32 s27, s9
	s_cselect_b32 s29, -1, 0
	s_cmp_ge_u32 s0, s8
	s_cselect_b32 s8, -1, 0
	s_cmp_eq_u32 s27, s9
	s_cselect_b32 s8, s8, s29
	s_cmp_lg_u32 s8, 0
	s_cselect_b32 s9, s28, s27
	s_cselect_b32 s8, s34, s0
	s_xor_b64 s[8:9], s[8:9], s[24:25]
	s_sub_u32 s8, s8, s24
	s_subb_u32 s9, s9, s24
	s_cbranch_execnz .LBB55_123
.LBB55_122:                             ;   in Loop: Header=BB55_32 Depth=1
	v_cvt_f32_u32_e32 v6, s33
	s_sub_i32 s0, 0, s33
	v_rcp_iflag_f32_e32 v6, v6
	v_mul_f32_e32 v6, 0x4f7ffffe, v6
	v_cvt_u32_f32_e32 v6, v6
	v_readfirstlane_b32 s8, v6
	s_mul_i32 s0, s0, s8
	s_mul_hi_u32 s0, s8, s0
	s_add_i32 s8, s8, s0
	s_mul_hi_u32 s0, s26, s8
	s_mul_i32 s0, s0, s33
	s_sub_i32 s0, s26, s0
	s_sub_i32 s8, s0, s33
	s_cmp_ge_u32 s0, s33
	s_cselect_b32 s0, s8, s0
	s_sub_i32 s8, s0, s33
	s_cmp_ge_u32 s0, s33
	s_cselect_b32 s76, s8, s0
	s_mov_b64 s[8:9], s[76:77]
.LBB55_123:                             ;   in Loop: Header=BB55_32 Depth=1
	s_sub_u32 s8, s26, s8
	s_subb_u32 s9, s1, s9
	v_cmp_gt_i64_e32 vcc, s[8:9], v[0:1]
                                        ; implicit-def: $vgpr28
	s_and_saveexec_b64 s[0:1], vcc
	s_cbranch_execz .LBB55_133
; %bb.124:                              ;   in Loop: Header=BB55_32 Depth=1
	v_mov_b32_e32 v7, v1
	s_mov_b64 s[24:25], 0
	v_mov_b32_e32 v8, v14
	v_mov_b32_e32 v6, v0
                                        ; implicit-def: $sgpr26_sgpr27
	s_branch .LBB55_128
.LBB55_125:                             ;   in Loop: Header=BB55_128 Depth=2
	s_or_b64 exec, exec, s[28:29]
	s_waitcnt lgkmcnt(0)
	s_barrier
	ds_read_b64 v[27:28], v13 offset:3072
	s_waitcnt lgkmcnt(0)
	s_barrier
	v_cmp_neq_f32_e32 vcc, 0, v27
	s_cbranch_vccnz .LBB55_131
; %bb.126:                              ;   in Loop: Header=BB55_128 Depth=2
	v_add_co_u32_e32 v6, vcc, s33, v6
	v_addc_co_u32_e32 v7, vcc, 0, v7, vcc
	v_cmp_le_i64_e32 vcc, s[8:9], v[6:7]
	v_add_u32_e32 v8, s5, v8
	s_mov_b64 s[28:29], 0
	s_orn2_b64 s[30:31], vcc, exec
.LBB55_127:                             ;   in Loop: Header=BB55_128 Depth=2
	s_and_b64 s[30:31], exec, s[30:31]
	s_or_b64 s[24:25], s[30:31], s[24:25]
	s_andn2_b64 s[26:27], s[26:27], exec
	s_and_b64 s[28:29], s[28:29], exec
	s_or_b64 s[26:27], s[26:27], s[28:29]
	s_andn2_b64 exec, exec, s[24:25]
	s_cbranch_execz .LBB55_132
.LBB55_128:                             ;   Parent Loop BB55_32 Depth=1
                                        ; =>  This Inner Loop Header: Depth=2
	v_cmp_gt_u64_e32 vcc, s[18:19], v[6:7]
	s_and_saveexec_b64 s[28:29], vcc
	s_cbranch_execz .LBB55_125
; %bb.129:                              ;   in Loop: Header=BB55_128 Depth=2
	ds_read_b32 v27, v8
	s_waitcnt lgkmcnt(0)
	v_cmp_lt_i32_e32 vcc, -1, v27
	v_cndmask_b32_e32 v9, -1, v52, vcc
	v_xor_b32_e32 v9, v9, v27
	v_cmp_o_f32_e32 vcc, v27, v27
	v_cndmask_b32_e32 v9, -1, v9, vcc
	v_and_b32_e32 v9, v9, v53
	v_cmp_eq_u32_e32 vcc, v9, v49
	s_and_b64 exec, exec, vcc
	s_cbranch_execz .LBB55_125
; %bb.130:                              ;   in Loop: Header=BB55_128 Depth=2
	ds_write_b64 v13, v[26:27] offset:3072
	s_branch .LBB55_125
.LBB55_131:                             ;   in Loop: Header=BB55_128 Depth=2
	s_mov_b64 s[30:31], -1
                                        ; implicit-def: $vgpr6_vgpr7
                                        ; implicit-def: $vgpr8
	s_mov_b64 s[28:29], -1
	s_branch .LBB55_127
.LBB55_132:                             ;   in Loop: Header=BB55_32 Depth=1
	s_or_b64 exec, exec, s[24:25]
	s_andn2_b64 s[8:9], s[22:23], exec
	s_and_b64 s[18:19], s[26:27], exec
	s_or_b64 s[22:23], s[8:9], s[18:19]
.LBB55_133:                             ;   in Loop: Header=BB55_32 Depth=1
	s_or_b64 exec, exec, s[0:1]
	s_mov_b64 s[0:1], 0
	s_mov_b64 s[8:9], -1
.LBB55_134:                             ;   in Loop: Header=BB55_32 Depth=1
	s_orn2_b64 s[18:19], s[22:23], exec
.LBB55_135:                             ;   in Loop: Header=BB55_32 Depth=1
	s_or_b64 exec, exec, s[14:15]
	s_andn2_b64 s[14:15], s[54:55], exec
	s_and_b64 s[8:9], s[8:9], exec
	s_or_b64 s[8:9], s[14:15], s[8:9]
	s_andn2_b64 s[2:3], s[70:71], exec
	s_and_b64 s[0:1], s[0:1], exec
	s_andn2_b64 s[58:59], s[58:59], exec
	s_mov_b64 s[70:71], s[8:9]
	s_or_b64 s[90:91], s[2:3], s[0:1]
                                        ; implicit-def: $vgpr6_vgpr7
	s_and_saveexec_b64 s[14:15], s[18:19]
	s_cbranch_execz .LBB55_31
; %bb.136:                              ;   in Loop: Header=BB55_32 Depth=1
	v_mov_b32_e32 v6, 1
	s_xor_b64 s[6:7], s[16:17], -1
	v_mov_b32_e32 v12, 1
	v_mov_b32_e32 v7, 0
	s_mov_b64 s[8:9], 0
	s_and_saveexec_b64 s[0:1], s[6:7]
	s_cbranch_execz .LBB55_145
; %bb.137:                              ;   in Loop: Header=BB55_32 Depth=1
	v_cmp_le_i64_e32 vcc, v[29:30], v[2:3]
	s_and_saveexec_b64 s[6:7], vcc
	s_xor_b64 s[6:7], exec, s[6:7]
	s_cbranch_execz .LBB55_142
; %bb.138:                              ;   in Loop: Header=BB55_32 Depth=1
	ds_read_b64 v[6:7], v13 offset:5120
	v_and_b32_e32 v49, s50, v49
	v_or_b32_e32 v53, s72, v53
	s_waitcnt lgkmcnt(0)
	v_cmp_ne_u64_e32 vcc, 0, v[6:7]
	s_cbranch_vccnz .LBB55_142
; %bb.139:                              ;   in Loop: Header=BB55_32 Depth=1
	s_mov_b64 s[8:9], exec
	v_readlane_b32 s16, v58, 12
	v_readlane_b32 s17, v58, 13
	s_and_b64 s[16:17], s[8:9], s[16:17]
	s_mov_b64 exec, s[16:17]
; %bb.140:                              ;   in Loop: Header=BB55_32 Depth=1
	ds_write_b64 v13, v[2:3] offset:5128
; %bb.141:                              ;   in Loop: Header=BB55_32 Depth=1
	s_or_b64 exec, exec, s[8:9]
	s_waitcnt lgkmcnt(0)
	s_barrier
.LBB55_142:                             ;   in Loop: Header=BB55_32 Depth=1
	s_or_saveexec_b64 s[6:7], s[6:7]
	s_mov_b64 s[8:9], 0
	v_mov_b32_e32 v12, 8
	s_xor_b64 exec, exec, s[6:7]
; %bb.143:                              ;   in Loop: Header=BB55_32 Depth=1
	v_sub_co_u32_e32 v29, vcc, v29, v2
	s_mov_b64 s[8:9], exec
	v_subb_co_u32_e32 v30, vcc, v30, v3, vcc
	v_mov_b32_e32 v12, 0
; %bb.144:                              ;   in Loop: Header=BB55_32 Depth=1
	s_or_b64 exec, exec, s[6:7]
	v_mov_b32_e32 v6, v29
	s_and_b64 s[8:9], s[8:9], exec
	v_mov_b32_e32 v7, v30
.LBB55_145:                             ;   in Loop: Header=BB55_32 Depth=1
	s_or_b64 exec, exec, s[0:1]
	s_mov_b64 s[16:17], -1
	s_mov_b64 s[0:1], -1
                                        ; implicit-def: $sgpr6_sgpr7
                                        ; implicit-def: $sgpr22_sgpr23
	s_and_saveexec_b64 s[18:19], s[8:9]
	s_xor_b64 s[18:19], exec, s[18:19]
	s_cbranch_execz .LBB55_293
; %bb.146:                              ;   in Loop: Header=BB55_32 Depth=1
	v_cmp_eq_u64_e32 vcc, 1, v[4:5]
	v_cmp_eq_u64_e64 s[6:7], 1, v[6:7]
                                        ; implicit-def: $sgpr22_sgpr23
	s_and_b64 s[26:27], vcc, s[6:7]
                                        ; implicit-def: $sgpr6_sgpr7
	s_and_saveexec_b64 s[24:25], s[26:27]
	s_cbranch_execz .LBB55_182
; %bb.147:                              ;   in Loop: Header=BB55_32 Depth=1
	ds_read_b64 v[2:3], v13 offset:5120
	s_waitcnt lgkmcnt(0)
	s_barrier
	v_readfirstlane_b32 s30, v2
	v_readfirstlane_b32 s31, v3
	s_and_saveexec_b64 s[0:1], s[92:93]
; %bb.148:                              ;   in Loop: Header=BB55_32 Depth=1
	ds_write_b32 v42, v13
; %bb.149:                              ;   in Loop: Header=BB55_32 Depth=1
	s_or_b64 exec, exec, s[0:1]
	v_cmp_gt_i64_e64 s[0:1], s[30:31], 0
	v_and_b32_e32 v2, s50, v49
	v_lshl_or_b32 v49, 1, s4, v2
	v_or_b32_e32 v53, s72, v53
	s_mov_b64 s[6:7], -1
	s_mov_b64 s[22:23], 0
	s_and_b64 vcc, exec, s[0:1]
	s_mov_b64 s[0:1], 0
	s_mov_b64 s[8:9], -1
	s_waitcnt lgkmcnt(0)
	s_barrier
                                        ; implicit-def: $vgpr28
	s_cbranch_vccnz .LBB55_166
; %bb.150:                              ;   in Loop: Header=BB55_32 Depth=1
	s_mov_b32 s10, s52
	s_mov_b32 s52, s77
	s_mov_b64 s[2:3], s[42:43]
	s_cmp_lg_u64 s[52:53], 0
	s_cbranch_scc0 .LBB55_210
; %bb.151:                              ;   in Loop: Header=BB55_32 Depth=1
	s_add_u32 s0, s33, 0
	s_addc_u32 s1, 0, 0
	s_xor_b64 s[0:1], s[0:1], 0
	v_cvt_f32_u32_e32 v2, s0
	v_cvt_f32_u32_e32 v3, s1
	s_sub_u32 s28, 0, s0
	s_subb_u32 s29, 0, s1
	v_mac_f32_e32 v2, 0x4f800000, v3
	v_rcp_f32_e32 v2, v2
	v_mul_f32_e32 v2, 0x5f7ffffc, v2
	v_mul_f32_e32 v3, 0x2f800000, v2
	v_trunc_f32_e32 v3, v3
	v_mac_f32_e32 v2, 0xcf800000, v3
	v_cvt_u32_f32_e32 v3, v3
	v_cvt_u32_f32_e32 v2, v2
	v_readfirstlane_b32 s34, v3
	v_readfirstlane_b32 s8, v2
	s_mul_i32 s9, s28, s34
	s_mul_hi_u32 s36, s28, s8
	s_mul_i32 s35, s29, s8
	s_add_i32 s9, s36, s9
	s_mul_i32 s37, s28, s8
	s_add_i32 s9, s9, s35
	s_mul_i32 s36, s8, s9
	s_mul_hi_u32 s38, s8, s37
	s_mul_hi_u32 s35, s8, s9
	s_add_u32 s36, s38, s36
	s_addc_u32 s35, 0, s35
	s_mul_hi_u32 s39, s34, s37
	s_mul_i32 s37, s34, s37
	s_add_u32 s36, s36, s37
	s_mul_hi_u32 s38, s34, s9
	s_addc_u32 s35, s35, s39
	s_addc_u32 s36, s38, 0
	s_mul_i32 s9, s34, s9
	s_add_u32 s9, s35, s9
	s_addc_u32 s35, 0, s36
	s_add_u32 s36, s8, s9
	s_cselect_b64 s[8:9], -1, 0
	s_cmp_lg_u64 s[8:9], 0
	s_addc_u32 s34, s34, s35
	s_mul_i32 s8, s28, s34
	s_mul_hi_u32 s9, s28, s36
	s_add_i32 s8, s9, s8
	s_mul_i32 s29, s29, s36
	s_add_i32 s8, s8, s29
	s_mul_i32 s28, s28, s36
	s_mul_hi_u32 s29, s34, s28
	s_mul_i32 s35, s34, s28
	s_mul_i32 s38, s36, s8
	s_mul_hi_u32 s28, s36, s28
	s_mul_hi_u32 s37, s36, s8
	s_add_u32 s28, s28, s38
	s_addc_u32 s37, 0, s37
	s_add_u32 s28, s28, s35
	s_mul_hi_u32 s9, s34, s8
	s_addc_u32 s28, s37, s29
	s_addc_u32 s9, s9, 0
	s_mul_i32 s8, s34, s8
	s_add_u32 s8, s28, s8
	s_addc_u32 s28, 0, s9
	s_add_u32 s35, s36, s8
	s_cselect_b64 s[8:9], -1, 0
	s_cmp_lg_u64 s[8:9], 0
	s_addc_u32 s34, s34, s28
	s_ashr_i32 s8, s53, 31
	s_add_u32 s28, s73, s8
	s_mov_b32 s9, s8
	s_addc_u32 s29, s53, s8
	s_xor_b64 s[28:29], s[28:29], s[8:9]
	s_mul_i32 s37, s28, s34
	s_mul_hi_u32 s38, s28, s35
	s_mul_hi_u32 s36, s28, s34
	s_add_u32 s37, s38, s37
	s_addc_u32 s36, 0, s36
	s_mul_hi_u32 s39, s29, s35
	s_mul_i32 s35, s29, s35
	s_add_u32 s35, s37, s35
	s_mul_hi_u32 s38, s29, s34
	s_addc_u32 s35, s36, s39
	s_addc_u32 s36, s38, 0
	s_mul_i32 s34, s29, s34
	s_add_u32 s34, s35, s34
	s_addc_u32 s35, 0, s36
	s_mul_i32 s35, s0, s35
	s_mul_hi_u32 s36, s0, s34
	s_add_i32 s35, s36, s35
	s_mul_i32 s36, s1, s34
	s_add_i32 s38, s35, s36
	s_sub_i32 s36, s29, s38
	s_mul_i32 s34, s0, s34
	s_sub_u32 s28, s28, s34
	s_cselect_b64 s[34:35], -1, 0
	s_cmp_lg_u64 s[34:35], 0
	s_subb_u32 s39, s36, s1
	s_sub_u32 s40, s28, s0
	s_cselect_b64 s[36:37], -1, 0
	s_cmp_lg_u64 s[36:37], 0
	s_subb_u32 s41, s39, 0
	s_cmp_ge_u32 s41, s1
	s_cselect_b32 s42, -1, 0
	s_cmp_ge_u32 s40, s0
	s_cselect_b32 s43, -1, 0
	s_cmp_eq_u32 s41, s1
	s_cselect_b32 s42, s43, s42
	s_cmp_lg_u64 s[36:37], 0
	s_subb_u32 s39, s39, s1
	s_sub_u32 s43, s40, s0
	s_cselect_b64 s[36:37], -1, 0
	s_cmp_lg_u64 s[36:37], 0
	s_subb_u32 s36, s39, 0
	s_cmp_lg_u32 s42, 0
	s_cselect_b32 s37, s43, s40
	s_cselect_b32 s36, s36, s41
	s_cmp_lg_u64 s[34:35], 0
	s_subb_u32 s29, s29, s38
	s_cmp_ge_u32 s29, s1
	s_cselect_b32 s34, -1, 0
	s_cmp_ge_u32 s28, s0
	s_cselect_b32 s0, -1, 0
	s_cmp_eq_u32 s29, s1
	s_cselect_b32 s0, s0, s34
	s_cmp_lg_u32 s0, 0
	s_cselect_b32 s1, s36, s29
	s_cselect_b32 s0, s37, s28
	s_xor_b64 s[0:1], s[0:1], s[8:9]
	s_sub_u32 s0, s0, s8
	s_subb_u32 s1, s1, s8
	s_mov_b32 s52, s10
	s_cbranch_execnz .LBB55_153
.LBB55_152:                             ;   in Loop: Header=BB55_32 Depth=1
	v_cvt_f32_u32_e32 v2, s33
	s_sub_i32 s0, 0, s33
	v_rcp_iflag_f32_e32 v2, v2
	v_mul_f32_e32 v2, 0x4f7ffffe, v2
	v_cvt_u32_f32_e32 v2, v2
	v_readfirstlane_b32 s1, v2
	s_mul_i32 s0, s0, s1
	s_mul_hi_u32 s0, s1, s0
	s_add_i32 s1, s1, s0
	s_mul_hi_u32 s0, s73, s1
	s_mul_i32 s0, s0, s33
	s_sub_i32 s0, s73, s0
	s_sub_i32 s1, s0, s33
	s_cmp_ge_u32 s0, s33
	s_cselect_b32 s0, s1, s0
	s_sub_i32 s1, s0, s33
	s_cmp_ge_u32 s0, s33
	s_cselect_b32 s76, s1, s0
	s_mov_b64 s[0:1], s[76:77]
.LBB55_153:                             ;   in Loop: Header=BB55_32 Depth=1
	s_sub_u32 s34, s73, s0
	s_subb_u32 s35, s53, s1
	v_cmp_gt_i64_e32 vcc, s[34:35], v[0:1]
	s_mov_b64 s[8:9], 0
	s_mov_b64 s[0:1], 0
                                        ; implicit-def: $vgpr28
	s_and_saveexec_b64 s[28:29], vcc
	s_mov_b64 s[42:43], s[2:3]
	s_cbranch_execz .LBB55_165
; %bb.154:                              ;   in Loop: Header=BB55_32 Depth=1
	v_mov_b32_e32 v2, v10
	v_mov_b32_e32 v9, v1
	;; [unrolled: 1-line block ×4, first 2 shown]
                                        ; implicit-def: $sgpr36_sgpr37
	s_branch .LBB55_158
.LBB55_155:                             ;   in Loop: Header=BB55_158 Depth=2
	s_or_b64 exec, exec, s[38:39]
	s_waitcnt lgkmcnt(0)
	s_barrier
	ds_read_b64 v[27:28], v13 offset:3072
	s_waitcnt lgkmcnt(0)
	s_barrier
	v_cmp_neq_f32_e32 vcc, 0, v27
	s_cbranch_vccnz .LBB55_161
; %bb.156:                              ;   in Loop: Header=BB55_158 Depth=2
	v_add_co_u32_e32 v8, vcc, s33, v8
	v_addc_co_u32_e32 v9, vcc, 0, v9, vcc
	v_mov_b32_e32 v27, s79
	v_add_co_u32_e32 v2, vcc, s78, v2
	v_addc_co_u32_e32 v3, vcc, v3, v27, vcc
	v_cmp_le_i64_e32 vcc, s[34:35], v[8:9]
	s_mov_b64 s[38:39], 0
	s_orn2_b64 s[40:41], vcc, exec
.LBB55_157:                             ;   in Loop: Header=BB55_158 Depth=2
	s_and_b64 s[40:41], exec, s[40:41]
	s_or_b64 s[0:1], s[40:41], s[0:1]
	s_andn2_b64 s[36:37], s[36:37], exec
	s_and_b64 s[38:39], s[38:39], exec
	s_or_b64 s[36:37], s[36:37], s[38:39]
	s_andn2_b64 exec, exec, s[0:1]
	s_cbranch_execz .LBB55_164
.LBB55_158:                             ;   Parent Loop BB55_32 Depth=1
                                        ; =>  This Inner Loop Header: Depth=2
	v_cmp_gt_i64_e32 vcc, s[56:57], v[8:9]
	s_and_saveexec_b64 s[38:39], vcc
	s_cbranch_execz .LBB55_155
; %bb.159:                              ;   in Loop: Header=BB55_158 Depth=2
	global_load_dword v27, v[2:3], off
	s_waitcnt vmcnt(0)
	v_cmp_lt_i32_e32 vcc, -1, v27
	v_cndmask_b32_e32 v28, -1, v52, vcc
	v_xor_b32_e32 v28, v28, v27
	v_cmp_o_f32_e32 vcc, v27, v27
	v_cndmask_b32_e32 v28, -1, v28, vcc
	v_and_b32_e32 v28, v28, v53
	v_cmp_eq_u32_e32 vcc, v28, v49
	s_and_b64 exec, exec, vcc
	s_cbranch_execz .LBB55_155
; %bb.160:                              ;   in Loop: Header=BB55_158 Depth=2
	ds_write_b64 v13, v[26:27] offset:3072
	s_branch .LBB55_155
.LBB55_161:                             ;   in Loop: Header=BB55_158 Depth=2
	s_mov_b64 s[40:41], -1
                                        ; implicit-def: $vgpr8_vgpr9
                                        ; implicit-def: $vgpr2_vgpr3
	s_mov_b64 s[38:39], -1
	s_branch .LBB55_157
.LBB55_162:                             ;   in Loop: Header=BB55_32 Depth=1
                                        ; implicit-def: $sgpr22_sgpr23
	s_andn2_b64 vcc, exec, s[24:25]
	s_mov_b32 s52, s2
	s_cbranch_vccz .LBB55_107
	s_branch .LBB55_108
.LBB55_163:                             ;   in Loop: Header=BB55_32 Depth=1
                                        ; implicit-def: $sgpr8_sgpr9
	s_branch .LBB55_122
.LBB55_164:                             ;   in Loop: Header=BB55_32 Depth=1
	s_or_b64 exec, exec, s[0:1]
	s_and_b64 s[0:1], s[36:37], exec
.LBB55_165:                             ;   in Loop: Header=BB55_32 Depth=1
	s_or_b64 exec, exec, s[28:29]
.LBB55_166:                             ;   in Loop: Header=BB55_32 Depth=1
	s_and_b64 vcc, exec, s[8:9]
	s_cbranch_vccz .LBB55_181
; %bb.167:                              ;   in Loop: Header=BB55_32 Depth=1
	v_readlane_b32 s2, v58, 22
	s_add_u32 s28, s30, s2
	v_readlane_b32 s2, v58, 23
	s_addc_u32 s7, s31, s2
	s_mov_b32 s6, s77
	s_cmp_lg_u64 s[6:7], 0
	s_cbranch_scc0 .LBB55_211
; %bb.168:                              ;   in Loop: Header=BB55_32 Depth=1
	s_add_u32 s8, s33, 0
	s_addc_u32 s9, 0, 0
	s_xor_b64 s[8:9], s[8:9], 0
	v_cvt_f32_u32_e32 v2, s8
	v_cvt_f32_u32_e32 v3, s9
	s_sub_u32 s6, 0, s8
	s_subb_u32 s29, 0, s9
	s_mov_b64 s[2:3], s[42:43]
	v_mac_f32_e32 v2, 0x4f800000, v3
	v_rcp_f32_e32 v2, v2
	v_mul_f32_e32 v2, 0x5f7ffffc, v2
	v_mul_f32_e32 v3, 0x2f800000, v2
	v_trunc_f32_e32 v3, v3
	v_mac_f32_e32 v2, 0xcf800000, v3
	v_cvt_u32_f32_e32 v3, v3
	v_cvt_u32_f32_e32 v2, v2
	v_readfirstlane_b32 s34, v3
	v_readfirstlane_b32 s22, v2
	s_mul_i32 s23, s6, s34
	s_mul_hi_u32 s36, s6, s22
	s_mul_i32 s35, s29, s22
	s_add_i32 s23, s36, s23
	s_mul_i32 s37, s6, s22
	s_add_i32 s23, s23, s35
	s_mul_i32 s36, s22, s23
	s_mul_hi_u32 s38, s22, s37
	s_mul_hi_u32 s35, s22, s23
	s_add_u32 s36, s38, s36
	s_addc_u32 s35, 0, s35
	s_mul_hi_u32 s39, s34, s37
	s_mul_i32 s37, s34, s37
	s_add_u32 s36, s36, s37
	s_mul_hi_u32 s38, s34, s23
	s_addc_u32 s35, s35, s39
	s_addc_u32 s36, s38, 0
	s_mul_i32 s23, s34, s23
	s_add_u32 s23, s35, s23
	s_addc_u32 s35, 0, s36
	s_add_u32 s36, s22, s23
	s_cselect_b64 s[22:23], -1, 0
	s_cmp_lg_u64 s[22:23], 0
	s_addc_u32 s34, s34, s35
	s_mul_i32 s22, s6, s34
	s_mul_hi_u32 s23, s6, s36
	s_add_i32 s22, s23, s22
	s_mul_i32 s29, s29, s36
	s_add_i32 s22, s22, s29
	s_mul_i32 s6, s6, s36
	s_mul_hi_u32 s29, s34, s6
	s_mul_i32 s35, s34, s6
	s_mul_i32 s38, s36, s22
	s_mul_hi_u32 s6, s36, s6
	s_mul_hi_u32 s37, s36, s22
	s_add_u32 s6, s6, s38
	s_addc_u32 s37, 0, s37
	s_add_u32 s6, s6, s35
	s_mul_hi_u32 s23, s34, s22
	s_addc_u32 s6, s37, s29
	s_addc_u32 s23, s23, 0
	s_mul_i32 s22, s34, s22
	s_add_u32 s6, s6, s22
	s_addc_u32 s29, 0, s23
	s_add_u32 s6, s36, s6
	s_cselect_b64 s[22:23], -1, 0
	s_cmp_lg_u64 s[22:23], 0
	s_addc_u32 s29, s34, s29
	s_ashr_i32 s22, s7, 31
	s_add_u32 s34, s28, s22
	s_mov_b32 s23, s22
	s_addc_u32 s35, s7, s22
	s_xor_b64 s[34:35], s[34:35], s[22:23]
	s_mul_i32 s37, s34, s29
	s_mul_hi_u32 s38, s34, s6
	s_mul_hi_u32 s36, s34, s29
	s_add_u32 s37, s38, s37
	s_addc_u32 s36, 0, s36
	s_mul_hi_u32 s39, s35, s6
	s_mul_i32 s6, s35, s6
	s_add_u32 s6, s37, s6
	s_mul_hi_u32 s38, s35, s29
	s_addc_u32 s6, s36, s39
	s_addc_u32 s36, s38, 0
	s_mul_i32 s29, s35, s29
	s_add_u32 s6, s6, s29
	s_addc_u32 s29, 0, s36
	s_mul_i32 s29, s8, s29
	s_mul_hi_u32 s36, s8, s6
	s_add_i32 s29, s36, s29
	s_mul_i32 s36, s9, s6
	s_add_i32 s29, s29, s36
	s_sub_i32 s38, s35, s29
	s_mul_i32 s6, s8, s6
	s_sub_u32 s6, s34, s6
	s_cselect_b64 s[36:37], -1, 0
	s_cmp_lg_u64 s[36:37], 0
	s_subb_u32 s34, s38, s9
	s_sub_u32 s40, s6, s8
	s_cselect_b64 s[38:39], -1, 0
	s_cmp_lg_u64 s[38:39], 0
	s_subb_u32 s41, s34, 0
	s_cmp_ge_u32 s41, s9
	s_cselect_b32 s42, -1, 0
	s_cmp_ge_u32 s40, s8
	s_cselect_b32 s43, -1, 0
	s_cmp_eq_u32 s41, s9
	s_cselect_b32 s42, s43, s42
	s_cmp_lg_u64 s[38:39], 0
	s_subb_u32 s34, s34, s9
	s_sub_u32 s43, s40, s8
	s_cselect_b64 s[38:39], -1, 0
	s_cmp_lg_u64 s[38:39], 0
	s_subb_u32 s34, s34, 0
	s_cmp_lg_u32 s42, 0
	s_cselect_b32 s38, s43, s40
	s_cselect_b32 s34, s34, s41
	s_cmp_lg_u64 s[36:37], 0
	s_subb_u32 s29, s35, s29
	s_cmp_ge_u32 s29, s9
	s_cselect_b32 s35, -1, 0
	s_cmp_ge_u32 s6, s8
	s_cselect_b32 s8, -1, 0
	s_cmp_eq_u32 s29, s9
	s_cselect_b32 s8, s8, s35
	s_cmp_lg_u32 s8, 0
	s_cselect_b32 s9, s34, s29
	s_cselect_b32 s8, s38, s6
	s_xor_b64 s[8:9], s[8:9], s[22:23]
	s_sub_u32 s8, s8, s22
	s_mov_b64 s[42:43], s[2:3]
	s_subb_u32 s9, s9, s22
	s_cbranch_execnz .LBB55_170
.LBB55_169:                             ;   in Loop: Header=BB55_32 Depth=1
	v_cvt_f32_u32_e32 v2, s33
	s_sub_i32 s6, 0, s33
	v_rcp_iflag_f32_e32 v2, v2
	v_mul_f32_e32 v2, 0x4f7ffffe, v2
	v_cvt_u32_f32_e32 v2, v2
	v_readfirstlane_b32 s8, v2
	s_mul_i32 s6, s6, s8
	s_mul_hi_u32 s6, s8, s6
	s_add_i32 s8, s8, s6
	s_mul_hi_u32 s6, s28, s8
	s_mul_i32 s6, s6, s33
	s_sub_i32 s6, s28, s6
	s_sub_i32 s8, s6, s33
	s_cmp_ge_u32 s6, s33
	s_cselect_b32 s6, s8, s6
	s_sub_i32 s8, s6, s33
	s_cmp_ge_u32 s6, s33
	s_cselect_b32 s76, s8, s6
	s_mov_b64 s[8:9], s[76:77]
.LBB55_170:                             ;   in Loop: Header=BB55_32 Depth=1
	s_sub_u32 s8, s28, s8
	s_subb_u32 s9, s7, s9
	v_cmp_gt_i64_e32 vcc, s[8:9], v[0:1]
                                        ; implicit-def: $vgpr28
	s_and_saveexec_b64 s[6:7], vcc
	s_cbranch_execz .LBB55_180
; %bb.171:                              ;   in Loop: Header=BB55_32 Depth=1
	v_mov_b32_e32 v3, v1
	s_mov_b64 s[22:23], 0
	v_mov_b32_e32 v8, v14
	v_mov_b32_e32 v2, v0
                                        ; implicit-def: $sgpr28_sgpr29
	s_branch .LBB55_175
.LBB55_172:                             ;   in Loop: Header=BB55_175 Depth=2
	s_or_b64 exec, exec, s[34:35]
	s_waitcnt lgkmcnt(0)
	s_barrier
	ds_read_b64 v[27:28], v13 offset:3072
	s_waitcnt lgkmcnt(0)
	s_barrier
	v_cmp_eq_f32_e32 vcc, 0, v27
	s_cbranch_vccz .LBB55_178
; %bb.173:                              ;   in Loop: Header=BB55_175 Depth=2
	v_add_co_u32_e32 v2, vcc, s33, v2
	v_addc_co_u32_e32 v3, vcc, 0, v3, vcc
	v_cmp_le_i64_e32 vcc, s[8:9], v[2:3]
	v_add_u32_e32 v8, s5, v8
	s_mov_b64 s[34:35], 0
	s_orn2_b64 s[36:37], vcc, exec
.LBB55_174:                             ;   in Loop: Header=BB55_175 Depth=2
	s_and_b64 s[36:37], exec, s[36:37]
	s_or_b64 s[22:23], s[36:37], s[22:23]
	s_andn2_b64 s[28:29], s[28:29], exec
	s_and_b64 s[34:35], s[34:35], exec
	s_or_b64 s[28:29], s[28:29], s[34:35]
	s_andn2_b64 exec, exec, s[22:23]
	s_cbranch_execz .LBB55_179
.LBB55_175:                             ;   Parent Loop BB55_32 Depth=1
                                        ; =>  This Inner Loop Header: Depth=2
	v_cmp_gt_u64_e32 vcc, s[30:31], v[2:3]
	s_and_saveexec_b64 s[34:35], vcc
	s_cbranch_execz .LBB55_172
; %bb.176:                              ;   in Loop: Header=BB55_175 Depth=2
	ds_read_b32 v27, v8
	s_waitcnt lgkmcnt(0)
	v_cmp_lt_i32_e32 vcc, -1, v27
	v_cndmask_b32_e32 v9, -1, v52, vcc
	v_xor_b32_e32 v9, v9, v27
	v_cmp_o_f32_e32 vcc, v27, v27
	v_cndmask_b32_e32 v9, -1, v9, vcc
	v_and_b32_e32 v9, v9, v53
	v_cmp_eq_u32_e32 vcc, v9, v49
	s_and_b64 exec, exec, vcc
	s_cbranch_execz .LBB55_172
; %bb.177:                              ;   in Loop: Header=BB55_175 Depth=2
	ds_write_b64 v13, v[26:27] offset:3072
	s_branch .LBB55_172
.LBB55_178:                             ;   in Loop: Header=BB55_175 Depth=2
	s_mov_b64 s[36:37], -1
                                        ; implicit-def: $vgpr2_vgpr3
                                        ; implicit-def: $vgpr8
	s_mov_b64 s[34:35], -1
	s_branch .LBB55_174
.LBB55_179:                             ;   in Loop: Header=BB55_32 Depth=1
	s_or_b64 exec, exec, s[22:23]
	s_andn2_b64 s[0:1], s[0:1], exec
	s_and_b64 s[8:9], s[28:29], exec
	s_or_b64 s[0:1], s[0:1], s[8:9]
.LBB55_180:                             ;   in Loop: Header=BB55_32 Depth=1
	s_or_b64 exec, exec, s[6:7]
	s_mov_b64 s[6:7], 0
	s_mov_b64 s[22:23], -1
.LBB55_181:                             ;   in Loop: Header=BB55_32 Depth=1
	s_orn2_b64 s[0:1], s[0:1], exec
.LBB55_182:                             ;   in Loop: Header=BB55_32 Depth=1
	s_or_b64 exec, exec, s[24:25]
	s_mov_b64 s[8:9], 0
	s_and_saveexec_b64 s[24:25], s[0:1]
	s_cbranch_execz .LBB55_292
; %bb.183:                              ;   in Loop: Header=BB55_32 Depth=1
	v_mov_b32_e32 v2, 1
	s_xor_b64 s[26:27], s[26:27], -1
	v_mov_b32_e32 v12, 1
	v_mov_b32_e32 v3, 0
	s_and_saveexec_b64 s[0:1], s[26:27]
	s_cbranch_execz .LBB55_193
; %bb.184:                              ;   in Loop: Header=BB55_32 Depth=1
	v_cmp_le_i64_e32 vcc, v[6:7], v[4:5]
	s_and_saveexec_b64 s[8:9], vcc
	s_xor_b64 s[8:9], exec, s[8:9]
	s_cbranch_execz .LBB55_190
; %bb.185:                              ;   in Loop: Header=BB55_32 Depth=1
	v_and_b32_e32 v2, s50, v49
	v_lshl_or_b32 v49, 1, s4, v2
	ds_read_b64 v[2:3], v13 offset:5120
	v_or_b32_e32 v53, s72, v53
	s_waitcnt lgkmcnt(0)
	v_cmp_ne_u64_e32 vcc, 0, v[2:3]
	s_cbranch_vccnz .LBB55_189
; %bb.186:                              ;   in Loop: Header=BB55_32 Depth=1
	s_mov_b64 s[26:27], exec
	v_readlane_b32 s28, v58, 12
	v_readlane_b32 s29, v58, 13
	s_and_b64 s[28:29], s[26:27], s[28:29]
	s_mov_b64 exec, s[28:29]
; %bb.187:                              ;   in Loop: Header=BB55_32 Depth=1
	ds_write_b64 v13, v[4:5] offset:5128
; %bb.188:                              ;   in Loop: Header=BB55_32 Depth=1
	s_or_b64 exec, exec, s[26:27]
	s_waitcnt lgkmcnt(0)
	s_barrier
.LBB55_189:                             ;   in Loop: Header=BB55_32 Depth=1
                                        ; implicit-def: $vgpr2_vgpr3_vgpr4_vgpr5
.LBB55_190:                             ;   in Loop: Header=BB55_32 Depth=1
	s_or_saveexec_b64 s[8:9], s[8:9]
	s_mov_b64 s[26:27], 0
	v_mov_b32_e32 v12, 8
	s_xor_b64 exec, exec, s[8:9]
; %bb.191:                              ;   in Loop: Header=BB55_32 Depth=1
	v_sub_co_u32_e32 v6, vcc, v6, v4
	v_subb_co_u32_e32 v7, vcc, v7, v5, vcc
	v_mov_b32_e32 v12, 0
	s_mov_b64 s[26:27], exec
; %bb.192:                              ;   in Loop: Header=BB55_32 Depth=1
	s_or_b64 exec, exec, s[8:9]
	v_mov_b32_e32 v2, v6
	s_and_b64 s[8:9], s[26:27], exec
	v_mov_b32_e32 v3, v7
.LBB55_193:                             ;   in Loop: Header=BB55_32 Depth=1
	s_or_b64 exec, exec, s[0:1]
	s_mov_b64 s[0:1], -1
                                        ; implicit-def: $sgpr30_sgpr31
                                        ; implicit-def: $sgpr34_sgpr35
	s_and_saveexec_b64 s[26:27], s[8:9]
	s_cbranch_execz .LBB55_291
; %bb.194:                              ;   in Loop: Header=BB55_32 Depth=1
	s_cmp_eq_u64 s[20:21], 1
	v_cmp_eq_u64_e32 vcc, 1, v[2:3]
	s_cselect_b64 s[0:1], -1, 0
	s_and_b64 s[38:39], s[0:1], vcc
	s_mov_b64 s[0:1], -1
                                        ; implicit-def: $sgpr34_sgpr35
                                        ; implicit-def: $sgpr30_sgpr31
	s_and_saveexec_b64 s[36:37], s[38:39]
	s_cbranch_execz .LBB55_230
; %bb.195:                              ;   in Loop: Header=BB55_32 Depth=1
	ds_read_b64 v[4:5], v13 offset:5120
	s_waitcnt lgkmcnt(0)
	s_barrier
	v_readfirstlane_b32 s40, v4
	v_readfirstlane_b32 s41, v5
	s_and_saveexec_b64 s[0:1], s[92:93]
; %bb.196:                              ;   in Loop: Header=BB55_32 Depth=1
	ds_write_b32 v42, v13
; %bb.197:                              ;   in Loop: Header=BB55_32 Depth=1
	s_or_b64 exec, exec, s[0:1]
	v_cmp_gt_i64_e64 s[0:1], s[40:41], 0
	v_and_b32_e32 v4, s50, v49
	v_lshl_or_b32 v49, 2, s4, v4
	v_or_b32_e32 v53, s72, v53
	s_mov_b64 s[30:31], -1
	s_mov_b64 s[34:35], 0
	s_and_b64 vcc, exec, s[0:1]
	s_mov_b64 s[0:1], 0
	s_mov_b64 s[8:9], -1
	s_waitcnt lgkmcnt(0)
	s_barrier
                                        ; implicit-def: $vgpr28
	s_cbranch_vccnz .LBB55_214
; %bb.198:                              ;   in Loop: Header=BB55_32 Depth=1
	s_mov_b32 s2, s52
	s_mov_b32 s52, s77
	s_mov_b64 s[10:11], s[42:43]
	s_cmp_lg_u64 s[52:53], 0
	s_cbranch_scc0 .LBB55_257
; %bb.199:                              ;   in Loop: Header=BB55_32 Depth=1
	s_add_u32 s0, s33, 0
	s_addc_u32 s1, 0, 0
	s_xor_b64 s[0:1], s[0:1], 0
	v_cvt_f32_u32_e32 v4, s0
	v_cvt_f32_u32_e32 v5, s1
	s_sub_u32 s28, 0, s0
	s_subb_u32 s29, 0, s1
	s_mov_b32 s3, s53
	v_mac_f32_e32 v4, 0x4f800000, v5
	v_rcp_f32_e32 v4, v4
	v_mul_f32_e32 v4, 0x5f7ffffc, v4
	v_mul_f32_e32 v5, 0x2f800000, v4
	v_trunc_f32_e32 v5, v5
	v_mac_f32_e32 v4, 0xcf800000, v5
	v_cvt_u32_f32_e32 v5, v5
	v_cvt_u32_f32_e32 v4, v4
	v_readfirstlane_b32 s42, v5
	v_readfirstlane_b32 s8, v4
	s_mul_i32 s9, s28, s42
	s_mul_hi_u32 s44, s28, s8
	s_mul_i32 s43, s29, s8
	s_add_i32 s9, s44, s9
	s_mul_i32 s45, s28, s8
	s_add_i32 s9, s9, s43
	s_mul_i32 s44, s8, s9
	s_mul_hi_u32 s46, s8, s45
	s_mul_hi_u32 s43, s8, s9
	s_add_u32 s44, s46, s44
	s_addc_u32 s43, 0, s43
	s_mul_hi_u32 s47, s42, s45
	s_mul_i32 s45, s42, s45
	s_add_u32 s44, s44, s45
	s_mul_hi_u32 s46, s42, s9
	s_addc_u32 s43, s43, s47
	s_addc_u32 s44, s46, 0
	s_mul_i32 s9, s42, s9
	s_add_u32 s9, s43, s9
	s_addc_u32 s43, 0, s44
	s_add_u32 s44, s8, s9
	s_cselect_b64 s[8:9], -1, 0
	s_cmp_lg_u64 s[8:9], 0
	s_addc_u32 s42, s42, s43
	s_mul_i32 s8, s28, s42
	s_mul_hi_u32 s9, s28, s44
	s_add_i32 s8, s9, s8
	s_mul_i32 s29, s29, s44
	s_add_i32 s8, s8, s29
	s_mul_i32 s28, s28, s44
	s_mul_hi_u32 s29, s42, s28
	s_mul_i32 s43, s42, s28
	s_mul_i32 s46, s44, s8
	s_mul_hi_u32 s28, s44, s28
	s_mul_hi_u32 s45, s44, s8
	s_add_u32 s28, s28, s46
	s_addc_u32 s45, 0, s45
	s_add_u32 s28, s28, s43
	s_mul_hi_u32 s9, s42, s8
	s_addc_u32 s28, s45, s29
	s_addc_u32 s9, s9, 0
	s_mul_i32 s8, s42, s8
	s_add_u32 s8, s28, s8
	s_addc_u32 s28, 0, s9
	s_add_u32 s43, s44, s8
	s_cselect_b64 s[8:9], -1, 0
	s_cmp_lg_u64 s[8:9], 0
	s_addc_u32 s42, s42, s28
	s_ashr_i32 s8, s53, 31
	s_add_u32 s28, s73, s8
	s_mov_b32 s9, s8
	s_addc_u32 s29, s53, s8
	s_xor_b64 s[28:29], s[28:29], s[8:9]
	s_mul_i32 s45, s28, s42
	s_mul_hi_u32 s46, s28, s43
	s_mul_hi_u32 s44, s28, s42
	s_add_u32 s45, s46, s45
	s_addc_u32 s44, 0, s44
	s_mul_hi_u32 s47, s29, s43
	s_mul_i32 s43, s29, s43
	s_add_u32 s43, s45, s43
	s_mul_hi_u32 s46, s29, s42
	s_addc_u32 s43, s44, s47
	s_addc_u32 s44, s46, 0
	s_mul_i32 s42, s29, s42
	s_add_u32 s42, s43, s42
	s_addc_u32 s43, 0, s44
	s_mul_i32 s43, s0, s43
	s_mul_hi_u32 s44, s0, s42
	s_add_i32 s43, s44, s43
	s_mul_i32 s44, s1, s42
	s_add_i32 s46, s43, s44
	s_sub_i32 s44, s29, s46
	s_mul_i32 s42, s0, s42
	s_sub_u32 s28, s28, s42
	s_cselect_b64 s[42:43], -1, 0
	s_cmp_lg_u64 s[42:43], 0
	s_subb_u32 s47, s44, s1
	s_sub_u32 s48, s28, s0
	s_cselect_b64 s[44:45], -1, 0
	s_cmp_lg_u64 s[44:45], 0
	s_subb_u32 s49, s47, 0
	s_cmp_ge_u32 s49, s1
	s_cselect_b32 s51, -1, 0
	s_cmp_ge_u32 s48, s0
	s_cselect_b32 s52, -1, 0
	s_cmp_eq_u32 s49, s1
	s_cselect_b32 s51, s52, s51
	s_cmp_lg_u64 s[44:45], 0
	s_subb_u32 s47, s47, s1
	s_sub_u32 s52, s48, s0
	s_cselect_b64 s[44:45], -1, 0
	s_cmp_lg_u64 s[44:45], 0
	s_subb_u32 s44, s47, 0
	s_cmp_lg_u32 s51, 0
	s_cselect_b32 s45, s52, s48
	s_cselect_b32 s44, s44, s49
	s_cmp_lg_u64 s[42:43], 0
	s_subb_u32 s29, s29, s46
	s_cmp_ge_u32 s29, s1
	s_cselect_b32 s42, -1, 0
	s_cmp_ge_u32 s28, s0
	s_cselect_b32 s0, -1, 0
	s_cmp_eq_u32 s29, s1
	s_cselect_b32 s0, s0, s42
	s_cmp_lg_u32 s0, 0
	s_cselect_b32 s1, s44, s29
	s_cselect_b32 s0, s45, s28
	s_xor_b64 s[0:1], s[0:1], s[8:9]
	s_sub_u32 s0, s0, s8
	s_subb_u32 s1, s1, s8
	s_mov_b32 s52, s2
	s_cbranch_execnz .LBB55_201
.LBB55_200:                             ;   in Loop: Header=BB55_32 Depth=1
	v_cvt_f32_u32_e32 v4, s33
	s_sub_i32 s0, 0, s33
	v_rcp_iflag_f32_e32 v4, v4
	v_mul_f32_e32 v4, 0x4f7ffffe, v4
	v_cvt_u32_f32_e32 v4, v4
	v_readfirstlane_b32 s1, v4
	s_mul_i32 s0, s0, s1
	s_mul_hi_u32 s0, s1, s0
	s_add_i32 s1, s1, s0
	s_mul_hi_u32 s0, s73, s1
	s_mul_i32 s0, s0, s33
	s_sub_i32 s0, s73, s0
	s_sub_i32 s1, s0, s33
	s_cmp_ge_u32 s0, s33
	s_cselect_b32 s0, s1, s0
	s_sub_i32 s1, s0, s33
	s_cmp_ge_u32 s0, s33
	s_cselect_b32 s76, s1, s0
	s_mov_b64 s[0:1], s[76:77]
.LBB55_201:                             ;   in Loop: Header=BB55_32 Depth=1
	s_sub_u32 s42, s73, s0
	s_subb_u32 s43, s3, s1
	v_cmp_gt_i64_e32 vcc, s[42:43], v[0:1]
	s_mov_b32 s53, s3
	s_mov_b64 s[8:9], 0
	s_mov_b64 s[0:1], 0
                                        ; implicit-def: $vgpr28
	s_and_saveexec_b64 s[28:29], vcc
	s_cbranch_execz .LBB55_213
; %bb.202:                              ;   in Loop: Header=BB55_32 Depth=1
	v_mov_b32_e32 v4, v10
	v_mov_b32_e32 v7, v1
	;; [unrolled: 1-line block ×4, first 2 shown]
                                        ; implicit-def: $sgpr44_sgpr45
	s_branch .LBB55_206
.LBB55_203:                             ;   in Loop: Header=BB55_206 Depth=2
	s_or_b64 exec, exec, s[46:47]
	s_waitcnt lgkmcnt(0)
	s_barrier
	ds_read_b64 v[27:28], v13 offset:3072
	s_waitcnt lgkmcnt(0)
	s_barrier
	v_cmp_neq_f32_e32 vcc, 0, v27
	s_cbranch_vccnz .LBB55_209
; %bb.204:                              ;   in Loop: Header=BB55_206 Depth=2
	v_add_co_u32_e32 v6, vcc, s33, v6
	v_addc_co_u32_e32 v7, vcc, 0, v7, vcc
	v_mov_b32_e32 v8, s79
	v_add_co_u32_e32 v4, vcc, s78, v4
	v_addc_co_u32_e32 v5, vcc, v5, v8, vcc
	v_cmp_le_i64_e32 vcc, s[42:43], v[6:7]
	s_mov_b64 s[46:47], 0
	s_orn2_b64 s[48:49], vcc, exec
.LBB55_205:                             ;   in Loop: Header=BB55_206 Depth=2
	s_and_b64 s[48:49], exec, s[48:49]
	s_or_b64 s[0:1], s[48:49], s[0:1]
	s_andn2_b64 s[44:45], s[44:45], exec
	s_and_b64 s[46:47], s[46:47], exec
	s_or_b64 s[44:45], s[44:45], s[46:47]
	s_andn2_b64 exec, exec, s[0:1]
	s_cbranch_execz .LBB55_212
.LBB55_206:                             ;   Parent Loop BB55_32 Depth=1
                                        ; =>  This Inner Loop Header: Depth=2
	v_cmp_gt_i64_e32 vcc, s[56:57], v[6:7]
	s_and_saveexec_b64 s[46:47], vcc
	s_cbranch_execz .LBB55_203
; %bb.207:                              ;   in Loop: Header=BB55_206 Depth=2
	global_load_dword v27, v[4:5], off
	s_waitcnt vmcnt(0)
	v_cmp_lt_i32_e32 vcc, -1, v27
	v_cndmask_b32_e32 v8, -1, v52, vcc
	v_xor_b32_e32 v8, v8, v27
	v_cmp_o_f32_e32 vcc, v27, v27
	v_cndmask_b32_e32 v8, -1, v8, vcc
	v_and_b32_e32 v8, v8, v53
	v_cmp_eq_u32_e32 vcc, v8, v49
	s_and_b64 exec, exec, vcc
	s_cbranch_execz .LBB55_203
; %bb.208:                              ;   in Loop: Header=BB55_206 Depth=2
	ds_write_b64 v13, v[26:27] offset:3072
	s_branch .LBB55_203
.LBB55_209:                             ;   in Loop: Header=BB55_206 Depth=2
	s_mov_b64 s[48:49], -1
                                        ; implicit-def: $vgpr6_vgpr7
                                        ; implicit-def: $vgpr4_vgpr5
	s_mov_b64 s[46:47], -1
	s_branch .LBB55_205
.LBB55_210:                             ;   in Loop: Header=BB55_32 Depth=1
                                        ; implicit-def: $sgpr0_sgpr1
	s_andn2_b64 vcc, exec, s[8:9]
	s_mov_b32 s52, s10
	s_cbranch_vccz .LBB55_152
	s_branch .LBB55_153
.LBB55_211:                             ;   in Loop: Header=BB55_32 Depth=1
                                        ; implicit-def: $sgpr8_sgpr9
	s_branch .LBB55_169
.LBB55_212:                             ;   in Loop: Header=BB55_32 Depth=1
	s_or_b64 exec, exec, s[0:1]
	s_and_b64 s[0:1], s[44:45], exec
.LBB55_213:                             ;   in Loop: Header=BB55_32 Depth=1
	s_or_b64 exec, exec, s[28:29]
	v_readlane_b32 s48, v58, 36
	v_readlane_b32 s49, v58, 37
	s_mov_b64 s[42:43], s[10:11]
.LBB55_214:                             ;   in Loop: Header=BB55_32 Depth=1
	s_and_b64 vcc, exec, s[8:9]
	s_cbranch_vccz .LBB55_229
; %bb.215:                              ;   in Loop: Header=BB55_32 Depth=1
	v_readlane_b32 s2, v58, 22
	s_add_u32 s34, s40, s2
	v_readlane_b32 s2, v58, 23
	s_addc_u32 s9, s41, s2
	s_mov_b32 s8, s77
	s_cmp_lg_u64 s[8:9], 0
	s_cbranch_scc0 .LBB55_258
; %bb.216:                              ;   in Loop: Header=BB55_32 Depth=1
	s_add_u32 s28, s33, 0
	s_addc_u32 s29, 0, 0
	s_xor_b64 s[28:29], s[28:29], 0
	v_cvt_f32_u32_e32 v4, s28
	v_cvt_f32_u32_e32 v5, s29
	s_sub_u32 s8, 0, s28
	s_mov_b64 s[2:3], s[42:43]
	s_subb_u32 s35, 0, s29
	v_mac_f32_e32 v4, 0x4f800000, v5
	v_rcp_f32_e32 v4, v4
	s_mov_b32 s10, s52
	v_mul_f32_e32 v4, 0x5f7ffffc, v4
	v_mul_f32_e32 v5, 0x2f800000, v4
	v_trunc_f32_e32 v5, v5
	v_mac_f32_e32 v4, 0xcf800000, v5
	v_cvt_u32_f32_e32 v5, v5
	v_cvt_u32_f32_e32 v4, v4
	v_readfirstlane_b32 s42, v5
	v_readfirstlane_b32 s30, v4
	s_mul_i32 s31, s8, s42
	s_mul_hi_u32 s44, s8, s30
	s_mul_i32 s43, s35, s30
	s_add_i32 s31, s44, s31
	s_mul_i32 s45, s8, s30
	s_add_i32 s31, s31, s43
	s_mul_i32 s44, s30, s31
	s_mul_hi_u32 s46, s30, s45
	s_mul_hi_u32 s43, s30, s31
	s_add_u32 s44, s46, s44
	s_addc_u32 s43, 0, s43
	s_mul_hi_u32 s47, s42, s45
	s_mul_i32 s45, s42, s45
	s_add_u32 s44, s44, s45
	s_mul_hi_u32 s46, s42, s31
	s_addc_u32 s43, s43, s47
	s_addc_u32 s44, s46, 0
	s_mul_i32 s31, s42, s31
	s_add_u32 s31, s43, s31
	s_addc_u32 s43, 0, s44
	s_add_u32 s44, s30, s31
	s_cselect_b64 s[30:31], -1, 0
	s_cmp_lg_u64 s[30:31], 0
	s_addc_u32 s42, s42, s43
	s_mul_i32 s30, s8, s42
	s_mul_hi_u32 s31, s8, s44
	s_add_i32 s30, s31, s30
	s_mul_i32 s35, s35, s44
	s_add_i32 s30, s30, s35
	s_mul_i32 s8, s8, s44
	s_mul_hi_u32 s35, s42, s8
	s_mul_i32 s43, s42, s8
	s_mul_i32 s46, s44, s30
	s_mul_hi_u32 s8, s44, s8
	s_mul_hi_u32 s45, s44, s30
	s_add_u32 s8, s8, s46
	s_addc_u32 s45, 0, s45
	s_add_u32 s8, s8, s43
	s_mul_hi_u32 s31, s42, s30
	s_addc_u32 s8, s45, s35
	s_addc_u32 s31, s31, 0
	s_mul_i32 s30, s42, s30
	s_add_u32 s8, s8, s30
	s_addc_u32 s35, 0, s31
	s_add_u32 s8, s44, s8
	s_cselect_b64 s[30:31], -1, 0
	s_cmp_lg_u64 s[30:31], 0
	s_addc_u32 s35, s42, s35
	s_ashr_i32 s30, s9, 31
	s_add_u32 s42, s34, s30
	s_mov_b32 s31, s30
	s_addc_u32 s43, s9, s30
	s_xor_b64 s[42:43], s[42:43], s[30:31]
	s_mul_i32 s45, s42, s35
	s_mul_hi_u32 s46, s42, s8
	s_mul_hi_u32 s44, s42, s35
	s_add_u32 s45, s46, s45
	s_addc_u32 s44, 0, s44
	s_mul_hi_u32 s47, s43, s8
	s_mul_i32 s8, s43, s8
	s_add_u32 s8, s45, s8
	s_mul_hi_u32 s46, s43, s35
	s_addc_u32 s8, s44, s47
	s_addc_u32 s44, s46, 0
	s_mul_i32 s35, s43, s35
	s_add_u32 s8, s8, s35
	s_addc_u32 s35, 0, s44
	s_mul_i32 s35, s28, s35
	s_mul_hi_u32 s44, s28, s8
	s_add_i32 s35, s44, s35
	s_mul_i32 s44, s29, s8
	s_add_i32 s35, s35, s44
	s_sub_i32 s46, s43, s35
	s_mul_i32 s8, s28, s8
	s_sub_u32 s8, s42, s8
	s_cselect_b64 s[44:45], -1, 0
	s_cmp_lg_u64 s[44:45], 0
	s_subb_u32 s42, s46, s29
	s_sub_u32 s48, s8, s28
	s_cselect_b64 s[46:47], -1, 0
	s_cmp_lg_u64 s[46:47], 0
	s_subb_u32 s49, s42, 0
	s_cmp_ge_u32 s49, s29
	s_cselect_b32 s51, -1, 0
	s_cmp_ge_u32 s48, s28
	s_cselect_b32 s52, -1, 0
	s_cmp_eq_u32 s49, s29
	s_cselect_b32 s51, s52, s51
	s_cmp_lg_u64 s[46:47], 0
	s_subb_u32 s42, s42, s29
	s_sub_u32 s52, s48, s28
	s_cselect_b64 s[46:47], -1, 0
	s_cmp_lg_u64 s[46:47], 0
	s_subb_u32 s42, s42, 0
	s_cmp_lg_u32 s51, 0
	s_cselect_b32 s46, s52, s48
	s_cselect_b32 s42, s42, s49
	s_cmp_lg_u64 s[44:45], 0
	s_subb_u32 s35, s43, s35
	s_cmp_ge_u32 s35, s29
	s_cselect_b32 s43, -1, 0
	s_cmp_ge_u32 s8, s28
	s_cselect_b32 s28, -1, 0
	s_cmp_eq_u32 s35, s29
	s_cselect_b32 s28, s28, s43
	s_cmp_lg_u32 s28, 0
	s_cselect_b32 s29, s42, s35
	s_cselect_b32 s28, s46, s8
	s_xor_b64 s[28:29], s[28:29], s[30:31]
	v_readlane_b32 s48, v58, 36
	s_sub_u32 s28, s28, s30
	s_mov_b32 s52, s10
	v_readlane_b32 s49, v58, 37
	s_mov_b64 s[42:43], s[2:3]
	s_subb_u32 s29, s29, s30
	s_cbranch_execnz .LBB55_218
.LBB55_217:                             ;   in Loop: Header=BB55_32 Depth=1
	v_cvt_f32_u32_e32 v4, s33
	s_sub_i32 s8, 0, s33
	v_rcp_iflag_f32_e32 v4, v4
	v_mul_f32_e32 v4, 0x4f7ffffe, v4
	v_cvt_u32_f32_e32 v4, v4
	v_readfirstlane_b32 s28, v4
	s_mul_i32 s8, s8, s28
	s_mul_hi_u32 s8, s28, s8
	s_add_i32 s28, s28, s8
	s_mul_hi_u32 s8, s34, s28
	s_mul_i32 s8, s8, s33
	s_sub_i32 s8, s34, s8
	s_sub_i32 s28, s8, s33
	s_cmp_ge_u32 s8, s33
	s_cselect_b32 s8, s28, s8
	s_sub_i32 s28, s8, s33
	s_cmp_ge_u32 s8, s33
	s_cselect_b32 s76, s28, s8
	s_mov_b64 s[28:29], s[76:77]
.LBB55_218:                             ;   in Loop: Header=BB55_32 Depth=1
	s_sub_u32 s28, s34, s28
	s_subb_u32 s29, s9, s29
	v_cmp_gt_i64_e32 vcc, s[28:29], v[0:1]
                                        ; implicit-def: $vgpr28
	s_and_saveexec_b64 s[8:9], vcc
	s_cbranch_execz .LBB55_228
; %bb.219:                              ;   in Loop: Header=BB55_32 Depth=1
	v_mov_b32_e32 v5, v1
	s_mov_b64 s[2:3], s[42:43]
	s_mov_b64 s[30:31], 0
	v_mov_b32_e32 v6, v14
	v_mov_b32_e32 v4, v0
                                        ; implicit-def: $sgpr34_sgpr35
	s_branch .LBB55_223
.LBB55_220:                             ;   in Loop: Header=BB55_223 Depth=2
	s_or_b64 exec, exec, s[42:43]
	s_waitcnt lgkmcnt(0)
	s_barrier
	ds_read_b64 v[27:28], v13 offset:3072
	s_waitcnt lgkmcnt(0)
	s_barrier
	v_cmp_eq_f32_e32 vcc, 0, v27
	s_cbranch_vccz .LBB55_226
; %bb.221:                              ;   in Loop: Header=BB55_223 Depth=2
	v_add_co_u32_e32 v4, vcc, s33, v4
	v_addc_co_u32_e32 v5, vcc, 0, v5, vcc
	v_cmp_le_i64_e32 vcc, s[28:29], v[4:5]
	v_add_u32_e32 v6, s5, v6
	s_mov_b64 s[42:43], 0
	s_orn2_b64 s[44:45], vcc, exec
.LBB55_222:                             ;   in Loop: Header=BB55_223 Depth=2
	s_and_b64 s[44:45], exec, s[44:45]
	s_or_b64 s[30:31], s[44:45], s[30:31]
	s_andn2_b64 s[34:35], s[34:35], exec
	s_and_b64 s[42:43], s[42:43], exec
	s_or_b64 s[34:35], s[34:35], s[42:43]
	s_andn2_b64 exec, exec, s[30:31]
	s_cbranch_execz .LBB55_227
.LBB55_223:                             ;   Parent Loop BB55_32 Depth=1
                                        ; =>  This Inner Loop Header: Depth=2
	v_cmp_gt_u64_e32 vcc, s[40:41], v[4:5]
	s_and_saveexec_b64 s[42:43], vcc
	s_cbranch_execz .LBB55_220
; %bb.224:                              ;   in Loop: Header=BB55_223 Depth=2
	ds_read_b32 v27, v6
	s_waitcnt lgkmcnt(0)
	v_cmp_lt_i32_e32 vcc, -1, v27
	v_cndmask_b32_e32 v7, -1, v52, vcc
	v_xor_b32_e32 v7, v7, v27
	v_cmp_o_f32_e32 vcc, v27, v27
	v_cndmask_b32_e32 v7, -1, v7, vcc
	v_and_b32_e32 v7, v7, v53
	v_cmp_eq_u32_e32 vcc, v7, v49
	s_and_b64 exec, exec, vcc
	s_cbranch_execz .LBB55_220
; %bb.225:                              ;   in Loop: Header=BB55_223 Depth=2
	ds_write_b64 v13, v[26:27] offset:3072
	s_branch .LBB55_220
.LBB55_226:                             ;   in Loop: Header=BB55_223 Depth=2
	s_mov_b64 s[44:45], -1
                                        ; implicit-def: $vgpr4_vgpr5
                                        ; implicit-def: $vgpr6
	s_mov_b64 s[42:43], -1
	s_branch .LBB55_222
.LBB55_227:                             ;   in Loop: Header=BB55_32 Depth=1
	s_or_b64 exec, exec, s[30:31]
	s_andn2_b64 s[0:1], s[0:1], exec
	s_and_b64 s[28:29], s[34:35], exec
	s_or_b64 s[0:1], s[0:1], s[28:29]
	s_mov_b64 s[42:43], s[2:3]
.LBB55_228:                             ;   in Loop: Header=BB55_32 Depth=1
	s_or_b64 exec, exec, s[8:9]
	s_mov_b64 s[30:31], 0
	s_mov_b64 s[34:35], -1
.LBB55_229:                             ;   in Loop: Header=BB55_32 Depth=1
	s_orn2_b64 s[0:1], s[0:1], exec
.LBB55_230:                             ;   in Loop: Header=BB55_32 Depth=1
	s_or_b64 exec, exec, s[36:37]
	s_mov_b64 s[8:9], 0
	s_and_saveexec_b64 s[36:37], s[0:1]
	s_cbranch_execz .LBB55_290
; %bb.231:                              ;   in Loop: Header=BB55_32 Depth=1
	v_mov_b32_e32 v4, 1
	s_xor_b64 s[28:29], s[38:39], -1
	v_mov_b32_e32 v12, 1
	v_mov_b32_e32 v5, 0
	s_and_saveexec_b64 s[0:1], s[28:29]
	s_cbranch_execz .LBB55_240
; %bb.232:                              ;   in Loop: Header=BB55_32 Depth=1
	v_cmp_ge_i64_e32 vcc, s[20:21], v[2:3]
	s_and_saveexec_b64 s[8:9], vcc
	s_xor_b64 s[8:9], exec, s[8:9]
	s_cbranch_execz .LBB55_237
; %bb.233:                              ;   in Loop: Header=BB55_32 Depth=1
	v_and_b32_e32 v4, s50, v49
	v_lshl_or_b32 v49, 2, s4, v4
	ds_read_b64 v[4:5], v13 offset:5120
	v_or_b32_e32 v53, s72, v53
	s_waitcnt lgkmcnt(0)
	v_cmp_ne_u64_e32 vcc, 0, v[4:5]
	s_cbranch_vccnz .LBB55_237
; %bb.234:                              ;   in Loop: Header=BB55_32 Depth=1
	s_mov_b64 s[28:29], exec
	v_readlane_b32 s38, v58, 12
	v_readlane_b32 s39, v58, 13
	s_and_b64 s[38:39], s[28:29], s[38:39]
	s_mov_b64 exec, s[38:39]
; %bb.235:                              ;   in Loop: Header=BB55_32 Depth=1
	v_mov_b32_e32 v4, s20
	v_mov_b32_e32 v5, s21
	ds_write_b64 v13, v[4:5] offset:5128
; %bb.236:                              ;   in Loop: Header=BB55_32 Depth=1
	s_or_b64 exec, exec, s[28:29]
	s_waitcnt lgkmcnt(0)
	s_barrier
.LBB55_237:                             ;   in Loop: Header=BB55_32 Depth=1
	s_or_saveexec_b64 s[8:9], s[8:9]
	s_mov_b64 s[28:29], 0
	v_mov_b32_e32 v12, 8
	s_xor_b64 exec, exec, s[8:9]
; %bb.238:                              ;   in Loop: Header=BB55_32 Depth=1
	v_subrev_co_u32_e32 v2, vcc, s20, v2
	v_mov_b32_e32 v4, s21
	v_subb_co_u32_e32 v3, vcc, v3, v4, vcc
	v_mov_b32_e32 v12, 0
	s_mov_b64 s[28:29], exec
; %bb.239:                              ;   in Loop: Header=BB55_32 Depth=1
	s_or_b64 exec, exec, s[8:9]
	v_mov_b32_e32 v5, v3
	s_and_b64 s[8:9], s[28:29], exec
	v_mov_b32_e32 v4, v2
.LBB55_240:                             ;   in Loop: Header=BB55_32 Depth=1
	s_or_b64 exec, exec, s[0:1]
	s_mov_b64 s[0:1], -1
                                        ; implicit-def: $sgpr46_sgpr47
                                        ; implicit-def: $sgpr44_sgpr45
	s_and_saveexec_b64 s[20:21], s[8:9]
	s_cbranch_execz .LBB55_289
; %bb.241:                              ;   in Loop: Header=BB55_32 Depth=1
	s_cmp_eq_u64 s[12:13], 1
	v_cmp_eq_u64_e32 vcc, 1, v[4:5]
	s_cselect_b64 s[0:1], -1, 0
	s_and_b64 s[38:39], s[0:1], vcc
	s_mov_b64 s[8:9], -1
                                        ; implicit-def: $sgpr46_sgpr47
                                        ; implicit-def: $sgpr44_sgpr45
	s_and_saveexec_b64 s[40:41], s[38:39]
	s_cbranch_execz .LBB55_277
; %bb.242:                              ;   in Loop: Header=BB55_32 Depth=1
	ds_read_b64 v[2:3], v13 offset:5120
	s_mov_b64 s[84:85], s[42:43]
	s_waitcnt lgkmcnt(0)
	s_barrier
	v_readfirstlane_b32 s42, v2
	v_readfirstlane_b32 s43, v3
	s_and_saveexec_b64 s[0:1], s[92:93]
; %bb.243:                              ;   in Loop: Header=BB55_32 Depth=1
	ds_write_b32 v42, v13
; %bb.244:                              ;   in Loop: Header=BB55_32 Depth=1
	s_or_b64 exec, exec, s[0:1]
	v_cmp_gt_i64_e64 s[0:1], s[42:43], 0
	v_or_b32_e32 v49, s72, v49
	v_or_b32_e32 v53, s72, v53
	s_mov_b64 s[44:45], -1
	s_mov_b64 s[46:47], 0
	s_and_b64 vcc, exec, s[0:1]
	s_mov_b64 s[0:1], 0
	s_waitcnt lgkmcnt(0)
	s_barrier
                                        ; implicit-def: $vgpr28
	s_cbranch_vccnz .LBB55_261
; %bb.245:                              ;   in Loop: Header=BB55_32 Depth=1
	s_mov_b32 s2, s52
	s_mov_b32 s52, s77
	s_mov_b64 s[10:11], s[58:59]
	s_cmp_lg_u64 s[52:53], 0
	s_mov_b32 s59, s53
	s_cbranch_scc0 .LBB55_296
; %bb.246:                              ;   in Loop: Header=BB55_32 Depth=1
	s_add_u32 s0, s33, 0
	s_addc_u32 s1, 0, 0
	s_xor_b64 s[0:1], s[0:1], 0
	v_cvt_f32_u32_e32 v2, s0
	v_cvt_f32_u32_e32 v3, s1
	s_sub_u32 s28, 0, s0
	s_subb_u32 s29, 0, s1
	s_mov_b32 s3, s59
	v_mac_f32_e32 v2, 0x4f800000, v3
	v_rcp_f32_e32 v2, v2
	v_mul_f32_e32 v2, 0x5f7ffffc, v2
	v_mul_f32_e32 v3, 0x2f800000, v2
	v_trunc_f32_e32 v3, v3
	v_mac_f32_e32 v2, 0xcf800000, v3
	v_cvt_u32_f32_e32 v3, v3
	v_cvt_u32_f32_e32 v2, v2
	v_readfirstlane_b32 s48, v3
	v_readfirstlane_b32 s8, v2
	s_mul_i32 s9, s28, s48
	s_mul_hi_u32 s50, s28, s8
	s_mul_i32 s49, s29, s8
	s_add_i32 s9, s50, s9
	s_mul_i32 s51, s28, s8
	s_add_i32 s9, s9, s49
	s_mul_i32 s50, s8, s9
	s_mul_hi_u32 s52, s8, s51
	s_mul_hi_u32 s49, s8, s9
	s_add_u32 s50, s52, s50
	s_addc_u32 s49, 0, s49
	s_mul_hi_u32 s53, s48, s51
	s_mul_i32 s51, s48, s51
	s_add_u32 s50, s50, s51
	s_mul_hi_u32 s52, s48, s9
	s_addc_u32 s49, s49, s53
	s_addc_u32 s50, s52, 0
	s_mul_i32 s9, s48, s9
	s_add_u32 s9, s49, s9
	s_addc_u32 s49, 0, s50
	s_add_u32 s50, s8, s9
	s_cselect_b64 s[8:9], -1, 0
	s_cmp_lg_u64 s[8:9], 0
	s_addc_u32 s48, s48, s49
	s_mul_i32 s8, s28, s48
	s_mul_hi_u32 s9, s28, s50
	s_add_i32 s8, s9, s8
	s_mul_i32 s29, s29, s50
	s_add_i32 s8, s8, s29
	s_mul_i32 s28, s28, s50
	s_mul_hi_u32 s29, s48, s28
	s_mul_i32 s49, s48, s28
	s_mul_i32 s52, s50, s8
	s_mul_hi_u32 s28, s50, s28
	s_mul_hi_u32 s51, s50, s8
	s_add_u32 s28, s28, s52
	s_addc_u32 s51, 0, s51
	s_add_u32 s28, s28, s49
	s_mul_hi_u32 s9, s48, s8
	s_addc_u32 s28, s51, s29
	s_addc_u32 s9, s9, 0
	s_mul_i32 s8, s48, s8
	s_add_u32 s8, s28, s8
	s_addc_u32 s28, 0, s9
	s_add_u32 s49, s50, s8
	s_cselect_b64 s[8:9], -1, 0
	s_cmp_lg_u64 s[8:9], 0
	s_addc_u32 s48, s48, s28
	s_ashr_i32 s8, s59, 31
	s_add_u32 s28, s73, s8
	s_mov_b32 s9, s8
	s_addc_u32 s29, s59, s8
	s_xor_b64 s[28:29], s[28:29], s[8:9]
	s_mul_i32 s51, s28, s48
	s_mul_hi_u32 s52, s28, s49
	s_mul_hi_u32 s50, s28, s48
	s_add_u32 s51, s52, s51
	s_addc_u32 s50, 0, s50
	s_mul_hi_u32 s53, s29, s49
	s_mul_i32 s49, s29, s49
	s_add_u32 s49, s51, s49
	s_mul_hi_u32 s52, s29, s48
	s_addc_u32 s49, s50, s53
	s_addc_u32 s50, s52, 0
	s_mul_i32 s48, s29, s48
	s_add_u32 s48, s49, s48
	s_addc_u32 s49, 0, s50
	s_mul_i32 s49, s0, s49
	s_mul_hi_u32 s50, s0, s48
	s_add_i32 s49, s50, s49
	s_mul_i32 s50, s1, s48
	s_add_i32 s52, s49, s50
	s_sub_i32 s50, s29, s52
	s_mul_i32 s48, s0, s48
	s_sub_u32 s28, s28, s48
	s_cselect_b64 s[48:49], -1, 0
	s_cmp_lg_u64 s[48:49], 0
	s_subb_u32 s53, s50, s1
	s_sub_u32 s58, s28, s0
	s_cselect_b64 s[50:51], -1, 0
	s_cmp_lg_u64 s[50:51], 0
	s_subb_u32 s59, s53, 0
	s_cmp_ge_u32 s59, s1
	s_cselect_b32 s73, -1, 0
	s_cmp_ge_u32 s58, s0
	s_cselect_b32 s76, -1, 0
	s_cmp_eq_u32 s59, s1
	s_cselect_b32 s73, s76, s73
	s_cmp_lg_u64 s[50:51], 0
	s_subb_u32 s53, s53, s1
	s_sub_u32 s76, s58, s0
	s_cselect_b64 s[50:51], -1, 0
	s_cmp_lg_u64 s[50:51], 0
	s_subb_u32 s50, s53, 0
	s_cmp_lg_u32 s73, 0
	s_cselect_b32 s51, s76, s58
	s_cselect_b32 s50, s50, s59
	s_cmp_lg_u64 s[48:49], 0
	s_subb_u32 s29, s29, s52
	s_cmp_ge_u32 s29, s1
	s_cselect_b32 s48, -1, 0
	s_cmp_ge_u32 s28, s0
	s_cselect_b32 s0, -1, 0
	s_cmp_eq_u32 s29, s1
	s_cselect_b32 s0, s0, s48
	s_cmp_lg_u32 s0, 0
	s_cselect_b32 s1, s50, s29
	s_cselect_b32 s0, s51, s28
	s_xor_b64 s[0:1], s[0:1], s[8:9]
	s_sub_u32 s0, s0, s8
	v_readlane_b32 s73, v58, 35
	s_subb_u32 s1, s1, s8
	s_mov_b64 s[58:59], s[10:11]
	s_mov_b32 s52, s2
	s_cbranch_execnz .LBB55_248
.LBB55_247:                             ;   in Loop: Header=BB55_32 Depth=1
	v_cvt_f32_u32_e32 v2, s33
	s_sub_i32 s0, 0, s33
	v_rcp_iflag_f32_e32 v2, v2
	v_mul_f32_e32 v2, 0x4f7ffffe, v2
	v_cvt_u32_f32_e32 v2, v2
	v_readfirstlane_b32 s1, v2
	s_mul_i32 s0, s0, s1
	s_mul_hi_u32 s0, s1, s0
	s_add_i32 s1, s1, s0
	s_mul_hi_u32 s0, s73, s1
	s_mul_i32 s0, s0, s33
	s_sub_i32 s0, s73, s0
	s_sub_i32 s1, s0, s33
	s_cmp_ge_u32 s0, s33
	s_cselect_b32 s0, s1, s0
	s_sub_i32 s1, s0, s33
	s_cmp_ge_u32 s0, s33
	s_cselect_b32 s76, s1, s0
	s_mov_b64 s[0:1], s[76:77]
.LBB55_248:                             ;   in Loop: Header=BB55_32 Depth=1
	s_sub_u32 s48, s73, s0
	s_subb_u32 s49, s3, s1
	v_cmp_gt_i64_e32 vcc, s[48:49], v[0:1]
	s_mov_b32 s53, s3
	s_mov_b64 s[8:9], 0
	s_mov_b64 s[0:1], 0
                                        ; implicit-def: $vgpr28
	s_and_saveexec_b64 s[28:29], vcc
	s_cbranch_execz .LBB55_260
; %bb.249:                              ;   in Loop: Header=BB55_32 Depth=1
	v_mov_b32_e32 v2, v10
	v_mov_b32_e32 v7, v1
	s_mov_b32 s3, s53
	v_mov_b32_e32 v3, v11
	v_mov_b32_e32 v6, v0
                                        ; implicit-def: $sgpr50_sgpr51
	s_branch .LBB55_253
.LBB55_250:                             ;   in Loop: Header=BB55_253 Depth=2
	s_or_b64 exec, exec, s[52:53]
	s_waitcnt lgkmcnt(0)
	s_barrier
	ds_read_b64 v[27:28], v13 offset:3072
	s_waitcnt lgkmcnt(0)
	s_barrier
	v_cmp_neq_f32_e32 vcc, 0, v27
	s_cbranch_vccnz .LBB55_256
; %bb.251:                              ;   in Loop: Header=BB55_253 Depth=2
	v_add_co_u32_e32 v6, vcc, s33, v6
	v_addc_co_u32_e32 v7, vcc, 0, v7, vcc
	v_mov_b32_e32 v8, s79
	v_add_co_u32_e32 v2, vcc, s78, v2
	v_addc_co_u32_e32 v3, vcc, v3, v8, vcc
	v_cmp_le_i64_e32 vcc, s[48:49], v[6:7]
	s_mov_b64 s[52:53], 0
	s_orn2_b64 s[58:59], vcc, exec
.LBB55_252:                             ;   in Loop: Header=BB55_253 Depth=2
	s_and_b64 s[58:59], exec, s[58:59]
	s_or_b64 s[0:1], s[58:59], s[0:1]
	s_andn2_b64 s[50:51], s[50:51], exec
	s_and_b64 s[52:53], s[52:53], exec
	s_or_b64 s[50:51], s[50:51], s[52:53]
	s_andn2_b64 exec, exec, s[0:1]
	s_cbranch_execz .LBB55_259
.LBB55_253:                             ;   Parent Loop BB55_32 Depth=1
                                        ; =>  This Inner Loop Header: Depth=2
	v_cmp_gt_i64_e32 vcc, s[56:57], v[6:7]
	s_and_saveexec_b64 s[52:53], vcc
	s_cbranch_execz .LBB55_250
; %bb.254:                              ;   in Loop: Header=BB55_253 Depth=2
	global_load_dword v27, v[2:3], off
	s_waitcnt vmcnt(0)
	v_cmp_lt_i32_e32 vcc, -1, v27
	v_cndmask_b32_e32 v8, -1, v52, vcc
	v_xor_b32_e32 v8, v8, v27
	v_cmp_o_f32_e32 vcc, v27, v27
	v_cndmask_b32_e32 v8, -1, v8, vcc
	v_and_b32_e32 v8, v8, v53
	v_cmp_eq_u32_e32 vcc, v8, v49
	s_and_b64 exec, exec, vcc
	s_cbranch_execz .LBB55_250
; %bb.255:                              ;   in Loop: Header=BB55_253 Depth=2
	ds_write_b64 v13, v[26:27] offset:3072
	s_branch .LBB55_250
.LBB55_256:                             ;   in Loop: Header=BB55_253 Depth=2
	s_mov_b64 s[58:59], -1
                                        ; implicit-def: $vgpr6_vgpr7
                                        ; implicit-def: $vgpr2_vgpr3
	s_mov_b64 s[52:53], -1
	s_branch .LBB55_252
.LBB55_257:                             ;   in Loop: Header=BB55_32 Depth=1
	s_mov_b32 s3, s53
                                        ; implicit-def: $sgpr0_sgpr1
	s_andn2_b64 vcc, exec, s[8:9]
	s_mov_b32 s52, s2
	s_cbranch_vccz .LBB55_200
	s_branch .LBB55_201
.LBB55_258:                             ;   in Loop: Header=BB55_32 Depth=1
                                        ; implicit-def: $sgpr28_sgpr29
	s_branch .LBB55_217
.LBB55_259:                             ;   in Loop: Header=BB55_32 Depth=1
	s_or_b64 exec, exec, s[0:1]
	s_and_b64 s[0:1], s[50:51], exec
	s_mov_b32 s53, s3
	s_mov_b64 s[58:59], s[10:11]
	s_mov_b32 s52, s2
.LBB55_260:                             ;   in Loop: Header=BB55_32 Depth=1
	s_or_b64 exec, exec, s[28:29]
	v_readlane_b32 s48, v58, 36
	v_readlane_b32 s49, v58, 37
.LBB55_261:                             ;   in Loop: Header=BB55_32 Depth=1
	s_and_b64 vcc, exec, s[8:9]
	s_cbranch_vccz .LBB55_276
; %bb.262:                              ;   in Loop: Header=BB55_32 Depth=1
	v_readlane_b32 s2, v58, 22
	s_add_u32 s46, s42, s2
	v_readlane_b32 s2, v58, 23
	s_addc_u32 s9, s43, s2
	s_mov_b32 s8, s77
	s_mov_b32 s3, s53
	s_cmp_lg_u64 s[8:9], 0
	s_cbranch_scc0 .LBB55_297
; %bb.263:                              ;   in Loop: Header=BB55_32 Depth=1
	s_add_u32 s28, s33, 0
	s_addc_u32 s29, 0, 0
	s_xor_b64 s[28:29], s[28:29], 0
	v_cvt_f32_u32_e32 v2, s28
	v_cvt_f32_u32_e32 v3, s29
	s_sub_u32 s8, 0, s28
	s_subb_u32 s47, 0, s29
	s_mov_b32 s2, s52
	v_mac_f32_e32 v2, 0x4f800000, v3
	v_rcp_f32_e32 v2, v2
	s_mov_b64 s[10:11], s[58:59]
	v_mul_f32_e32 v2, 0x5f7ffffc, v2
	v_mul_f32_e32 v3, 0x2f800000, v2
	v_trunc_f32_e32 v3, v3
	v_mac_f32_e32 v2, 0xcf800000, v3
	v_cvt_u32_f32_e32 v3, v3
	v_cvt_u32_f32_e32 v2, v2
	v_readfirstlane_b32 s48, v3
	v_readfirstlane_b32 s44, v2
	s_mul_i32 s45, s8, s48
	s_mul_hi_u32 s50, s8, s44
	s_mul_i32 s49, s47, s44
	s_add_i32 s45, s50, s45
	s_mul_i32 s51, s8, s44
	s_add_i32 s45, s45, s49
	s_mul_i32 s50, s44, s45
	s_mul_hi_u32 s52, s44, s51
	s_mul_hi_u32 s49, s44, s45
	s_add_u32 s50, s52, s50
	s_addc_u32 s49, 0, s49
	s_mul_hi_u32 s53, s48, s51
	s_mul_i32 s51, s48, s51
	s_add_u32 s50, s50, s51
	s_mul_hi_u32 s52, s48, s45
	s_addc_u32 s49, s49, s53
	s_addc_u32 s50, s52, 0
	s_mul_i32 s45, s48, s45
	s_add_u32 s45, s49, s45
	s_addc_u32 s49, 0, s50
	s_add_u32 s50, s44, s45
	s_cselect_b64 s[44:45], -1, 0
	s_cmp_lg_u64 s[44:45], 0
	s_addc_u32 s48, s48, s49
	s_mul_i32 s44, s8, s48
	s_mul_hi_u32 s45, s8, s50
	s_add_i32 s44, s45, s44
	s_mul_i32 s47, s47, s50
	s_add_i32 s44, s44, s47
	s_mul_i32 s8, s8, s50
	s_mul_hi_u32 s47, s48, s8
	s_mul_i32 s49, s48, s8
	s_mul_i32 s52, s50, s44
	s_mul_hi_u32 s8, s50, s8
	s_mul_hi_u32 s51, s50, s44
	s_add_u32 s8, s8, s52
	s_addc_u32 s51, 0, s51
	s_add_u32 s8, s8, s49
	s_mul_hi_u32 s45, s48, s44
	s_addc_u32 s8, s51, s47
	s_addc_u32 s45, s45, 0
	s_mul_i32 s44, s48, s44
	s_add_u32 s8, s8, s44
	s_addc_u32 s47, 0, s45
	s_add_u32 s8, s50, s8
	s_cselect_b64 s[44:45], -1, 0
	s_cmp_lg_u64 s[44:45], 0
	s_addc_u32 s47, s48, s47
	s_ashr_i32 s44, s9, 31
	s_add_u32 s48, s46, s44
	s_mov_b32 s45, s44
	s_addc_u32 s49, s9, s44
	s_xor_b64 s[48:49], s[48:49], s[44:45]
	s_mul_i32 s51, s48, s47
	s_mul_hi_u32 s52, s48, s8
	s_mul_hi_u32 s50, s48, s47
	s_add_u32 s51, s52, s51
	s_addc_u32 s50, 0, s50
	s_mul_hi_u32 s53, s49, s8
	s_mul_i32 s8, s49, s8
	s_add_u32 s8, s51, s8
	s_mul_hi_u32 s52, s49, s47
	s_addc_u32 s8, s50, s53
	s_addc_u32 s50, s52, 0
	s_mul_i32 s47, s49, s47
	s_add_u32 s8, s8, s47
	s_addc_u32 s47, 0, s50
	s_mul_i32 s47, s28, s47
	s_mul_hi_u32 s50, s28, s8
	s_add_i32 s47, s50, s47
	s_mul_i32 s50, s29, s8
	s_add_i32 s47, s47, s50
	s_sub_i32 s52, s49, s47
	s_mul_i32 s8, s28, s8
	s_sub_u32 s8, s48, s8
	s_cselect_b64 s[50:51], -1, 0
	s_cmp_lg_u64 s[50:51], 0
	s_subb_u32 s48, s52, s29
	s_sub_u32 s58, s8, s28
	s_cselect_b64 s[52:53], -1, 0
	s_cmp_lg_u64 s[52:53], 0
	s_subb_u32 s59, s48, 0
	s_cmp_ge_u32 s59, s29
	s_cselect_b32 s73, -1, 0
	s_cmp_ge_u32 s58, s28
	s_cselect_b32 s76, -1, 0
	s_cmp_eq_u32 s59, s29
	s_cselect_b32 s73, s76, s73
	s_cmp_lg_u64 s[52:53], 0
	s_subb_u32 s48, s48, s29
	s_sub_u32 s76, s58, s28
	s_cselect_b64 s[52:53], -1, 0
	s_cmp_lg_u64 s[52:53], 0
	s_subb_u32 s48, s48, 0
	s_cmp_lg_u32 s73, 0
	s_cselect_b32 s52, s76, s58
	s_cselect_b32 s48, s48, s59
	s_cmp_lg_u64 s[50:51], 0
	s_subb_u32 s47, s49, s47
	s_cmp_ge_u32 s47, s29
	s_cselect_b32 s49, -1, 0
	s_cmp_ge_u32 s8, s28
	s_cselect_b32 s28, -1, 0
	s_cmp_eq_u32 s47, s29
	s_cselect_b32 s28, s28, s49
	s_cmp_lg_u32 s28, 0
	s_cselect_b32 s29, s48, s47
	s_cselect_b32 s28, s52, s8
	s_xor_b64 s[28:29], s[28:29], s[44:45]
	v_readlane_b32 s48, v58, 36
	s_sub_u32 s28, s28, s44
	s_mov_b64 s[58:59], s[10:11]
	v_readlane_b32 s49, v58, 37
	s_mov_b32 s52, s2
	s_subb_u32 s29, s29, s44
	s_cbranch_execnz .LBB55_265
.LBB55_264:                             ;   in Loop: Header=BB55_32 Depth=1
	v_cvt_f32_u32_e32 v2, s33
	s_sub_i32 s8, 0, s33
	v_rcp_iflag_f32_e32 v2, v2
	v_mul_f32_e32 v2, 0x4f7ffffe, v2
	v_cvt_u32_f32_e32 v2, v2
	v_readfirstlane_b32 s28, v2
	s_mul_i32 s8, s8, s28
	s_mul_hi_u32 s8, s28, s8
	s_add_i32 s28, s28, s8
	s_mul_hi_u32 s8, s46, s28
	s_mul_i32 s8, s8, s33
	s_sub_i32 s8, s46, s8
	s_sub_i32 s28, s8, s33
	s_cmp_ge_u32 s8, s33
	s_cselect_b32 s8, s28, s8
	s_sub_i32 s28, s8, s33
	s_cmp_ge_u32 s8, s33
	s_cselect_b32 s76, s28, s8
	s_mov_b64 s[28:29], s[76:77]
.LBB55_265:                             ;   in Loop: Header=BB55_32 Depth=1
	s_sub_u32 s28, s46, s28
	s_subb_u32 s29, s9, s29
	v_cmp_gt_i64_e32 vcc, s[28:29], v[0:1]
                                        ; implicit-def: $vgpr28
	s_and_saveexec_b64 s[8:9], vcc
	v_readlane_b32 s73, v58, 35
	s_mov_b32 s53, s3
	s_cbranch_execz .LBB55_275
; %bb.266:                              ;   in Loop: Header=BB55_32 Depth=1
	v_mov_b32_e32 v3, v1
	s_mov_b64 s[44:45], 0
	v_mov_b32_e32 v6, v14
	v_mov_b32_e32 v2, v0
                                        ; implicit-def: $sgpr46_sgpr47
	s_branch .LBB55_270
.LBB55_267:                             ;   in Loop: Header=BB55_270 Depth=2
	s_or_b64 exec, exec, s[48:49]
	s_waitcnt lgkmcnt(0)
	s_barrier
	ds_read_b64 v[27:28], v13 offset:3072
	s_waitcnt lgkmcnt(0)
	s_barrier
	v_cmp_eq_f32_e32 vcc, 0, v27
	s_cbranch_vccz .LBB55_273
; %bb.268:                              ;   in Loop: Header=BB55_270 Depth=2
	v_add_co_u32_e32 v2, vcc, s33, v2
	v_addc_co_u32_e32 v3, vcc, 0, v3, vcc
	v_cmp_le_i64_e32 vcc, s[28:29], v[2:3]
	v_add_u32_e32 v6, s5, v6
	s_mov_b64 s[48:49], 0
	s_orn2_b64 s[50:51], vcc, exec
.LBB55_269:                             ;   in Loop: Header=BB55_270 Depth=2
	s_and_b64 s[50:51], exec, s[50:51]
	s_or_b64 s[44:45], s[50:51], s[44:45]
	s_andn2_b64 s[46:47], s[46:47], exec
	s_and_b64 s[48:49], s[48:49], exec
	s_or_b64 s[46:47], s[46:47], s[48:49]
	s_andn2_b64 exec, exec, s[44:45]
	s_cbranch_execz .LBB55_274
.LBB55_270:                             ;   Parent Loop BB55_32 Depth=1
                                        ; =>  This Inner Loop Header: Depth=2
	v_cmp_gt_u64_e32 vcc, s[42:43], v[2:3]
	s_and_saveexec_b64 s[48:49], vcc
	s_cbranch_execz .LBB55_267
; %bb.271:                              ;   in Loop: Header=BB55_270 Depth=2
	ds_read_b32 v27, v6
	s_waitcnt lgkmcnt(0)
	v_cmp_lt_i32_e32 vcc, -1, v27
	v_cndmask_b32_e32 v7, -1, v52, vcc
	v_xor_b32_e32 v7, v7, v27
	v_cmp_o_f32_e32 vcc, v27, v27
	v_cndmask_b32_e32 v7, -1, v7, vcc
	v_and_b32_e32 v7, v7, v53
	v_cmp_eq_u32_e32 vcc, v7, v49
	s_and_b64 exec, exec, vcc
	s_cbranch_execz .LBB55_267
; %bb.272:                              ;   in Loop: Header=BB55_270 Depth=2
	ds_write_b64 v13, v[26:27] offset:3072
	s_branch .LBB55_267
.LBB55_273:                             ;   in Loop: Header=BB55_270 Depth=2
	s_mov_b64 s[50:51], -1
                                        ; implicit-def: $vgpr2_vgpr3
                                        ; implicit-def: $vgpr6
	s_mov_b64 s[48:49], -1
	s_branch .LBB55_269
.LBB55_274:                             ;   in Loop: Header=BB55_32 Depth=1
	s_or_b64 exec, exec, s[44:45]
	s_andn2_b64 s[0:1], s[0:1], exec
	s_and_b64 s[28:29], s[46:47], exec
	v_readlane_b32 s48, v58, 36
	s_or_b64 s[0:1], s[0:1], s[28:29]
	v_readlane_b32 s49, v58, 37
.LBB55_275:                             ;   in Loop: Header=BB55_32 Depth=1
	s_or_b64 exec, exec, s[8:9]
	s_mov_b64 s[44:45], 0
	s_mov_b64 s[46:47], -1
.LBB55_276:                             ;   in Loop: Header=BB55_32 Depth=1
	s_orn2_b64 s[8:9], s[0:1], exec
	s_mov_b64 s[42:43], s[84:85]
.LBB55_277:                             ;   in Loop: Header=BB55_32 Depth=1
	s_or_b64 exec, exec, s[40:41]
	s_mov_b64 s[28:29], 0
	s_and_saveexec_b64 s[0:1], s[8:9]
	s_cbranch_execz .LBB55_288
; %bb.278:                              ;   in Loop: Header=BB55_32 Depth=1
	v_mov_b32_e32 v2, 1
	s_xor_b64 s[28:29], s[38:39], -1
	v_mov_b32_e32 v3, 0
	v_mov_b32_e32 v12, 1
	s_and_saveexec_b64 s[8:9], s[28:29]
	s_cbranch_execz .LBB55_287
; %bb.279:                              ;   in Loop: Header=BB55_32 Depth=1
	v_cmp_ge_i64_e32 vcc, s[12:13], v[4:5]
	s_and_saveexec_b64 s[28:29], vcc
	s_xor_b64 s[28:29], exec, s[28:29]
	s_cbranch_execz .LBB55_284
; %bb.280:                              ;   in Loop: Header=BB55_32 Depth=1
	ds_read_b64 v[2:3], v13 offset:5120
	v_or_b32_e32 v49, s72, v49
	v_or_b32_e32 v53, s72, v53
	s_waitcnt lgkmcnt(0)
	v_cmp_ne_u64_e32 vcc, 0, v[2:3]
	s_cbranch_vccnz .LBB55_284
; %bb.281:                              ;   in Loop: Header=BB55_32 Depth=1
	s_mov_b64 s[38:39], exec
	v_readlane_b32 s40, v58, 12
	v_readlane_b32 s41, v58, 13
	s_and_b64 s[40:41], s[38:39], s[40:41]
	s_mov_b64 exec, s[40:41]
; %bb.282:                              ;   in Loop: Header=BB55_32 Depth=1
	v_mov_b32_e32 v2, s12
	v_mov_b32_e32 v3, s13
	ds_write_b64 v13, v[2:3] offset:5128
; %bb.283:                              ;   in Loop: Header=BB55_32 Depth=1
	s_or_b64 exec, exec, s[38:39]
	s_waitcnt lgkmcnt(0)
	s_barrier
.LBB55_284:                             ;   in Loop: Header=BB55_32 Depth=1
	s_andn2_saveexec_b64 s[28:29], s[28:29]
; %bb.285:                              ;   in Loop: Header=BB55_32 Depth=1
	v_mov_b32_e32 v2, s13
	v_subrev_co_u32_e32 v4, vcc, s12, v4
	v_subb_co_u32_e32 v5, vcc, v5, v2, vcc
; %bb.286:                              ;   in Loop: Header=BB55_32 Depth=1
	s_or_b64 exec, exec, s[28:29]
	v_mov_b32_e32 v2, v4
	v_mov_b32_e32 v12, 8
	;; [unrolled: 1-line block ×3, first 2 shown]
.LBB55_287:                             ;   in Loop: Header=BB55_32 Depth=1
	s_or_b64 exec, exec, s[8:9]
	v_mov_b32_e32 v5, v3
	s_mov_b64 s[28:29], exec
	v_mov_b32_e32 v4, v2
.LBB55_288:                             ;   in Loop: Header=BB55_32 Depth=1
	s_or_b64 exec, exec, s[0:1]
	s_orn2_b64 s[0:1], s[28:29], exec
.LBB55_289:                             ;   in Loop: Header=BB55_32 Depth=1
	s_or_b64 exec, exec, s[20:21]
	s_andn2_b64 s[8:9], s[34:35], exec
	s_and_b64 s[12:13], s[46:47], exec
	s_or_b64 s[34:35], s[8:9], s[12:13]
	s_andn2_b64 s[8:9], s[30:31], exec
	s_and_b64 s[12:13], s[44:45], exec
	v_mov_b32_e32 v2, v4
	s_or_b64 s[30:31], s[8:9], s[12:13]
	s_and_b64 s[8:9], s[0:1], exec
	v_mov_b32_e32 v3, v5
.LBB55_290:                             ;   in Loop: Header=BB55_32 Depth=1
	s_or_b64 exec, exec, s[36:37]
	s_orn2_b64 s[0:1], s[8:9], exec
.LBB55_291:                             ;   in Loop: Header=BB55_32 Depth=1
	s_or_b64 exec, exec, s[26:27]
	s_andn2_b64 s[8:9], s[22:23], exec
	s_and_b64 s[12:13], s[34:35], exec
	s_or_b64 s[22:23], s[8:9], s[12:13]
	s_andn2_b64 s[6:7], s[6:7], exec
	s_and_b64 s[8:9], s[30:31], exec
	v_mov_b32_e32 v7, v3
	s_or_b64 s[6:7], s[6:7], s[8:9]
	s_and_b64 s[8:9], s[0:1], exec
	v_mov_b32_e32 v6, v2
.LBB55_292:                             ;   in Loop: Header=BB55_32 Depth=1
	s_or_b64 exec, exec, s[24:25]
	s_orn2_b64 s[0:1], s[8:9], exec
.LBB55_293:                             ;   in Loop: Header=BB55_32 Depth=1
	s_or_b64 exec, exec, s[18:19]
	s_mov_b64 s[8:9], 0
	s_and_saveexec_b64 s[12:13], s[0:1]
	s_xor_b64 s[0:1], exec, s[12:13]
	s_cbranch_execz .LBB55_30
; %bb.294:                              ;   in Loop: Header=BB55_32 Depth=1
	v_and_b32_e32 v2, 7, v12
	v_cmp_eq_u32_e32 vcc, 0, v2
	s_mov_b64 s[12:13], -1
	s_mov_b64 s[8:9], -1
	s_and_saveexec_b64 s[16:17], vcc
	s_cbranch_execz .LBB55_29
; %bb.295:                              ;   in Loop: Header=BB55_32 Depth=1
	s_xor_b32 s52, s52, 1
	s_add_i32 s18, s4, -2
	s_cmp_eq_u32 s4, 0
	s_cselect_b64 s[12:13], -1, 0
	s_xor_b64 s[8:9], exec, -1
	s_orn2_b64 s[12:13], s[12:13], exec
	s_mov_b32 s4, s18
	s_branch .LBB55_29
.LBB55_296:                             ;   in Loop: Header=BB55_32 Depth=1
	s_mov_b32 s3, s59
                                        ; implicit-def: $sgpr0_sgpr1
	s_andn2_b64 vcc, exec, s[8:9]
	s_mov_b64 s[58:59], s[10:11]
	s_mov_b32 s52, s2
	s_cbranch_vccz .LBB55_247
	s_branch .LBB55_248
.LBB55_297:                             ;   in Loop: Header=BB55_32 Depth=1
                                        ; implicit-def: $sgpr28_sgpr29
	s_branch .LBB55_264
.LBB55_298:
	s_or_b64 exec, exec, s[66:67]
	v_readlane_b32 s0, v58, 40
	v_readlane_b32 s2, v58, 38
	;; [unrolled: 1-line block ×4, first 2 shown]
	s_xor_b64 s[4:5], s[0:1], -1
	s_xor_b64 s[0:1], s[42:43], -1
	;; [unrolled: 1-line block ×3, first 2 shown]
	s_mov_b64 s[2:3], 0
	s_and_saveexec_b64 s[8:9], s[0:1]
	s_xor_b64 s[0:1], exec, s[8:9]
	s_cbranch_execnz .LBB55_303
; %bb.299:
	s_andn2_saveexec_b64 s[0:1], s[0:1]
	s_cbranch_execnz .LBB55_325
.LBB55_300:
	s_or_b64 exec, exec, s[0:1]
	s_and_saveexec_b64 s[0:1], s[2:3]
.LBB55_301:
	; divergent unreachable
.LBB55_302:
	s_endpgm
.LBB55_303:
	s_and_saveexec_b64 s[2:3], s[4:5]
	s_xor_b64 s[4:5], exec, s[2:3]
	s_cbranch_execz .LBB55_323
; %bb.304:
	s_and_saveexec_b64 s[2:3], s[6:7]
	s_xor_b64 s[2:3], exec, s[2:3]
; %bb.305:
	v_bfrev_b32_e32 v2, 1
	v_cmp_lt_i32_e32 vcc, -1, v49
	v_cndmask_b32_e64 v2, v2, -1, vcc
	v_xor_b32_e32 v28, v2, v49
; %bb.306:
	s_or_b64 exec, exec, s[2:3]
	s_mov_b64 s[2:3], exec
	v_readlane_b32 s6, v58, 12
	v_readlane_b32 s7, v58, 13
	s_and_b64 s[6:7], s[2:3], s[6:7]
	s_mov_b64 exec, s[6:7]
; %bb.307:
	v_mov_b32_e32 v2, 0
	v_mov_b32_e32 v3, s56
	ds_write_b32 v2, v3 offset:5140
; %bb.308:
	s_or_b64 exec, exec, s[2:3]
	s_waitcnt lgkmcnt(0)
	s_barrier
	s_mov_b64 s[6:7], exec
	v_readlane_b32 s2, v58, 18
	v_readlane_b32 s3, v58, 19
	s_and_b64 s[2:3], s[6:7], s[2:3]
	s_mov_b64 exec, s[2:3]
	s_cbranch_execz .LBB55_320
; %bb.309:
	v_mov_b32_e32 v2, 0
	ds_read_b32 v4, v2 offset:5140
	v_cmp_u_f32_e32 vcc, v28, v28
	s_mov_b64 s[8:9], 0
	s_xor_b64 s[10:11], vcc, -1
                                        ; implicit-def: $sgpr12_sgpr13
                                        ; implicit-def: $sgpr14_sgpr15
                                        ; implicit-def: $sgpr16_sgpr17
	s_waitcnt lgkmcnt(0)
	v_ashrrev_i32_e32 v5, 31, v4
	s_branch .LBB55_312
.LBB55_310:                             ;   in Loop: Header=BB55_312 Depth=1
	s_or_b64 exec, exec, s[24:25]
	s_andn2_b64 s[2:3], s[16:17], exec
	s_and_b64 s[16:17], s[20:21], exec
	s_or_b64 s[16:17], s[2:3], s[16:17]
	s_andn2_b64 s[2:3], s[14:15], exec
	s_and_b64 s[14:15], s[22:23], exec
	s_or_b64 s[14:15], s[2:3], s[14:15]
.LBB55_311:                             ;   in Loop: Header=BB55_312 Depth=1
	s_or_b64 exec, exec, s[18:19]
	s_and_b64 s[2:3], exec, s[14:15]
	s_or_b64 s[8:9], s[2:3], s[8:9]
	s_andn2_b64 s[2:3], s[12:13], exec
	s_and_b64 s[12:13], s[16:17], exec
	s_or_b64 s[12:13], s[2:3], s[12:13]
	s_andn2_b64 exec, exec, s[8:9]
	s_cbranch_execz .LBB55_315
.LBB55_312:                             ; =>This Inner Loop Header: Depth=1
	v_mov_b32_e32 v3, v1
	v_mov_b32_e32 v2, v0
	v_cmp_lt_i64_e32 vcc, v[2:3], v[4:5]
	s_or_b64 s[16:17], s[16:17], exec
	s_or_b64 s[14:15], s[14:15], exec
                                        ; implicit-def: $vgpr0_vgpr1
	s_and_saveexec_b64 s[18:19], vcc
	s_cbranch_execz .LBB55_311
; %bb.313:                              ;   in Loop: Header=BB55_312 Depth=1
	global_load_dword v0, v[10:11], off
	s_mov_b64 s[22:23], -1
	s_mov_b64 s[20:21], 0
	s_waitcnt vmcnt(0)
	v_cmp_o_f32_e64 s[2:3], v0, v0
	v_cmp_neq_f32_e32 vcc, v0, v28
	s_or_b64 s[2:3], s[2:3], s[10:11]
	s_and_b64 s[2:3], vcc, s[2:3]
                                        ; implicit-def: $vgpr0_vgpr1
	s_and_saveexec_b64 s[24:25], s[2:3]
	s_cbranch_execz .LBB55_310
; %bb.314:                              ;   in Loop: Header=BB55_312 Depth=1
	v_add_co_u32_e32 v0, vcc, s33, v2
	v_addc_co_u32_e32 v1, vcc, 0, v3, vcc
	v_cmp_le_i64_e32 vcc, s[56:57], v[0:1]
	v_mov_b32_e32 v3, s79
	v_add_co_u32_e64 v10, s[2:3], s78, v10
	s_mov_b64 s[20:21], exec
	v_addc_co_u32_e64 v11, s[2:3], v11, v3, s[2:3]
	s_orn2_b64 s[22:23], vcc, exec
	s_branch .LBB55_310
.LBB55_315:
	s_or_b64 exec, exec, s[8:9]
	s_xor_b64 s[2:3], s[12:13], -1
	s_and_saveexec_b64 s[8:9], s[2:3]
	s_xor_b64 s[8:9], exec, s[8:9]
	s_cbranch_execz .LBB55_320
; %bb.316:
	s_mov_b64 s[2:3], exec
	s_brev_b32 s8, -2
.LBB55_317:                             ; =>This Inner Loop Header: Depth=1
	s_ff1_i32_b64 s9, s[2:3]
	v_readlane_b32 s12, v2, s9
	s_lshl_b64 s[10:11], 1, s9
	s_min_i32 s8, s8, s12
	s_andn2_b64 s[2:3], s[2:3], s[10:11]
	s_cmp_lg_u64 s[2:3], 0
	s_cbranch_scc1 .LBB55_317
; %bb.318:
	v_mbcnt_lo_u32_b32 v0, exec_lo, 0
	v_mbcnt_hi_u32_b32 v0, exec_hi, v0
	v_cmp_eq_u32_e32 vcc, 0, v0
	s_and_saveexec_b64 s[2:3], vcc
	s_xor_b64 s[2:3], exec, s[2:3]
; %bb.319:
	v_mov_b32_e32 v0, 0
	v_mov_b32_e32 v1, s8
	ds_min_i32 v0, v1 offset:5140
.LBB55_320:
	s_or_b64 exec, exec, s[6:7]
	s_waitcnt lgkmcnt(0)
	s_barrier
	s_mov_b64 s[2:3], exec
	v_readlane_b32 s6, v58, 12
	v_readlane_b32 s7, v58, 13
	s_and_b64 s[6:7], s[2:3], s[6:7]
	s_mov_b64 exec, s[6:7]
	s_cbranch_execz .LBB55_322
; %bb.321:
	v_readlane_b32 s10, v58, 2
	v_readlane_b32 s8, v58, 4
	;; [unrolled: 1-line block ×4, first 2 shown]
	s_mul_i32 s6, s8, s11
	s_mul_hi_u32 s7, s8, s10
	s_add_i32 s6, s7, s6
	s_mul_i32 s7, s9, s10
	s_add_i32 s7, s6, s7
	s_mul_i32 s6, s8, s10
	v_readlane_b32 s10, v58, 6
	v_readlane_b32 s11, v58, 7
	s_mul_i32 s8, s10, s69
	s_mul_hi_u32 s9, s10, s68
	s_add_i32 s8, s9, s8
	s_mul_i32 s9, s11, s68
	s_add_i32 s9, s8, s9
	s_mul_i32 s8, s10, s68
	s_lshl_b64 s[6:7], s[6:7], 2
	v_readlane_b32 s10, v58, 8
	v_readlane_b32 s11, v58, 9
	s_add_u32 s10, s10, s6
	s_addc_u32 s11, s11, s7
	v_readlane_b32 s6, v58, 0
	v_readlane_b32 s7, v58, 1
	s_lshl_b64 s[6:7], s[6:7], 2
	v_mov_b32_e32 v2, 0
	s_add_u32 s6, s10, s6
	ds_read_b32 v0, v2 offset:5140
	s_addc_u32 s7, s11, s7
	s_lshl_b64 s[8:9], s[8:9], 3
	v_readlane_b32 s10, v58, 10
	v_readlane_b32 s11, v58, 11
	s_add_u32 s10, s10, s8
	s_addc_u32 s11, s11, s9
	s_lshl_b64 s[8:9], s[64:65], 3
	s_add_u32 s8, s10, s8
	s_addc_u32 s9, s11, s9
	s_waitcnt lgkmcnt(0)
	v_ashrrev_i32_e32 v1, 31, v0
	global_store_dwordx2 v2, v[0:1], s[8:9]
	global_store_dword v2, v28, s[6:7]
.LBB55_322:
	s_or_b64 exec, exec, s[2:3]
.LBB55_323:
	s_or_saveexec_b64 s[2:3], s[4:5]
	s_mov_b64 s[4:5], 0
	s_xor_b64 exec, exec, s[2:3]
	s_cbranch_execnz .LBB55_326
.LBB55_324:
	s_or_b64 exec, exec, s[2:3]
	s_and_b64 s[2:3], s[4:5], exec
	s_andn2_saveexec_b64 s[0:1], s[0:1]
	s_cbranch_execz .LBB55_300
.LBB55_325:
	s_or_b64 s[2:3], s[2:3], exec
	s_trap 2
	s_or_b64 exec, exec, s[0:1]
	s_and_saveexec_b64 s[0:1], s[2:3]
	s_cbranch_execnz .LBB55_301
	s_branch .LBB55_302
.LBB55_326:
	s_mov_b64 s[4:5], exec
	s_trap 2
	s_branch .LBB55_324
	.section	.rodata,"a",@progbits
	.p2align	6, 0x0
	.amdhsa_kernel _ZN2at6native12_GLOBAL__N_114gatherKthValueIflLin1EEEvNS_4cuda6detail10TensorInfoIKT_T0_EES8_S8_S8_S8_NS5_IS6_S8_EENS5_IlS8_EE
		.amdhsa_group_segment_fixed_size 5144
		.amdhsa_private_segment_fixed_size 0
		.amdhsa_kernarg_size 1536
		.amdhsa_user_sgpr_count 6
		.amdhsa_user_sgpr_private_segment_buffer 1
		.amdhsa_user_sgpr_dispatch_ptr 0
		.amdhsa_user_sgpr_queue_ptr 0
		.amdhsa_user_sgpr_kernarg_segment_ptr 1
		.amdhsa_user_sgpr_dispatch_id 0
		.amdhsa_user_sgpr_flat_scratch_init 0
		.amdhsa_user_sgpr_private_segment_size 0
		.amdhsa_uses_dynamic_stack 0
		.amdhsa_system_sgpr_private_segment_wavefront_offset 0
		.amdhsa_system_sgpr_workgroup_id_x 1
		.amdhsa_system_sgpr_workgroup_id_y 1
		.amdhsa_system_sgpr_workgroup_id_z 1
		.amdhsa_system_sgpr_workgroup_info 0
		.amdhsa_system_vgpr_workitem_id 0
		.amdhsa_next_free_vgpr 59
		.amdhsa_next_free_sgpr 96
		.amdhsa_reserve_vcc 1
		.amdhsa_reserve_flat_scratch 0
		.amdhsa_float_round_mode_32 0
		.amdhsa_float_round_mode_16_64 0
		.amdhsa_float_denorm_mode_32 3
		.amdhsa_float_denorm_mode_16_64 3
		.amdhsa_dx10_clamp 1
		.amdhsa_ieee_mode 1
		.amdhsa_fp16_overflow 0
		.amdhsa_exception_fp_ieee_invalid_op 0
		.amdhsa_exception_fp_denorm_src 0
		.amdhsa_exception_fp_ieee_div_zero 0
		.amdhsa_exception_fp_ieee_overflow 0
		.amdhsa_exception_fp_ieee_underflow 0
		.amdhsa_exception_fp_ieee_inexact 0
		.amdhsa_exception_int_div_zero 0
	.end_amdhsa_kernel
	.section	.text._ZN2at6native12_GLOBAL__N_114gatherKthValueIflLin1EEEvNS_4cuda6detail10TensorInfoIKT_T0_EES8_S8_S8_S8_NS5_IS6_S8_EENS5_IlS8_EE,"axG",@progbits,_ZN2at6native12_GLOBAL__N_114gatherKthValueIflLin1EEEvNS_4cuda6detail10TensorInfoIKT_T0_EES8_S8_S8_S8_NS5_IS6_S8_EENS5_IlS8_EE,comdat
.Lfunc_end55:
	.size	_ZN2at6native12_GLOBAL__N_114gatherKthValueIflLin1EEEvNS_4cuda6detail10TensorInfoIKT_T0_EES8_S8_S8_S8_NS5_IS6_S8_EENS5_IlS8_EE, .Lfunc_end55-_ZN2at6native12_GLOBAL__N_114gatherKthValueIflLin1EEEvNS_4cuda6detail10TensorInfoIKT_T0_EES8_S8_S8_S8_NS5_IS6_S8_EENS5_IlS8_EE
                                        ; -- End function
	.set _ZN2at6native12_GLOBAL__N_114gatherKthValueIflLin1EEEvNS_4cuda6detail10TensorInfoIKT_T0_EES8_S8_S8_S8_NS5_IS6_S8_EENS5_IlS8_EE.num_vgpr, 59
	.set _ZN2at6native12_GLOBAL__N_114gatherKthValueIflLin1EEEvNS_4cuda6detail10TensorInfoIKT_T0_EES8_S8_S8_S8_NS5_IS6_S8_EENS5_IlS8_EE.num_agpr, 0
	.set _ZN2at6native12_GLOBAL__N_114gatherKthValueIflLin1EEEvNS_4cuda6detail10TensorInfoIKT_T0_EES8_S8_S8_S8_NS5_IS6_S8_EENS5_IlS8_EE.numbered_sgpr, 96
	.set _ZN2at6native12_GLOBAL__N_114gatherKthValueIflLin1EEEvNS_4cuda6detail10TensorInfoIKT_T0_EES8_S8_S8_S8_NS5_IS6_S8_EENS5_IlS8_EE.num_named_barrier, 0
	.set _ZN2at6native12_GLOBAL__N_114gatherKthValueIflLin1EEEvNS_4cuda6detail10TensorInfoIKT_T0_EES8_S8_S8_S8_NS5_IS6_S8_EENS5_IlS8_EE.private_seg_size, 0
	.set _ZN2at6native12_GLOBAL__N_114gatherKthValueIflLin1EEEvNS_4cuda6detail10TensorInfoIKT_T0_EES8_S8_S8_S8_NS5_IS6_S8_EENS5_IlS8_EE.uses_vcc, 1
	.set _ZN2at6native12_GLOBAL__N_114gatherKthValueIflLin1EEEvNS_4cuda6detail10TensorInfoIKT_T0_EES8_S8_S8_S8_NS5_IS6_S8_EENS5_IlS8_EE.uses_flat_scratch, 0
	.set _ZN2at6native12_GLOBAL__N_114gatherKthValueIflLin1EEEvNS_4cuda6detail10TensorInfoIKT_T0_EES8_S8_S8_S8_NS5_IS6_S8_EENS5_IlS8_EE.has_dyn_sized_stack, 0
	.set _ZN2at6native12_GLOBAL__N_114gatherKthValueIflLin1EEEvNS_4cuda6detail10TensorInfoIKT_T0_EES8_S8_S8_S8_NS5_IS6_S8_EENS5_IlS8_EE.has_recursion, 0
	.set _ZN2at6native12_GLOBAL__N_114gatherKthValueIflLin1EEEvNS_4cuda6detail10TensorInfoIKT_T0_EES8_S8_S8_S8_NS5_IS6_S8_EENS5_IlS8_EE.has_indirect_call, 0
	.section	.AMDGPU.csdata,"",@progbits
; Kernel info:
; codeLenInByte = 18980
; TotalNumSgprs: 100
; NumVgprs: 59
; ScratchSize: 0
; MemoryBound: 0
; FloatMode: 240
; IeeeMode: 1
; LDSByteSize: 5144 bytes/workgroup (compile time only)
; SGPRBlocks: 12
; VGPRBlocks: 14
; NumSGPRsForWavesPerEU: 100
; NumVGPRsForWavesPerEU: 59
; Occupancy: 4
; WaveLimiterHint : 1
; COMPUTE_PGM_RSRC2:SCRATCH_EN: 0
; COMPUTE_PGM_RSRC2:USER_SGPR: 6
; COMPUTE_PGM_RSRC2:TRAP_HANDLER: 0
; COMPUTE_PGM_RSRC2:TGID_X_EN: 1
; COMPUTE_PGM_RSRC2:TGID_Y_EN: 1
; COMPUTE_PGM_RSRC2:TGID_Z_EN: 1
; COMPUTE_PGM_RSRC2:TIDIG_COMP_CNT: 0
	.section	.text._ZN2at6native12_GLOBAL__N_114gatherKthValueIN3c104HalfEiLi1EEEvNS_4cuda6detail10TensorInfoIKT_T0_EESA_SA_SA_SA_NS7_IS8_SA_EENS7_IlSA_EE,"axG",@progbits,_ZN2at6native12_GLOBAL__N_114gatherKthValueIN3c104HalfEiLi1EEEvNS_4cuda6detail10TensorInfoIKT_T0_EESA_SA_SA_SA_NS7_IS8_SA_EENS7_IlSA_EE,comdat
	.globl	_ZN2at6native12_GLOBAL__N_114gatherKthValueIN3c104HalfEiLi1EEEvNS_4cuda6detail10TensorInfoIKT_T0_EESA_SA_SA_SA_NS7_IS8_SA_EENS7_IlSA_EE ; -- Begin function _ZN2at6native12_GLOBAL__N_114gatherKthValueIN3c104HalfEiLi1EEEvNS_4cuda6detail10TensorInfoIKT_T0_EESA_SA_SA_SA_NS7_IS8_SA_EENS7_IlSA_EE
	.p2align	8
	.type	_ZN2at6native12_GLOBAL__N_114gatherKthValueIN3c104HalfEiLi1EEEvNS_4cuda6detail10TensorInfoIKT_T0_EESA_SA_SA_SA_NS7_IS8_SA_EENS7_IlSA_EE,@function
_ZN2at6native12_GLOBAL__N_114gatherKthValueIN3c104HalfEiLi1EEEvNS_4cuda6detail10TensorInfoIKT_T0_EESA_SA_SA_SA_NS7_IS8_SA_EENS7_IlSA_EE: ; @_ZN2at6native12_GLOBAL__N_114gatherKthValueIN3c104HalfEiLi1EEEvNS_4cuda6detail10TensorInfoIKT_T0_EESA_SA_SA_SA_NS7_IS8_SA_EENS7_IlSA_EE
; %bb.0:
	s_load_dwordx2 s[12:13], s[4:5], 0x298
	s_load_dwordx4 s[28:31], s[4:5], 0xd8
	s_add_u32 s10, s4, 0x298
	s_addc_u32 s11, s5, 0
	s_waitcnt lgkmcnt(0)
	s_mul_i32 s0, s13, s8
	s_add_i32 s0, s0, s7
	s_mul_i32 s0, s0, s12
	s_add_i32 s94, s0, s6
	s_cmp_ge_i32 s94, s30
	s_cbranch_scc1 .LBB56_242
; %bb.1:
	s_load_dwordx2 s[0:1], s[4:5], 0x1c0
	s_load_dwordx2 s[92:93], s[4:5], 0xe8
	s_load_dword s7, s[4:5], 0x6c
	s_load_dwordx2 s[2:3], s[4:5], 0x0
                                        ; implicit-def: $vgpr44 : SGPR spill to VGPR lane
	s_mov_b32 s18, 0
	s_waitcnt lgkmcnt(0)
	v_writelane_b32 v44, s0, 0
	v_writelane_b32 v44, s1, 1
	v_cmp_eq_u32_e64 s[0:1], 0, v0
	s_and_saveexec_b64 s[8:9], s[0:1]
; %bb.2:
	v_mov_b32_e32 v1, 0
	v_mov_b32_e32 v2, s28
	;; [unrolled: 1-line block ×3, first 2 shown]
	ds_write_b96 v1, v[1:3] offset:4096
; %bb.3:
	s_or_b64 exec, exec, s[8:9]
	v_mul_lo_u32 v5, s31, v0
	s_load_dword s95, s[4:5], 0x22c
	s_load_dword s8, s[4:5], 0x154
                                        ; kill: killed $sgpr4 killed $sgpr5
	s_mul_i32 s4, s7, s94
	s_waitcnt lgkmcnt(0)
	s_barrier
	s_load_dword s7, s[10:11], 0xc
	s_ashr_i32 s5, s4, 31
	v_mov_b32_e32 v7, 0
	s_lshl_b64 s[4:5], s[4:5], 1
	v_mbcnt_lo_u32_b32 v1, -1, 0
	v_mov_b32_e32 v6, v7
	s_add_u32 s30, s2, s4
	v_mbcnt_hi_u32_b32 v15, -1, v1
	v_lshlrev_b64 v[1:2], 1, v[5:6]
	s_addc_u32 s35, s3, s5
	v_cmp_gt_u32_e32 vcc, 64, v0
	v_cmp_gt_i32_e64 s[4:5], 4, v15
	s_and_b64 s[38:39], vcc, s[4:5]
	v_mov_b32_e32 v18, s35
	v_add_co_u32_e32 v8, vcc, s30, v1
	s_waitcnt lgkmcnt(0)
	s_and_b32 s34, s7, 0xffff
	v_addc_co_u32_e32 v9, vcc, v18, v2, vcc
	v_lshlrev_b64 v[2:3], v15, -1
	s_add_i32 s33, s34, -1
	s_lshl_b32 s37, s34, 2
	s_bfe_u32 s7, s7, 0xa0006
	s_add_i32 s47, s33, s28
	v_not_b32_e32 v21, v2
	v_lshrrev_b32_e32 v2, 2, v0
	v_writelane_b32 v44, s8, 2
	s_cmpk_gt_i32 s28, 0x600
	v_cmp_gt_u32_e64 s[8:9], s28, v0
	v_and_b32_e32 v2, 0xf0, v2
	s_cselect_b64 s[40:41], -1, 0
	v_writelane_b32 v44, s8, 3
	s_cmp_gt_u32 s34, 63
	v_or_b32_e32 v22, 0xc00, v2
	v_cvt_f32_u32_e32 v2, s37
	v_writelane_b32 v44, s9, 4
	v_cmp_gt_i32_e64 s[8:9], s28, v0
	s_cselect_b64 s[42:43], -1, 0
	s_cmp_lt_u32 s6, s12
	v_writelane_b32 v44, s8, 5
	s_cselect_b32 s6, 12, 18
	v_writelane_b32 v44, s9, 6
	s_add_u32 s8, s10, s6
	s_addc_u32 s9, s11, 0
	v_rcp_iflag_f32_e32 v2, v2
	v_writelane_b32 v44, s8, 7
	s_add_i32 s6, s7, -1
	v_writelane_b32 v44, s9, 8
	s_bfe_u32 s8, s34, 0x30006
	s_and_b32 s6, s6, 0xffff
	s_cmp_gt_u32 s6, 6
	s_cselect_b64 s[10:11], -1, 0
	v_mul_f32_e32 v2, 0x4f7ffffe, v2
	v_writelane_b32 v44, s10, 9
	s_and_b32 s19, s7, 0x3f8
	v_cvt_u32_f32_e32 v2, v2
	v_writelane_b32 v44, s11, 10
	s_cmp_lg_u32 s8, 0
	v_writelane_b32 v44, s8, 11
	s_cselect_b64 s[6:7], -1, 0
	v_writelane_b32 v44, s6, 12
	v_writelane_b32 v44, s7, 13
	s_sub_i32 s6, 0, s37
	v_readfirstlane_b32 s7, v2
	s_mul_i32 s6, s6, s7
	s_mul_hi_u32 s6, s7, s6
	s_add_i32 s8, s7, s6
	s_mul_hi_u32 s6, s28, s8
	s_mul_i32 s6, s6, s37
	s_sub_i32 s6, s28, s6
	s_sub_i32 s7, s6, s37
	s_cmp_ge_u32 s6, s37
	s_cselect_b32 s6, s7, s6
	s_sub_i32 s7, s6, s37
	s_cmp_ge_u32 s6, s37
	s_cselect_b32 s6, s7, s6
	s_sub_i32 s9, s28, s6
	v_add_u32_e32 v23, s9, v0
	v_cvt_f32_u32_e32 v4, s34
	v_mul_lo_u32 v2, v23, s31
	v_not_b32_e32 v20, v3
	s_sub_i32 s17, 0, s34
	v_rcp_iflag_f32_e32 v4, v4
	v_ashrrev_i32_e32 v3, 31, v2
	v_lshlrev_b64 v[2:3], 1, v[2:3]
	s_abs_i32 s16, s47
	v_add_co_u32_e32 v10, vcc, s30, v2
	v_mul_f32_e32 v2, 0x4f7ffffe, v4
	v_cvt_u32_f32_e32 v2, v2
	s_ashr_i32 s7, s47, 31
	v_lshlrev_b32_e32 v14, 2, v0
	v_lshlrev_b32_e32 v16, 1, v0
	v_readfirstlane_b32 s20, v2
	s_mul_i32 s17, s17, s20
	s_mul_hi_u32 s17, s20, s17
	s_add_i32 s46, s20, s17
	s_mul_hi_u32 s17, s16, s46
	s_mul_i32 s17, s17, s34
	s_sub_i32 s16, s16, s17
	s_sub_i32 s17, s16, s34
	s_cmp_ge_u32 s16, s34
	s_cselect_b32 s16, s17, s16
	s_sub_i32 s17, s16, s34
	v_mul_lo_u32 v2, s31, v14
	s_cmp_ge_u32 s16, s34
	s_cselect_b32 s16, s17, s16
	s_xor_b32 s16, s16, s7
	s_sub_i32 s7, s7, s16
	v_add_u32_e32 v24, s31, v2
	v_or_b32_e32 v2, 2, v14
	s_add_i32 s47, s47, s7
	v_mul_lo_u32 v25, s31, v2
	v_or_b32_e32 v2, 3, v14
	s_add_i32 s7, s34, s28
	v_mul_lo_u32 v26, s31, v2
	v_add_u32_e32 v2, s7, v0
	v_subrev_u32_e32 v2, s6, v2
	v_mul_lo_u32 v29, s31, v2
	v_lshlrev_b32_e32 v1, 2, v15
	v_mov_b32_e32 v6, s35
	v_cmp_gt_i32_e64 s[16:17], s47, v0
	s_mul_i32 s36, s31, s34
	v_cmp_eq_u32_e64 s[2:3], 0, v15
	v_cmp_gt_u32_e64 s[4:5], 2, v0
	v_add_u32_e32 v17, 0xc00, v16
	v_and_b32_e32 v19, 0x100, v1
	v_cmp_gt_i32_e64 s[10:11], s9, v14
	v_cmp_gt_u32_e64 s[12:13], s28, v23
	v_addc_co_u32_e32 v11, vcc, v6, v3, vcc
	v_cmp_gt_i32_e64 s[14:15], s28, v23
	v_writelane_b32 v44, s16, 14
	s_lshl_b32 s48, s36, 2
	v_lshlrev_b32_e32 v27, 2, v5
	v_lshlrev_b32_e32 v30, 3, v0
	s_lshl_b32 s49, s34, 3
	s_lshl_b32 s44, s34, 1
	v_or_b32_e32 v31, 0xc00, v1
	s_mov_b64 s[50:51], 0
	v_mov_b32_e32 v32, 14
	v_mov_b32_e32 v39, s29
	s_movk_i32 s29, 0x3c00
	v_mov_b32_e32 v33, 0xffff
	v_mov_b32_e32 v34, 0x8000
	v_mov_b32_e32 v35, -1
	v_mov_b32_e32 v36, 0x5040100
	v_mov_b32_e32 v38, 0
	;; [unrolled: 1-line block ×4, first 2 shown]
	v_writelane_b32 v44, s17, 15
                                        ; implicit-def: $sgpr52_sgpr53
                                        ; implicit-def: $sgpr56_sgpr57
                                        ; implicit-def: $sgpr54_sgpr55
                                        ; implicit-def: $sgpr60_sgpr61
                                        ; implicit-def: $sgpr62_sgpr63
                                        ; implicit-def: $sgpr58_sgpr59
	s_branch .LBB56_7
.LBB56_4:                               ;   in Loop: Header=BB56_7 Depth=1
	s_or_b64 exec, exec, s[66:67]
	s_and_b64 s[66:67], s[64:65], exec
	s_andn2_b64 s[26:27], s[26:27], exec
	s_andn2_b64 s[24:25], s[24:25], exec
	s_orn2_b64 s[20:21], s[20:21], exec
.LBB56_5:                               ;   in Loop: Header=BB56_7 Depth=1
	s_or_b64 exec, exec, s[22:23]
	s_andn2_b64 s[22:23], s[58:59], exec
	s_and_b64 s[58:59], s[66:67], exec
	s_or_b64 s[58:59], s[22:23], s[58:59]
	s_andn2_b64 s[22:23], s[62:63], exec
	s_and_b64 s[26:27], s[26:27], exec
	s_or_b64 s[62:63], s[22:23], s[26:27]
	;; [unrolled: 3-line block ×3, first 2 shown]
	s_orn2_b64 s[20:21], s[20:21], exec
.LBB56_6:                               ;   in Loop: Header=BB56_7 Depth=1
	s_or_b64 exec, exec, s[6:7]
	s_and_b64 s[6:7], exec, s[20:21]
	s_or_b64 s[50:51], s[6:7], s[50:51]
	s_andn2_b64 s[6:7], s[54:55], exec
	s_and_b64 s[20:21], s[58:59], exec
	s_or_b64 s[54:55], s[6:7], s[20:21]
	s_andn2_b64 s[6:7], s[56:57], exec
	s_and_b64 s[20:21], s[62:63], exec
	;; [unrolled: 3-line block ×3, first 2 shown]
	s_or_b64 s[52:53], s[6:7], s[20:21]
	s_mov_b32 s18, s16
	v_mov_b32_e32 v39, v12
	s_andn2_b64 exec, exec, s[50:51]
	s_cbranch_execz .LBB56_238
.LBB56_7:                               ; =>This Loop Header: Depth=1
                                        ;     Child Loop BB56_12 Depth 2
                                        ;     Child Loop BB56_27 Depth 2
                                        ;     Child Loop BB56_59 Depth 2
                                        ;     Child Loop BB56_63 Depth 2
                                        ;     Child Loop BB56_48 Depth 2
                                        ;     Child Loop BB56_53 Depth 2
                                        ;     Child Loop BB56_42 Depth 2
                                        ;     Child Loop BB56_72 Depth 2
                                        ;     Child Loop BB56_83 Depth 2
                                        ;     Child Loop BB56_95 Depth 2
                                        ;     Child Loop BB56_122 Depth 2
                                        ;     Child Loop BB56_134 Depth 2
                                        ;     Child Loop BB56_161 Depth 2
                                        ;     Child Loop BB56_173 Depth 2
                                        ;     Child Loop BB56_200 Depth 2
                                        ;     Child Loop BB56_212 Depth 2
	ds_read_b64 v[1:2], v7 offset:4096
	s_waitcnt lgkmcnt(0)
	v_readfirstlane_b32 s45, v1
	s_cmp_gt_i32 s45, 0
	s_cbranch_scc1 .LBB56_34
; %bb.8:                                ;   in Loop: Header=BB56_7 Depth=1
	s_and_b64 vcc, exec, s[40:41]
	s_cbranch_vccz .LBB56_20
; %bb.9:                                ;   in Loop: Header=BB56_7 Depth=1
	s_movk_i32 s6, 0x601
	v_cmp_gt_i32_e32 vcc, s6, v2
	s_mov_b64 s[20:21], 0
	s_mov_b64 s[6:7], 0
	s_cbranch_vccz .LBB56_21
; %bb.10:                               ;   in Loop: Header=BB56_7 Depth=1
	v_readlane_b32 s6, v44, 7
	v_readlane_b32 s7, v44, 8
	s_nop 4
	global_load_ushort v1, v7, s[6:7]
	global_load_ushort v4, v[8:9], off
	s_mov_b64 s[22:23], 0
	v_mov_b32_e32 v3, v0
	s_waitcnt vmcnt(1)
	v_add_u32_e32 v2, v0, v1
	v_mul_lo_u32 v6, s31, v2
	v_mul_lo_u32 v2, s31, v1
	s_branch .LBB56_12
.LBB56_11:                              ;   in Loop: Header=BB56_12 Depth=2
	s_or_b64 exec, exec, s[6:7]
	v_cmp_le_i32_e32 vcc, s28, v3
	v_add_u32_e32 v6, v6, v2
	s_or_b64 s[22:23], vcc, s[22:23]
	v_mov_b32_e32 v4, v12
	s_andn2_b64 exec, exec, s[22:23]
	s_cbranch_execz .LBB56_66
.LBB56_12:                              ;   Parent Loop BB56_7 Depth=1
                                        ; =>  This Inner Loop Header: Depth=2
	v_add_u32_e32 v3, v3, v1
	v_cmp_gt_u32_e32 vcc, s28, v3
	s_waitcnt lgkmcnt(0)
	v_mov_b32_e32 v13, 0
	v_mov_b32_e32 v12, 0
	s_and_saveexec_b64 s[6:7], vcc
	s_cbranch_execz .LBB56_14
; %bb.13:                               ;   in Loop: Header=BB56_12 Depth=2
	v_lshlrev_b64 v[40:41], 1, v[6:7]
	v_add_co_u32_e32 v40, vcc, s30, v40
	v_addc_co_u32_e32 v41, vcc, v18, v41, vcc
	global_load_ushort v12, v[40:41], off
.LBB56_14:                              ;   in Loop: Header=BB56_12 Depth=2
	s_or_b64 exec, exec, s[6:7]
	s_waitcnt vmcnt(0)
	v_cmp_lt_i16_e32 vcc, -1, v4
	v_cndmask_b32_e32 v40, v33, v34, vcc
	v_xor_b32_sdwa v40, v40, v4 dst_sel:DWORD dst_unused:UNUSED_PAD src0_sel:DWORD src1_sel:WORD_0
	v_cmp_o_f16_e32 vcc, v4, v4
	v_cndmask_b32_e32 v40, v33, v40, vcc
	v_and_b32_e32 v40, v40, v37
	v_cmp_eq_u32_e32 vcc, v40, v28
	s_cmp_lg_u64 vcc, 0
	s_cselect_b64 s[6:7], -1, 0
	s_and_b64 s[6:7], s[2:3], s[6:7]
	s_and_saveexec_b64 s[24:25], s[6:7]
	s_cbranch_execz .LBB56_18
; %bb.15:                               ;   in Loop: Header=BB56_12 Depth=2
	s_mov_b64 s[64:65], exec
	v_mbcnt_lo_u32_b32 v13, s64, 0
	v_mbcnt_hi_u32_b32 v13, s65, v13
	s_bcnt1_i32_b64 s16, vcc
	v_cmp_eq_u32_e64 s[6:7], 0, v13
                                        ; implicit-def: $vgpr40
	s_and_saveexec_b64 s[26:27], s[6:7]
; %bb.16:                               ;   in Loop: Header=BB56_12 Depth=2
	s_bcnt1_i32_b64 s6, s[64:65]
	s_mul_i32 s6, s16, s6
	v_mov_b32_e32 v40, s6
	ds_add_rtn_u32 v40, v7, v40 offset:4104
; %bb.17:                               ;   in Loop: Header=BB56_12 Depth=2
	s_or_b64 exec, exec, s[26:27]
	s_waitcnt lgkmcnt(0)
	v_readfirstlane_b32 s6, v40
	v_mov_b32_e32 v40, s6
	v_mad_u32_u24 v13, s16, v13, v40
.LBB56_18:                              ;   in Loop: Header=BB56_12 Depth=2
	s_or_b64 exec, exec, s[24:25]
	ds_bpermute_b32 v13, v19, v13
	s_and_saveexec_b64 s[6:7], vcc
	s_cbranch_execz .LBB56_11
; %bb.19:                               ;   in Loop: Header=BB56_12 Depth=2
	v_and_b32_e32 v41, vcc_lo, v21
	v_and_b32_e32 v40, vcc_hi, v20
	v_bcnt_u32_b32 v41, v41, 0
	v_bcnt_u32_b32 v40, v40, v41
	v_lshlrev_b32_e32 v40, 1, v40
	s_waitcnt lgkmcnt(0)
	v_lshl_add_u32 v13, v13, 1, v40
	ds_write_b16 v13, v4
	s_branch .LBB56_11
.LBB56_20:                              ;   in Loop: Header=BB56_7 Depth=1
	s_mov_b64 s[20:21], -1
	s_mov_b64 s[6:7], 0
.LBB56_21:                              ;   in Loop: Header=BB56_7 Depth=1
	s_and_b64 vcc, exec, s[20:21]
	s_cbranch_vccz .LBB56_32
.LBB56_22:                              ;   in Loop: Header=BB56_7 Depth=1
	v_mov_b32_e32 v1, 0
	s_mov_b64 s[6:7], exec
	v_readlane_b32 s16, v44, 3
	v_readlane_b32 s17, v44, 4
	s_and_b64 s[16:17], s[6:7], s[16:17]
	s_mov_b64 exec, s[16:17]
	s_cbranch_execz .LBB56_24
; %bb.23:                               ;   in Loop: Header=BB56_7 Depth=1
	global_load_ushort v1, v[8:9], off
.LBB56_24:                              ;   in Loop: Header=BB56_7 Depth=1
	s_or_b64 exec, exec, s[6:7]
	s_mov_b64 s[6:7], exec
	v_readlane_b32 s16, v44, 5
	v_readlane_b32 s17, v44, 6
	s_and_b64 s[16:17], s[6:7], s[16:17]
	s_mov_b64 exec, s[16:17]
	s_cbranch_execz .LBB56_29
; %bb.25:                               ;   in Loop: Header=BB56_7 Depth=1
	v_readlane_b32 s16, v44, 7
	v_readlane_b32 s17, v44, 8
	s_mov_b64 s[20:21], 0
	v_mov_b32_e32 v12, v16
	v_mov_b32_e32 v13, v0
	s_nop 1
	global_load_ushort v2, v7, s[16:17]
	s_waitcnt vmcnt(0)
	v_add_u32_e32 v4, v0, v2
	v_mul_lo_u32 v6, s31, v4
	v_mul_lo_u32 v4, s31, v2
	v_lshlrev_b32_e32 v3, 1, v2
	s_branch .LBB56_27
.LBB56_26:                              ;   in Loop: Header=BB56_27 Depth=2
	s_or_b64 exec, exec, s[22:23]
	v_cmp_le_i32_e32 vcc, s28, v13
	ds_write_b16 v12, v1
	v_add_u32_e32 v12, v12, v3
	v_add_u32_e32 v6, v6, v4
	s_or_b64 s[20:21], vcc, s[20:21]
	s_waitcnt vmcnt(0)
	v_mov_b32_e32 v1, v40
	s_andn2_b64 exec, exec, s[20:21]
	s_cbranch_execz .LBB56_29
.LBB56_27:                              ;   Parent Loop BB56_7 Depth=1
                                        ; =>  This Inner Loop Header: Depth=2
	v_add_u32_e32 v13, v13, v2
	v_cmp_gt_u32_e32 vcc, s28, v13
	v_mov_b32_e32 v40, 0
	s_and_saveexec_b64 s[22:23], vcc
	s_cbranch_execz .LBB56_26
; %bb.28:                               ;   in Loop: Header=BB56_27 Depth=2
	v_lshlrev_b64 v[40:41], 1, v[6:7]
	v_mov_b32_e32 v42, s35
	v_add_co_u32_e32 v40, vcc, s30, v40
	v_addc_co_u32_e32 v41, vcc, v42, v41, vcc
	global_load_ushort v40, v[40:41], off
	s_branch .LBB56_26
.LBB56_29:                              ;   in Loop: Header=BB56_7 Depth=1
	s_or_b64 exec, exec, s[6:7]
	s_waitcnt vmcnt(0) lgkmcnt(0)
	s_barrier
	s_and_saveexec_b64 s[6:7], s[0:1]
; %bb.30:                               ;   in Loop: Header=BB56_7 Depth=1
	v_mov_b32_e32 v1, s28
	ds_write_b32 v7, v1 offset:4096
; %bb.31:                               ;   in Loop: Header=BB56_7 Depth=1
	s_or_b64 exec, exec, s[6:7]
	s_mov_b64 s[6:7], -1
	s_waitcnt lgkmcnt(0)
	s_barrier
.LBB56_32:                              ;   in Loop: Header=BB56_7 Depth=1
	s_and_b64 vcc, exec, s[6:7]
	s_cbranch_vccz .LBB56_34
; %bb.33:                               ;   in Loop: Header=BB56_7 Depth=1
	ds_read_b32 v1, v7 offset:4096
	s_waitcnt lgkmcnt(0)
	v_readfirstlane_b32 s45, v1
.LBB56_34:                              ;   in Loop: Header=BB56_7 Depth=1
	s_cmp_lt_i32 s45, 1
	s_mov_b64 s[6:7], -1
                                        ; implicit-def: $vgpr1
	s_cbranch_scc1 .LBB56_44
; %bb.35:                               ;   in Loop: Header=BB56_7 Depth=1
	s_and_b64 vcc, exec, s[6:7]
	s_cbranch_vccnz .LBB56_57
.LBB56_36:                              ;   in Loop: Header=BB56_7 Depth=1
	s_lshl_b32 s16, s18, 6
	s_and_saveexec_b64 s[6:7], s[2:3]
.LBB56_37:                              ;   in Loop: Header=BB56_7 Depth=1
	v_lshl_add_u32 v6, s16, 2, v22
	ds_write_b128 v6, v[1:4]
.LBB56_38:                              ;   in Loop: Header=BB56_7 Depth=1
	s_or_b64 exec, exec, s[6:7]
	s_waitcnt vmcnt(0) lgkmcnt(0)
	s_barrier
	s_and_saveexec_b64 s[6:7], s[38:39]
	s_cbranch_execz .LBB56_74
; %bb.39:                               ;   in Loop: Header=BB56_7 Depth=1
	s_andn2_b64 vcc, exec, s[42:43]
	v_mov_b32_e32 v1, 0
	s_cbranch_vccnz .LBB56_73
; %bb.40:                               ;   in Loop: Header=BB56_7 Depth=1
	v_readlane_b32 s20, v44, 9
	v_readlane_b32 s21, v44, 10
	s_andn2_b64 vcc, exec, s[20:21]
	s_cbranch_vccnz .LBB56_69
; %bb.41:                               ;   in Loop: Header=BB56_7 Depth=1
	v_lshl_add_u32 v2, s18, 8, v31
	s_mov_b32 s17, 0
	v_mov_b32_e32 v1, 0
.LBB56_42:                              ;   Parent Loop BB56_7 Depth=1
                                        ; =>  This Inner Loop Header: Depth=2
	ds_read2_b32 v[3:4], v2 offset1:4
	ds_read2_b32 v[12:13], v2 offset0:8 offset1:12
	ds_read2_b32 v[40:41], v2 offset0:16 offset1:20
	;; [unrolled: 1-line block ×3, first 2 shown]
	s_add_i32 s17, s17, 8
	s_waitcnt lgkmcnt(3)
	v_add3_u32 v1, v3, v1, v4
	s_waitcnt lgkmcnt(2)
	v_add3_u32 v1, v12, v1, v13
	;; [unrolled: 2-line block ×3, first 2 shown]
	v_add_u32_e32 v2, 0x80, v2
	s_cmp_eq_u32 s19, s17
	s_waitcnt lgkmcnt(0)
	v_add3_u32 v1, v42, v1, v43
	s_cbranch_scc0 .LBB56_42
; %bb.43:                               ;   in Loop: Header=BB56_7 Depth=1
	s_mov_b32 s17, s19
	s_branch .LBB56_70
.LBB56_44:                              ;   in Loop: Header=BB56_7 Depth=1
	v_mov_b32_e32 v1, 0
	v_mov_b32_e32 v2, 0
	;; [unrolled: 1-line block ×4, first 2 shown]
	s_and_saveexec_b64 s[26:27], s[10:11]
	s_cbranch_execnz .LBB56_47
; %bb.45:                               ;   in Loop: Header=BB56_7 Depth=1
	s_or_b64 exec, exec, s[26:27]
	v_mov_b32_e32 v40, 0
	s_and_saveexec_b64 s[6:7], s[12:13]
	s_cbranch_execnz .LBB56_50
.LBB56_46:                              ;   in Loop: Header=BB56_7 Depth=1
	s_or_b64 exec, exec, s[6:7]
	s_and_saveexec_b64 s[20:21], s[14:15]
	s_cbranch_execnz .LBB56_51
	s_branch .LBB56_56
.LBB56_47:                              ;   in Loop: Header=BB56_7 Depth=1
	s_mov_b32 s66, 0
	s_mov_b64 s[64:65], 0
	s_mov_b32 s67, 0
	s_mov_b32 s68, 0
	;; [unrolled: 1-line block ×4, first 2 shown]
	v_mov_b32_e32 v6, v14
.LBB56_48:                              ;   Parent Loop BB56_7 Depth=1
                                        ; =>  This Inner Loop Header: Depth=2
	v_add_u32_e32 v1, s66, v27
	v_ashrrev_i32_e32 v2, 31, v1
	v_lshlrev_b64 v[1:2], 1, v[1:2]
	v_mov_b32_e32 v3, s35
	v_add_co_u32_e32 v1, vcc, s30, v1
	v_addc_co_u32_e32 v2, vcc, v3, v2, vcc
	global_load_ushort v4, v[1:2], off
	v_add_u32_e32 v1, s66, v24
	v_ashrrev_i32_e32 v2, 31, v1
	v_lshlrev_b64 v[1:2], 1, v[1:2]
	v_add_u32_e32 v6, s37, v6
	v_add_co_u32_e32 v1, vcc, s30, v1
	v_addc_co_u32_e32 v2, vcc, v3, v2, vcc
	global_load_ushort v12, v[1:2], off
	v_add_u32_e32 v1, s66, v25
	v_ashrrev_i32_e32 v2, 31, v1
	v_lshlrev_b64 v[1:2], 1, v[1:2]
	v_add_co_u32_e32 v1, vcc, s30, v1
	v_addc_co_u32_e32 v2, vcc, v3, v2, vcc
	global_load_ushort v13, v[1:2], off
	v_add_u32_e32 v1, s66, v26
	v_ashrrev_i32_e32 v2, 31, v1
	v_lshlrev_b64 v[1:2], 1, v[1:2]
	s_add_i32 s66, s66, s48
	v_add_co_u32_e32 v1, vcc, s30, v1
	v_addc_co_u32_e32 v2, vcc, v3, v2, vcc
	global_load_ushort v1, v[1:2], off
	s_waitcnt vmcnt(3)
	v_cmp_lt_i16_e32 vcc, -1, v4
	v_cndmask_b32_e32 v2, v33, v34, vcc
	v_cmp_o_f16_e32 vcc, v4, v4
	v_xor_b32_sdwa v2, v2, v4 dst_sel:DWORD dst_unused:UNUSED_PAD src0_sel:DWORD src1_sel:WORD_0
	v_cndmask_b32_e32 v2, v33, v2, vcc
	s_waitcnt vmcnt(2)
	v_cmp_lt_i16_e32 vcc, -1, v12
	v_cndmask_b32_e32 v3, v33, v34, vcc
	v_cmp_o_f16_e32 vcc, v12, v12
	v_xor_b32_sdwa v3, v3, v12 dst_sel:DWORD dst_unused:UNUSED_PAD src0_sel:DWORD src1_sel:WORD_0
	v_cndmask_b32_e32 v3, v33, v3, vcc
	;; [unrolled: 6-line block ×3, first 2 shown]
	s_waitcnt vmcnt(0)
	v_cmp_lt_i16_e32 vcc, -1, v1
	v_cndmask_b32_e32 v12, v33, v34, vcc
	v_cmp_o_f16_e32 vcc, v1, v1
	v_xor_b32_sdwa v1, v12, v1 dst_sel:DWORD dst_unused:UNUSED_PAD src0_sel:DWORD src1_sel:WORD_0
	v_and_b32_e32 v12, v2, v37
	v_bfe_u32 v2, v2, v32, 2
	v_cndmask_b32_e32 v1, v33, v1, vcc
	v_cmp_eq_u32_e32 vcc, v12, v28
	v_and_b32_e32 v12, v3, v37
	v_bfe_u32 v3, v3, v32, 2
	v_cmp_eq_u32_e64 s[24:25], 0, v2
	v_cmp_eq_u32_e64 s[6:7], v12, v28
	v_and_b32_e32 v12, v4, v37
	v_bfe_u32 v4, v4, v32, 2
	s_and_b64 s[16:17], vcc, s[24:25]
	v_cmp_eq_u32_e64 s[24:25], 0, v3
	v_cmp_eq_u32_e64 s[20:21], v12, v28
	v_and_b32_e32 v12, v1, v37
	v_bfe_u32 v1, v1, v32, 2
	s_and_b64 s[72:73], s[6:7], s[24:25]
	v_cmp_eq_u32_e64 s[24:25], 0, v4
	v_cmp_eq_u32_e64 s[22:23], v12, v28
	s_and_b64 s[74:75], s[20:21], s[24:25]
	v_cmp_eq_u32_e64 s[24:25], 0, v1
	v_cndmask_b32_e64 v12, 0, 1, s[16:17]
	s_and_b64 s[76:77], s[22:23], s[24:25]
	v_cmp_ne_u32_e64 s[24:25], 0, v12
	v_cndmask_b32_e64 v12, 0, 1, s[72:73]
	s_bcnt1_i32_b64 s16, s[24:25]
	v_cmp_ne_u32_e64 s[24:25], 0, v12
	v_cndmask_b32_e64 v12, 0, 1, s[74:75]
	s_bcnt1_i32_b64 s17, s[24:25]
	v_cmp_ne_u32_e64 s[24:25], 0, v12
	v_cndmask_b32_e64 v12, 0, 1, s[76:77]
	s_add_i32 s16, s70, s16
	s_bcnt1_i32_b64 s71, s[24:25]
	v_cmp_ne_u32_e64 s[24:25], 0, v12
	s_add_i32 s16, s16, s17
	s_bcnt1_i32_b64 s24, s[24:25]
	s_add_i32 s16, s16, s71
	s_add_i32 s70, s16, s24
	v_cmp_eq_u32_e64 s[24:25], 1, v2
	s_and_b64 s[16:17], vcc, s[24:25]
	v_cmp_eq_u32_e64 s[24:25], 1, v3
	s_and_b64 s[72:73], s[6:7], s[24:25]
	v_cmp_eq_u32_e64 s[24:25], 1, v4
	s_and_b64 s[74:75], s[20:21], s[24:25]
	v_cmp_eq_u32_e64 s[24:25], 1, v1
	v_cndmask_b32_e64 v12, 0, 1, s[16:17]
	s_and_b64 s[76:77], s[22:23], s[24:25]
	v_cmp_ne_u32_e64 s[24:25], 0, v12
	v_cndmask_b32_e64 v12, 0, 1, s[72:73]
	s_bcnt1_i32_b64 s16, s[24:25]
	v_cmp_ne_u32_e64 s[24:25], 0, v12
	v_cndmask_b32_e64 v12, 0, 1, s[74:75]
	s_bcnt1_i32_b64 s17, s[24:25]
	v_cmp_ne_u32_e64 s[24:25], 0, v12
	v_cndmask_b32_e64 v12, 0, 1, s[76:77]
	s_add_i32 s16, s69, s16
	s_bcnt1_i32_b64 s71, s[24:25]
	v_cmp_ne_u32_e64 s[24:25], 0, v12
	s_add_i32 s16, s16, s17
	s_bcnt1_i32_b64 s24, s[24:25]
	s_add_i32 s16, s16, s71
	s_add_i32 s69, s16, s24
	v_cmp_eq_u32_e64 s[24:25], 2, v2
	s_and_b64 s[16:17], vcc, s[24:25]
	v_cmp_eq_u32_e64 s[24:25], 2, v3
	s_and_b64 s[72:73], s[6:7], s[24:25]
	v_cmp_eq_u32_e64 s[24:25], 2, v4
	s_and_b64 s[74:75], s[20:21], s[24:25]
	v_cmp_eq_u32_e64 s[24:25], 2, v1
	v_cndmask_b32_e64 v12, 0, 1, s[16:17]
	s_and_b64 s[76:77], s[22:23], s[24:25]
	v_cmp_ne_u32_e64 s[24:25], 0, v12
	v_cndmask_b32_e64 v12, 0, 1, s[72:73]
	s_bcnt1_i32_b64 s16, s[24:25]
	v_cmp_ne_u32_e64 s[24:25], 0, v12
	v_cndmask_b32_e64 v12, 0, 1, s[74:75]
	s_bcnt1_i32_b64 s17, s[24:25]
	v_cmp_ne_u32_e64 s[24:25], 0, v12
	v_cndmask_b32_e64 v12, 0, 1, s[76:77]
	s_add_i32 s16, s68, s16
	s_bcnt1_i32_b64 s71, s[24:25]
	v_cmp_ne_u32_e64 s[24:25], 0, v12
	s_add_i32 s16, s16, s17
	s_bcnt1_i32_b64 s24, s[24:25]
	s_add_i32 s16, s16, s71
	s_add_i32 s68, s16, s24
	v_cmp_eq_u32_e64 s[24:25], 3, v2
	s_and_b64 s[16:17], vcc, s[24:25]
	v_cmp_eq_u32_e32 vcc, 3, v3
	s_and_b64 s[6:7], s[6:7], vcc
	v_cmp_eq_u32_e32 vcc, 3, v4
	s_and_b64 s[20:21], s[20:21], vcc
	v_cmp_eq_u32_e32 vcc, 3, v1
	v_cndmask_b32_e64 v1, 0, 1, s[16:17]
	s_and_b64 s[22:23], s[22:23], vcc
	v_cmp_ne_u32_e32 vcc, 0, v1
	v_cndmask_b32_e64 v1, 0, 1, s[6:7]
	s_bcnt1_i32_b64 s16, vcc
	v_cmp_ne_u32_e32 vcc, 0, v1
	v_cndmask_b32_e64 v1, 0, 1, s[20:21]
	s_bcnt1_i32_b64 s6, vcc
	v_cmp_ne_u32_e32 vcc, 0, v1
	v_cndmask_b32_e64 v1, 0, 1, s[22:23]
	s_add_i32 s16, s67, s16
	s_bcnt1_i32_b64 s7, vcc
	v_cmp_ne_u32_e32 vcc, 0, v1
	s_add_i32 s6, s16, s6
	s_bcnt1_i32_b64 s17, vcc
	s_add_i32 s6, s6, s7
	s_add_i32 s67, s6, s17
	v_cmp_le_i32_e32 vcc, s9, v6
	s_or_b64 s[64:65], vcc, s[64:65]
	v_mov_b32_e32 v1, s70
	v_mov_b32_e32 v2, s69
	;; [unrolled: 1-line block ×4, first 2 shown]
	s_andn2_b64 exec, exec, s[64:65]
	s_cbranch_execnz .LBB56_48
; %bb.49:                               ;   in Loop: Header=BB56_7 Depth=1
	s_or_b64 exec, exec, s[64:65]
	s_or_b64 exec, exec, s[26:27]
	v_mov_b32_e32 v40, 0
	s_and_saveexec_b64 s[6:7], s[12:13]
	s_cbranch_execz .LBB56_46
.LBB56_50:                              ;   in Loop: Header=BB56_7 Depth=1
	global_load_ushort v40, v[10:11], off
	s_or_b64 exec, exec, s[6:7]
	s_and_saveexec_b64 s[20:21], s[14:15]
	s_cbranch_execz .LBB56_56
.LBB56_51:                              ;   in Loop: Header=BB56_7 Depth=1
	s_mov_b64 s[22:23], 0
	v_mov_b32_e32 v12, v29
	v_mov_b32_e32 v6, v23
	s_branch .LBB56_53
.LBB56_52:                              ;   in Loop: Header=BB56_53 Depth=2
	s_or_b64 exec, exec, s[6:7]
	s_waitcnt vmcnt(0)
	v_cmp_lt_i16_e32 vcc, -1, v40
	v_cndmask_b32_e32 v41, v33, v34, vcc
	v_xor_b32_sdwa v41, v41, v40 dst_sel:DWORD dst_unused:UNUSED_PAD src0_sel:DWORD src1_sel:WORD_0
	v_cmp_o_f16_e32 vcc, v40, v40
	v_cndmask_b32_e32 v40, v33, v41, vcc
	v_and_b32_e32 v41, v40, v37
	v_bfe_u32 v40, v40, v32, 2
	v_cmp_eq_u32_e32 vcc, v41, v28
	v_cmp_eq_u32_e64 s[6:7], 0, v40
	s_and_b64 s[6:7], vcc, s[6:7]
	v_cndmask_b32_e64 v41, 0, 1, s[6:7]
	v_cmp_ne_u32_e64 s[6:7], 0, v41
	s_bcnt1_i32_b64 s6, s[6:7]
	v_add_u32_e32 v1, s6, v1
	v_cmp_eq_u32_e64 s[6:7], 1, v40
	s_and_b64 s[6:7], vcc, s[6:7]
	v_cndmask_b32_e64 v41, 0, 1, s[6:7]
	v_cmp_ne_u32_e64 s[6:7], 0, v41
	s_bcnt1_i32_b64 s6, s[6:7]
	v_add_u32_e32 v2, s6, v2
	;; [unrolled: 6-line block ×3, first 2 shown]
	v_cmp_eq_u32_e64 s[6:7], 3, v40
	s_and_b64 s[6:7], vcc, s[6:7]
	v_cndmask_b32_e64 v40, 0, 1, s[6:7]
	v_cmp_ne_u32_e32 vcc, 0, v40
	s_bcnt1_i32_b64 s6, vcc
	v_cmp_le_i32_e32 vcc, s28, v6
	v_add_u32_e32 v4, s6, v4
	v_add_u32_e32 v12, s36, v12
	s_or_b64 s[22:23], vcc, s[22:23]
	v_mov_b32_e32 v40, v13
	s_andn2_b64 exec, exec, s[22:23]
	s_cbranch_execz .LBB56_55
.LBB56_53:                              ;   Parent Loop BB56_7 Depth=1
                                        ; =>  This Inner Loop Header: Depth=2
	v_add_u32_e32 v6, s34, v6
	v_cmp_gt_u32_e32 vcc, s28, v6
	v_mov_b32_e32 v13, 0
	s_and_saveexec_b64 s[6:7], vcc
	s_cbranch_execz .LBB56_52
; %bb.54:                               ;   in Loop: Header=BB56_53 Depth=2
	v_ashrrev_i32_e32 v13, 31, v12
	v_lshlrev_b64 v[41:42], 1, v[12:13]
	v_mov_b32_e32 v13, s35
	v_add_co_u32_e32 v41, vcc, s30, v41
	v_addc_co_u32_e32 v42, vcc, v13, v42, vcc
	global_load_ushort v13, v[41:42], off
	s_branch .LBB56_52
.LBB56_55:                              ;   in Loop: Header=BB56_7 Depth=1
	s_or_b64 exec, exec, s[22:23]
.LBB56_56:                              ;   in Loop: Header=BB56_7 Depth=1
	s_or_b64 exec, exec, s[20:21]
	s_branch .LBB56_36
.LBB56_57:                              ;   in Loop: Header=BB56_7 Depth=1
	s_mul_hi_u32 s6, s45, s8
	s_mul_i32 s6, s6, s37
	s_sub_i32 s6, s45, s6
	s_sub_i32 s7, s6, s37
	s_cmp_ge_u32 s6, s37
	s_cselect_b32 s6, s7, s6
	s_sub_i32 s7, s6, s37
	s_cmp_ge_u32 s6, s37
	s_cselect_b32 s6, s7, s6
	s_sub_i32 s66, s45, s6
	v_cmp_gt_u32_e32 vcc, s66, v14
	v_mov_b32_e32 v1, 0
	v_mov_b32_e32 v2, 0
	;; [unrolled: 1-line block ×4, first 2 shown]
	s_and_saveexec_b64 s[26:27], vcc
	s_cbranch_execz .LBB56_61
; %bb.58:                               ;   in Loop: Header=BB56_7 Depth=1
	s_mov_b32 s67, 0
	s_mov_b64 s[64:65], 0
	v_mov_b32_e32 v6, v30
	s_mov_b32 s68, 0
	s_mov_b32 s69, 0
	;; [unrolled: 1-line block ×3, first 2 shown]
	v_mov_b32_e32 v12, v14
.LBB56_59:                              ;   Parent Loop BB56_7 Depth=1
                                        ; =>  This Inner Loop Header: Depth=2
	ds_read_b64 v[1:2], v6
	v_add_u32_e32 v12, s37, v12
	v_add_u32_e32 v6, s49, v6
	s_waitcnt lgkmcnt(0)
	v_cmp_lt_i16_e32 vcc, -1, v1
	v_cndmask_b32_e32 v3, v33, v34, vcc
	v_cmp_o_f16_e32 vcc, v1, v1
	v_xor_b32_sdwa v3, v3, v1 dst_sel:DWORD dst_unused:UNUSED_PAD src0_sel:DWORD src1_sel:WORD_0
	v_cndmask_b32_e32 v3, v33, v3, vcc
	v_cmp_gt_i16_sdwa vcc, v1, v35 src0_sel:WORD_1 src1_sel:DWORD
	v_cndmask_b32_e32 v4, v33, v34, vcc
	v_cmp_o_f16_sdwa vcc, v1, v1 src0_sel:WORD_1 src1_sel:WORD_1
	v_xor_b32_sdwa v1, v4, v1 dst_sel:DWORD dst_unused:UNUSED_PAD src0_sel:DWORD src1_sel:WORD_1
	v_cndmask_b32_e32 v1, v33, v1, vcc
	v_cmp_lt_i16_e32 vcc, -1, v2
	v_cndmask_b32_e32 v4, v33, v34, vcc
	v_cmp_o_f16_e32 vcc, v2, v2
	v_xor_b32_sdwa v4, v4, v2 dst_sel:DWORD dst_unused:UNUSED_PAD src0_sel:DWORD src1_sel:WORD_0
	v_cndmask_b32_e32 v4, v33, v4, vcc
	v_cmp_gt_i16_sdwa vcc, v2, v35 src0_sel:WORD_1 src1_sel:DWORD
	v_cndmask_b32_e32 v13, v33, v34, vcc
	v_cmp_o_f16_sdwa vcc, v2, v2 src0_sel:WORD_1 src1_sel:WORD_1
	v_xor_b32_sdwa v2, v13, v2 dst_sel:DWORD dst_unused:UNUSED_PAD src0_sel:DWORD src1_sel:WORD_1
	v_and_b32_e32 v13, v3, v37
	v_bfe_u32 v3, v3, v32, 2
	v_cndmask_b32_e32 v2, v33, v2, vcc
	v_cmp_eq_u32_e32 vcc, v13, v28
	v_and_b32_e32 v13, v1, v37
	v_bfe_u32 v1, v1, v32, 2
	v_cmp_eq_u32_e64 s[24:25], 0, v3
	v_cmp_eq_u32_e64 s[6:7], v13, v28
	v_and_b32_e32 v13, v4, v37
	v_bfe_u32 v4, v4, v32, 2
	s_and_b64 s[16:17], vcc, s[24:25]
	v_cmp_eq_u32_e64 s[24:25], 0, v1
	v_cmp_eq_u32_e64 s[20:21], v13, v28
	v_and_b32_e32 v13, v2, v37
	v_bfe_u32 v2, v2, v32, 2
	s_and_b64 s[72:73], s[6:7], s[24:25]
	v_cmp_eq_u32_e64 s[24:25], 0, v4
	v_cmp_eq_u32_e64 s[22:23], v13, v28
	s_and_b64 s[74:75], s[20:21], s[24:25]
	v_cmp_eq_u32_e64 s[24:25], 0, v2
	v_cndmask_b32_e64 v13, 0, 1, s[16:17]
	s_and_b64 s[76:77], s[22:23], s[24:25]
	v_cmp_ne_u32_e64 s[24:25], 0, v13
	v_cndmask_b32_e64 v13, 0, 1, s[72:73]
	s_bcnt1_i32_b64 s16, s[24:25]
	v_cmp_ne_u32_e64 s[24:25], 0, v13
	v_cndmask_b32_e64 v13, 0, 1, s[74:75]
	s_bcnt1_i32_b64 s17, s[24:25]
	v_cmp_ne_u32_e64 s[24:25], 0, v13
	v_cndmask_b32_e64 v13, 0, 1, s[76:77]
	s_add_i32 s16, s70, s16
	s_bcnt1_i32_b64 s71, s[24:25]
	v_cmp_ne_u32_e64 s[24:25], 0, v13
	s_add_i32 s16, s16, s17
	s_bcnt1_i32_b64 s24, s[24:25]
	s_add_i32 s16, s16, s71
	s_add_i32 s70, s16, s24
	v_cmp_eq_u32_e64 s[24:25], 1, v3
	s_and_b64 s[16:17], vcc, s[24:25]
	v_cmp_eq_u32_e64 s[24:25], 1, v1
	s_and_b64 s[72:73], s[6:7], s[24:25]
	v_cmp_eq_u32_e64 s[24:25], 1, v4
	s_and_b64 s[74:75], s[20:21], s[24:25]
	v_cmp_eq_u32_e64 s[24:25], 1, v2
	v_cndmask_b32_e64 v13, 0, 1, s[16:17]
	s_and_b64 s[76:77], s[22:23], s[24:25]
	v_cmp_ne_u32_e64 s[24:25], 0, v13
	v_cndmask_b32_e64 v13, 0, 1, s[72:73]
	s_bcnt1_i32_b64 s16, s[24:25]
	v_cmp_ne_u32_e64 s[24:25], 0, v13
	v_cndmask_b32_e64 v13, 0, 1, s[74:75]
	s_bcnt1_i32_b64 s17, s[24:25]
	v_cmp_ne_u32_e64 s[24:25], 0, v13
	v_cndmask_b32_e64 v13, 0, 1, s[76:77]
	s_add_i32 s16, s69, s16
	s_bcnt1_i32_b64 s71, s[24:25]
	v_cmp_ne_u32_e64 s[24:25], 0, v13
	s_add_i32 s16, s16, s17
	s_bcnt1_i32_b64 s24, s[24:25]
	s_add_i32 s16, s16, s71
	s_add_i32 s69, s16, s24
	v_cmp_eq_u32_e64 s[24:25], 2, v3
	s_and_b64 s[16:17], vcc, s[24:25]
	v_cmp_eq_u32_e64 s[24:25], 2, v1
	s_and_b64 s[72:73], s[6:7], s[24:25]
	v_cmp_eq_u32_e64 s[24:25], 2, v4
	s_and_b64 s[74:75], s[20:21], s[24:25]
	v_cmp_eq_u32_e64 s[24:25], 2, v2
	v_cndmask_b32_e64 v13, 0, 1, s[16:17]
	s_and_b64 s[76:77], s[22:23], s[24:25]
	v_cmp_ne_u32_e64 s[24:25], 0, v13
	v_cndmask_b32_e64 v13, 0, 1, s[72:73]
	s_bcnt1_i32_b64 s16, s[24:25]
	v_cmp_ne_u32_e64 s[24:25], 0, v13
	v_cndmask_b32_e64 v13, 0, 1, s[74:75]
	s_bcnt1_i32_b64 s17, s[24:25]
	v_cmp_ne_u32_e64 s[24:25], 0, v13
	v_cndmask_b32_e64 v13, 0, 1, s[76:77]
	s_add_i32 s16, s68, s16
	s_bcnt1_i32_b64 s71, s[24:25]
	v_cmp_ne_u32_e64 s[24:25], 0, v13
	s_add_i32 s16, s16, s17
	s_bcnt1_i32_b64 s24, s[24:25]
	s_add_i32 s16, s16, s71
	s_add_i32 s68, s16, s24
	v_cmp_eq_u32_e64 s[24:25], 3, v3
	s_and_b64 s[16:17], vcc, s[24:25]
	v_cmp_eq_u32_e32 vcc, 3, v1
	s_and_b64 s[6:7], s[6:7], vcc
	v_cmp_eq_u32_e32 vcc, 3, v4
	s_and_b64 s[20:21], s[20:21], vcc
	v_cmp_eq_u32_e32 vcc, 3, v2
	v_cndmask_b32_e64 v1, 0, 1, s[16:17]
	s_and_b64 s[22:23], s[22:23], vcc
	v_cmp_ne_u32_e32 vcc, 0, v1
	v_cndmask_b32_e64 v1, 0, 1, s[6:7]
	s_bcnt1_i32_b64 s16, vcc
	v_cmp_ne_u32_e32 vcc, 0, v1
	v_cndmask_b32_e64 v1, 0, 1, s[20:21]
	s_bcnt1_i32_b64 s6, vcc
	v_cmp_ne_u32_e32 vcc, 0, v1
	v_cndmask_b32_e64 v1, 0, 1, s[22:23]
	s_add_i32 s16, s67, s16
	s_bcnt1_i32_b64 s7, vcc
	v_cmp_ne_u32_e32 vcc, 0, v1
	s_add_i32 s6, s16, s6
	s_bcnt1_i32_b64 s17, vcc
	s_add_i32 s6, s6, s7
	s_add_i32 s67, s6, s17
	v_cmp_le_i32_e32 vcc, s66, v12
	s_or_b64 s[64:65], vcc, s[64:65]
	v_mov_b32_e32 v1, s70
	v_mov_b32_e32 v2, s69
	;; [unrolled: 1-line block ×4, first 2 shown]
	s_andn2_b64 exec, exec, s[64:65]
	s_cbranch_execnz .LBB56_59
; %bb.60:                               ;   in Loop: Header=BB56_7 Depth=1
	s_or_b64 exec, exec, s[64:65]
.LBB56_61:                              ;   in Loop: Header=BB56_7 Depth=1
	s_or_b64 exec, exec, s[26:27]
	v_add_u32_e32 v6, s66, v0
	v_cmp_gt_i32_e32 vcc, s45, v6
	s_and_saveexec_b64 s[64:65], vcc
	s_cbranch_execz .LBB56_65
; %bb.62:                               ;   in Loop: Header=BB56_7 Depth=1
	v_lshlrev_b32_e32 v12, 1, v6
	s_mov_b64 s[66:67], 0
.LBB56_63:                              ;   Parent Loop BB56_7 Depth=1
                                        ; =>  This Inner Loop Header: Depth=2
	ds_read_u16 v13, v12
	v_add_u32_e32 v6, s34, v6
	v_cmp_le_i32_e32 vcc, s45, v6
	v_add_u32_e32 v12, s44, v12
	s_waitcnt lgkmcnt(0)
	v_cmp_lt_i16_e64 s[6:7], -1, v13
	s_waitcnt vmcnt(0)
	v_cndmask_b32_e64 v40, v33, v34, s[6:7]
	v_xor_b32_sdwa v40, v40, v13 dst_sel:DWORD dst_unused:UNUSED_PAD src0_sel:DWORD src1_sel:WORD_0
	v_cmp_o_f16_e64 s[6:7], v13, v13
	v_cndmask_b32_e64 v13, v33, v40, s[6:7]
	v_and_b32_e32 v40, v13, v37
	v_bfe_u32 v13, v13, v32, 2
	v_cmp_eq_u32_e64 s[6:7], v40, v28
	v_cmp_eq_u32_e64 s[20:21], 0, v13
	;; [unrolled: 1-line block ×3, first 2 shown]
	s_and_b64 s[16:17], s[6:7], s[20:21]
	v_cmp_eq_u32_e64 s[24:25], 2, v13
	v_cmp_eq_u32_e64 s[26:27], 3, v13
	v_cndmask_b32_e64 v13, 0, 1, s[16:17]
	s_and_b64 s[16:17], s[6:7], s[22:23]
	v_cndmask_b32_e64 v40, 0, 1, s[16:17]
	s_and_b64 s[16:17], s[6:7], s[24:25]
	s_and_b64 s[6:7], s[6:7], s[26:27]
	v_cndmask_b32_e64 v41, 0, 1, s[16:17]
	v_cndmask_b32_e64 v42, 0, 1, s[6:7]
	v_cmp_ne_u32_e64 s[6:7], 0, v13
	v_cmp_ne_u32_e64 s[20:21], 0, v40
	;; [unrolled: 1-line block ×4, first 2 shown]
	s_bcnt1_i32_b64 s6, s[6:7]
	s_bcnt1_i32_b64 s7, s[20:21]
	;; [unrolled: 1-line block ×4, first 2 shown]
	v_add_u32_e32 v1, s6, v1
	v_add_u32_e32 v2, s7, v2
	v_add_u32_e32 v3, s16, v3
	s_or_b64 s[66:67], vcc, s[66:67]
	v_add_u32_e32 v4, s17, v4
	s_andn2_b64 exec, exec, s[66:67]
	s_cbranch_execnz .LBB56_63
; %bb.64:                               ;   in Loop: Header=BB56_7 Depth=1
	s_or_b64 exec, exec, s[66:67]
.LBB56_65:                              ;   in Loop: Header=BB56_7 Depth=1
	s_or_b64 exec, exec, s[64:65]
	s_lshl_b32 s16, s18, 6
	s_and_saveexec_b64 s[6:7], s[2:3]
	s_cbranch_execnz .LBB56_37
	s_branch .LBB56_38
.LBB56_66:                              ;   in Loop: Header=BB56_7 Depth=1
	s_or_b64 exec, exec, s[22:23]
	s_waitcnt lgkmcnt(0)
	s_barrier
	s_and_saveexec_b64 s[6:7], s[0:1]
	s_cbranch_execz .LBB56_68
; %bb.67:                               ;   in Loop: Header=BB56_7 Depth=1
	ds_read_b32 v1, v7 offset:4104
	s_waitcnt lgkmcnt(0)
	ds_write_b32 v7, v1 offset:4096
.LBB56_68:                              ;   in Loop: Header=BB56_7 Depth=1
	s_or_b64 exec, exec, s[6:7]
	s_waitcnt lgkmcnt(0)
	s_barrier
	s_mov_b64 s[6:7], -1
	s_and_b64 vcc, exec, s[20:21]
	s_cbranch_vccnz .LBB56_22
	s_branch .LBB56_32
.LBB56_69:                              ;   in Loop: Header=BB56_7 Depth=1
	v_mov_b32_e32 v1, 0
	s_mov_b32 s17, 0
.LBB56_70:                              ;   in Loop: Header=BB56_7 Depth=1
	v_readlane_b32 s20, v44, 12
	v_readlane_b32 s21, v44, 13
	s_andn2_b64 vcc, exec, s[20:21]
	s_cbranch_vccnz .LBB56_73
; %bb.71:                               ;   in Loop: Header=BB56_7 Depth=1
	s_lshl_b32 s20, s18, 8
	s_lshl_b32 s17, s17, 4
	s_add_i32 s20, s20, s17
	v_add_u32_e32 v2, s20, v31
	v_readlane_b32 s17, v44, 11
.LBB56_72:                              ;   Parent Loop BB56_7 Depth=1
                                        ; =>  This Inner Loop Header: Depth=2
	ds_read_b32 v3, v2
	s_add_i32 s17, s17, -1
	v_add_u32_e32 v2, 16, v2
	s_cmp_lg_u32 s17, 0
	s_waitcnt lgkmcnt(0)
	v_add_u32_e32 v1, v3, v1
	s_cbranch_scc1 .LBB56_72
.LBB56_73:                              ;   in Loop: Header=BB56_7 Depth=1
	v_add_lshl_u32 v2, s16, v15, 2
	ds_write_b32 v2, v1 offset:3072
.LBB56_74:                              ;   in Loop: Header=BB56_7 Depth=1
	s_or_b64 exec, exec, s[6:7]
	s_lshl_b32 s6, s16, 2
	v_mov_b32_e32 v1, s6
	s_waitcnt lgkmcnt(0)
	s_barrier
	ds_read_b128 v[1:4], v1 offset:3072
	v_cmp_eq_u32_e32 vcc, 1, v39
	s_mov_b64 s[20:21], -1
	s_mov_b64 s[64:65], -1
                                        ; implicit-def: $sgpr26_sgpr27
                                        ; implicit-def: $sgpr24_sgpr25
	s_waitcnt lgkmcnt(0)
	v_readfirstlane_b32 s76, v1
	s_cmp_eq_u32 s76, 1
	v_readfirstlane_b32 s88, v3
	v_lshlrev_b32_e64 v3, v32, 3
	s_cselect_b64 s[6:7], -1, 0
	v_readfirstlane_b32 s80, v2
	v_readfirstlane_b32 s45, v4
	v_not_b32_e32 v6, v3
	s_and_b64 s[22:23], s[6:7], vcc
	s_and_saveexec_b64 s[6:7], s[22:23]
	s_cbranch_execz .LBB56_102
; %bb.75:                               ;   in Loop: Header=BB56_7 Depth=1
	ds_read_b32 v1, v7 offset:4096
	s_waitcnt lgkmcnt(0)
	s_barrier
	v_readfirstlane_b32 s16, v1
	s_and_saveexec_b64 s[24:25], s[4:5]
; %bb.76:                               ;   in Loop: Header=BB56_7 Depth=1
	ds_write_b16 v17, v7
; %bb.77:                               ;   in Loop: Header=BB56_7 Depth=1
	s_or_b64 exec, exec, s[24:25]
	v_and_b32_e32 v28, v28, v6
	v_or_b32_e32 v37, v37, v3
	s_mov_b64 s[24:25], -1
	s_mov_b64 s[26:27], 0
	s_cmp_lt_i32 s16, 1
	s_mov_b64 s[64:65], 0
	s_mov_b64 s[66:67], -1
	s_waitcnt lgkmcnt(0)
	s_barrier
                                        ; implicit-def: $vgpr38
	s_cbranch_scc0 .LBB56_89
; %bb.78:                               ;   in Loop: Header=BB56_7 Depth=1
	s_mov_b64 s[66:67], 0
                                        ; implicit-def: $vgpr38
	s_mov_b64 s[68:69], exec
	v_readlane_b32 s70, v44, 14
	v_readlane_b32 s71, v44, 15
	s_and_b64 s[70:71], s[68:69], s[70:71]
	s_mov_b64 exec, s[70:71]
	s_cbranch_execz .LBB56_88
; %bb.79:                               ;   in Loop: Header=BB56_7 Depth=1
	v_mov_b32_e32 v1, v5
	v_mov_b32_e32 v4, v0
                                        ; implicit-def: $sgpr70_sgpr71
	s_branch .LBB56_83
.LBB56_80:                              ;   in Loop: Header=BB56_83 Depth=2
	s_or_b64 exec, exec, s[72:73]
	s_waitcnt lgkmcnt(0)
	s_barrier
	ds_read_b32 v2, v7 offset:3072
	s_waitcnt lgkmcnt(0)
	s_barrier
	v_cmp_neq_f16_e32 vcc, 0, v2
	s_cbranch_vccnz .LBB56_86
; %bb.81:                               ;   in Loop: Header=BB56_83 Depth=2
	v_add_u32_e32 v4, s34, v4
	v_cmp_le_i32_e32 vcc, s47, v4
	v_add_u32_e32 v1, s36, v1
	s_mov_b64 s[72:73], 0
	s_orn2_b64 s[74:75], vcc, exec
.LBB56_82:                              ;   in Loop: Header=BB56_83 Depth=2
	s_and_b64 s[74:75], exec, s[74:75]
	s_or_b64 s[64:65], s[74:75], s[64:65]
	s_andn2_b64 s[70:71], s[70:71], exec
	s_and_b64 s[72:73], s[72:73], exec
	s_or_b64 s[70:71], s[70:71], s[72:73]
	s_andn2_b64 exec, exec, s[64:65]
	s_cbranch_execz .LBB56_87
.LBB56_83:                              ;   Parent Loop BB56_7 Depth=1
                                        ; =>  This Inner Loop Header: Depth=2
	v_cmp_gt_i32_e32 vcc, s28, v4
	s_and_saveexec_b64 s[72:73], vcc
	s_cbranch_execz .LBB56_80
; %bb.84:                               ;   in Loop: Header=BB56_83 Depth=2
	v_ashrrev_i32_e32 v2, 31, v1
	v_lshlrev_b64 v[12:13], 1, v[1:2]
	v_mov_b32_e32 v2, s35
	v_add_co_u32_e32 v12, vcc, s30, v12
	v_addc_co_u32_e32 v13, vcc, v2, v13, vcc
	global_load_ushort v2, v[12:13], off
	s_waitcnt vmcnt(0)
	v_cmp_lt_i16_e32 vcc, -1, v2
	v_cndmask_b32_e32 v12, v33, v34, vcc
	v_xor_b32_sdwa v12, v12, v2 dst_sel:DWORD dst_unused:UNUSED_PAD src0_sel:DWORD src1_sel:WORD_0
	v_cmp_o_f16_e32 vcc, v2, v2
	v_cndmask_b32_e32 v12, v33, v12, vcc
	v_and_b32_e32 v12, v12, v37
	v_cmp_eq_u32_e32 vcc, v12, v28
	s_and_b64 exec, exec, vcc
	s_cbranch_execz .LBB56_80
; %bb.85:                               ;   in Loop: Header=BB56_83 Depth=2
	v_perm_b32 v2, v2, s29, v36
	ds_write_b32 v7, v2 offset:3072
	s_branch .LBB56_80
.LBB56_86:                              ;   in Loop: Header=BB56_83 Depth=2
	s_mov_b64 s[74:75], -1
                                        ; implicit-def: $vgpr4
                                        ; implicit-def: $vgpr1
	s_mov_b64 s[72:73], -1
	s_branch .LBB56_82
.LBB56_87:                              ;   in Loop: Header=BB56_7 Depth=1
	s_or_b64 exec, exec, s[64:65]
	v_lshrrev_b32_e32 v38, 16, v2
	s_and_b64 s[64:65], s[70:71], exec
.LBB56_88:                              ;   in Loop: Header=BB56_7 Depth=1
	s_or_b64 exec, exec, s[68:69]
.LBB56_89:                              ;   in Loop: Header=BB56_7 Depth=1
	s_and_b64 vcc, exec, s[66:67]
	s_cbranch_vccz .LBB56_101
; %bb.90:                               ;   in Loop: Header=BB56_7 Depth=1
	s_add_i32 s17, s16, s33
	s_abs_i32 s25, s17
	s_mul_hi_u32 s26, s25, s46
	s_mul_i32 s26, s26, s34
	s_sub_i32 s25, s25, s26
	s_ashr_i32 s24, s17, 31
	s_sub_i32 s26, s25, s34
	s_cmp_ge_u32 s25, s34
	s_cselect_b32 s25, s26, s25
	s_sub_i32 s26, s25, s34
	s_cmp_ge_u32 s25, s34
	s_cselect_b32 s25, s26, s25
	s_xor_b32 s25, s25, s24
	s_sub_i32 s24, s24, s25
	s_add_i32 s17, s17, s24
	v_cmp_gt_i32_e32 vcc, s17, v0
                                        ; implicit-def: $vgpr38
	s_and_saveexec_b64 s[24:25], vcc
	s_cbranch_execz .LBB56_100
; %bb.91:                               ;   in Loop: Header=BB56_7 Depth=1
	s_mov_b64 s[26:27], 0
	v_mov_b32_e32 v1, v16
	v_mov_b32_e32 v2, v0
                                        ; implicit-def: $sgpr66_sgpr67
	s_branch .LBB56_95
.LBB56_92:                              ;   in Loop: Header=BB56_95 Depth=2
	s_or_b64 exec, exec, s[68:69]
	s_waitcnt lgkmcnt(0)
	s_barrier
	ds_read_b32 v4, v7 offset:3072
	s_waitcnt lgkmcnt(0)
	s_barrier
	v_cmp_neq_f16_e32 vcc, 0, v4
	s_cbranch_vccnz .LBB56_98
; %bb.93:                               ;   in Loop: Header=BB56_95 Depth=2
	v_add_u32_e32 v2, s34, v2
	v_cmp_le_i32_e32 vcc, s17, v2
	v_add_u32_e32 v1, s44, v1
	s_mov_b64 s[68:69], 0
	s_orn2_b64 s[70:71], vcc, exec
.LBB56_94:                              ;   in Loop: Header=BB56_95 Depth=2
	s_and_b64 s[70:71], exec, s[70:71]
	s_or_b64 s[26:27], s[70:71], s[26:27]
	s_andn2_b64 s[66:67], s[66:67], exec
	s_and_b64 s[68:69], s[68:69], exec
	s_or_b64 s[66:67], s[66:67], s[68:69]
	s_andn2_b64 exec, exec, s[26:27]
	s_cbranch_execz .LBB56_99
.LBB56_95:                              ;   Parent Loop BB56_7 Depth=1
                                        ; =>  This Inner Loop Header: Depth=2
	v_cmp_gt_i32_e32 vcc, s16, v2
	s_and_saveexec_b64 s[68:69], vcc
	s_cbranch_execz .LBB56_92
; %bb.96:                               ;   in Loop: Header=BB56_95 Depth=2
	ds_read_u16 v4, v1
	s_waitcnt lgkmcnt(0)
	v_cmp_lt_i16_e32 vcc, -1, v4
	v_cndmask_b32_e32 v12, v33, v34, vcc
	v_xor_b32_sdwa v12, v12, v4 dst_sel:DWORD dst_unused:UNUSED_PAD src0_sel:DWORD src1_sel:WORD_0
	v_cmp_o_f16_e32 vcc, v4, v4
	v_cndmask_b32_e32 v12, v33, v12, vcc
	v_and_b32_e32 v12, v12, v37
	v_cmp_eq_u32_e32 vcc, v12, v28
	s_and_b64 exec, exec, vcc
	s_cbranch_execz .LBB56_92
; %bb.97:                               ;   in Loop: Header=BB56_95 Depth=2
	v_perm_b32 v4, v4, s29, v36
	ds_write_b32 v7, v4 offset:3072
	s_branch .LBB56_92
.LBB56_98:                              ;   in Loop: Header=BB56_95 Depth=2
	s_mov_b64 s[70:71], -1
                                        ; implicit-def: $vgpr2
                                        ; implicit-def: $vgpr1
	s_mov_b64 s[68:69], -1
	s_branch .LBB56_94
.LBB56_99:                              ;   in Loop: Header=BB56_7 Depth=1
	s_or_b64 exec, exec, s[26:27]
	s_andn2_b64 s[16:17], s[64:65], exec
	s_and_b64 s[26:27], s[66:67], exec
	v_lshrrev_b32_e32 v38, 16, v4
	s_or_b64 s[64:65], s[16:17], s[26:27]
.LBB56_100:                             ;   in Loop: Header=BB56_7 Depth=1
	s_or_b64 exec, exec, s[24:25]
	s_mov_b64 s[24:25], 0
	s_mov_b64 s[26:27], -1
.LBB56_101:                             ;   in Loop: Header=BB56_7 Depth=1
	s_orn2_b64 s[64:65], s[64:65], exec
.LBB56_102:                             ;   in Loop: Header=BB56_7 Depth=1
	s_or_b64 exec, exec, s[6:7]
	s_andn2_b64 s[6:7], s[62:63], exec
	s_and_b64 s[26:27], s[26:27], exec
	s_or_b64 s[62:63], s[6:7], s[26:27]
	s_andn2_b64 s[6:7], s[60:61], exec
	s_and_b64 s[24:25], s[24:25], exec
	v_readfirstlane_b32 s16, v0
	s_andn2_b64 s[58:59], s[58:59], exec
	s_or_b64 s[60:61], s[6:7], s[24:25]
                                        ; implicit-def: $vgpr12
	s_and_saveexec_b64 s[6:7], s[64:65]
	s_cbranch_execz .LBB56_6
; %bb.103:                              ;   in Loop: Header=BB56_7 Depth=1
	s_xor_b64 s[16:17], s[22:23], -1
	s_mov_b64 s[22:23], 0
	v_mov_b32_e32 v12, 1
	v_mov_b32_e32 v4, 1
	s_and_saveexec_b64 s[20:21], s[16:17]
	s_cbranch_execz .LBB56_112
; %bb.104:                              ;   in Loop: Header=BB56_7 Depth=1
	v_cmp_ge_i32_e32 vcc, s76, v39
	s_and_saveexec_b64 s[16:17], vcc
	s_xor_b64 s[22:23], exec, s[16:17]
	s_cbranch_execz .LBB56_109
; %bb.105:                              ;   in Loop: Header=BB56_7 Depth=1
	ds_read_b32 v1, v7 offset:4096
	v_and_b32_e32 v28, v28, v6
	v_or_b32_e32 v37, v37, v3
	s_waitcnt lgkmcnt(0)
	v_cmp_ne_u32_e32 vcc, 0, v1
	s_cbranch_vccnz .LBB56_109
; %bb.106:                              ;   in Loop: Header=BB56_7 Depth=1
	s_and_saveexec_b64 s[24:25], s[0:1]
; %bb.107:                              ;   in Loop: Header=BB56_7 Depth=1
	v_mov_b32_e32 v1, s76
	ds_write_b32 v7, v1 offset:4100
; %bb.108:                              ;   in Loop: Header=BB56_7 Depth=1
	s_or_b64 exec, exec, s[24:25]
	s_waitcnt lgkmcnt(0)
	s_barrier
.LBB56_109:                             ;   in Loop: Header=BB56_7 Depth=1
	s_or_saveexec_b64 s[22:23], s[22:23]
	s_mov_b64 s[24:25], 0
	v_mov_b32_e32 v4, 8
	s_xor_b64 exec, exec, s[22:23]
; %bb.110:                              ;   in Loop: Header=BB56_7 Depth=1
	s_mov_b64 s[24:25], exec
	v_subrev_u32_e32 v39, s76, v39
	v_mov_b32_e32 v4, 0
; %bb.111:                              ;   in Loop: Header=BB56_7 Depth=1
	s_or_b64 exec, exec, s[22:23]
	s_and_b64 s[22:23], s[24:25], exec
	v_mov_b32_e32 v12, v39
.LBB56_112:                             ;   in Loop: Header=BB56_7 Depth=1
	s_or_b64 exec, exec, s[20:21]
	s_mov_b64 s[20:21], -1
	s_mov_b64 s[64:65], -1
                                        ; implicit-def: $sgpr24_sgpr25
                                        ; implicit-def: $sgpr26_sgpr27
	s_and_saveexec_b64 s[16:17], s[22:23]
	s_xor_b64 s[22:23], exec, s[16:17]
	s_cbranch_execz .LBB56_235
; %bb.113:                              ;   in Loop: Header=BB56_7 Depth=1
	s_cmp_eq_u32 s80, 1
	s_cselect_b64 s[16:17], -1, 0
	v_cmp_eq_u32_e32 vcc, 1, v12
	s_and_b64 s[66:67], s[16:17], vcc
	s_mov_b64 s[68:69], -1
                                        ; implicit-def: $sgpr26_sgpr27
                                        ; implicit-def: $sgpr24_sgpr25
	s_and_saveexec_b64 s[64:65], s[66:67]
	s_cbranch_execz .LBB56_141
; %bb.114:                              ;   in Loop: Header=BB56_7 Depth=1
	ds_read_b32 v1, v7 offset:4096
	s_waitcnt lgkmcnt(0)
	s_barrier
	v_readfirstlane_b32 s81, v1
	s_and_saveexec_b64 s[24:25], s[4:5]
; %bb.115:                              ;   in Loop: Header=BB56_7 Depth=1
	ds_write_b16 v17, v7
; %bb.116:                              ;   in Loop: Header=BB56_7 Depth=1
	s_or_b64 exec, exec, s[24:25]
	v_and_b32_e32 v1, v28, v6
	v_lshl_or_b32 v28, 1, v32, v1
	v_or_b32_e32 v37, v37, v3
	s_mov_b64 s[24:25], -1
	s_mov_b64 s[26:27], 0
	s_cmp_gt_i32 s81, 0
	s_mov_b64 s[68:69], 0
	s_mov_b64 s[70:71], -1
	s_waitcnt lgkmcnt(0)
	s_barrier
                                        ; implicit-def: $vgpr38
	s_cbranch_scc1 .LBB56_128
; %bb.117:                              ;   in Loop: Header=BB56_7 Depth=1
	s_mov_b64 s[70:71], 0
                                        ; implicit-def: $vgpr38
	s_mov_b64 s[72:73], exec
	v_readlane_b32 s16, v44, 14
	v_readlane_b32 s17, v44, 15
	s_and_b64 s[16:17], s[72:73], s[16:17]
	s_mov_b64 exec, s[16:17]
	s_cbranch_execz .LBB56_127
; %bb.118:                              ;   in Loop: Header=BB56_7 Depth=1
	v_mov_b32_e32 v1, v5
	v_mov_b32_e32 v13, v0
                                        ; implicit-def: $sgpr74_sgpr75
	s_branch .LBB56_122
.LBB56_119:                             ;   in Loop: Header=BB56_122 Depth=2
	s_or_b64 exec, exec, s[76:77]
	s_waitcnt lgkmcnt(0)
	s_barrier
	ds_read_b32 v2, v7 offset:3072
	s_waitcnt lgkmcnt(0)
	s_barrier
	v_cmp_neq_f16_e32 vcc, 0, v2
	s_cbranch_vccnz .LBB56_125
; %bb.120:                              ;   in Loop: Header=BB56_122 Depth=2
	v_add_u32_e32 v13, s34, v13
	v_cmp_le_i32_e32 vcc, s47, v13
	v_add_u32_e32 v1, s36, v1
	s_mov_b64 s[76:77], 0
	s_orn2_b64 s[78:79], vcc, exec
.LBB56_121:                             ;   in Loop: Header=BB56_122 Depth=2
	s_and_b64 s[16:17], exec, s[78:79]
	s_or_b64 s[68:69], s[16:17], s[68:69]
	s_andn2_b64 s[16:17], s[74:75], exec
	s_and_b64 s[74:75], s[76:77], exec
	s_or_b64 s[74:75], s[16:17], s[74:75]
	s_andn2_b64 exec, exec, s[68:69]
	s_cbranch_execz .LBB56_126
.LBB56_122:                             ;   Parent Loop BB56_7 Depth=1
                                        ; =>  This Inner Loop Header: Depth=2
	v_cmp_gt_i32_e32 vcc, s28, v13
	s_and_saveexec_b64 s[76:77], vcc
	s_cbranch_execz .LBB56_119
; %bb.123:                              ;   in Loop: Header=BB56_122 Depth=2
	v_ashrrev_i32_e32 v2, 31, v1
	v_lshlrev_b64 v[38:39], 1, v[1:2]
	v_mov_b32_e32 v2, s35
	v_add_co_u32_e32 v38, vcc, s30, v38
	v_addc_co_u32_e32 v39, vcc, v2, v39, vcc
	global_load_ushort v2, v[38:39], off
	s_waitcnt vmcnt(0)
	v_cmp_lt_i16_e32 vcc, -1, v2
	v_cndmask_b32_e32 v38, v33, v34, vcc
	v_xor_b32_sdwa v38, v38, v2 dst_sel:DWORD dst_unused:UNUSED_PAD src0_sel:DWORD src1_sel:WORD_0
	v_cmp_o_f16_e32 vcc, v2, v2
	v_cndmask_b32_e32 v38, v33, v38, vcc
	v_and_b32_e32 v38, v38, v37
	v_cmp_eq_u32_e32 vcc, v38, v28
	s_and_b64 exec, exec, vcc
	s_cbranch_execz .LBB56_119
; %bb.124:                              ;   in Loop: Header=BB56_122 Depth=2
	v_perm_b32 v2, v2, s29, v36
	ds_write_b32 v7, v2 offset:3072
	s_branch .LBB56_119
.LBB56_125:                             ;   in Loop: Header=BB56_122 Depth=2
	s_mov_b64 s[78:79], -1
                                        ; implicit-def: $vgpr13
                                        ; implicit-def: $vgpr1
	s_mov_b64 s[76:77], -1
	s_branch .LBB56_121
.LBB56_126:                             ;   in Loop: Header=BB56_7 Depth=1
	s_or_b64 exec, exec, s[68:69]
	v_lshrrev_b32_e32 v38, 16, v2
	s_and_b64 s[68:69], s[74:75], exec
.LBB56_127:                             ;   in Loop: Header=BB56_7 Depth=1
	s_or_b64 exec, exec, s[72:73]
.LBB56_128:                             ;   in Loop: Header=BB56_7 Depth=1
	s_and_b64 vcc, exec, s[70:71]
	s_cbranch_vccz .LBB56_140
; %bb.129:                              ;   in Loop: Header=BB56_7 Depth=1
	s_add_i32 s16, s81, s33
	s_abs_i32 s24, s16
	s_mul_hi_u32 s25, s24, s46
	s_mul_i32 s25, s25, s34
	s_sub_i32 s24, s24, s25
	s_ashr_i32 s17, s16, 31
	s_sub_i32 s25, s24, s34
	s_cmp_ge_u32 s24, s34
	s_cselect_b32 s24, s25, s24
	s_sub_i32 s25, s24, s34
	s_cmp_ge_u32 s24, s34
	s_cselect_b32 s24, s25, s24
	s_xor_b32 s24, s24, s17
	s_sub_i32 s17, s17, s24
	s_add_i32 s16, s16, s17
	v_cmp_gt_i32_e32 vcc, s16, v0
                                        ; implicit-def: $vgpr38
	s_and_saveexec_b64 s[24:25], vcc
	s_cbranch_execz .LBB56_139
; %bb.130:                              ;   in Loop: Header=BB56_7 Depth=1
	s_mov_b64 s[26:27], 0
	v_mov_b32_e32 v1, v16
	v_mov_b32_e32 v2, v0
                                        ; implicit-def: $sgpr70_sgpr71
	s_branch .LBB56_134
.LBB56_131:                             ;   in Loop: Header=BB56_134 Depth=2
	s_or_b64 exec, exec, s[72:73]
	s_waitcnt lgkmcnt(0)
	s_barrier
	ds_read_b32 v13, v7 offset:3072
	s_waitcnt lgkmcnt(0)
	s_barrier
	v_cmp_eq_f16_e32 vcc, 0, v13
	s_cbranch_vccz .LBB56_137
; %bb.132:                              ;   in Loop: Header=BB56_134 Depth=2
	v_add_u32_e32 v2, s34, v2
	v_cmp_le_i32_e32 vcc, s16, v2
	v_add_u32_e32 v1, s44, v1
	s_mov_b64 s[72:73], 0
	s_orn2_b64 s[74:75], vcc, exec
.LBB56_133:                             ;   in Loop: Header=BB56_134 Depth=2
	s_and_b64 s[74:75], exec, s[74:75]
	s_or_b64 s[26:27], s[74:75], s[26:27]
	s_andn2_b64 s[70:71], s[70:71], exec
	s_and_b64 s[72:73], s[72:73], exec
	s_or_b64 s[70:71], s[70:71], s[72:73]
	s_andn2_b64 exec, exec, s[26:27]
	s_cbranch_execz .LBB56_138
.LBB56_134:                             ;   Parent Loop BB56_7 Depth=1
                                        ; =>  This Inner Loop Header: Depth=2
	v_cmp_gt_i32_e32 vcc, s81, v2
	s_and_saveexec_b64 s[72:73], vcc
	s_cbranch_execz .LBB56_131
; %bb.135:                              ;   in Loop: Header=BB56_134 Depth=2
	ds_read_u16 v13, v1
	s_waitcnt lgkmcnt(0)
	v_cmp_lt_i16_e32 vcc, -1, v13
	v_cndmask_b32_e32 v38, v33, v34, vcc
	v_xor_b32_sdwa v38, v38, v13 dst_sel:DWORD dst_unused:UNUSED_PAD src0_sel:DWORD src1_sel:WORD_0
	v_cmp_o_f16_e32 vcc, v13, v13
	v_cndmask_b32_e32 v38, v33, v38, vcc
	v_and_b32_e32 v38, v38, v37
	v_cmp_eq_u32_e32 vcc, v38, v28
	s_and_b64 exec, exec, vcc
	s_cbranch_execz .LBB56_131
; %bb.136:                              ;   in Loop: Header=BB56_134 Depth=2
	v_perm_b32 v13, v13, s29, v36
	ds_write_b32 v7, v13 offset:3072
	s_branch .LBB56_131
.LBB56_137:                             ;   in Loop: Header=BB56_134 Depth=2
	s_mov_b64 s[74:75], -1
                                        ; implicit-def: $vgpr2
                                        ; implicit-def: $vgpr1
	s_mov_b64 s[72:73], -1
	s_branch .LBB56_133
.LBB56_138:                             ;   in Loop: Header=BB56_7 Depth=1
	s_or_b64 exec, exec, s[26:27]
	s_andn2_b64 s[16:17], s[68:69], exec
	s_and_b64 s[26:27], s[70:71], exec
	v_lshrrev_b32_e32 v38, 16, v13
	s_or_b64 s[68:69], s[16:17], s[26:27]
.LBB56_139:                             ;   in Loop: Header=BB56_7 Depth=1
	s_or_b64 exec, exec, s[24:25]
	s_mov_b64 s[24:25], 0
	s_mov_b64 s[26:27], -1
.LBB56_140:                             ;   in Loop: Header=BB56_7 Depth=1
	s_orn2_b64 s[68:69], s[68:69], exec
.LBB56_141:                             ;   in Loop: Header=BB56_7 Depth=1
	s_or_b64 exec, exec, s[64:65]
	s_mov_b64 s[70:71], 0
	s_and_saveexec_b64 s[64:65], s[68:69]
	s_cbranch_execz .LBB56_234
; %bb.142:                              ;   in Loop: Header=BB56_7 Depth=1
	s_xor_b64 s[16:17], s[66:67], -1
	s_mov_b64 s[74:75], 0
	v_mov_b32_e32 v13, 1
	v_mov_b32_e32 v4, 1
	s_and_saveexec_b64 s[66:67], s[16:17]
	s_cbranch_execz .LBB56_151
; %bb.143:                              ;   in Loop: Header=BB56_7 Depth=1
	v_cmp_ge_i32_e32 vcc, s80, v12
	s_and_saveexec_b64 s[16:17], vcc
	s_xor_b64 s[68:69], exec, s[16:17]
	s_cbranch_execz .LBB56_148
; %bb.144:                              ;   in Loop: Header=BB56_7 Depth=1
	ds_read_b32 v1, v7 offset:4096
	v_and_b32_e32 v2, v28, v6
	v_lshl_or_b32 v28, 1, v32, v2
	v_or_b32_e32 v37, v37, v3
	s_waitcnt lgkmcnt(0)
	v_cmp_ne_u32_e32 vcc, 0, v1
	s_cbranch_vccnz .LBB56_148
; %bb.145:                              ;   in Loop: Header=BB56_7 Depth=1
	s_and_saveexec_b64 s[70:71], s[0:1]
; %bb.146:                              ;   in Loop: Header=BB56_7 Depth=1
	v_mov_b32_e32 v1, s80
	ds_write_b32 v7, v1 offset:4100
; %bb.147:                              ;   in Loop: Header=BB56_7 Depth=1
	s_or_b64 exec, exec, s[70:71]
	s_waitcnt lgkmcnt(0)
	s_barrier
.LBB56_148:                             ;   in Loop: Header=BB56_7 Depth=1
	s_or_saveexec_b64 s[68:69], s[68:69]
	s_mov_b64 s[70:71], 0
	v_mov_b32_e32 v4, 8
	s_xor_b64 exec, exec, s[68:69]
; %bb.149:                              ;   in Loop: Header=BB56_7 Depth=1
	s_mov_b64 s[70:71], exec
	v_subrev_u32_e32 v12, s80, v12
	v_mov_b32_e32 v4, 0
; %bb.150:                              ;   in Loop: Header=BB56_7 Depth=1
	s_or_b64 exec, exec, s[68:69]
	s_and_b64 s[74:75], s[70:71], exec
	v_mov_b32_e32 v13, v12
.LBB56_151:                             ;   in Loop: Header=BB56_7 Depth=1
	s_or_b64 exec, exec, s[66:67]
	s_mov_b64 s[72:73], -1
                                        ; implicit-def: $sgpr68_sgpr69
                                        ; implicit-def: $sgpr70_sgpr71
	s_and_saveexec_b64 s[66:67], s[74:75]
	s_cbranch_execz .LBB56_233
; %bb.152:                              ;   in Loop: Header=BB56_7 Depth=1
	s_cmp_eq_u32 s88, 1
	s_cselect_b64 s[16:17], -1, 0
	v_cmp_eq_u32_e32 vcc, 1, v13
	s_and_b64 s[74:75], s[16:17], vcc
	s_mov_b64 s[76:77], -1
                                        ; implicit-def: $sgpr70_sgpr71
                                        ; implicit-def: $sgpr68_sgpr69
	s_and_saveexec_b64 s[72:73], s[74:75]
	s_cbranch_execz .LBB56_180
; %bb.153:                              ;   in Loop: Header=BB56_7 Depth=1
	ds_read_b32 v1, v7 offset:4096
	s_waitcnt lgkmcnt(0)
	s_barrier
	v_readfirstlane_b32 s89, v1
	s_and_saveexec_b64 s[68:69], s[4:5]
; %bb.154:                              ;   in Loop: Header=BB56_7 Depth=1
	ds_write_b16 v17, v7
; %bb.155:                              ;   in Loop: Header=BB56_7 Depth=1
	s_or_b64 exec, exec, s[68:69]
	v_and_b32_e32 v1, v28, v6
	v_lshl_or_b32 v28, 2, v32, v1
	v_or_b32_e32 v37, v37, v3
	s_mov_b64 s[68:69], -1
	s_mov_b64 s[70:71], 0
	s_cmp_gt_i32 s89, 0
	s_mov_b64 s[76:77], 0
	s_mov_b64 s[78:79], -1
	s_waitcnt lgkmcnt(0)
	s_barrier
                                        ; implicit-def: $vgpr38
	s_cbranch_scc1 .LBB56_167
; %bb.156:                              ;   in Loop: Header=BB56_7 Depth=1
	s_mov_b64 s[78:79], 0
                                        ; implicit-def: $vgpr38
	s_mov_b64 s[80:81], exec
	v_readlane_b32 s16, v44, 14
	v_readlane_b32 s17, v44, 15
	s_and_b64 s[16:17], s[80:81], s[16:17]
	s_mov_b64 exec, s[16:17]
	s_cbranch_execz .LBB56_166
; %bb.157:                              ;   in Loop: Header=BB56_7 Depth=1
	v_mov_b32_e32 v1, v5
	v_mov_b32_e32 v12, v0
                                        ; implicit-def: $sgpr82_sgpr83
	s_branch .LBB56_161
.LBB56_158:                             ;   in Loop: Header=BB56_161 Depth=2
	s_or_b64 exec, exec, s[84:85]
	s_waitcnt lgkmcnt(0)
	s_barrier
	ds_read_b32 v2, v7 offset:3072
	s_waitcnt lgkmcnt(0)
	s_barrier
	v_cmp_neq_f16_e32 vcc, 0, v2
	s_cbranch_vccnz .LBB56_164
; %bb.159:                              ;   in Loop: Header=BB56_161 Depth=2
	v_add_u32_e32 v12, s34, v12
	v_cmp_le_i32_e32 vcc, s47, v12
	v_add_u32_e32 v1, s36, v1
	s_mov_b64 s[84:85], 0
	s_orn2_b64 s[86:87], vcc, exec
.LBB56_160:                             ;   in Loop: Header=BB56_161 Depth=2
	s_and_b64 s[16:17], exec, s[86:87]
	s_or_b64 s[76:77], s[16:17], s[76:77]
	s_andn2_b64 s[16:17], s[82:83], exec
	s_and_b64 s[82:83], s[84:85], exec
	s_or_b64 s[82:83], s[16:17], s[82:83]
	s_andn2_b64 exec, exec, s[76:77]
	s_cbranch_execz .LBB56_165
.LBB56_161:                             ;   Parent Loop BB56_7 Depth=1
                                        ; =>  This Inner Loop Header: Depth=2
	v_cmp_gt_i32_e32 vcc, s28, v12
	s_and_saveexec_b64 s[84:85], vcc
	s_cbranch_execz .LBB56_158
; %bb.162:                              ;   in Loop: Header=BB56_161 Depth=2
	v_ashrrev_i32_e32 v2, 31, v1
	v_lshlrev_b64 v[38:39], 1, v[1:2]
	v_mov_b32_e32 v2, s35
	v_add_co_u32_e32 v38, vcc, s30, v38
	v_addc_co_u32_e32 v39, vcc, v2, v39, vcc
	global_load_ushort v2, v[38:39], off
	s_waitcnt vmcnt(0)
	v_cmp_lt_i16_e32 vcc, -1, v2
	v_cndmask_b32_e32 v38, v33, v34, vcc
	v_xor_b32_sdwa v38, v38, v2 dst_sel:DWORD dst_unused:UNUSED_PAD src0_sel:DWORD src1_sel:WORD_0
	v_cmp_o_f16_e32 vcc, v2, v2
	v_cndmask_b32_e32 v38, v33, v38, vcc
	v_and_b32_e32 v38, v38, v37
	v_cmp_eq_u32_e32 vcc, v38, v28
	s_and_b64 exec, exec, vcc
	s_cbranch_execz .LBB56_158
; %bb.163:                              ;   in Loop: Header=BB56_161 Depth=2
	v_perm_b32 v2, v2, s29, v36
	ds_write_b32 v7, v2 offset:3072
	s_branch .LBB56_158
.LBB56_164:                             ;   in Loop: Header=BB56_161 Depth=2
	s_mov_b64 s[86:87], -1
                                        ; implicit-def: $vgpr12
                                        ; implicit-def: $vgpr1
	s_mov_b64 s[84:85], -1
	s_branch .LBB56_160
.LBB56_165:                             ;   in Loop: Header=BB56_7 Depth=1
	s_or_b64 exec, exec, s[76:77]
	v_lshrrev_b32_e32 v38, 16, v2
	s_and_b64 s[76:77], s[82:83], exec
.LBB56_166:                             ;   in Loop: Header=BB56_7 Depth=1
	s_or_b64 exec, exec, s[80:81]
.LBB56_167:                             ;   in Loop: Header=BB56_7 Depth=1
	s_and_b64 vcc, exec, s[78:79]
	s_cbranch_vccz .LBB56_179
; %bb.168:                              ;   in Loop: Header=BB56_7 Depth=1
	s_add_i32 s16, s89, s33
	s_abs_i32 s68, s16
	s_mul_hi_u32 s69, s68, s46
	s_mul_i32 s69, s69, s34
	s_sub_i32 s68, s68, s69
	s_ashr_i32 s17, s16, 31
	s_sub_i32 s69, s68, s34
	s_cmp_ge_u32 s68, s34
	s_cselect_b32 s68, s69, s68
	s_sub_i32 s69, s68, s34
	s_cmp_ge_u32 s68, s34
	s_cselect_b32 s68, s69, s68
	s_xor_b32 s68, s68, s17
	s_sub_i32 s17, s17, s68
	s_add_i32 s16, s16, s17
	v_cmp_gt_i32_e32 vcc, s16, v0
                                        ; implicit-def: $vgpr38
	s_and_saveexec_b64 s[68:69], vcc
	s_cbranch_execz .LBB56_178
; %bb.169:                              ;   in Loop: Header=BB56_7 Depth=1
	s_mov_b64 s[70:71], 0
	v_mov_b32_e32 v1, v16
	v_mov_b32_e32 v2, v0
                                        ; implicit-def: $sgpr78_sgpr79
	s_branch .LBB56_173
.LBB56_170:                             ;   in Loop: Header=BB56_173 Depth=2
	s_or_b64 exec, exec, s[80:81]
	s_waitcnt lgkmcnt(0)
	s_barrier
	ds_read_b32 v12, v7 offset:3072
	s_waitcnt lgkmcnt(0)
	s_barrier
	v_cmp_eq_f16_e32 vcc, 0, v12
	s_cbranch_vccz .LBB56_176
; %bb.171:                              ;   in Loop: Header=BB56_173 Depth=2
	v_add_u32_e32 v2, s34, v2
	v_cmp_le_i32_e32 vcc, s16, v2
	v_add_u32_e32 v1, s44, v1
	s_mov_b64 s[80:81], 0
	s_orn2_b64 s[82:83], vcc, exec
.LBB56_172:                             ;   in Loop: Header=BB56_173 Depth=2
	s_and_b64 s[82:83], exec, s[82:83]
	s_or_b64 s[70:71], s[82:83], s[70:71]
	s_andn2_b64 s[78:79], s[78:79], exec
	s_and_b64 s[80:81], s[80:81], exec
	s_or_b64 s[78:79], s[78:79], s[80:81]
	s_andn2_b64 exec, exec, s[70:71]
	s_cbranch_execz .LBB56_177
.LBB56_173:                             ;   Parent Loop BB56_7 Depth=1
                                        ; =>  This Inner Loop Header: Depth=2
	v_cmp_gt_i32_e32 vcc, s89, v2
	s_and_saveexec_b64 s[80:81], vcc
	s_cbranch_execz .LBB56_170
; %bb.174:                              ;   in Loop: Header=BB56_173 Depth=2
	ds_read_u16 v12, v1
	s_waitcnt lgkmcnt(0)
	v_cmp_lt_i16_e32 vcc, -1, v12
	v_cndmask_b32_e32 v38, v33, v34, vcc
	v_xor_b32_sdwa v38, v38, v12 dst_sel:DWORD dst_unused:UNUSED_PAD src0_sel:DWORD src1_sel:WORD_0
	v_cmp_o_f16_e32 vcc, v12, v12
	v_cndmask_b32_e32 v38, v33, v38, vcc
	v_and_b32_e32 v38, v38, v37
	v_cmp_eq_u32_e32 vcc, v38, v28
	s_and_b64 exec, exec, vcc
	s_cbranch_execz .LBB56_170
; %bb.175:                              ;   in Loop: Header=BB56_173 Depth=2
	v_perm_b32 v12, v12, s29, v36
	ds_write_b32 v7, v12 offset:3072
	s_branch .LBB56_170
.LBB56_176:                             ;   in Loop: Header=BB56_173 Depth=2
	s_mov_b64 s[82:83], -1
                                        ; implicit-def: $vgpr2
                                        ; implicit-def: $vgpr1
	s_mov_b64 s[80:81], -1
	s_branch .LBB56_172
.LBB56_177:                             ;   in Loop: Header=BB56_7 Depth=1
	s_or_b64 exec, exec, s[70:71]
	s_andn2_b64 s[16:17], s[76:77], exec
	s_and_b64 s[70:71], s[78:79], exec
	v_lshrrev_b32_e32 v38, 16, v12
	s_or_b64 s[76:77], s[16:17], s[70:71]
.LBB56_178:                             ;   in Loop: Header=BB56_7 Depth=1
	s_or_b64 exec, exec, s[68:69]
	s_mov_b64 s[68:69], 0
	s_mov_b64 s[70:71], -1
.LBB56_179:                             ;   in Loop: Header=BB56_7 Depth=1
	s_orn2_b64 s[76:77], s[76:77], exec
.LBB56_180:                             ;   in Loop: Header=BB56_7 Depth=1
	s_or_b64 exec, exec, s[72:73]
	s_mov_b64 s[78:79], 0
	s_and_saveexec_b64 s[72:73], s[76:77]
	s_cbranch_execz .LBB56_232
; %bb.181:                              ;   in Loop: Header=BB56_7 Depth=1
	s_xor_b64 s[16:17], s[74:75], -1
	s_mov_b64 s[82:83], 0
	v_mov_b32_e32 v12, 1
	v_mov_b32_e32 v4, 1
	s_and_saveexec_b64 s[74:75], s[16:17]
	s_cbranch_execz .LBB56_190
; %bb.182:                              ;   in Loop: Header=BB56_7 Depth=1
	v_cmp_ge_i32_e32 vcc, s88, v13
	s_and_saveexec_b64 s[16:17], vcc
	s_xor_b64 s[76:77], exec, s[16:17]
	s_cbranch_execz .LBB56_187
; %bb.183:                              ;   in Loop: Header=BB56_7 Depth=1
	ds_read_b32 v1, v7 offset:4096
	v_and_b32_e32 v2, v28, v6
	v_lshl_or_b32 v28, 2, v32, v2
	v_or_b32_e32 v37, v37, v3
	s_waitcnt lgkmcnt(0)
	v_cmp_ne_u32_e32 vcc, 0, v1
	s_cbranch_vccnz .LBB56_187
; %bb.184:                              ;   in Loop: Header=BB56_7 Depth=1
	s_and_saveexec_b64 s[78:79], s[0:1]
; %bb.185:                              ;   in Loop: Header=BB56_7 Depth=1
	v_mov_b32_e32 v1, s88
	ds_write_b32 v7, v1 offset:4100
; %bb.186:                              ;   in Loop: Header=BB56_7 Depth=1
	s_or_b64 exec, exec, s[78:79]
	s_waitcnt lgkmcnt(0)
	s_barrier
.LBB56_187:                             ;   in Loop: Header=BB56_7 Depth=1
	s_or_saveexec_b64 s[76:77], s[76:77]
	s_mov_b64 s[78:79], 0
	v_mov_b32_e32 v4, 8
	s_xor_b64 exec, exec, s[76:77]
; %bb.188:                              ;   in Loop: Header=BB56_7 Depth=1
	s_mov_b64 s[78:79], exec
	v_subrev_u32_e32 v13, s88, v13
	v_mov_b32_e32 v4, 0
; %bb.189:                              ;   in Loop: Header=BB56_7 Depth=1
	s_or_b64 exec, exec, s[76:77]
	s_and_b64 s[82:83], s[78:79], exec
	v_mov_b32_e32 v12, v13
.LBB56_190:                             ;   in Loop: Header=BB56_7 Depth=1
	s_or_b64 exec, exec, s[74:75]
	s_mov_b64 s[80:81], -1
                                        ; implicit-def: $sgpr78_sgpr79
                                        ; implicit-def: $sgpr76_sgpr77
	s_and_saveexec_b64 s[74:75], s[82:83]
	s_cbranch_execz .LBB56_231
; %bb.191:                              ;   in Loop: Header=BB56_7 Depth=1
	s_cmp_eq_u32 s45, 1
	s_cselect_b64 s[16:17], -1, 0
	v_cmp_eq_u32_e32 vcc, 1, v12
	s_and_b64 s[80:81], s[16:17], vcc
	s_mov_b64 s[84:85], -1
                                        ; implicit-def: $sgpr78_sgpr79
                                        ; implicit-def: $sgpr76_sgpr77
	s_and_saveexec_b64 s[82:83], s[80:81]
	s_cbranch_execz .LBB56_219
; %bb.192:                              ;   in Loop: Header=BB56_7 Depth=1
	ds_read_b32 v1, v7 offset:4096
	s_waitcnt lgkmcnt(0)
	s_barrier
	v_readfirstlane_b32 s16, v1
	s_and_saveexec_b64 s[76:77], s[4:5]
; %bb.193:                              ;   in Loop: Header=BB56_7 Depth=1
	ds_write_b16 v17, v7
; %bb.194:                              ;   in Loop: Header=BB56_7 Depth=1
	s_or_b64 exec, exec, s[76:77]
	v_or_b32_e32 v28, v28, v3
	v_or_b32_e32 v37, v37, v3
	s_mov_b64 s[76:77], -1
	s_mov_b64 s[78:79], 0
	s_cmp_gt_i32 s16, 0
	s_mov_b64 s[84:85], 0
	s_mov_b64 s[86:87], -1
	s_waitcnt lgkmcnt(0)
	s_barrier
                                        ; implicit-def: $vgpr38
	s_cbranch_scc1 .LBB56_206
; %bb.195:                              ;   in Loop: Header=BB56_7 Depth=1
	v_writelane_b32 v44, s92, 16
	s_mov_b64 s[86:87], 0
	v_writelane_b32 v44, s93, 17
                                        ; implicit-def: $vgpr38
	s_mov_b64 s[88:89], exec
	v_readlane_b32 s90, v44, 14
	v_readlane_b32 s91, v44, 15
	s_and_b64 s[90:91], s[88:89], s[90:91]
	s_mov_b64 exec, s[90:91]
	s_cbranch_execz .LBB56_205
; %bb.196:                              ;   in Loop: Header=BB56_7 Depth=1
	s_mov_b32 s17, s94
	v_mov_b32_e32 v1, v5
	v_mov_b32_e32 v6, v0
	v_writelane_b32 v44, s95, 18
                                        ; implicit-def: $sgpr90_sgpr91
	s_branch .LBB56_200
.LBB56_197:                             ;   in Loop: Header=BB56_200 Depth=2
	s_or_b64 exec, exec, s[92:93]
	s_waitcnt lgkmcnt(0)
	s_barrier
	ds_read_b32 v2, v7 offset:3072
	s_waitcnt lgkmcnt(0)
	s_barrier
	v_cmp_neq_f16_e32 vcc, 0, v2
	s_cbranch_vccnz .LBB56_203
; %bb.198:                              ;   in Loop: Header=BB56_200 Depth=2
	v_add_u32_e32 v6, s34, v6
	v_cmp_le_i32_e32 vcc, s47, v6
	v_add_u32_e32 v1, s36, v1
	s_mov_b64 s[92:93], 0
	s_orn2_b64 s[94:95], vcc, exec
.LBB56_199:                             ;   in Loop: Header=BB56_200 Depth=2
	s_and_b64 s[94:95], exec, s[94:95]
	s_or_b64 s[84:85], s[94:95], s[84:85]
	s_andn2_b64 s[90:91], s[90:91], exec
	s_and_b64 s[92:93], s[92:93], exec
	s_or_b64 s[90:91], s[90:91], s[92:93]
	s_andn2_b64 exec, exec, s[84:85]
	s_cbranch_execz .LBB56_204
.LBB56_200:                             ;   Parent Loop BB56_7 Depth=1
                                        ; =>  This Inner Loop Header: Depth=2
	v_cmp_gt_i32_e32 vcc, s28, v6
	s_and_saveexec_b64 s[92:93], vcc
	s_cbranch_execz .LBB56_197
; %bb.201:                              ;   in Loop: Header=BB56_200 Depth=2
	v_ashrrev_i32_e32 v2, 31, v1
	v_lshlrev_b64 v[38:39], 1, v[1:2]
	v_mov_b32_e32 v2, s35
	v_add_co_u32_e32 v38, vcc, s30, v38
	v_addc_co_u32_e32 v39, vcc, v2, v39, vcc
	global_load_ushort v2, v[38:39], off
	s_waitcnt vmcnt(0)
	v_cmp_lt_i16_e32 vcc, -1, v2
	v_cndmask_b32_e32 v13, v33, v34, vcc
	v_xor_b32_sdwa v13, v13, v2 dst_sel:DWORD dst_unused:UNUSED_PAD src0_sel:DWORD src1_sel:WORD_0
	v_cmp_o_f16_e32 vcc, v2, v2
	v_cndmask_b32_e32 v13, v33, v13, vcc
	v_and_b32_e32 v13, v13, v37
	v_cmp_eq_u32_e32 vcc, v13, v28
	s_and_b64 exec, exec, vcc
	s_cbranch_execz .LBB56_197
; %bb.202:                              ;   in Loop: Header=BB56_200 Depth=2
	v_perm_b32 v2, v2, s29, v36
	ds_write_b32 v7, v2 offset:3072
	s_branch .LBB56_197
.LBB56_203:                             ;   in Loop: Header=BB56_200 Depth=2
	s_mov_b64 s[94:95], -1
                                        ; implicit-def: $vgpr6
                                        ; implicit-def: $vgpr1
	s_mov_b64 s[92:93], -1
	s_branch .LBB56_199
.LBB56_204:                             ;   in Loop: Header=BB56_7 Depth=1
	s_or_b64 exec, exec, s[84:85]
	v_lshrrev_b32_e32 v38, 16, v2
	s_and_b64 s[84:85], s[90:91], exec
	s_mov_b32 s94, s17
	v_readlane_b32 s95, v44, 18
.LBB56_205:                             ;   in Loop: Header=BB56_7 Depth=1
	s_or_b64 exec, exec, s[88:89]
	v_readlane_b32 s92, v44, 16
	v_readlane_b32 s93, v44, 17
.LBB56_206:                             ;   in Loop: Header=BB56_7 Depth=1
	s_and_b64 vcc, exec, s[86:87]
	s_cbranch_vccz .LBB56_218
; %bb.207:                              ;   in Loop: Header=BB56_7 Depth=1
	s_add_i32 s17, s16, s33
	s_abs_i32 s77, s17
	s_mul_hi_u32 s78, s77, s46
	s_mul_i32 s78, s78, s34
	s_sub_i32 s77, s77, s78
	s_ashr_i32 s76, s17, 31
	s_sub_i32 s78, s77, s34
	s_cmp_ge_u32 s77, s34
	s_cselect_b32 s77, s78, s77
	s_sub_i32 s78, s77, s34
	s_cmp_ge_u32 s77, s34
	s_cselect_b32 s77, s78, s77
	s_xor_b32 s77, s77, s76
	s_sub_i32 s76, s76, s77
	s_add_i32 s17, s17, s76
	v_cmp_gt_i32_e32 vcc, s17, v0
                                        ; implicit-def: $vgpr38
	s_and_saveexec_b64 s[76:77], vcc
	s_cbranch_execz .LBB56_217
; %bb.208:                              ;   in Loop: Header=BB56_7 Depth=1
	s_mov_b64 s[78:79], 0
	v_mov_b32_e32 v1, v16
	v_mov_b32_e32 v2, v0
                                        ; implicit-def: $sgpr86_sgpr87
	s_branch .LBB56_212
.LBB56_209:                             ;   in Loop: Header=BB56_212 Depth=2
	s_or_b64 exec, exec, s[88:89]
	s_waitcnt lgkmcnt(0)
	s_barrier
	ds_read_b32 v6, v7 offset:3072
	s_waitcnt lgkmcnt(0)
	s_barrier
	v_cmp_eq_f16_e32 vcc, 0, v6
	s_cbranch_vccz .LBB56_215
; %bb.210:                              ;   in Loop: Header=BB56_212 Depth=2
	v_add_u32_e32 v2, s34, v2
	v_cmp_le_i32_e32 vcc, s17, v2
	v_add_u32_e32 v1, s44, v1
	s_mov_b64 s[88:89], 0
	s_orn2_b64 s[90:91], vcc, exec
.LBB56_211:                             ;   in Loop: Header=BB56_212 Depth=2
	s_and_b64 s[90:91], exec, s[90:91]
	s_or_b64 s[78:79], s[90:91], s[78:79]
	s_andn2_b64 s[86:87], s[86:87], exec
	s_and_b64 s[88:89], s[88:89], exec
	s_or_b64 s[86:87], s[86:87], s[88:89]
	s_andn2_b64 exec, exec, s[78:79]
	s_cbranch_execz .LBB56_216
.LBB56_212:                             ;   Parent Loop BB56_7 Depth=1
                                        ; =>  This Inner Loop Header: Depth=2
	v_cmp_gt_i32_e32 vcc, s16, v2
	s_and_saveexec_b64 s[88:89], vcc
	s_cbranch_execz .LBB56_209
; %bb.213:                              ;   in Loop: Header=BB56_212 Depth=2
	ds_read_u16 v6, v1
	s_waitcnt lgkmcnt(0)
	v_cmp_lt_i16_e32 vcc, -1, v6
	v_cndmask_b32_e32 v13, v33, v34, vcc
	v_xor_b32_sdwa v13, v13, v6 dst_sel:DWORD dst_unused:UNUSED_PAD src0_sel:DWORD src1_sel:WORD_0
	v_cmp_o_f16_e32 vcc, v6, v6
	v_cndmask_b32_e32 v13, v33, v13, vcc
	v_and_b32_e32 v13, v13, v37
	v_cmp_eq_u32_e32 vcc, v13, v28
	s_and_b64 exec, exec, vcc
	s_cbranch_execz .LBB56_209
; %bb.214:                              ;   in Loop: Header=BB56_212 Depth=2
	v_perm_b32 v6, v6, s29, v36
	ds_write_b32 v7, v6 offset:3072
	s_branch .LBB56_209
.LBB56_215:                             ;   in Loop: Header=BB56_212 Depth=2
	s_mov_b64 s[90:91], -1
                                        ; implicit-def: $vgpr2
                                        ; implicit-def: $vgpr1
	s_mov_b64 s[88:89], -1
	s_branch .LBB56_211
.LBB56_216:                             ;   in Loop: Header=BB56_7 Depth=1
	s_or_b64 exec, exec, s[78:79]
	s_andn2_b64 s[16:17], s[84:85], exec
	s_and_b64 s[78:79], s[86:87], exec
	v_lshrrev_b32_e32 v38, 16, v6
	s_or_b64 s[84:85], s[16:17], s[78:79]
.LBB56_217:                             ;   in Loop: Header=BB56_7 Depth=1
	s_or_b64 exec, exec, s[76:77]
	s_mov_b64 s[76:77], 0
	s_mov_b64 s[78:79], -1
.LBB56_218:                             ;   in Loop: Header=BB56_7 Depth=1
	s_orn2_b64 s[84:85], s[84:85], exec
.LBB56_219:                             ;   in Loop: Header=BB56_7 Depth=1
	s_or_b64 exec, exec, s[82:83]
	s_mov_b64 s[86:87], 0
	s_and_saveexec_b64 s[82:83], s[84:85]
	s_cbranch_execz .LBB56_230
; %bb.220:                              ;   in Loop: Header=BB56_7 Depth=1
	s_xor_b64 s[16:17], s[80:81], -1
	v_mov_b32_e32 v4, 1
	v_mov_b32_e32 v1, 1
	s_and_saveexec_b64 s[80:81], s[16:17]
	s_cbranch_execz .LBB56_229
; %bb.221:                              ;   in Loop: Header=BB56_7 Depth=1
	v_cmp_ge_i32_e32 vcc, s45, v12
	s_and_saveexec_b64 s[16:17], vcc
	s_xor_b64 s[84:85], exec, s[16:17]
	s_cbranch_execz .LBB56_226
; %bb.222:                              ;   in Loop: Header=BB56_7 Depth=1
	ds_read_b32 v1, v7 offset:4096
	v_or_b32_e32 v28, v28, v3
	v_or_b32_e32 v37, v37, v3
	s_waitcnt lgkmcnt(0)
	v_cmp_ne_u32_e32 vcc, 0, v1
	s_cbranch_vccnz .LBB56_226
; %bb.223:                              ;   in Loop: Header=BB56_7 Depth=1
	s_and_saveexec_b64 s[86:87], s[0:1]
; %bb.224:                              ;   in Loop: Header=BB56_7 Depth=1
	v_mov_b32_e32 v1, s45
	ds_write_b32 v7, v1 offset:4100
; %bb.225:                              ;   in Loop: Header=BB56_7 Depth=1
	s_or_b64 exec, exec, s[86:87]
	s_waitcnt lgkmcnt(0)
	s_barrier
.LBB56_226:                             ;   in Loop: Header=BB56_7 Depth=1
	s_andn2_saveexec_b64 s[84:85], s[84:85]
; %bb.227:                              ;   in Loop: Header=BB56_7 Depth=1
	v_subrev_u32_e32 v12, s45, v12
; %bb.228:                              ;   in Loop: Header=BB56_7 Depth=1
	s_or_b64 exec, exec, s[84:85]
	v_mov_b32_e32 v4, 8
	v_mov_b32_e32 v1, v12
.LBB56_229:                             ;   in Loop: Header=BB56_7 Depth=1
	s_or_b64 exec, exec, s[80:81]
	s_mov_b64 s[86:87], exec
	v_mov_b32_e32 v12, v1
.LBB56_230:                             ;   in Loop: Header=BB56_7 Depth=1
	s_or_b64 exec, exec, s[82:83]
	s_orn2_b64 s[80:81], s[86:87], exec
.LBB56_231:                             ;   in Loop: Header=BB56_7 Depth=1
	s_or_b64 exec, exec, s[74:75]
	s_andn2_b64 s[16:17], s[70:71], exec
	s_and_b64 s[70:71], s[78:79], exec
	s_or_b64 s[70:71], s[16:17], s[70:71]
	s_andn2_b64 s[16:17], s[68:69], exec
	s_and_b64 s[68:69], s[76:77], exec
	s_or_b64 s[68:69], s[16:17], s[68:69]
	s_and_b64 s[78:79], s[80:81], exec
	v_mov_b32_e32 v13, v12
.LBB56_232:                             ;   in Loop: Header=BB56_7 Depth=1
	s_or_b64 exec, exec, s[72:73]
	s_orn2_b64 s[72:73], s[78:79], exec
.LBB56_233:                             ;   in Loop: Header=BB56_7 Depth=1
	s_or_b64 exec, exec, s[66:67]
	s_andn2_b64 s[16:17], s[26:27], exec
	s_and_b64 s[26:27], s[70:71], exec
	s_or_b64 s[26:27], s[16:17], s[26:27]
	s_andn2_b64 s[16:17], s[24:25], exec
	s_and_b64 s[24:25], s[68:69], exec
	s_or_b64 s[24:25], s[16:17], s[24:25]
	s_and_b64 s[70:71], s[72:73], exec
	v_mov_b32_e32 v12, v13
.LBB56_234:                             ;   in Loop: Header=BB56_7 Depth=1
	s_or_b64 exec, exec, s[64:65]
	s_orn2_b64 s[64:65], s[70:71], exec
.LBB56_235:                             ;   in Loop: Header=BB56_7 Depth=1
	s_or_b64 exec, exec, s[22:23]
	s_mov_b64 s[66:67], 0
                                        ; implicit-def: $sgpr16
	s_and_saveexec_b64 s[22:23], s[64:65]
	s_xor_b64 s[22:23], exec, s[22:23]
	s_cbranch_execz .LBB56_5
; %bb.236:                              ;   in Loop: Header=BB56_7 Depth=1
	v_and_b32_e32 v1, 7, v4
	v_cmp_eq_u32_e32 vcc, 0, v1
	s_mov_b64 s[20:21], -1
	s_mov_b64 s[64:65], -1
                                        ; implicit-def: $sgpr16
	s_and_saveexec_b64 s[66:67], vcc
	s_cbranch_execz .LBB56_4
; %bb.237:                              ;   in Loop: Header=BB56_7 Depth=1
	v_add_u32_e32 v1, -2, v32
	v_cmp_eq_u32_e32 vcc, 0, v32
	s_xor_b32 s16, s18, 1
	s_xor_b64 s[64:65], exec, -1
	s_orn2_b64 s[20:21], vcc, exec
	v_mov_b32_e32 v32, v1
	s_branch .LBB56_4
.LBB56_238:
	s_or_b64 exec, exec, s[50:51]
	s_xor_b64 s[6:7], s[56:57], -1
	s_xor_b64 s[4:5], s[52:53], -1
	;; [unrolled: 1-line block ×3, first 2 shown]
	s_mov_b64 s[2:3], 0
	s_and_saveexec_b64 s[10:11], s[4:5]
	s_xor_b64 s[4:5], exec, s[10:11]
	s_cbranch_execnz .LBB56_243
; %bb.239:
	s_andn2_saveexec_b64 s[0:1], s[4:5]
	s_cbranch_execnz .LBB56_263
.LBB56_240:
	s_or_b64 exec, exec, s[0:1]
	s_and_saveexec_b64 s[0:1], s[2:3]
.LBB56_241:
	; divergent unreachable
.LBB56_242:
	s_endpgm
.LBB56_243:
	s_and_saveexec_b64 s[2:3], s[6:7]
	s_xor_b64 s[6:7], exec, s[2:3]
	s_cbranch_execz .LBB56_261
; %bb.244:
	s_and_saveexec_b64 s[2:3], s[8:9]
	s_xor_b64 s[2:3], exec, s[2:3]
; %bb.245:
	v_and_b32_e32 v1, 0x8000, v28
	v_mov_b32_e32 v2, 0x8000
	v_mov_b32_e32 v3, 0xffff
	v_cmp_eq_u32_e32 vcc, 0, v1
	v_cndmask_b32_e32 v1, v2, v3, vcc
	v_xor_b32_e32 v38, v1, v28
; %bb.246:
	s_or_b64 exec, exec, s[2:3]
	s_and_saveexec_b64 s[2:3], s[0:1]
; %bb.247:
	v_mov_b32_e32 v1, 0
	v_mov_b32_e32 v2, s28
	ds_write_b32 v1, v2 offset:4108
; %bb.248:
	s_or_b64 exec, exec, s[2:3]
	v_mov_b32_e32 v1, 0
	s_waitcnt lgkmcnt(0)
	s_barrier
	ds_read_b32 v1, v1 offset:4108
	s_waitcnt lgkmcnt(0)
	v_min_i32_e32 v1, s28, v1
	v_cmp_lt_i32_e32 vcc, v0, v1
	s_and_saveexec_b64 s[8:9], vcc
	s_cbranch_execz .LBB56_258
; %bb.249:
	v_cmp_u_f16_e32 vcc, v38, v38
	s_mov_b64 s[10:11], 0
	v_mov_b32_e32 v3, s35
	s_xor_b64 s[14:15], vcc, -1
                                        ; implicit-def: $sgpr12_sgpr13
                                        ; implicit-def: $sgpr18_sgpr19
                                        ; implicit-def: $sgpr16_sgpr17
	s_branch .LBB56_251
.LBB56_250:                             ;   in Loop: Header=BB56_251 Depth=1
	s_or_b64 exec, exec, s[2:3]
	s_and_b64 s[2:3], exec, s[18:19]
	s_or_b64 s[10:11], s[2:3], s[10:11]
	s_andn2_b64 s[2:3], s[12:13], exec
	s_and_b64 s[12:13], s[16:17], exec
	s_or_b64 s[12:13], s[2:3], s[12:13]
	s_andn2_b64 exec, exec, s[10:11]
	s_cbranch_execz .LBB56_253
.LBB56_251:                             ; =>This Inner Loop Header: Depth=1
	v_ashrrev_i32_e32 v6, 31, v5
	v_lshlrev_b64 v[6:7], 1, v[5:6]
	v_mov_b32_e32 v2, v0
	v_add_co_u32_e32 v6, vcc, s30, v6
	v_addc_co_u32_e32 v7, vcc, v3, v7, vcc
	global_load_ushort v4, v[6:7], off
	s_or_b64 s[16:17], s[16:17], exec
	s_or_b64 s[18:19], s[18:19], exec
                                        ; implicit-def: $vgpr0
	s_waitcnt vmcnt(0)
	v_cmp_o_f16_e64 s[2:3], v4, v4
	v_cmp_neq_f16_e32 vcc, v4, v38
	s_or_b64 s[2:3], s[14:15], s[2:3]
	s_and_b64 s[20:21], vcc, s[2:3]
	s_and_saveexec_b64 s[2:3], s[20:21]
	s_cbranch_execz .LBB56_250
; %bb.252:                              ;   in Loop: Header=BB56_251 Depth=1
	v_add_u32_e32 v0, s34, v2
	v_cmp_ge_i32_e32 vcc, v0, v1
	s_andn2_b64 s[18:19], s[18:19], exec
	s_and_b64 s[20:21], vcc, exec
	v_add_u32_e32 v5, s36, v5
	s_andn2_b64 s[16:17], s[16:17], exec
	s_or_b64 s[18:19], s[18:19], s[20:21]
	s_branch .LBB56_250
.LBB56_253:
	s_or_b64 exec, exec, s[10:11]
	s_and_saveexec_b64 s[2:3], s[12:13]
	s_xor_b64 s[2:3], exec, s[2:3]
	s_cbranch_execz .LBB56_258
; %bb.254:
	s_mov_b64 s[2:3], exec
	s_brev_b32 s10, -2
.LBB56_255:                             ; =>This Inner Loop Header: Depth=1
	s_ff1_i32_b64 s11, s[2:3]
	v_readlane_b32 s14, v2, s11
	s_lshl_b64 s[12:13], 1, s11
	s_min_i32 s10, s10, s14
	s_andn2_b64 s[2:3], s[2:3], s[12:13]
	s_cmp_lg_u64 s[2:3], 0
	s_cbranch_scc1 .LBB56_255
; %bb.256:
	v_mbcnt_lo_u32_b32 v0, exec_lo, 0
	v_mbcnt_hi_u32_b32 v0, exec_hi, v0
	v_cmp_eq_u32_e32 vcc, 0, v0
	s_and_saveexec_b64 s[2:3], vcc
	s_xor_b64 s[2:3], exec, s[2:3]
; %bb.257:
	v_mov_b32_e32 v0, 0
	v_mov_b32_e32 v1, s10
	ds_min_i32 v0, v1 offset:4108
.LBB56_258:
	s_or_b64 exec, exec, s[8:9]
	s_waitcnt lgkmcnt(0)
	s_barrier
	s_and_saveexec_b64 s[2:3], s[0:1]
	s_cbranch_execz .LBB56_260
; %bb.259:
	v_readlane_b32 s0, v44, 2
	s_mul_i32 s0, s0, s94
	s_ashr_i32 s1, s0, 31
	v_mov_b32_e32 v2, 0
	s_lshl_b64 s[0:1], s[0:1], 1
	ds_read_b32 v0, v2 offset:4108
	s_mul_i32 s8, s95, s94
	s_add_u32 s0, s92, s0
	s_addc_u32 s1, s93, s1
	s_ashr_i32 s9, s8, 31
	s_lshl_b64 s[8:9], s[8:9], 3
	v_readlane_b32 s10, v44, 0
	v_readlane_b32 s11, v44, 1
	s_add_u32 s8, s10, s8
	s_addc_u32 s9, s11, s9
	s_waitcnt lgkmcnt(0)
	v_ashrrev_i32_e32 v1, 31, v0
	global_store_dwordx2 v2, v[0:1], s[8:9]
	global_store_short v2, v38, s[0:1]
.LBB56_260:
	s_or_b64 exec, exec, s[2:3]
.LBB56_261:
	s_or_saveexec_b64 s[0:1], s[6:7]
	s_mov_b64 s[2:3], 0
	s_xor_b64 exec, exec, s[0:1]
	s_cbranch_execnz .LBB56_264
.LBB56_262:
	s_or_b64 exec, exec, s[0:1]
	s_and_b64 s[2:3], s[2:3], exec
	s_andn2_saveexec_b64 s[0:1], s[4:5]
	s_cbranch_execz .LBB56_240
.LBB56_263:
	s_or_b64 s[2:3], s[2:3], exec
	s_trap 2
	s_or_b64 exec, exec, s[0:1]
	s_and_saveexec_b64 s[0:1], s[2:3]
	s_cbranch_execnz .LBB56_241
	s_branch .LBB56_242
.LBB56_264:
	s_mov_b64 s[2:3], exec
	s_trap 2
	s_branch .LBB56_262
	.section	.rodata,"a",@progbits
	.p2align	6, 0x0
	.amdhsa_kernel _ZN2at6native12_GLOBAL__N_114gatherKthValueIN3c104HalfEiLi1EEEvNS_4cuda6detail10TensorInfoIKT_T0_EESA_SA_SA_SA_NS7_IS8_SA_EENS7_IlSA_EE
		.amdhsa_group_segment_fixed_size 4112
		.amdhsa_private_segment_fixed_size 0
		.amdhsa_kernarg_size 920
		.amdhsa_user_sgpr_count 6
		.amdhsa_user_sgpr_private_segment_buffer 1
		.amdhsa_user_sgpr_dispatch_ptr 0
		.amdhsa_user_sgpr_queue_ptr 0
		.amdhsa_user_sgpr_kernarg_segment_ptr 1
		.amdhsa_user_sgpr_dispatch_id 0
		.amdhsa_user_sgpr_flat_scratch_init 0
		.amdhsa_user_sgpr_private_segment_size 0
		.amdhsa_uses_dynamic_stack 0
		.amdhsa_system_sgpr_private_segment_wavefront_offset 0
		.amdhsa_system_sgpr_workgroup_id_x 1
		.amdhsa_system_sgpr_workgroup_id_y 1
		.amdhsa_system_sgpr_workgroup_id_z 1
		.amdhsa_system_sgpr_workgroup_info 0
		.amdhsa_system_vgpr_workitem_id 0
		.amdhsa_next_free_vgpr 45
		.amdhsa_next_free_sgpr 96
		.amdhsa_reserve_vcc 1
		.amdhsa_reserve_flat_scratch 0
		.amdhsa_float_round_mode_32 0
		.amdhsa_float_round_mode_16_64 0
		.amdhsa_float_denorm_mode_32 3
		.amdhsa_float_denorm_mode_16_64 3
		.amdhsa_dx10_clamp 1
		.amdhsa_ieee_mode 1
		.amdhsa_fp16_overflow 0
		.amdhsa_exception_fp_ieee_invalid_op 0
		.amdhsa_exception_fp_denorm_src 0
		.amdhsa_exception_fp_ieee_div_zero 0
		.amdhsa_exception_fp_ieee_overflow 0
		.amdhsa_exception_fp_ieee_underflow 0
		.amdhsa_exception_fp_ieee_inexact 0
		.amdhsa_exception_int_div_zero 0
	.end_amdhsa_kernel
	.section	.text._ZN2at6native12_GLOBAL__N_114gatherKthValueIN3c104HalfEiLi1EEEvNS_4cuda6detail10TensorInfoIKT_T0_EESA_SA_SA_SA_NS7_IS8_SA_EENS7_IlSA_EE,"axG",@progbits,_ZN2at6native12_GLOBAL__N_114gatherKthValueIN3c104HalfEiLi1EEEvNS_4cuda6detail10TensorInfoIKT_T0_EESA_SA_SA_SA_NS7_IS8_SA_EENS7_IlSA_EE,comdat
.Lfunc_end56:
	.size	_ZN2at6native12_GLOBAL__N_114gatherKthValueIN3c104HalfEiLi1EEEvNS_4cuda6detail10TensorInfoIKT_T0_EESA_SA_SA_SA_NS7_IS8_SA_EENS7_IlSA_EE, .Lfunc_end56-_ZN2at6native12_GLOBAL__N_114gatherKthValueIN3c104HalfEiLi1EEEvNS_4cuda6detail10TensorInfoIKT_T0_EESA_SA_SA_SA_NS7_IS8_SA_EENS7_IlSA_EE
                                        ; -- End function
	.set _ZN2at6native12_GLOBAL__N_114gatherKthValueIN3c104HalfEiLi1EEEvNS_4cuda6detail10TensorInfoIKT_T0_EESA_SA_SA_SA_NS7_IS8_SA_EENS7_IlSA_EE.num_vgpr, 45
	.set _ZN2at6native12_GLOBAL__N_114gatherKthValueIN3c104HalfEiLi1EEEvNS_4cuda6detail10TensorInfoIKT_T0_EESA_SA_SA_SA_NS7_IS8_SA_EENS7_IlSA_EE.num_agpr, 0
	.set _ZN2at6native12_GLOBAL__N_114gatherKthValueIN3c104HalfEiLi1EEEvNS_4cuda6detail10TensorInfoIKT_T0_EESA_SA_SA_SA_NS7_IS8_SA_EENS7_IlSA_EE.numbered_sgpr, 96
	.set _ZN2at6native12_GLOBAL__N_114gatherKthValueIN3c104HalfEiLi1EEEvNS_4cuda6detail10TensorInfoIKT_T0_EESA_SA_SA_SA_NS7_IS8_SA_EENS7_IlSA_EE.num_named_barrier, 0
	.set _ZN2at6native12_GLOBAL__N_114gatherKthValueIN3c104HalfEiLi1EEEvNS_4cuda6detail10TensorInfoIKT_T0_EESA_SA_SA_SA_NS7_IS8_SA_EENS7_IlSA_EE.private_seg_size, 0
	.set _ZN2at6native12_GLOBAL__N_114gatherKthValueIN3c104HalfEiLi1EEEvNS_4cuda6detail10TensorInfoIKT_T0_EESA_SA_SA_SA_NS7_IS8_SA_EENS7_IlSA_EE.uses_vcc, 1
	.set _ZN2at6native12_GLOBAL__N_114gatherKthValueIN3c104HalfEiLi1EEEvNS_4cuda6detail10TensorInfoIKT_T0_EESA_SA_SA_SA_NS7_IS8_SA_EENS7_IlSA_EE.uses_flat_scratch, 0
	.set _ZN2at6native12_GLOBAL__N_114gatherKthValueIN3c104HalfEiLi1EEEvNS_4cuda6detail10TensorInfoIKT_T0_EESA_SA_SA_SA_NS7_IS8_SA_EENS7_IlSA_EE.has_dyn_sized_stack, 0
	.set _ZN2at6native12_GLOBAL__N_114gatherKthValueIN3c104HalfEiLi1EEEvNS_4cuda6detail10TensorInfoIKT_T0_EESA_SA_SA_SA_NS7_IS8_SA_EENS7_IlSA_EE.has_recursion, 0
	.set _ZN2at6native12_GLOBAL__N_114gatherKthValueIN3c104HalfEiLi1EEEvNS_4cuda6detail10TensorInfoIKT_T0_EESA_SA_SA_SA_NS7_IS8_SA_EENS7_IlSA_EE.has_indirect_call, 0
	.section	.AMDGPU.csdata,"",@progbits
; Kernel info:
; codeLenInByte = 9120
; TotalNumSgprs: 100
; NumVgprs: 45
; ScratchSize: 0
; MemoryBound: 0
; FloatMode: 240
; IeeeMode: 1
; LDSByteSize: 4112 bytes/workgroup (compile time only)
; SGPRBlocks: 12
; VGPRBlocks: 11
; NumSGPRsForWavesPerEU: 100
; NumVGPRsForWavesPerEU: 45
; Occupancy: 5
; WaveLimiterHint : 1
; COMPUTE_PGM_RSRC2:SCRATCH_EN: 0
; COMPUTE_PGM_RSRC2:USER_SGPR: 6
; COMPUTE_PGM_RSRC2:TRAP_HANDLER: 0
; COMPUTE_PGM_RSRC2:TGID_X_EN: 1
; COMPUTE_PGM_RSRC2:TGID_Y_EN: 1
; COMPUTE_PGM_RSRC2:TGID_Z_EN: 1
; COMPUTE_PGM_RSRC2:TIDIG_COMP_CNT: 0
	.section	.text._ZN2at6native12_GLOBAL__N_114gatherKthValueIN3c104HalfEiLi2EEEvNS_4cuda6detail10TensorInfoIKT_T0_EESA_SA_SA_SA_NS7_IS8_SA_EENS7_IlSA_EE,"axG",@progbits,_ZN2at6native12_GLOBAL__N_114gatherKthValueIN3c104HalfEiLi2EEEvNS_4cuda6detail10TensorInfoIKT_T0_EESA_SA_SA_SA_NS7_IS8_SA_EENS7_IlSA_EE,comdat
	.globl	_ZN2at6native12_GLOBAL__N_114gatherKthValueIN3c104HalfEiLi2EEEvNS_4cuda6detail10TensorInfoIKT_T0_EESA_SA_SA_SA_NS7_IS8_SA_EENS7_IlSA_EE ; -- Begin function _ZN2at6native12_GLOBAL__N_114gatherKthValueIN3c104HalfEiLi2EEEvNS_4cuda6detail10TensorInfoIKT_T0_EESA_SA_SA_SA_NS7_IS8_SA_EENS7_IlSA_EE
	.p2align	8
	.type	_ZN2at6native12_GLOBAL__N_114gatherKthValueIN3c104HalfEiLi2EEEvNS_4cuda6detail10TensorInfoIKT_T0_EESA_SA_SA_SA_NS7_IS8_SA_EENS7_IlSA_EE,@function
_ZN2at6native12_GLOBAL__N_114gatherKthValueIN3c104HalfEiLi2EEEvNS_4cuda6detail10TensorInfoIKT_T0_EESA_SA_SA_SA_NS7_IS8_SA_EENS7_IlSA_EE: ; @_ZN2at6native12_GLOBAL__N_114gatherKthValueIN3c104HalfEiLi2EEEvNS_4cuda6detail10TensorInfoIKT_T0_EESA_SA_SA_SA_NS7_IS8_SA_EENS7_IlSA_EE
; %bb.0:
	s_load_dwordx2 s[12:13], s[4:5], 0x298
	s_load_dwordx4 s[28:31], s[4:5], 0xd8
	s_add_u32 s10, s4, 0x298
	s_addc_u32 s11, s5, 0
	s_waitcnt lgkmcnt(0)
	s_mul_i32 s0, s13, s8
	s_add_i32 s0, s0, s7
	s_mul_i32 s0, s0, s12
	s_add_i32 s18, s0, s6
	s_cmp_ge_i32 s18, s30
	s_cbranch_scc1 .LBB57_242
; %bb.1:
	s_load_dword s7, s[4:5], 0xc
	s_load_dwordx2 s[0:1], s[4:5], 0xe8
                                        ; implicit-def: $vgpr44 : SGPR spill to VGPR lane
                                        ; kill: killed $sgpr4 killed $sgpr5
	s_abs_i32 s21, s18
	s_ashr_i32 s20, s18, 31
	s_mov_b32 s40, 0
	s_waitcnt lgkmcnt(0)
	s_abs_i32 s13, s7
	v_writelane_b32 v44, s0, 0
	v_writelane_b32 v44, s1, 1
	s_load_dwordx2 s[8:9], s[4:5], 0x6c
	s_load_dwordx2 s[2:3], s[4:5], 0x0
	;; [unrolled: 1-line block ×3, first 2 shown]
	v_cvt_f32_u32_e32 v1, s13
	s_ashr_i32 s14, s7, 31
	s_load_dword s22, s[4:5], 0xf4
	s_waitcnt lgkmcnt(0)
	v_writelane_b32 v44, s0, 2
	v_writelane_b32 v44, s1, 3
	s_load_dword s19, s[4:5], 0x1cc
	s_load_dwordx2 s[0:1], s[4:5], 0x1c0
	v_rcp_iflag_f32_e32 v1, v1
	s_waitcnt lgkmcnt(0)
	v_writelane_b32 v44, s0, 4
	v_writelane_b32 v44, s1, 5
	s_load_dwordx2 s[0:1], s[4:5], 0x154
	v_mul_f32_e32 v1, 0x4f7ffffe, v1
	s_abs_i32 s5, s22
	v_cvt_u32_f32_e32 v1, v1
	v_cvt_f32_u32_e32 v2, s5
	s_waitcnt lgkmcnt(0)
	v_writelane_b32 v44, s0, 6
	v_writelane_b32 v44, s1, 7
	v_readfirstlane_b32 s1, v1
	v_rcp_iflag_f32_e32 v1, v2
	s_abs_i32 s4, s19
	v_cvt_f32_u32_e32 v2, s4
	s_sub_i32 s0, 0, s13
	v_mul_f32_e32 v1, 0x4f7ffffe, v1
	v_cvt_u32_f32_e32 v1, v1
	v_rcp_iflag_f32_e32 v2, v2
	s_mul_i32 s0, s0, s1
	s_mul_hi_u32 s0, s1, s0
	s_add_i32 s1, s1, s0
	s_mul_hi_u32 s15, s21, s1
	s_sub_i32 s0, 0, s5
	v_readfirstlane_b32 s1, v1
	v_mul_f32_e32 v1, 0x4f7ffffe, v2
	s_mul_i32 s0, s0, s1
	v_cvt_u32_f32_e32 v1, v1
	s_mul_hi_u32 s0, s1, s0
	s_add_i32 s1, s1, s0
	v_writelane_b32 v44, s5, 8
	s_mul_hi_u32 s0, s21, s1
	v_writelane_b32 v44, s0, 9
	s_sub_i32 s0, 0, s4
	v_readfirstlane_b32 s1, v1
	s_mul_i32 s0, s0, s1
	s_mul_hi_u32 s0, s1, s0
	s_add_i32 s1, s1, s0
	v_writelane_b32 v44, s4, 10
	s_mul_hi_u32 s0, s21, s1
	v_writelane_b32 v44, s0, 11
	v_cmp_eq_u32_e64 s[0:1], 0, v0
	s_and_saveexec_b64 s[4:5], s[0:1]
; %bb.2:
	v_mov_b32_e32 v1, 0
	v_mov_b32_e32 v2, s28
	;; [unrolled: 1-line block ×3, first 2 shown]
	ds_write_b96 v1, v[1:3] offset:4096
; %bb.3:
	s_or_b64 exec, exec, s[4:5]
	v_writelane_b32 v44, s22, 12
	s_ashr_i32 s4, s22, 31
	v_writelane_b32 v44, s4, 13
	s_mul_i32 s5, s15, s13
	v_writelane_b32 v44, s19, 14
	s_ashr_i32 s4, s19, 31
	s_sub_i32 s5, s21, s5
	v_writelane_b32 v44, s4, 15
	s_xor_b32 s4, s20, s14
	s_add_i32 s14, s15, 1
	s_sub_i32 s16, s5, s13
	s_cmp_ge_u32 s5, s13
	s_cselect_b32 s14, s14, s15
	s_cselect_b32 s5, s16, s5
	s_add_i32 s15, s14, 1
	s_cmp_ge_u32 s5, s13
	s_cselect_b32 s5, s15, s14
	s_xor_b32 s5, s5, s4
	s_sub_i32 s4, s5, s4
	s_mul_i32 s5, s4, s7
	s_sub_i32 s5, s18, s5
	s_mul_i32 s5, s5, s9
	s_mul_i32 s4, s4, s8
	v_mul_lo_u32 v5, s31, v0
	s_add_i32 s4, s4, s5
	s_ashr_i32 s5, s4, 31
	v_mov_b32_e32 v7, 0
	s_waitcnt lgkmcnt(0)
	s_barrier
	s_load_dword s7, s[10:11], 0xc
	s_lshl_b64 s[4:5], s[4:5], 1
	v_mbcnt_lo_u32_b32 v1, -1, 0
	v_mov_b32_e32 v6, v7
	s_add_u32 s41, s2, s4
	v_mbcnt_hi_u32_b32 v15, -1, v1
	v_lshlrev_b64 v[1:2], 1, v[5:6]
	s_addc_u32 s30, s3, s5
	v_cmp_gt_u32_e32 vcc, 64, v0
	v_cmp_gt_i32_e64 s[4:5], 4, v15
	s_and_b64 s[42:43], vcc, s[4:5]
	v_mov_b32_e32 v18, s30
	v_add_co_u32_e32 v8, vcc, s41, v1
	v_addc_co_u32_e32 v9, vcc, v18, v2, vcc
	v_lshlrev_b64 v[2:3], v15, -1
	s_waitcnt lgkmcnt(0)
	s_and_b32 s36, s7, 0xffff
	s_add_i32 s37, s36, -1
	v_not_b32_e32 v21, v2
	v_lshrrev_b32_e32 v2, 2, v0
	s_lshl_b32 s39, s36, 2
	s_bfe_u32 s7, s7, 0xa0006
	s_add_i32 s9, s37, s28
	v_and_b32_e32 v2, 0xf0, v2
	v_writelane_b32 v44, s20, 16
	s_cmpk_gt_i32 s28, 0x600
	v_or_b32_e32 v22, 0xc00, v2
	v_cvt_f32_u32_e32 v2, s39
	v_writelane_b32 v44, s21, 17
	s_cselect_b64 s[44:45], -1, 0
	s_cmp_gt_u32 s36, 63
	v_writelane_b32 v44, s18, 18
	v_cmp_gt_u32_e64 s[14:15], s28, v0
	s_cselect_b64 s[46:47], -1, 0
	s_cmp_lt_u32 s6, s12
	v_writelane_b32 v44, s14, 19
	s_cselect_b32 s6, 12, 18
	v_writelane_b32 v44, s15, 20
	v_cmp_gt_i32_e64 s[14:15], s28, v0
	s_add_u32 s10, s10, s6
	v_rcp_iflag_f32_e32 v2, v2
	v_writelane_b32 v44, s14, 21
	s_addc_u32 s11, s11, 0
	s_add_i32 s6, s7, -1
	v_writelane_b32 v44, s15, 22
	s_bfe_u32 s8, s36, 0x30006
	s_and_b32 s6, s6, 0xffff
	v_writelane_b32 v44, s10, 23
	s_cmp_gt_u32 s6, 6
	v_writelane_b32 v44, s11, 24
	s_cselect_b64 s[10:11], -1, 0
	v_mul_f32_e32 v2, 0x4f7ffffe, v2
	v_writelane_b32 v44, s10, 25
	s_and_b32 s33, s7, 0x3f8
	v_cvt_u32_f32_e32 v2, v2
	v_writelane_b32 v44, s11, 26
	s_cmp_lg_u32 s8, 0
	v_writelane_b32 v44, s8, 27
	s_cselect_b64 s[6:7], -1, 0
	v_writelane_b32 v44, s6, 28
	v_writelane_b32 v44, s7, 29
	s_sub_i32 s6, 0, s39
	v_readfirstlane_b32 s7, v2
	s_mul_i32 s6, s6, s7
	s_mul_hi_u32 s6, s7, s6
	s_add_i32 s18, s7, s6
	s_mul_hi_u32 s6, s28, s18
	s_mul_i32 s6, s6, s39
	s_sub_i32 s6, s28, s6
	s_sub_i32 s7, s6, s39
	s_cmp_ge_u32 s6, s39
	s_cselect_b32 s6, s7, s6
	s_sub_i32 s7, s6, s39
	s_cmp_ge_u32 s6, s39
	s_cselect_b32 s6, s7, s6
	s_sub_i32 s19, s28, s6
	v_add_u32_e32 v23, s19, v0
	v_cvt_f32_u32_e32 v4, s36
	v_mul_lo_u32 v2, v23, s31
	v_not_b32_e32 v20, v3
	s_sub_i32 s8, 0, s36
	v_rcp_iflag_f32_e32 v4, v4
	v_ashrrev_i32_e32 v3, 31, v2
	v_lshlrev_b64 v[2:3], 1, v[2:3]
	s_abs_i32 s16, s9
	v_add_co_u32_e32 v10, vcc, s41, v2
	v_mul_f32_e32 v2, 0x4f7ffffe, v4
	v_cvt_u32_f32_e32 v2, v2
	s_ashr_i32 s7, s9, 31
	v_lshlrev_b32_e32 v14, 2, v0
	v_lshlrev_b32_e32 v16, 1, v0
	v_readfirstlane_b32 s17, v2
	s_mul_i32 s8, s8, s17
	s_mul_hi_u32 s8, s17, s8
	s_add_i32 s8, s17, s8
	s_mul_hi_u32 s17, s16, s8
	s_mul_i32 s17, s17, s36
	s_sub_i32 s16, s16, s17
	s_sub_i32 s17, s16, s36
	s_cmp_ge_u32 s16, s36
	s_cselect_b32 s16, s17, s16
	s_sub_i32 s17, s16, s36
	v_mul_lo_u32 v2, s31, v14
	s_cmp_ge_u32 s16, s36
	s_cselect_b32 s16, s17, s16
	s_xor_b32 s16, s16, s7
	s_sub_i32 s7, s7, s16
	v_add_u32_e32 v24, s31, v2
	v_or_b32_e32 v2, 2, v14
	s_add_i32 s9, s9, s7
	v_mul_lo_u32 v25, s31, v2
	v_or_b32_e32 v2, 3, v14
	s_add_i32 s7, s36, s28
	v_mul_lo_u32 v26, s31, v2
	v_add_u32_e32 v2, s7, v0
	v_subrev_u32_e32 v2, s6, v2
	v_mul_lo_u32 v29, s31, v2
	v_lshlrev_b32_e32 v1, 2, v15
	v_mov_b32_e32 v6, s30
	s_mul_i32 s38, s31, s36
	v_cmp_eq_u32_e64 s[2:3], 0, v15
	v_cmp_gt_u32_e64 s[4:5], 2, v0
	v_add_u32_e32 v17, 0xc00, v16
	v_and_b32_e32 v19, 0x100, v1
	v_cmp_gt_i32_e64 s[10:11], s19, v14
	v_cmp_gt_u32_e64 s[12:13], s28, v23
	v_addc_co_u32_e32 v11, vcc, v6, v3, vcc
	v_cmp_gt_i32_e64 s[14:15], s28, v23
	v_cmp_gt_i32_e64 s[16:17], s9, v0
	s_lshl_b32 s50, s38, 2
	v_lshlrev_b32_e32 v27, 2, v5
	v_lshlrev_b32_e32 v30, 3, v0
	s_lshl_b32 s51, s36, 3
	s_lshl_b32 s52, s36, 1
	v_or_b32_e32 v31, 0xc00, v1
	s_mov_b64 s[54:55], 0
	v_mov_b32_e32 v32, 14
	v_mov_b32_e32 v39, s29
	s_movk_i32 s29, 0x3c00
	v_mov_b32_e32 v33, 0xffff
	v_mov_b32_e32 v34, 0x8000
	v_mov_b32_e32 v35, -1
	v_mov_b32_e32 v36, 0x5040100
	v_mov_b32_e32 v38, 0
	;; [unrolled: 1-line block ×4, first 2 shown]
                                        ; implicit-def: $sgpr56_sgpr57
                                        ; implicit-def: $sgpr60_sgpr61
                                        ; implicit-def: $sgpr58_sgpr59
                                        ; implicit-def: $sgpr64_sgpr65
                                        ; implicit-def: $sgpr66_sgpr67
                                        ; implicit-def: $sgpr62_sgpr63
	s_branch .LBB57_7
.LBB57_4:                               ;   in Loop: Header=BB57_7 Depth=1
	s_or_b64 exec, exec, s[68:69]
	s_and_b64 s[70:71], s[34:35], exec
	s_andn2_b64 s[26:27], s[26:27], exec
	s_andn2_b64 s[24:25], s[24:25], exec
	s_orn2_b64 s[20:21], s[20:21], exec
.LBB57_5:                               ;   in Loop: Header=BB57_7 Depth=1
	s_or_b64 exec, exec, s[22:23]
	s_andn2_b64 s[22:23], s[62:63], exec
	s_and_b64 s[34:35], s[70:71], exec
	s_or_b64 s[62:63], s[22:23], s[34:35]
	s_andn2_b64 s[22:23], s[66:67], exec
	s_and_b64 s[26:27], s[26:27], exec
	s_or_b64 s[66:67], s[22:23], s[26:27]
	s_andn2_b64 s[22:23], s[64:65], exec
	s_and_b64 s[24:25], s[24:25], exec
	s_or_b64 s[64:65], s[22:23], s[24:25]
	s_orn2_b64 s[20:21], s[20:21], exec
.LBB57_6:                               ;   in Loop: Header=BB57_7 Depth=1
	s_or_b64 exec, exec, s[6:7]
	s_and_b64 s[6:7], exec, s[20:21]
	s_or_b64 s[54:55], s[6:7], s[54:55]
	s_andn2_b64 s[6:7], s[58:59], exec
	s_and_b64 s[20:21], s[62:63], exec
	s_or_b64 s[58:59], s[6:7], s[20:21]
	s_andn2_b64 s[6:7], s[60:61], exec
	s_and_b64 s[20:21], s[66:67], exec
	;; [unrolled: 3-line block ×3, first 2 shown]
	s_or_b64 s[56:57], s[6:7], s[20:21]
	s_mov_b32 s40, s48
	v_mov_b32_e32 v39, v12
	s_andn2_b64 exec, exec, s[54:55]
	s_cbranch_execz .LBB57_238
.LBB57_7:                               ; =>This Loop Header: Depth=1
                                        ;     Child Loop BB57_12 Depth 2
                                        ;     Child Loop BB57_27 Depth 2
	;; [unrolled: 1-line block ×16, first 2 shown]
	ds_read_b64 v[1:2], v7 offset:4096
	s_waitcnt lgkmcnt(0)
	v_readfirstlane_b32 s53, v1
	s_cmp_gt_i32 s53, 0
	s_cbranch_scc1 .LBB57_34
; %bb.8:                                ;   in Loop: Header=BB57_7 Depth=1
	s_and_b64 vcc, exec, s[44:45]
	s_cbranch_vccz .LBB57_20
; %bb.9:                                ;   in Loop: Header=BB57_7 Depth=1
	s_movk_i32 s6, 0x601
	v_cmp_gt_i32_e32 vcc, s6, v2
	s_mov_b64 s[20:21], 0
	s_mov_b64 s[6:7], 0
	s_cbranch_vccz .LBB57_21
; %bb.10:                               ;   in Loop: Header=BB57_7 Depth=1
	v_readlane_b32 s6, v44, 23
	v_readlane_b32 s7, v44, 24
	s_nop 4
	global_load_ushort v1, v7, s[6:7]
	global_load_ushort v4, v[8:9], off
	s_mov_b64 s[22:23], 0
	v_mov_b32_e32 v3, v0
	s_waitcnt vmcnt(1)
	v_add_u32_e32 v2, v0, v1
	v_mul_lo_u32 v6, s31, v2
	v_mul_lo_u32 v2, s31, v1
	s_branch .LBB57_12
.LBB57_11:                              ;   in Loop: Header=BB57_12 Depth=2
	s_or_b64 exec, exec, s[6:7]
	v_cmp_le_i32_e32 vcc, s28, v3
	v_add_u32_e32 v6, v6, v2
	s_or_b64 s[22:23], vcc, s[22:23]
	v_mov_b32_e32 v4, v12
	s_andn2_b64 exec, exec, s[22:23]
	s_cbranch_execz .LBB57_66
.LBB57_12:                              ;   Parent Loop BB57_7 Depth=1
                                        ; =>  This Inner Loop Header: Depth=2
	v_add_u32_e32 v3, v3, v1
	v_cmp_gt_u32_e32 vcc, s28, v3
	s_waitcnt lgkmcnt(0)
	v_mov_b32_e32 v13, 0
	v_mov_b32_e32 v12, 0
	s_and_saveexec_b64 s[6:7], vcc
	s_cbranch_execz .LBB57_14
; %bb.13:                               ;   in Loop: Header=BB57_12 Depth=2
	v_lshlrev_b64 v[40:41], 1, v[6:7]
	v_add_co_u32_e32 v40, vcc, s41, v40
	v_addc_co_u32_e32 v41, vcc, v18, v41, vcc
	global_load_ushort v12, v[40:41], off
.LBB57_14:                              ;   in Loop: Header=BB57_12 Depth=2
	s_or_b64 exec, exec, s[6:7]
	s_waitcnt vmcnt(0)
	v_cmp_lt_i16_e32 vcc, -1, v4
	v_cndmask_b32_e32 v40, v33, v34, vcc
	v_xor_b32_sdwa v40, v40, v4 dst_sel:DWORD dst_unused:UNUSED_PAD src0_sel:DWORD src1_sel:WORD_0
	v_cmp_o_f16_e32 vcc, v4, v4
	v_cndmask_b32_e32 v40, v33, v40, vcc
	v_and_b32_e32 v40, v40, v37
	v_cmp_eq_u32_e32 vcc, v40, v28
	s_cmp_lg_u64 vcc, 0
	s_cselect_b64 s[6:7], -1, 0
	s_and_b64 s[6:7], s[2:3], s[6:7]
	s_and_saveexec_b64 s[24:25], s[6:7]
	s_cbranch_execz .LBB57_18
; %bb.15:                               ;   in Loop: Header=BB57_12 Depth=2
	s_mov_b64 s[34:35], exec
	v_mbcnt_lo_u32_b32 v13, s34, 0
	v_mbcnt_hi_u32_b32 v13, s35, v13
	s_bcnt1_i32_b64 s48, vcc
	v_cmp_eq_u32_e64 s[6:7], 0, v13
                                        ; implicit-def: $vgpr40
	s_and_saveexec_b64 s[26:27], s[6:7]
; %bb.16:                               ;   in Loop: Header=BB57_12 Depth=2
	s_bcnt1_i32_b64 s6, s[34:35]
	s_mul_i32 s6, s48, s6
	v_mov_b32_e32 v40, s6
	ds_add_rtn_u32 v40, v7, v40 offset:4104
; %bb.17:                               ;   in Loop: Header=BB57_12 Depth=2
	s_or_b64 exec, exec, s[26:27]
	s_waitcnt lgkmcnt(0)
	v_readfirstlane_b32 s6, v40
	v_mov_b32_e32 v40, s6
	v_mad_u32_u24 v13, s48, v13, v40
.LBB57_18:                              ;   in Loop: Header=BB57_12 Depth=2
	s_or_b64 exec, exec, s[24:25]
	ds_bpermute_b32 v13, v19, v13
	s_and_saveexec_b64 s[6:7], vcc
	s_cbranch_execz .LBB57_11
; %bb.19:                               ;   in Loop: Header=BB57_12 Depth=2
	v_and_b32_e32 v41, vcc_lo, v21
	v_and_b32_e32 v40, vcc_hi, v20
	v_bcnt_u32_b32 v41, v41, 0
	v_bcnt_u32_b32 v40, v40, v41
	v_lshlrev_b32_e32 v40, 1, v40
	s_waitcnt lgkmcnt(0)
	v_lshl_add_u32 v13, v13, 1, v40
	ds_write_b16 v13, v4
	s_branch .LBB57_11
.LBB57_20:                              ;   in Loop: Header=BB57_7 Depth=1
	s_mov_b64 s[20:21], -1
	s_mov_b64 s[6:7], 0
.LBB57_21:                              ;   in Loop: Header=BB57_7 Depth=1
	s_and_b64 vcc, exec, s[20:21]
	s_cbranch_vccz .LBB57_32
.LBB57_22:                              ;   in Loop: Header=BB57_7 Depth=1
	v_mov_b32_e32 v1, 0
	s_mov_b64 s[6:7], exec
	v_readlane_b32 s20, v44, 19
	v_readlane_b32 s21, v44, 20
	s_and_b64 s[20:21], s[6:7], s[20:21]
	s_mov_b64 exec, s[20:21]
	s_cbranch_execz .LBB57_24
; %bb.23:                               ;   in Loop: Header=BB57_7 Depth=1
	global_load_ushort v1, v[8:9], off
.LBB57_24:                              ;   in Loop: Header=BB57_7 Depth=1
	s_or_b64 exec, exec, s[6:7]
	s_mov_b64 s[6:7], exec
	v_readlane_b32 s20, v44, 21
	v_readlane_b32 s21, v44, 22
	s_and_b64 s[20:21], s[6:7], s[20:21]
	s_mov_b64 exec, s[20:21]
	s_cbranch_execz .LBB57_29
; %bb.25:                               ;   in Loop: Header=BB57_7 Depth=1
	v_readlane_b32 s20, v44, 23
	v_readlane_b32 s21, v44, 24
	v_mov_b32_e32 v12, v16
	v_mov_b32_e32 v13, v0
	s_nop 2
	global_load_ushort v2, v7, s[20:21]
	s_mov_b64 s[20:21], 0
	s_waitcnt vmcnt(0)
	v_add_u32_e32 v4, v0, v2
	v_mul_lo_u32 v6, s31, v4
	v_mul_lo_u32 v4, s31, v2
	v_lshlrev_b32_e32 v3, 1, v2
	s_branch .LBB57_27
.LBB57_26:                              ;   in Loop: Header=BB57_27 Depth=2
	s_or_b64 exec, exec, s[22:23]
	v_cmp_le_i32_e32 vcc, s28, v13
	ds_write_b16 v12, v1
	v_add_u32_e32 v12, v12, v3
	v_add_u32_e32 v6, v6, v4
	s_or_b64 s[20:21], vcc, s[20:21]
	s_waitcnt vmcnt(0)
	v_mov_b32_e32 v1, v40
	s_andn2_b64 exec, exec, s[20:21]
	s_cbranch_execz .LBB57_29
.LBB57_27:                              ;   Parent Loop BB57_7 Depth=1
                                        ; =>  This Inner Loop Header: Depth=2
	v_add_u32_e32 v13, v13, v2
	v_cmp_gt_u32_e32 vcc, s28, v13
	v_mov_b32_e32 v40, 0
	s_and_saveexec_b64 s[22:23], vcc
	s_cbranch_execz .LBB57_26
; %bb.28:                               ;   in Loop: Header=BB57_27 Depth=2
	v_lshlrev_b64 v[40:41], 1, v[6:7]
	v_mov_b32_e32 v42, s30
	v_add_co_u32_e32 v40, vcc, s41, v40
	v_addc_co_u32_e32 v41, vcc, v42, v41, vcc
	global_load_ushort v40, v[40:41], off
	s_branch .LBB57_26
.LBB57_29:                              ;   in Loop: Header=BB57_7 Depth=1
	s_or_b64 exec, exec, s[6:7]
	s_waitcnt vmcnt(0) lgkmcnt(0)
	s_barrier
	s_and_saveexec_b64 s[6:7], s[0:1]
; %bb.30:                               ;   in Loop: Header=BB57_7 Depth=1
	v_mov_b32_e32 v1, s28
	ds_write_b32 v7, v1 offset:4096
; %bb.31:                               ;   in Loop: Header=BB57_7 Depth=1
	s_or_b64 exec, exec, s[6:7]
	s_mov_b64 s[6:7], -1
	s_waitcnt lgkmcnt(0)
	s_barrier
.LBB57_32:                              ;   in Loop: Header=BB57_7 Depth=1
	s_and_b64 vcc, exec, s[6:7]
	s_cbranch_vccz .LBB57_34
; %bb.33:                               ;   in Loop: Header=BB57_7 Depth=1
	ds_read_b32 v1, v7 offset:4096
	s_waitcnt lgkmcnt(0)
	v_readfirstlane_b32 s53, v1
.LBB57_34:                              ;   in Loop: Header=BB57_7 Depth=1
	s_cmp_lt_i32 s53, 1
	s_mov_b64 s[6:7], -1
                                        ; implicit-def: $vgpr1
	s_cbranch_scc1 .LBB57_44
; %bb.35:                               ;   in Loop: Header=BB57_7 Depth=1
	s_and_b64 vcc, exec, s[6:7]
	s_cbranch_vccnz .LBB57_57
.LBB57_36:                              ;   in Loop: Header=BB57_7 Depth=1
	s_lshl_b32 s20, s40, 6
	s_and_saveexec_b64 s[6:7], s[2:3]
.LBB57_37:                              ;   in Loop: Header=BB57_7 Depth=1
	v_lshl_add_u32 v6, s20, 2, v22
	ds_write_b128 v6, v[1:4]
.LBB57_38:                              ;   in Loop: Header=BB57_7 Depth=1
	s_or_b64 exec, exec, s[6:7]
	s_waitcnt vmcnt(0) lgkmcnt(0)
	s_barrier
	s_and_saveexec_b64 s[6:7], s[42:43]
	s_cbranch_execz .LBB57_74
; %bb.39:                               ;   in Loop: Header=BB57_7 Depth=1
	s_andn2_b64 vcc, exec, s[46:47]
	v_mov_b32_e32 v1, 0
	s_cbranch_vccnz .LBB57_73
; %bb.40:                               ;   in Loop: Header=BB57_7 Depth=1
	v_readlane_b32 s22, v44, 25
	v_readlane_b32 s23, v44, 26
	s_andn2_b64 vcc, exec, s[22:23]
	s_cbranch_vccnz .LBB57_69
; %bb.41:                               ;   in Loop: Header=BB57_7 Depth=1
	v_lshl_add_u32 v2, s40, 8, v31
	s_mov_b32 s21, 0
	v_mov_b32_e32 v1, 0
.LBB57_42:                              ;   Parent Loop BB57_7 Depth=1
                                        ; =>  This Inner Loop Header: Depth=2
	ds_read2_b32 v[3:4], v2 offset1:4
	ds_read2_b32 v[12:13], v2 offset0:8 offset1:12
	ds_read2_b32 v[40:41], v2 offset0:16 offset1:20
	;; [unrolled: 1-line block ×3, first 2 shown]
	s_add_i32 s21, s21, 8
	s_waitcnt lgkmcnt(3)
	v_add3_u32 v1, v3, v1, v4
	s_waitcnt lgkmcnt(2)
	v_add3_u32 v1, v12, v1, v13
	;; [unrolled: 2-line block ×3, first 2 shown]
	v_add_u32_e32 v2, 0x80, v2
	s_cmp_eq_u32 s33, s21
	s_waitcnt lgkmcnt(0)
	v_add3_u32 v1, v42, v1, v43
	s_cbranch_scc0 .LBB57_42
; %bb.43:                               ;   in Loop: Header=BB57_7 Depth=1
	s_mov_b32 s21, s33
	s_branch .LBB57_70
.LBB57_44:                              ;   in Loop: Header=BB57_7 Depth=1
	v_mov_b32_e32 v1, 0
	v_mov_b32_e32 v2, 0
	;; [unrolled: 1-line block ×4, first 2 shown]
	s_and_saveexec_b64 s[26:27], s[10:11]
	s_cbranch_execnz .LBB57_47
; %bb.45:                               ;   in Loop: Header=BB57_7 Depth=1
	s_or_b64 exec, exec, s[26:27]
	v_mov_b32_e32 v40, 0
	s_and_saveexec_b64 s[6:7], s[12:13]
	s_cbranch_execnz .LBB57_50
.LBB57_46:                              ;   in Loop: Header=BB57_7 Depth=1
	s_or_b64 exec, exec, s[6:7]
	s_and_saveexec_b64 s[20:21], s[14:15]
	s_cbranch_execnz .LBB57_51
	s_branch .LBB57_56
.LBB57_47:                              ;   in Loop: Header=BB57_7 Depth=1
	s_mov_b32 s34, 0
	s_mov_b64 s[68:69], 0
	s_mov_b32 s35, 0
	s_mov_b32 s70, 0
	;; [unrolled: 1-line block ×4, first 2 shown]
	v_mov_b32_e32 v6, v14
.LBB57_48:                              ;   Parent Loop BB57_7 Depth=1
                                        ; =>  This Inner Loop Header: Depth=2
	v_add_u32_e32 v1, s34, v27
	v_ashrrev_i32_e32 v2, 31, v1
	v_lshlrev_b64 v[1:2], 1, v[1:2]
	v_mov_b32_e32 v3, s30
	v_add_co_u32_e32 v1, vcc, s41, v1
	v_addc_co_u32_e32 v2, vcc, v3, v2, vcc
	global_load_ushort v4, v[1:2], off
	v_add_u32_e32 v1, s34, v24
	v_ashrrev_i32_e32 v2, 31, v1
	v_lshlrev_b64 v[1:2], 1, v[1:2]
	v_add_u32_e32 v6, s39, v6
	v_add_co_u32_e32 v1, vcc, s41, v1
	v_addc_co_u32_e32 v2, vcc, v3, v2, vcc
	global_load_ushort v12, v[1:2], off
	v_add_u32_e32 v1, s34, v25
	v_ashrrev_i32_e32 v2, 31, v1
	v_lshlrev_b64 v[1:2], 1, v[1:2]
	v_add_co_u32_e32 v1, vcc, s41, v1
	v_addc_co_u32_e32 v2, vcc, v3, v2, vcc
	global_load_ushort v13, v[1:2], off
	v_add_u32_e32 v1, s34, v26
	v_ashrrev_i32_e32 v2, 31, v1
	v_lshlrev_b64 v[1:2], 1, v[1:2]
	s_add_i32 s34, s34, s50
	v_add_co_u32_e32 v1, vcc, s41, v1
	v_addc_co_u32_e32 v2, vcc, v3, v2, vcc
	global_load_ushort v1, v[1:2], off
	s_waitcnt vmcnt(3)
	v_cmp_lt_i16_e32 vcc, -1, v4
	v_cndmask_b32_e32 v2, v33, v34, vcc
	v_cmp_o_f16_e32 vcc, v4, v4
	v_xor_b32_sdwa v2, v2, v4 dst_sel:DWORD dst_unused:UNUSED_PAD src0_sel:DWORD src1_sel:WORD_0
	v_cndmask_b32_e32 v2, v33, v2, vcc
	s_waitcnt vmcnt(2)
	v_cmp_lt_i16_e32 vcc, -1, v12
	v_cndmask_b32_e32 v3, v33, v34, vcc
	v_cmp_o_f16_e32 vcc, v12, v12
	v_xor_b32_sdwa v3, v3, v12 dst_sel:DWORD dst_unused:UNUSED_PAD src0_sel:DWORD src1_sel:WORD_0
	v_cndmask_b32_e32 v3, v33, v3, vcc
	;; [unrolled: 6-line block ×3, first 2 shown]
	s_waitcnt vmcnt(0)
	v_cmp_lt_i16_e32 vcc, -1, v1
	v_cndmask_b32_e32 v12, v33, v34, vcc
	v_cmp_o_f16_e32 vcc, v1, v1
	v_xor_b32_sdwa v1, v12, v1 dst_sel:DWORD dst_unused:UNUSED_PAD src0_sel:DWORD src1_sel:WORD_0
	v_and_b32_e32 v12, v2, v37
	v_bfe_u32 v2, v2, v32, 2
	v_cndmask_b32_e32 v1, v33, v1, vcc
	v_cmp_eq_u32_e32 vcc, v12, v28
	v_and_b32_e32 v12, v3, v37
	v_bfe_u32 v3, v3, v32, 2
	v_cmp_eq_u32_e64 s[24:25], 0, v2
	v_cmp_eq_u32_e64 s[6:7], v12, v28
	v_and_b32_e32 v12, v4, v37
	v_bfe_u32 v4, v4, v32, 2
	s_and_b64 s[48:49], vcc, s[24:25]
	v_cmp_eq_u32_e64 s[24:25], 0, v3
	v_cmp_eq_u32_e64 s[20:21], v12, v28
	v_and_b32_e32 v12, v1, v37
	v_bfe_u32 v1, v1, v32, 2
	s_and_b64 s[74:75], s[6:7], s[24:25]
	v_cmp_eq_u32_e64 s[24:25], 0, v4
	v_cmp_eq_u32_e64 s[22:23], v12, v28
	s_and_b64 s[76:77], s[20:21], s[24:25]
	v_cmp_eq_u32_e64 s[24:25], 0, v1
	v_cndmask_b32_e64 v12, 0, 1, s[48:49]
	s_and_b64 s[78:79], s[22:23], s[24:25]
	v_cmp_ne_u32_e64 s[24:25], 0, v12
	v_cndmask_b32_e64 v12, 0, 1, s[74:75]
	s_bcnt1_i32_b64 s48, s[24:25]
	v_cmp_ne_u32_e64 s[24:25], 0, v12
	v_cndmask_b32_e64 v12, 0, 1, s[76:77]
	s_bcnt1_i32_b64 s49, s[24:25]
	;; [unrolled: 3-line block ×3, first 2 shown]
	v_cmp_ne_u32_e64 s[24:25], 0, v12
	s_bcnt1_i32_b64 s24, s[24:25]
	s_add_i32 s25, s72, s48
	s_add_i32 s25, s25, s49
	;; [unrolled: 1-line block ×4, first 2 shown]
	v_cmp_eq_u32_e64 s[24:25], 1, v2
	s_and_b64 s[48:49], vcc, s[24:25]
	v_cmp_eq_u32_e64 s[24:25], 1, v3
	s_and_b64 s[74:75], s[6:7], s[24:25]
	v_cmp_eq_u32_e64 s[24:25], 1, v4
	s_and_b64 s[76:77], s[20:21], s[24:25]
	v_cmp_eq_u32_e64 s[24:25], 1, v1
	v_cndmask_b32_e64 v12, 0, 1, s[48:49]
	s_and_b64 s[78:79], s[22:23], s[24:25]
	v_cmp_ne_u32_e64 s[24:25], 0, v12
	v_cndmask_b32_e64 v12, 0, 1, s[74:75]
	s_bcnt1_i32_b64 s48, s[24:25]
	v_cmp_ne_u32_e64 s[24:25], 0, v12
	v_cndmask_b32_e64 v12, 0, 1, s[76:77]
	s_bcnt1_i32_b64 s49, s[24:25]
	;; [unrolled: 3-line block ×3, first 2 shown]
	v_cmp_ne_u32_e64 s[24:25], 0, v12
	s_bcnt1_i32_b64 s24, s[24:25]
	s_add_i32 s25, s71, s48
	s_add_i32 s25, s25, s49
	;; [unrolled: 1-line block ×4, first 2 shown]
	v_cmp_eq_u32_e64 s[24:25], 2, v2
	s_and_b64 s[48:49], vcc, s[24:25]
	v_cmp_eq_u32_e64 s[24:25], 2, v3
	s_and_b64 s[74:75], s[6:7], s[24:25]
	v_cmp_eq_u32_e64 s[24:25], 2, v4
	s_and_b64 s[76:77], s[20:21], s[24:25]
	v_cmp_eq_u32_e64 s[24:25], 2, v1
	v_cndmask_b32_e64 v12, 0, 1, s[48:49]
	s_and_b64 s[78:79], s[22:23], s[24:25]
	v_cmp_ne_u32_e64 s[24:25], 0, v12
	v_cndmask_b32_e64 v12, 0, 1, s[74:75]
	s_bcnt1_i32_b64 s48, s[24:25]
	v_cmp_ne_u32_e64 s[24:25], 0, v12
	v_cndmask_b32_e64 v12, 0, 1, s[76:77]
	s_bcnt1_i32_b64 s49, s[24:25]
	;; [unrolled: 3-line block ×3, first 2 shown]
	v_cmp_ne_u32_e64 s[24:25], 0, v12
	s_bcnt1_i32_b64 s24, s[24:25]
	s_add_i32 s25, s70, s48
	s_add_i32 s25, s25, s49
	;; [unrolled: 1-line block ×4, first 2 shown]
	v_cmp_eq_u32_e64 s[24:25], 3, v2
	s_and_b64 s[24:25], vcc, s[24:25]
	v_cmp_eq_u32_e32 vcc, 3, v3
	s_and_b64 s[6:7], s[6:7], vcc
	v_cmp_eq_u32_e32 vcc, 3, v4
	s_and_b64 s[20:21], s[20:21], vcc
	v_cmp_eq_u32_e32 vcc, 3, v1
	v_cndmask_b32_e64 v1, 0, 1, s[24:25]
	s_and_b64 s[22:23], s[22:23], vcc
	v_cmp_ne_u32_e32 vcc, 0, v1
	v_cndmask_b32_e64 v1, 0, 1, s[6:7]
	s_bcnt1_i32_b64 s24, vcc
	v_cmp_ne_u32_e32 vcc, 0, v1
	v_cndmask_b32_e64 v1, 0, 1, s[20:21]
	s_bcnt1_i32_b64 s6, vcc
	v_cmp_ne_u32_e32 vcc, 0, v1
	v_cndmask_b32_e64 v1, 0, 1, s[22:23]
	s_add_i32 s21, s35, s24
	s_bcnt1_i32_b64 s7, vcc
	v_cmp_ne_u32_e32 vcc, 0, v1
	s_add_i32 s6, s21, s6
	s_bcnt1_i32_b64 s20, vcc
	s_add_i32 s6, s6, s7
	s_add_i32 s35, s6, s20
	v_cmp_le_i32_e32 vcc, s19, v6
	s_or_b64 s[68:69], vcc, s[68:69]
	v_mov_b32_e32 v1, s72
	v_mov_b32_e32 v2, s71
	;; [unrolled: 1-line block ×4, first 2 shown]
	s_andn2_b64 exec, exec, s[68:69]
	s_cbranch_execnz .LBB57_48
; %bb.49:                               ;   in Loop: Header=BB57_7 Depth=1
	s_or_b64 exec, exec, s[68:69]
	s_or_b64 exec, exec, s[26:27]
	v_mov_b32_e32 v40, 0
	s_and_saveexec_b64 s[6:7], s[12:13]
	s_cbranch_execz .LBB57_46
.LBB57_50:                              ;   in Loop: Header=BB57_7 Depth=1
	global_load_ushort v40, v[10:11], off
	s_or_b64 exec, exec, s[6:7]
	s_and_saveexec_b64 s[20:21], s[14:15]
	s_cbranch_execz .LBB57_56
.LBB57_51:                              ;   in Loop: Header=BB57_7 Depth=1
	s_mov_b64 s[22:23], 0
	v_mov_b32_e32 v12, v29
	v_mov_b32_e32 v6, v23
	s_branch .LBB57_53
.LBB57_52:                              ;   in Loop: Header=BB57_53 Depth=2
	s_or_b64 exec, exec, s[6:7]
	s_waitcnt vmcnt(0)
	v_cmp_lt_i16_e32 vcc, -1, v40
	v_cndmask_b32_e32 v41, v33, v34, vcc
	v_xor_b32_sdwa v41, v41, v40 dst_sel:DWORD dst_unused:UNUSED_PAD src0_sel:DWORD src1_sel:WORD_0
	v_cmp_o_f16_e32 vcc, v40, v40
	v_cndmask_b32_e32 v40, v33, v41, vcc
	v_and_b32_e32 v41, v40, v37
	v_bfe_u32 v40, v40, v32, 2
	v_cmp_eq_u32_e32 vcc, v41, v28
	v_cmp_eq_u32_e64 s[6:7], 0, v40
	s_and_b64 s[6:7], vcc, s[6:7]
	v_cndmask_b32_e64 v41, 0, 1, s[6:7]
	v_cmp_ne_u32_e64 s[6:7], 0, v41
	s_bcnt1_i32_b64 s6, s[6:7]
	v_add_u32_e32 v1, s6, v1
	v_cmp_eq_u32_e64 s[6:7], 1, v40
	s_and_b64 s[6:7], vcc, s[6:7]
	v_cndmask_b32_e64 v41, 0, 1, s[6:7]
	v_cmp_ne_u32_e64 s[6:7], 0, v41
	s_bcnt1_i32_b64 s6, s[6:7]
	v_add_u32_e32 v2, s6, v2
	v_cmp_eq_u32_e64 s[6:7], 2, v40
	s_and_b64 s[6:7], vcc, s[6:7]
	v_cndmask_b32_e64 v41, 0, 1, s[6:7]
	v_cmp_ne_u32_e64 s[6:7], 0, v41
	s_bcnt1_i32_b64 s6, s[6:7]
	v_add_u32_e32 v3, s6, v3
	v_cmp_eq_u32_e64 s[6:7], 3, v40
	s_and_b64 s[6:7], vcc, s[6:7]
	v_cndmask_b32_e64 v40, 0, 1, s[6:7]
	v_cmp_ne_u32_e32 vcc, 0, v40
	s_bcnt1_i32_b64 s6, vcc
	v_cmp_le_i32_e32 vcc, s28, v6
	v_add_u32_e32 v4, s6, v4
	v_add_u32_e32 v12, s38, v12
	s_or_b64 s[22:23], vcc, s[22:23]
	v_mov_b32_e32 v40, v13
	s_andn2_b64 exec, exec, s[22:23]
	s_cbranch_execz .LBB57_55
.LBB57_53:                              ;   Parent Loop BB57_7 Depth=1
                                        ; =>  This Inner Loop Header: Depth=2
	v_add_u32_e32 v6, s36, v6
	v_cmp_gt_u32_e32 vcc, s28, v6
	v_mov_b32_e32 v13, 0
	s_and_saveexec_b64 s[6:7], vcc
	s_cbranch_execz .LBB57_52
; %bb.54:                               ;   in Loop: Header=BB57_53 Depth=2
	v_ashrrev_i32_e32 v13, 31, v12
	v_lshlrev_b64 v[41:42], 1, v[12:13]
	v_mov_b32_e32 v13, s30
	v_add_co_u32_e32 v41, vcc, s41, v41
	v_addc_co_u32_e32 v42, vcc, v13, v42, vcc
	global_load_ushort v13, v[41:42], off
	s_branch .LBB57_52
.LBB57_55:                              ;   in Loop: Header=BB57_7 Depth=1
	s_or_b64 exec, exec, s[22:23]
.LBB57_56:                              ;   in Loop: Header=BB57_7 Depth=1
	s_or_b64 exec, exec, s[20:21]
	s_branch .LBB57_36
.LBB57_57:                              ;   in Loop: Header=BB57_7 Depth=1
	s_mul_hi_u32 s6, s53, s18
	s_mul_i32 s6, s6, s39
	s_sub_i32 s6, s53, s6
	s_sub_i32 s7, s6, s39
	s_cmp_ge_u32 s6, s39
	s_cselect_b32 s6, s7, s6
	s_sub_i32 s7, s6, s39
	s_cmp_ge_u32 s6, s39
	s_cselect_b32 s6, s7, s6
	s_sub_i32 s34, s53, s6
	v_cmp_gt_u32_e32 vcc, s34, v14
	v_mov_b32_e32 v1, 0
	v_mov_b32_e32 v2, 0
	;; [unrolled: 1-line block ×4, first 2 shown]
	s_and_saveexec_b64 s[26:27], vcc
	s_cbranch_execz .LBB57_61
; %bb.58:                               ;   in Loop: Header=BB57_7 Depth=1
	s_mov_b32 s35, 0
	s_mov_b64 s[68:69], 0
	v_mov_b32_e32 v6, v30
	s_mov_b32 s70, 0
	s_mov_b32 s71, 0
	;; [unrolled: 1-line block ×3, first 2 shown]
	v_mov_b32_e32 v12, v14
.LBB57_59:                              ;   Parent Loop BB57_7 Depth=1
                                        ; =>  This Inner Loop Header: Depth=2
	ds_read_b64 v[1:2], v6
	v_add_u32_e32 v12, s39, v12
	v_add_u32_e32 v6, s51, v6
	s_waitcnt lgkmcnt(0)
	v_cmp_lt_i16_e32 vcc, -1, v1
	v_cndmask_b32_e32 v3, v33, v34, vcc
	v_cmp_o_f16_e32 vcc, v1, v1
	v_xor_b32_sdwa v3, v3, v1 dst_sel:DWORD dst_unused:UNUSED_PAD src0_sel:DWORD src1_sel:WORD_0
	v_cndmask_b32_e32 v3, v33, v3, vcc
	v_cmp_gt_i16_sdwa vcc, v1, v35 src0_sel:WORD_1 src1_sel:DWORD
	v_cndmask_b32_e32 v4, v33, v34, vcc
	v_cmp_o_f16_sdwa vcc, v1, v1 src0_sel:WORD_1 src1_sel:WORD_1
	v_xor_b32_sdwa v1, v4, v1 dst_sel:DWORD dst_unused:UNUSED_PAD src0_sel:DWORD src1_sel:WORD_1
	v_cndmask_b32_e32 v1, v33, v1, vcc
	v_cmp_lt_i16_e32 vcc, -1, v2
	v_cndmask_b32_e32 v4, v33, v34, vcc
	v_cmp_o_f16_e32 vcc, v2, v2
	v_xor_b32_sdwa v4, v4, v2 dst_sel:DWORD dst_unused:UNUSED_PAD src0_sel:DWORD src1_sel:WORD_0
	v_cndmask_b32_e32 v4, v33, v4, vcc
	v_cmp_gt_i16_sdwa vcc, v2, v35 src0_sel:WORD_1 src1_sel:DWORD
	v_cndmask_b32_e32 v13, v33, v34, vcc
	v_cmp_o_f16_sdwa vcc, v2, v2 src0_sel:WORD_1 src1_sel:WORD_1
	v_xor_b32_sdwa v2, v13, v2 dst_sel:DWORD dst_unused:UNUSED_PAD src0_sel:DWORD src1_sel:WORD_1
	v_and_b32_e32 v13, v3, v37
	v_bfe_u32 v3, v3, v32, 2
	v_cndmask_b32_e32 v2, v33, v2, vcc
	v_cmp_eq_u32_e32 vcc, v13, v28
	v_and_b32_e32 v13, v1, v37
	v_bfe_u32 v1, v1, v32, 2
	v_cmp_eq_u32_e64 s[24:25], 0, v3
	v_cmp_eq_u32_e64 s[6:7], v13, v28
	v_and_b32_e32 v13, v4, v37
	v_bfe_u32 v4, v4, v32, 2
	s_and_b64 s[48:49], vcc, s[24:25]
	v_cmp_eq_u32_e64 s[24:25], 0, v1
	v_cmp_eq_u32_e64 s[20:21], v13, v28
	v_and_b32_e32 v13, v2, v37
	v_bfe_u32 v2, v2, v32, 2
	s_and_b64 s[74:75], s[6:7], s[24:25]
	v_cmp_eq_u32_e64 s[24:25], 0, v4
	v_cmp_eq_u32_e64 s[22:23], v13, v28
	s_and_b64 s[76:77], s[20:21], s[24:25]
	v_cmp_eq_u32_e64 s[24:25], 0, v2
	v_cndmask_b32_e64 v13, 0, 1, s[48:49]
	s_and_b64 s[78:79], s[22:23], s[24:25]
	v_cmp_ne_u32_e64 s[24:25], 0, v13
	v_cndmask_b32_e64 v13, 0, 1, s[74:75]
	s_bcnt1_i32_b64 s48, s[24:25]
	v_cmp_ne_u32_e64 s[24:25], 0, v13
	v_cndmask_b32_e64 v13, 0, 1, s[76:77]
	s_bcnt1_i32_b64 s49, s[24:25]
	;; [unrolled: 3-line block ×3, first 2 shown]
	v_cmp_ne_u32_e64 s[24:25], 0, v13
	s_bcnt1_i32_b64 s24, s[24:25]
	s_add_i32 s25, s72, s48
	s_add_i32 s25, s25, s49
	;; [unrolled: 1-line block ×4, first 2 shown]
	v_cmp_eq_u32_e64 s[24:25], 1, v3
	s_and_b64 s[48:49], vcc, s[24:25]
	v_cmp_eq_u32_e64 s[24:25], 1, v1
	s_and_b64 s[74:75], s[6:7], s[24:25]
	v_cmp_eq_u32_e64 s[24:25], 1, v4
	s_and_b64 s[76:77], s[20:21], s[24:25]
	v_cmp_eq_u32_e64 s[24:25], 1, v2
	v_cndmask_b32_e64 v13, 0, 1, s[48:49]
	s_and_b64 s[78:79], s[22:23], s[24:25]
	v_cmp_ne_u32_e64 s[24:25], 0, v13
	v_cndmask_b32_e64 v13, 0, 1, s[74:75]
	s_bcnt1_i32_b64 s48, s[24:25]
	v_cmp_ne_u32_e64 s[24:25], 0, v13
	v_cndmask_b32_e64 v13, 0, 1, s[76:77]
	s_bcnt1_i32_b64 s49, s[24:25]
	;; [unrolled: 3-line block ×3, first 2 shown]
	v_cmp_ne_u32_e64 s[24:25], 0, v13
	s_bcnt1_i32_b64 s24, s[24:25]
	s_add_i32 s25, s71, s48
	s_add_i32 s25, s25, s49
	;; [unrolled: 1-line block ×4, first 2 shown]
	v_cmp_eq_u32_e64 s[24:25], 2, v3
	s_and_b64 s[48:49], vcc, s[24:25]
	v_cmp_eq_u32_e64 s[24:25], 2, v1
	s_and_b64 s[74:75], s[6:7], s[24:25]
	v_cmp_eq_u32_e64 s[24:25], 2, v4
	s_and_b64 s[76:77], s[20:21], s[24:25]
	v_cmp_eq_u32_e64 s[24:25], 2, v2
	v_cndmask_b32_e64 v13, 0, 1, s[48:49]
	s_and_b64 s[78:79], s[22:23], s[24:25]
	v_cmp_ne_u32_e64 s[24:25], 0, v13
	v_cndmask_b32_e64 v13, 0, 1, s[74:75]
	s_bcnt1_i32_b64 s48, s[24:25]
	v_cmp_ne_u32_e64 s[24:25], 0, v13
	v_cndmask_b32_e64 v13, 0, 1, s[76:77]
	s_bcnt1_i32_b64 s49, s[24:25]
	;; [unrolled: 3-line block ×3, first 2 shown]
	v_cmp_ne_u32_e64 s[24:25], 0, v13
	s_bcnt1_i32_b64 s24, s[24:25]
	s_add_i32 s25, s70, s48
	s_add_i32 s25, s25, s49
	;; [unrolled: 1-line block ×4, first 2 shown]
	v_cmp_eq_u32_e64 s[24:25], 3, v3
	s_and_b64 s[24:25], vcc, s[24:25]
	v_cmp_eq_u32_e32 vcc, 3, v1
	s_and_b64 s[6:7], s[6:7], vcc
	v_cmp_eq_u32_e32 vcc, 3, v4
	s_and_b64 s[20:21], s[20:21], vcc
	v_cmp_eq_u32_e32 vcc, 3, v2
	v_cndmask_b32_e64 v1, 0, 1, s[24:25]
	s_and_b64 s[22:23], s[22:23], vcc
	v_cmp_ne_u32_e32 vcc, 0, v1
	v_cndmask_b32_e64 v1, 0, 1, s[6:7]
	s_bcnt1_i32_b64 s24, vcc
	v_cmp_ne_u32_e32 vcc, 0, v1
	v_cndmask_b32_e64 v1, 0, 1, s[20:21]
	s_bcnt1_i32_b64 s6, vcc
	v_cmp_ne_u32_e32 vcc, 0, v1
	v_cndmask_b32_e64 v1, 0, 1, s[22:23]
	s_add_i32 s21, s35, s24
	s_bcnt1_i32_b64 s7, vcc
	v_cmp_ne_u32_e32 vcc, 0, v1
	s_add_i32 s6, s21, s6
	s_bcnt1_i32_b64 s20, vcc
	s_add_i32 s6, s6, s7
	s_add_i32 s35, s6, s20
	v_cmp_le_i32_e32 vcc, s34, v12
	s_or_b64 s[68:69], vcc, s[68:69]
	v_mov_b32_e32 v1, s72
	v_mov_b32_e32 v2, s71
	;; [unrolled: 1-line block ×4, first 2 shown]
	s_andn2_b64 exec, exec, s[68:69]
	s_cbranch_execnz .LBB57_59
; %bb.60:                               ;   in Loop: Header=BB57_7 Depth=1
	s_or_b64 exec, exec, s[68:69]
.LBB57_61:                              ;   in Loop: Header=BB57_7 Depth=1
	s_or_b64 exec, exec, s[26:27]
	v_add_u32_e32 v6, s34, v0
	v_cmp_gt_i32_e32 vcc, s53, v6
	s_and_saveexec_b64 s[68:69], vcc
	s_cbranch_execz .LBB57_65
; %bb.62:                               ;   in Loop: Header=BB57_7 Depth=1
	v_lshlrev_b32_e32 v12, 1, v6
	s_mov_b64 s[70:71], 0
.LBB57_63:                              ;   Parent Loop BB57_7 Depth=1
                                        ; =>  This Inner Loop Header: Depth=2
	ds_read_u16 v13, v12
	v_add_u32_e32 v6, s36, v6
	v_cmp_le_i32_e32 vcc, s53, v6
	v_add_u32_e32 v12, s52, v12
	s_waitcnt lgkmcnt(0)
	v_cmp_lt_i16_e64 s[6:7], -1, v13
	s_waitcnt vmcnt(0)
	v_cndmask_b32_e64 v40, v33, v34, s[6:7]
	v_xor_b32_sdwa v40, v40, v13 dst_sel:DWORD dst_unused:UNUSED_PAD src0_sel:DWORD src1_sel:WORD_0
	v_cmp_o_f16_e64 s[6:7], v13, v13
	v_cndmask_b32_e64 v13, v33, v40, s[6:7]
	v_and_b32_e32 v40, v13, v37
	v_bfe_u32 v13, v13, v32, 2
	v_cmp_eq_u32_e64 s[6:7], v40, v28
	v_cmp_eq_u32_e64 s[20:21], 0, v13
	;; [unrolled: 1-line block ×3, first 2 shown]
	s_and_b64 s[20:21], s[6:7], s[20:21]
	v_cmp_eq_u32_e64 s[24:25], 2, v13
	v_cmp_eq_u32_e64 s[26:27], 3, v13
	v_cndmask_b32_e64 v13, 0, 1, s[20:21]
	s_and_b64 s[20:21], s[6:7], s[22:23]
	v_cndmask_b32_e64 v40, 0, 1, s[20:21]
	s_and_b64 s[20:21], s[6:7], s[24:25]
	s_and_b64 s[6:7], s[6:7], s[26:27]
	v_cndmask_b32_e64 v41, 0, 1, s[20:21]
	v_cndmask_b32_e64 v42, 0, 1, s[6:7]
	v_cmp_ne_u32_e64 s[6:7], 0, v13
	v_cmp_ne_u32_e64 s[20:21], 0, v40
	;; [unrolled: 1-line block ×4, first 2 shown]
	s_bcnt1_i32_b64 s6, s[6:7]
	s_bcnt1_i32_b64 s7, s[20:21]
	s_bcnt1_i32_b64 s20, s[22:23]
	s_bcnt1_i32_b64 s21, s[24:25]
	v_add_u32_e32 v1, s6, v1
	v_add_u32_e32 v2, s7, v2
	;; [unrolled: 1-line block ×3, first 2 shown]
	s_or_b64 s[70:71], vcc, s[70:71]
	v_add_u32_e32 v4, s21, v4
	s_andn2_b64 exec, exec, s[70:71]
	s_cbranch_execnz .LBB57_63
; %bb.64:                               ;   in Loop: Header=BB57_7 Depth=1
	s_or_b64 exec, exec, s[70:71]
.LBB57_65:                              ;   in Loop: Header=BB57_7 Depth=1
	s_or_b64 exec, exec, s[68:69]
	s_lshl_b32 s20, s40, 6
	s_and_saveexec_b64 s[6:7], s[2:3]
	s_cbranch_execnz .LBB57_37
	s_branch .LBB57_38
.LBB57_66:                              ;   in Loop: Header=BB57_7 Depth=1
	s_or_b64 exec, exec, s[22:23]
	s_waitcnt lgkmcnt(0)
	s_barrier
	s_and_saveexec_b64 s[6:7], s[0:1]
	s_cbranch_execz .LBB57_68
; %bb.67:                               ;   in Loop: Header=BB57_7 Depth=1
	ds_read_b32 v1, v7 offset:4104
	s_waitcnt lgkmcnt(0)
	ds_write_b32 v7, v1 offset:4096
.LBB57_68:                              ;   in Loop: Header=BB57_7 Depth=1
	s_or_b64 exec, exec, s[6:7]
	s_waitcnt lgkmcnt(0)
	s_barrier
	s_mov_b64 s[6:7], -1
	s_and_b64 vcc, exec, s[20:21]
	s_cbranch_vccnz .LBB57_22
	s_branch .LBB57_32
.LBB57_69:                              ;   in Loop: Header=BB57_7 Depth=1
	v_mov_b32_e32 v1, 0
	s_mov_b32 s21, 0
.LBB57_70:                              ;   in Loop: Header=BB57_7 Depth=1
	v_readlane_b32 s22, v44, 28
	v_readlane_b32 s23, v44, 29
	s_andn2_b64 vcc, exec, s[22:23]
	s_cbranch_vccnz .LBB57_73
; %bb.71:                               ;   in Loop: Header=BB57_7 Depth=1
	s_lshl_b32 s22, s40, 8
	s_lshl_b32 s21, s21, 4
	s_add_i32 s22, s22, s21
	v_add_u32_e32 v2, s22, v31
	v_readlane_b32 s21, v44, 27
.LBB57_72:                              ;   Parent Loop BB57_7 Depth=1
                                        ; =>  This Inner Loop Header: Depth=2
	ds_read_b32 v3, v2
	s_add_i32 s21, s21, -1
	v_add_u32_e32 v2, 16, v2
	s_cmp_lg_u32 s21, 0
	s_waitcnt lgkmcnt(0)
	v_add_u32_e32 v1, v3, v1
	s_cbranch_scc1 .LBB57_72
.LBB57_73:                              ;   in Loop: Header=BB57_7 Depth=1
	v_add_lshl_u32 v2, s20, v15, 2
	ds_write_b32 v2, v1 offset:3072
.LBB57_74:                              ;   in Loop: Header=BB57_7 Depth=1
	s_or_b64 exec, exec, s[6:7]
	s_lshl_b32 s6, s20, 2
	v_mov_b32_e32 v1, s6
	s_waitcnt lgkmcnt(0)
	s_barrier
	ds_read_b128 v[1:4], v1 offset:3072
	v_cmp_eq_u32_e32 vcc, 1, v39
	s_mov_b64 s[20:21], -1
	s_mov_b64 s[68:69], -1
                                        ; implicit-def: $sgpr26_sgpr27
                                        ; implicit-def: $sgpr24_sgpr25
	s_waitcnt lgkmcnt(0)
	v_readfirstlane_b32 s78, v1
	s_cmp_eq_u32 s78, 1
	v_readfirstlane_b32 s90, v3
	v_lshlrev_b32_e64 v3, v32, 3
	s_cselect_b64 s[6:7], -1, 0
	v_readfirstlane_b32 s82, v2
	v_readfirstlane_b32 s53, v4
	v_not_b32_e32 v6, v3
	s_and_b64 s[22:23], s[6:7], vcc
	s_and_saveexec_b64 s[6:7], s[22:23]
	s_cbranch_execz .LBB57_102
; %bb.75:                               ;   in Loop: Header=BB57_7 Depth=1
	ds_read_b32 v1, v7 offset:4096
	s_waitcnt lgkmcnt(0)
	s_barrier
	v_readfirstlane_b32 s48, v1
	s_and_saveexec_b64 s[24:25], s[4:5]
; %bb.76:                               ;   in Loop: Header=BB57_7 Depth=1
	ds_write_b16 v17, v7
; %bb.77:                               ;   in Loop: Header=BB57_7 Depth=1
	s_or_b64 exec, exec, s[24:25]
	v_and_b32_e32 v28, v28, v6
	v_or_b32_e32 v37, v37, v3
	s_mov_b64 s[24:25], -1
	s_mov_b64 s[26:27], 0
	s_cmp_lt_i32 s48, 1
	s_mov_b64 s[68:69], 0
	s_mov_b64 s[70:71], -1
	s_waitcnt lgkmcnt(0)
	s_barrier
                                        ; implicit-def: $vgpr38
	s_cbranch_scc0 .LBB57_89
; %bb.78:                               ;   in Loop: Header=BB57_7 Depth=1
	s_mov_b64 s[70:71], 0
                                        ; implicit-def: $vgpr38
	s_and_saveexec_b64 s[72:73], s[16:17]
	s_cbranch_execz .LBB57_88
; %bb.79:                               ;   in Loop: Header=BB57_7 Depth=1
	v_mov_b32_e32 v1, v5
	v_mov_b32_e32 v4, v0
                                        ; implicit-def: $sgpr74_sgpr75
	s_branch .LBB57_83
.LBB57_80:                              ;   in Loop: Header=BB57_83 Depth=2
	s_or_b64 exec, exec, s[34:35]
	s_waitcnt lgkmcnt(0)
	s_barrier
	ds_read_b32 v2, v7 offset:3072
	s_waitcnt lgkmcnt(0)
	s_barrier
	v_cmp_neq_f16_e32 vcc, 0, v2
	s_cbranch_vccnz .LBB57_86
; %bb.81:                               ;   in Loop: Header=BB57_83 Depth=2
	v_add_u32_e32 v4, s36, v4
	v_cmp_le_i32_e32 vcc, s9, v4
	v_add_u32_e32 v1, s38, v1
	s_mov_b64 s[34:35], 0
	s_orn2_b64 s[76:77], vcc, exec
.LBB57_82:                              ;   in Loop: Header=BB57_83 Depth=2
	s_and_b64 s[76:77], exec, s[76:77]
	s_or_b64 s[68:69], s[76:77], s[68:69]
	s_andn2_b64 s[74:75], s[74:75], exec
	s_and_b64 s[34:35], s[34:35], exec
	s_or_b64 s[74:75], s[74:75], s[34:35]
	s_andn2_b64 exec, exec, s[68:69]
	s_cbranch_execz .LBB57_87
.LBB57_83:                              ;   Parent Loop BB57_7 Depth=1
                                        ; =>  This Inner Loop Header: Depth=2
	v_cmp_gt_i32_e32 vcc, s28, v4
	s_and_saveexec_b64 s[34:35], vcc
	s_cbranch_execz .LBB57_80
; %bb.84:                               ;   in Loop: Header=BB57_83 Depth=2
	v_ashrrev_i32_e32 v2, 31, v1
	v_lshlrev_b64 v[12:13], 1, v[1:2]
	v_mov_b32_e32 v2, s30
	v_add_co_u32_e32 v12, vcc, s41, v12
	v_addc_co_u32_e32 v13, vcc, v2, v13, vcc
	global_load_ushort v2, v[12:13], off
	s_waitcnt vmcnt(0)
	v_cmp_lt_i16_e32 vcc, -1, v2
	v_cndmask_b32_e32 v12, v33, v34, vcc
	v_xor_b32_sdwa v12, v12, v2 dst_sel:DWORD dst_unused:UNUSED_PAD src0_sel:DWORD src1_sel:WORD_0
	v_cmp_o_f16_e32 vcc, v2, v2
	v_cndmask_b32_e32 v12, v33, v12, vcc
	v_and_b32_e32 v12, v12, v37
	v_cmp_eq_u32_e32 vcc, v12, v28
	s_and_b64 exec, exec, vcc
	s_cbranch_execz .LBB57_80
; %bb.85:                               ;   in Loop: Header=BB57_83 Depth=2
	v_perm_b32 v2, v2, s29, v36
	ds_write_b32 v7, v2 offset:3072
	s_branch .LBB57_80
.LBB57_86:                              ;   in Loop: Header=BB57_83 Depth=2
	s_mov_b64 s[76:77], -1
                                        ; implicit-def: $vgpr4
                                        ; implicit-def: $vgpr1
	s_mov_b64 s[34:35], -1
	s_branch .LBB57_82
.LBB57_87:                              ;   in Loop: Header=BB57_7 Depth=1
	s_or_b64 exec, exec, s[68:69]
	v_lshrrev_b32_e32 v38, 16, v2
	s_and_b64 s[68:69], s[74:75], exec
.LBB57_88:                              ;   in Loop: Header=BB57_7 Depth=1
	s_or_b64 exec, exec, s[72:73]
.LBB57_89:                              ;   in Loop: Header=BB57_7 Depth=1
	s_and_b64 vcc, exec, s[70:71]
	s_cbranch_vccz .LBB57_101
; %bb.90:                               ;   in Loop: Header=BB57_7 Depth=1
	s_add_i32 s49, s48, s37
	s_abs_i32 s25, s49
	s_mul_hi_u32 s26, s25, s8
	s_mul_i32 s26, s26, s36
	s_sub_i32 s25, s25, s26
	s_ashr_i32 s24, s49, 31
	s_sub_i32 s26, s25, s36
	s_cmp_ge_u32 s25, s36
	s_cselect_b32 s25, s26, s25
	s_sub_i32 s26, s25, s36
	s_cmp_ge_u32 s25, s36
	s_cselect_b32 s25, s26, s25
	s_xor_b32 s25, s25, s24
	s_sub_i32 s24, s24, s25
	s_add_i32 s49, s49, s24
	v_cmp_gt_i32_e32 vcc, s49, v0
                                        ; implicit-def: $vgpr38
	s_and_saveexec_b64 s[24:25], vcc
	s_cbranch_execz .LBB57_100
; %bb.91:                               ;   in Loop: Header=BB57_7 Depth=1
	s_mov_b64 s[26:27], 0
	v_mov_b32_e32 v1, v16
	v_mov_b32_e32 v2, v0
                                        ; implicit-def: $sgpr70_sgpr71
	s_branch .LBB57_95
.LBB57_92:                              ;   in Loop: Header=BB57_95 Depth=2
	s_or_b64 exec, exec, s[34:35]
	s_waitcnt lgkmcnt(0)
	s_barrier
	ds_read_b32 v4, v7 offset:3072
	s_waitcnt lgkmcnt(0)
	s_barrier
	v_cmp_neq_f16_e32 vcc, 0, v4
	s_cbranch_vccnz .LBB57_98
; %bb.93:                               ;   in Loop: Header=BB57_95 Depth=2
	v_add_u32_e32 v2, s36, v2
	v_cmp_le_i32_e32 vcc, s49, v2
	v_add_u32_e32 v1, s52, v1
	s_mov_b64 s[34:35], 0
	s_orn2_b64 s[72:73], vcc, exec
.LBB57_94:                              ;   in Loop: Header=BB57_95 Depth=2
	s_and_b64 s[72:73], exec, s[72:73]
	s_or_b64 s[26:27], s[72:73], s[26:27]
	s_andn2_b64 s[70:71], s[70:71], exec
	s_and_b64 s[34:35], s[34:35], exec
	s_or_b64 s[70:71], s[70:71], s[34:35]
	s_andn2_b64 exec, exec, s[26:27]
	s_cbranch_execz .LBB57_99
.LBB57_95:                              ;   Parent Loop BB57_7 Depth=1
                                        ; =>  This Inner Loop Header: Depth=2
	v_cmp_gt_i32_e32 vcc, s48, v2
	s_and_saveexec_b64 s[34:35], vcc
	s_cbranch_execz .LBB57_92
; %bb.96:                               ;   in Loop: Header=BB57_95 Depth=2
	ds_read_u16 v4, v1
	s_waitcnt lgkmcnt(0)
	v_cmp_lt_i16_e32 vcc, -1, v4
	v_cndmask_b32_e32 v12, v33, v34, vcc
	v_xor_b32_sdwa v12, v12, v4 dst_sel:DWORD dst_unused:UNUSED_PAD src0_sel:DWORD src1_sel:WORD_0
	v_cmp_o_f16_e32 vcc, v4, v4
	v_cndmask_b32_e32 v12, v33, v12, vcc
	v_and_b32_e32 v12, v12, v37
	v_cmp_eq_u32_e32 vcc, v12, v28
	s_and_b64 exec, exec, vcc
	s_cbranch_execz .LBB57_92
; %bb.97:                               ;   in Loop: Header=BB57_95 Depth=2
	v_perm_b32 v4, v4, s29, v36
	ds_write_b32 v7, v4 offset:3072
	s_branch .LBB57_92
.LBB57_98:                              ;   in Loop: Header=BB57_95 Depth=2
	s_mov_b64 s[72:73], -1
                                        ; implicit-def: $vgpr2
                                        ; implicit-def: $vgpr1
	s_mov_b64 s[34:35], -1
	s_branch .LBB57_94
.LBB57_99:                              ;   in Loop: Header=BB57_7 Depth=1
	s_or_b64 exec, exec, s[26:27]
	s_andn2_b64 s[26:27], s[68:69], exec
	s_and_b64 s[34:35], s[70:71], exec
	v_lshrrev_b32_e32 v38, 16, v4
	s_or_b64 s[68:69], s[26:27], s[34:35]
.LBB57_100:                             ;   in Loop: Header=BB57_7 Depth=1
	s_or_b64 exec, exec, s[24:25]
	s_mov_b64 s[24:25], 0
	s_mov_b64 s[26:27], -1
.LBB57_101:                             ;   in Loop: Header=BB57_7 Depth=1
	s_orn2_b64 s[68:69], s[68:69], exec
.LBB57_102:                             ;   in Loop: Header=BB57_7 Depth=1
	s_or_b64 exec, exec, s[6:7]
	s_andn2_b64 s[6:7], s[66:67], exec
	s_and_b64 s[26:27], s[26:27], exec
	s_or_b64 s[66:67], s[6:7], s[26:27]
	s_andn2_b64 s[6:7], s[64:65], exec
	s_and_b64 s[24:25], s[24:25], exec
	v_readfirstlane_b32 s48, v0
	s_andn2_b64 s[62:63], s[62:63], exec
	s_or_b64 s[64:65], s[6:7], s[24:25]
                                        ; implicit-def: $vgpr12
	s_and_saveexec_b64 s[6:7], s[68:69]
	s_cbranch_execz .LBB57_6
; %bb.103:                              ;   in Loop: Header=BB57_7 Depth=1
	s_xor_b64 s[24:25], s[22:23], -1
	s_mov_b64 s[22:23], 0
	v_mov_b32_e32 v12, 1
	v_mov_b32_e32 v4, 1
	s_and_saveexec_b64 s[20:21], s[24:25]
	s_cbranch_execz .LBB57_112
; %bb.104:                              ;   in Loop: Header=BB57_7 Depth=1
	v_cmp_ge_i32_e32 vcc, s78, v39
	s_and_saveexec_b64 s[22:23], vcc
	s_xor_b64 s[22:23], exec, s[22:23]
	s_cbranch_execz .LBB57_109
; %bb.105:                              ;   in Loop: Header=BB57_7 Depth=1
	ds_read_b32 v1, v7 offset:4096
	v_and_b32_e32 v28, v28, v6
	v_or_b32_e32 v37, v37, v3
	s_waitcnt lgkmcnt(0)
	v_cmp_ne_u32_e32 vcc, 0, v1
	s_cbranch_vccnz .LBB57_109
; %bb.106:                              ;   in Loop: Header=BB57_7 Depth=1
	s_and_saveexec_b64 s[24:25], s[0:1]
; %bb.107:                              ;   in Loop: Header=BB57_7 Depth=1
	v_mov_b32_e32 v1, s78
	ds_write_b32 v7, v1 offset:4100
; %bb.108:                              ;   in Loop: Header=BB57_7 Depth=1
	s_or_b64 exec, exec, s[24:25]
	s_waitcnt lgkmcnt(0)
	s_barrier
.LBB57_109:                             ;   in Loop: Header=BB57_7 Depth=1
	s_or_saveexec_b64 s[22:23], s[22:23]
	s_mov_b64 s[24:25], 0
	v_mov_b32_e32 v4, 8
	s_xor_b64 exec, exec, s[22:23]
; %bb.110:                              ;   in Loop: Header=BB57_7 Depth=1
	s_mov_b64 s[24:25], exec
	v_subrev_u32_e32 v39, s78, v39
	v_mov_b32_e32 v4, 0
; %bb.111:                              ;   in Loop: Header=BB57_7 Depth=1
	s_or_b64 exec, exec, s[22:23]
	s_and_b64 s[22:23], s[24:25], exec
	v_mov_b32_e32 v12, v39
.LBB57_112:                             ;   in Loop: Header=BB57_7 Depth=1
	s_or_b64 exec, exec, s[20:21]
	s_mov_b64 s[20:21], -1
	s_mov_b64 s[68:69], -1
                                        ; implicit-def: $sgpr24_sgpr25
                                        ; implicit-def: $sgpr26_sgpr27
	s_and_saveexec_b64 s[34:35], s[22:23]
	s_xor_b64 s[22:23], exec, s[34:35]
	s_cbranch_execz .LBB57_235
; %bb.113:                              ;   in Loop: Header=BB57_7 Depth=1
	s_cmp_eq_u32 s82, 1
	s_cselect_b64 s[24:25], -1, 0
	v_cmp_eq_u32_e32 vcc, 1, v12
	s_and_b64 s[70:71], s[24:25], vcc
	s_mov_b64 s[72:73], -1
                                        ; implicit-def: $sgpr26_sgpr27
                                        ; implicit-def: $sgpr24_sgpr25
	s_and_saveexec_b64 s[68:69], s[70:71]
	s_cbranch_execz .LBB57_141
; %bb.114:                              ;   in Loop: Header=BB57_7 Depth=1
	ds_read_b32 v1, v7 offset:4096
	s_waitcnt lgkmcnt(0)
	s_barrier
	v_readfirstlane_b32 s83, v1
	s_and_saveexec_b64 s[24:25], s[4:5]
; %bb.115:                              ;   in Loop: Header=BB57_7 Depth=1
	ds_write_b16 v17, v7
; %bb.116:                              ;   in Loop: Header=BB57_7 Depth=1
	s_or_b64 exec, exec, s[24:25]
	v_and_b32_e32 v1, v28, v6
	v_lshl_or_b32 v28, 1, v32, v1
	v_or_b32_e32 v37, v37, v3
	s_mov_b64 s[24:25], -1
	s_mov_b64 s[26:27], 0
	s_cmp_gt_i32 s83, 0
	s_mov_b64 s[72:73], 0
	s_mov_b64 s[74:75], -1
	s_waitcnt lgkmcnt(0)
	s_barrier
                                        ; implicit-def: $vgpr38
	s_cbranch_scc1 .LBB57_128
; %bb.117:                              ;   in Loop: Header=BB57_7 Depth=1
	s_mov_b64 s[74:75], 0
                                        ; implicit-def: $vgpr38
	s_and_saveexec_b64 s[76:77], s[16:17]
	s_cbranch_execz .LBB57_127
; %bb.118:                              ;   in Loop: Header=BB57_7 Depth=1
	v_mov_b32_e32 v1, v5
	v_mov_b32_e32 v13, v0
                                        ; implicit-def: $sgpr78_sgpr79
	s_branch .LBB57_122
.LBB57_119:                             ;   in Loop: Header=BB57_122 Depth=2
	s_or_b64 exec, exec, s[80:81]
	s_waitcnt lgkmcnt(0)
	s_barrier
	ds_read_b32 v2, v7 offset:3072
	s_waitcnt lgkmcnt(0)
	s_barrier
	v_cmp_neq_f16_e32 vcc, 0, v2
	s_cbranch_vccnz .LBB57_125
; %bb.120:                              ;   in Loop: Header=BB57_122 Depth=2
	v_add_u32_e32 v13, s36, v13
	v_cmp_le_i32_e32 vcc, s9, v13
	v_add_u32_e32 v1, s38, v1
	s_mov_b64 s[34:35], 0
	s_orn2_b64 s[80:81], vcc, exec
.LBB57_121:                             ;   in Loop: Header=BB57_122 Depth=2
	s_and_b64 s[48:49], exec, s[80:81]
	s_or_b64 s[72:73], s[48:49], s[72:73]
	s_andn2_b64 s[48:49], s[78:79], exec
	s_and_b64 s[34:35], s[34:35], exec
	s_or_b64 s[78:79], s[48:49], s[34:35]
	s_andn2_b64 exec, exec, s[72:73]
	s_cbranch_execz .LBB57_126
.LBB57_122:                             ;   Parent Loop BB57_7 Depth=1
                                        ; =>  This Inner Loop Header: Depth=2
	v_cmp_gt_i32_e32 vcc, s28, v13
	s_and_saveexec_b64 s[80:81], vcc
	s_cbranch_execz .LBB57_119
; %bb.123:                              ;   in Loop: Header=BB57_122 Depth=2
	v_ashrrev_i32_e32 v2, 31, v1
	v_lshlrev_b64 v[38:39], 1, v[1:2]
	v_mov_b32_e32 v2, s30
	v_add_co_u32_e32 v38, vcc, s41, v38
	v_addc_co_u32_e32 v39, vcc, v2, v39, vcc
	global_load_ushort v2, v[38:39], off
	s_waitcnt vmcnt(0)
	v_cmp_lt_i16_e32 vcc, -1, v2
	v_cndmask_b32_e32 v38, v33, v34, vcc
	v_xor_b32_sdwa v38, v38, v2 dst_sel:DWORD dst_unused:UNUSED_PAD src0_sel:DWORD src1_sel:WORD_0
	v_cmp_o_f16_e32 vcc, v2, v2
	v_cndmask_b32_e32 v38, v33, v38, vcc
	v_and_b32_e32 v38, v38, v37
	v_cmp_eq_u32_e32 vcc, v38, v28
	s_and_b64 exec, exec, vcc
	s_cbranch_execz .LBB57_119
; %bb.124:                              ;   in Loop: Header=BB57_122 Depth=2
	v_perm_b32 v2, v2, s29, v36
	ds_write_b32 v7, v2 offset:3072
	s_branch .LBB57_119
.LBB57_125:                             ;   in Loop: Header=BB57_122 Depth=2
	s_mov_b64 s[80:81], -1
                                        ; implicit-def: $vgpr13
                                        ; implicit-def: $vgpr1
	s_mov_b64 s[34:35], -1
	s_branch .LBB57_121
.LBB57_126:                             ;   in Loop: Header=BB57_7 Depth=1
	s_or_b64 exec, exec, s[72:73]
	v_lshrrev_b32_e32 v38, 16, v2
	s_and_b64 s[72:73], s[78:79], exec
.LBB57_127:                             ;   in Loop: Header=BB57_7 Depth=1
	s_or_b64 exec, exec, s[76:77]
.LBB57_128:                             ;   in Loop: Header=BB57_7 Depth=1
	s_and_b64 vcc, exec, s[74:75]
	s_cbranch_vccz .LBB57_140
; %bb.129:                              ;   in Loop: Header=BB57_7 Depth=1
	s_add_i32 s48, s83, s37
	s_abs_i32 s25, s48
	s_mul_hi_u32 s26, s25, s8
	s_mul_i32 s26, s26, s36
	s_sub_i32 s25, s25, s26
	s_ashr_i32 s24, s48, 31
	s_sub_i32 s26, s25, s36
	s_cmp_ge_u32 s25, s36
	s_cselect_b32 s25, s26, s25
	s_sub_i32 s26, s25, s36
	s_cmp_ge_u32 s25, s36
	s_cselect_b32 s25, s26, s25
	s_xor_b32 s25, s25, s24
	s_sub_i32 s24, s24, s25
	s_add_i32 s48, s48, s24
	v_cmp_gt_i32_e32 vcc, s48, v0
                                        ; implicit-def: $vgpr38
	s_and_saveexec_b64 s[24:25], vcc
	s_cbranch_execz .LBB57_139
; %bb.130:                              ;   in Loop: Header=BB57_7 Depth=1
	s_mov_b64 s[26:27], 0
	v_mov_b32_e32 v1, v16
	v_mov_b32_e32 v2, v0
                                        ; implicit-def: $sgpr74_sgpr75
	s_branch .LBB57_134
.LBB57_131:                             ;   in Loop: Header=BB57_134 Depth=2
	s_or_b64 exec, exec, s[34:35]
	s_waitcnt lgkmcnt(0)
	s_barrier
	ds_read_b32 v13, v7 offset:3072
	s_waitcnt lgkmcnt(0)
	s_barrier
	v_cmp_eq_f16_e32 vcc, 0, v13
	s_cbranch_vccz .LBB57_137
; %bb.132:                              ;   in Loop: Header=BB57_134 Depth=2
	v_add_u32_e32 v2, s36, v2
	v_cmp_le_i32_e32 vcc, s48, v2
	v_add_u32_e32 v1, s52, v1
	s_mov_b64 s[34:35], 0
	s_orn2_b64 s[76:77], vcc, exec
.LBB57_133:                             ;   in Loop: Header=BB57_134 Depth=2
	s_and_b64 s[76:77], exec, s[76:77]
	s_or_b64 s[26:27], s[76:77], s[26:27]
	s_andn2_b64 s[74:75], s[74:75], exec
	s_and_b64 s[34:35], s[34:35], exec
	s_or_b64 s[74:75], s[74:75], s[34:35]
	s_andn2_b64 exec, exec, s[26:27]
	s_cbranch_execz .LBB57_138
.LBB57_134:                             ;   Parent Loop BB57_7 Depth=1
                                        ; =>  This Inner Loop Header: Depth=2
	v_cmp_gt_i32_e32 vcc, s83, v2
	s_and_saveexec_b64 s[34:35], vcc
	s_cbranch_execz .LBB57_131
; %bb.135:                              ;   in Loop: Header=BB57_134 Depth=2
	ds_read_u16 v13, v1
	s_waitcnt lgkmcnt(0)
	v_cmp_lt_i16_e32 vcc, -1, v13
	v_cndmask_b32_e32 v38, v33, v34, vcc
	v_xor_b32_sdwa v38, v38, v13 dst_sel:DWORD dst_unused:UNUSED_PAD src0_sel:DWORD src1_sel:WORD_0
	v_cmp_o_f16_e32 vcc, v13, v13
	v_cndmask_b32_e32 v38, v33, v38, vcc
	v_and_b32_e32 v38, v38, v37
	v_cmp_eq_u32_e32 vcc, v38, v28
	s_and_b64 exec, exec, vcc
	s_cbranch_execz .LBB57_131
; %bb.136:                              ;   in Loop: Header=BB57_134 Depth=2
	v_perm_b32 v13, v13, s29, v36
	ds_write_b32 v7, v13 offset:3072
	s_branch .LBB57_131
.LBB57_137:                             ;   in Loop: Header=BB57_134 Depth=2
	s_mov_b64 s[76:77], -1
                                        ; implicit-def: $vgpr2
                                        ; implicit-def: $vgpr1
	s_mov_b64 s[34:35], -1
	s_branch .LBB57_133
.LBB57_138:                             ;   in Loop: Header=BB57_7 Depth=1
	s_or_b64 exec, exec, s[26:27]
	s_andn2_b64 s[26:27], s[72:73], exec
	s_and_b64 s[34:35], s[74:75], exec
	v_lshrrev_b32_e32 v38, 16, v13
	s_or_b64 s[72:73], s[26:27], s[34:35]
.LBB57_139:                             ;   in Loop: Header=BB57_7 Depth=1
	s_or_b64 exec, exec, s[24:25]
	s_mov_b64 s[24:25], 0
	s_mov_b64 s[26:27], -1
.LBB57_140:                             ;   in Loop: Header=BB57_7 Depth=1
	s_orn2_b64 s[72:73], s[72:73], exec
.LBB57_141:                             ;   in Loop: Header=BB57_7 Depth=1
	s_or_b64 exec, exec, s[68:69]
	s_mov_b64 s[74:75], 0
	s_and_saveexec_b64 s[68:69], s[72:73]
	s_cbranch_execz .LBB57_234
; %bb.142:                              ;   in Loop: Header=BB57_7 Depth=1
	s_xor_b64 s[34:35], s[70:71], -1
	s_mov_b64 s[78:79], 0
	v_mov_b32_e32 v13, 1
	v_mov_b32_e32 v4, 1
	s_and_saveexec_b64 s[70:71], s[34:35]
	s_cbranch_execz .LBB57_148
; %bb.143:                              ;   in Loop: Header=BB57_7 Depth=1
	v_cmp_ge_i32_e32 vcc, s82, v12
	s_and_saveexec_b64 s[34:35], vcc
	s_xor_b64 s[72:73], exec, s[34:35]
	s_cbranch_execz .LBB57_145
; %bb.144:                              ;   in Loop: Header=BB57_7 Depth=1
	v_and_b32_e32 v1, v28, v6
	v_lshl_or_b32 v28, 1, v32, v1
	ds_read_b32 v1, v7 offset:4096
	v_or_b32_e32 v37, v37, v3
	s_waitcnt lgkmcnt(0)
	v_cmp_ne_u32_e32 vcc, 0, v1
	s_cbranch_vccz .LBB57_162
.LBB57_145:                             ;   in Loop: Header=BB57_7 Depth=1
	s_or_saveexec_b64 s[72:73], s[72:73]
	v_mov_b32_e32 v4, 8
	s_xor_b64 exec, exec, s[72:73]
.LBB57_146:                             ;   in Loop: Header=BB57_7 Depth=1
	v_subrev_u32_e32 v12, s82, v12
	v_mov_b32_e32 v4, 0
	s_mov_b64 s[74:75], exec
.LBB57_147:                             ;   in Loop: Header=BB57_7 Depth=1
	s_or_b64 exec, exec, s[72:73]
	s_and_b64 s[78:79], s[74:75], exec
	v_mov_b32_e32 v13, v12
.LBB57_148:                             ;   in Loop: Header=BB57_7 Depth=1
	s_or_b64 exec, exec, s[70:71]
	s_mov_b64 s[76:77], -1
                                        ; implicit-def: $sgpr72_sgpr73
                                        ; implicit-def: $sgpr74_sgpr75
	s_and_saveexec_b64 s[70:71], s[78:79]
	s_cbranch_execz .LBB57_233
; %bb.149:                              ;   in Loop: Header=BB57_7 Depth=1
	s_cmp_eq_u32 s90, 1
	s_cselect_b64 s[34:35], -1, 0
	v_cmp_eq_u32_e32 vcc, 1, v13
	s_and_b64 s[78:79], s[34:35], vcc
	s_mov_b64 s[80:81], -1
                                        ; implicit-def: $sgpr74_sgpr75
                                        ; implicit-def: $sgpr72_sgpr73
	s_and_saveexec_b64 s[76:77], s[78:79]
	s_cbranch_execz .LBB57_180
; %bb.150:                              ;   in Loop: Header=BB57_7 Depth=1
	ds_read_b32 v1, v7 offset:4096
	s_waitcnt lgkmcnt(0)
	s_barrier
	v_readfirstlane_b32 s91, v1
	s_and_saveexec_b64 s[34:35], s[4:5]
; %bb.151:                              ;   in Loop: Header=BB57_7 Depth=1
	ds_write_b16 v17, v7
; %bb.152:                              ;   in Loop: Header=BB57_7 Depth=1
	s_or_b64 exec, exec, s[34:35]
	v_and_b32_e32 v1, v28, v6
	v_lshl_or_b32 v28, 2, v32, v1
	v_or_b32_e32 v37, v37, v3
	s_mov_b64 s[72:73], -1
	s_mov_b64 s[74:75], 0
	s_cmp_gt_i32 s91, 0
	s_mov_b64 s[80:81], 0
	s_mov_b64 s[82:83], -1
	s_waitcnt lgkmcnt(0)
	s_barrier
                                        ; implicit-def: $vgpr38
	s_cbranch_scc1 .LBB57_167
; %bb.153:                              ;   in Loop: Header=BB57_7 Depth=1
	s_mov_b64 s[82:83], 0
                                        ; implicit-def: $vgpr38
	s_and_saveexec_b64 s[84:85], s[16:17]
	s_cbranch_execz .LBB57_166
; %bb.154:                              ;   in Loop: Header=BB57_7 Depth=1
	v_mov_b32_e32 v1, v5
	v_mov_b32_e32 v12, v0
                                        ; implicit-def: $sgpr86_sgpr87
	s_branch .LBB57_158
.LBB57_155:                             ;   in Loop: Header=BB57_158 Depth=2
	s_or_b64 exec, exec, s[88:89]
	s_waitcnt lgkmcnt(0)
	s_barrier
	ds_read_b32 v2, v7 offset:3072
	s_waitcnt lgkmcnt(0)
	s_barrier
	v_cmp_neq_f16_e32 vcc, 0, v2
	s_cbranch_vccnz .LBB57_161
; %bb.156:                              ;   in Loop: Header=BB57_158 Depth=2
	v_add_u32_e32 v12, s36, v12
	v_cmp_le_i32_e32 vcc, s9, v12
	v_add_u32_e32 v1, s38, v1
	s_mov_b64 s[34:35], 0
	s_orn2_b64 s[88:89], vcc, exec
.LBB57_157:                             ;   in Loop: Header=BB57_158 Depth=2
	s_and_b64 s[48:49], exec, s[88:89]
	s_or_b64 s[80:81], s[48:49], s[80:81]
	s_andn2_b64 s[48:49], s[86:87], exec
	s_and_b64 s[34:35], s[34:35], exec
	s_or_b64 s[86:87], s[48:49], s[34:35]
	s_andn2_b64 exec, exec, s[80:81]
	s_cbranch_execz .LBB57_165
.LBB57_158:                             ;   Parent Loop BB57_7 Depth=1
                                        ; =>  This Inner Loop Header: Depth=2
	v_cmp_gt_i32_e32 vcc, s28, v12
	s_and_saveexec_b64 s[88:89], vcc
	s_cbranch_execz .LBB57_155
; %bb.159:                              ;   in Loop: Header=BB57_158 Depth=2
	v_ashrrev_i32_e32 v2, 31, v1
	v_lshlrev_b64 v[38:39], 1, v[1:2]
	v_mov_b32_e32 v2, s30
	v_add_co_u32_e32 v38, vcc, s41, v38
	v_addc_co_u32_e32 v39, vcc, v2, v39, vcc
	global_load_ushort v2, v[38:39], off
	s_waitcnt vmcnt(0)
	v_cmp_lt_i16_e32 vcc, -1, v2
	v_cndmask_b32_e32 v38, v33, v34, vcc
	v_xor_b32_sdwa v38, v38, v2 dst_sel:DWORD dst_unused:UNUSED_PAD src0_sel:DWORD src1_sel:WORD_0
	v_cmp_o_f16_e32 vcc, v2, v2
	v_cndmask_b32_e32 v38, v33, v38, vcc
	v_and_b32_e32 v38, v38, v37
	v_cmp_eq_u32_e32 vcc, v38, v28
	s_and_b64 exec, exec, vcc
	s_cbranch_execz .LBB57_155
; %bb.160:                              ;   in Loop: Header=BB57_158 Depth=2
	v_perm_b32 v2, v2, s29, v36
	ds_write_b32 v7, v2 offset:3072
	s_branch .LBB57_155
.LBB57_161:                             ;   in Loop: Header=BB57_158 Depth=2
	s_mov_b64 s[88:89], -1
                                        ; implicit-def: $vgpr12
                                        ; implicit-def: $vgpr1
	s_mov_b64 s[34:35], -1
	s_branch .LBB57_157
.LBB57_162:                             ;   in Loop: Header=BB57_7 Depth=1
	s_and_saveexec_b64 s[34:35], s[0:1]
; %bb.163:                              ;   in Loop: Header=BB57_7 Depth=1
	v_mov_b32_e32 v1, s82
	ds_write_b32 v7, v1 offset:4100
; %bb.164:                              ;   in Loop: Header=BB57_7 Depth=1
	s_or_b64 exec, exec, s[34:35]
	s_waitcnt lgkmcnt(0)
	s_barrier
	s_or_saveexec_b64 s[72:73], s[72:73]
	v_mov_b32_e32 v4, 8
	s_xor_b64 exec, exec, s[72:73]
	s_cbranch_execnz .LBB57_146
	s_branch .LBB57_147
.LBB57_165:                             ;   in Loop: Header=BB57_7 Depth=1
	s_or_b64 exec, exec, s[80:81]
	v_lshrrev_b32_e32 v38, 16, v2
	s_and_b64 s[80:81], s[86:87], exec
.LBB57_166:                             ;   in Loop: Header=BB57_7 Depth=1
	s_or_b64 exec, exec, s[84:85]
.LBB57_167:                             ;   in Loop: Header=BB57_7 Depth=1
	s_and_b64 vcc, exec, s[82:83]
	s_cbranch_vccz .LBB57_179
; %bb.168:                              ;   in Loop: Header=BB57_7 Depth=1
	s_add_i32 s48, s91, s37
	s_abs_i32 s35, s48
	s_mul_hi_u32 s49, s35, s8
	s_mul_i32 s49, s49, s36
	s_sub_i32 s35, s35, s49
	s_ashr_i32 s34, s48, 31
	s_sub_i32 s49, s35, s36
	s_cmp_ge_u32 s35, s36
	s_cselect_b32 s35, s49, s35
	s_sub_i32 s49, s35, s36
	s_cmp_ge_u32 s35, s36
	s_cselect_b32 s35, s49, s35
	s_xor_b32 s35, s35, s34
	s_sub_i32 s34, s34, s35
	s_add_i32 s48, s48, s34
	v_cmp_gt_i32_e32 vcc, s48, v0
                                        ; implicit-def: $vgpr38
	s_and_saveexec_b64 s[72:73], vcc
	s_cbranch_execz .LBB57_178
; %bb.169:                              ;   in Loop: Header=BB57_7 Depth=1
	s_mov_b64 s[74:75], 0
	v_mov_b32_e32 v1, v16
	v_mov_b32_e32 v2, v0
                                        ; implicit-def: $sgpr82_sgpr83
	s_branch .LBB57_173
.LBB57_170:                             ;   in Loop: Header=BB57_173 Depth=2
	s_or_b64 exec, exec, s[34:35]
	s_waitcnt lgkmcnt(0)
	s_barrier
	ds_read_b32 v12, v7 offset:3072
	s_waitcnt lgkmcnt(0)
	s_barrier
	v_cmp_eq_f16_e32 vcc, 0, v12
	s_cbranch_vccz .LBB57_176
; %bb.171:                              ;   in Loop: Header=BB57_173 Depth=2
	v_add_u32_e32 v2, s36, v2
	v_cmp_le_i32_e32 vcc, s48, v2
	v_add_u32_e32 v1, s52, v1
	s_mov_b64 s[34:35], 0
	s_orn2_b64 s[84:85], vcc, exec
.LBB57_172:                             ;   in Loop: Header=BB57_173 Depth=2
	s_and_b64 s[84:85], exec, s[84:85]
	s_or_b64 s[74:75], s[84:85], s[74:75]
	s_andn2_b64 s[82:83], s[82:83], exec
	s_and_b64 s[34:35], s[34:35], exec
	s_or_b64 s[82:83], s[82:83], s[34:35]
	s_andn2_b64 exec, exec, s[74:75]
	s_cbranch_execz .LBB57_177
.LBB57_173:                             ;   Parent Loop BB57_7 Depth=1
                                        ; =>  This Inner Loop Header: Depth=2
	v_cmp_gt_i32_e32 vcc, s91, v2
	s_and_saveexec_b64 s[34:35], vcc
	s_cbranch_execz .LBB57_170
; %bb.174:                              ;   in Loop: Header=BB57_173 Depth=2
	ds_read_u16 v12, v1
	s_waitcnt lgkmcnt(0)
	v_cmp_lt_i16_e32 vcc, -1, v12
	v_cndmask_b32_e32 v38, v33, v34, vcc
	v_xor_b32_sdwa v38, v38, v12 dst_sel:DWORD dst_unused:UNUSED_PAD src0_sel:DWORD src1_sel:WORD_0
	v_cmp_o_f16_e32 vcc, v12, v12
	v_cndmask_b32_e32 v38, v33, v38, vcc
	v_and_b32_e32 v38, v38, v37
	v_cmp_eq_u32_e32 vcc, v38, v28
	s_and_b64 exec, exec, vcc
	s_cbranch_execz .LBB57_170
; %bb.175:                              ;   in Loop: Header=BB57_173 Depth=2
	v_perm_b32 v12, v12, s29, v36
	ds_write_b32 v7, v12 offset:3072
	s_branch .LBB57_170
.LBB57_176:                             ;   in Loop: Header=BB57_173 Depth=2
	s_mov_b64 s[84:85], -1
                                        ; implicit-def: $vgpr2
                                        ; implicit-def: $vgpr1
	s_mov_b64 s[34:35], -1
	s_branch .LBB57_172
.LBB57_177:                             ;   in Loop: Header=BB57_7 Depth=1
	s_or_b64 exec, exec, s[74:75]
	s_andn2_b64 s[34:35], s[80:81], exec
	s_and_b64 s[48:49], s[82:83], exec
	v_lshrrev_b32_e32 v38, 16, v12
	s_or_b64 s[80:81], s[34:35], s[48:49]
.LBB57_178:                             ;   in Loop: Header=BB57_7 Depth=1
	s_or_b64 exec, exec, s[72:73]
	s_mov_b64 s[72:73], 0
	s_mov_b64 s[74:75], -1
.LBB57_179:                             ;   in Loop: Header=BB57_7 Depth=1
	s_orn2_b64 s[80:81], s[80:81], exec
.LBB57_180:                             ;   in Loop: Header=BB57_7 Depth=1
	s_or_b64 exec, exec, s[76:77]
	s_mov_b64 s[82:83], 0
	s_and_saveexec_b64 s[76:77], s[80:81]
	s_cbranch_execz .LBB57_232
; %bb.181:                              ;   in Loop: Header=BB57_7 Depth=1
	s_xor_b64 s[34:35], s[78:79], -1
	s_mov_b64 s[86:87], 0
	v_mov_b32_e32 v12, 1
	v_mov_b32_e32 v4, 1
	s_and_saveexec_b64 s[78:79], s[34:35]
	s_cbranch_execz .LBB57_190
; %bb.182:                              ;   in Loop: Header=BB57_7 Depth=1
	v_cmp_ge_i32_e32 vcc, s90, v13
	s_and_saveexec_b64 s[34:35], vcc
	s_xor_b64 s[80:81], exec, s[34:35]
	s_cbranch_execz .LBB57_187
; %bb.183:                              ;   in Loop: Header=BB57_7 Depth=1
	v_and_b32_e32 v1, v28, v6
	v_lshl_or_b32 v28, 2, v32, v1
	ds_read_b32 v1, v7 offset:4096
	v_or_b32_e32 v37, v37, v3
	s_waitcnt lgkmcnt(0)
	v_cmp_ne_u32_e32 vcc, 0, v1
	s_cbranch_vccnz .LBB57_187
; %bb.184:                              ;   in Loop: Header=BB57_7 Depth=1
	s_and_saveexec_b64 s[34:35], s[0:1]
; %bb.185:                              ;   in Loop: Header=BB57_7 Depth=1
	v_mov_b32_e32 v1, s90
	ds_write_b32 v7, v1 offset:4100
; %bb.186:                              ;   in Loop: Header=BB57_7 Depth=1
	s_or_b64 exec, exec, s[34:35]
	s_waitcnt lgkmcnt(0)
	s_barrier
.LBB57_187:                             ;   in Loop: Header=BB57_7 Depth=1
	s_or_saveexec_b64 s[80:81], s[80:81]
	v_mov_b32_e32 v4, 8
	s_xor_b64 exec, exec, s[80:81]
; %bb.188:                              ;   in Loop: Header=BB57_7 Depth=1
	v_subrev_u32_e32 v13, s90, v13
	v_mov_b32_e32 v4, 0
	s_mov_b64 s[82:83], exec
; %bb.189:                              ;   in Loop: Header=BB57_7 Depth=1
	s_or_b64 exec, exec, s[80:81]
	s_and_b64 s[86:87], s[82:83], exec
	v_mov_b32_e32 v12, v13
.LBB57_190:                             ;   in Loop: Header=BB57_7 Depth=1
	s_or_b64 exec, exec, s[78:79]
	s_mov_b64 s[84:85], -1
                                        ; implicit-def: $sgpr82_sgpr83
                                        ; implicit-def: $sgpr80_sgpr81
	s_and_saveexec_b64 s[78:79], s[86:87]
	s_cbranch_execz .LBB57_231
; %bb.191:                              ;   in Loop: Header=BB57_7 Depth=1
	s_cmp_eq_u32 s53, 1
	s_cselect_b64 s[34:35], -1, 0
	v_cmp_eq_u32_e32 vcc, 1, v12
	s_and_b64 s[84:85], s[34:35], vcc
	s_mov_b64 s[88:89], -1
                                        ; implicit-def: $sgpr82_sgpr83
                                        ; implicit-def: $sgpr80_sgpr81
	s_and_saveexec_b64 s[86:87], s[84:85]
	s_cbranch_execz .LBB57_219
; %bb.192:                              ;   in Loop: Header=BB57_7 Depth=1
	ds_read_b32 v1, v7 offset:4096
	s_waitcnt lgkmcnt(0)
	s_barrier
	v_readfirstlane_b32 s48, v1
	s_and_saveexec_b64 s[34:35], s[4:5]
; %bb.193:                              ;   in Loop: Header=BB57_7 Depth=1
	ds_write_b16 v17, v7
; %bb.194:                              ;   in Loop: Header=BB57_7 Depth=1
	s_or_b64 exec, exec, s[34:35]
	v_or_b32_e32 v28, v28, v3
	v_or_b32_e32 v37, v37, v3
	s_mov_b64 s[80:81], -1
	s_mov_b64 s[82:83], 0
	s_cmp_gt_i32 s48, 0
	s_mov_b64 s[88:89], 0
	s_mov_b64 s[90:91], -1
	s_waitcnt lgkmcnt(0)
	s_barrier
                                        ; implicit-def: $vgpr38
	s_cbranch_scc1 .LBB57_206
; %bb.195:                              ;   in Loop: Header=BB57_7 Depth=1
	s_mov_b64 s[90:91], 0
                                        ; implicit-def: $vgpr38
	s_and_saveexec_b64 s[92:93], s[16:17]
	s_cbranch_execz .LBB57_205
; %bb.196:                              ;   in Loop: Header=BB57_7 Depth=1
	v_mov_b32_e32 v1, v5
	v_mov_b32_e32 v6, v0
                                        ; implicit-def: $sgpr94_sgpr95
	s_branch .LBB57_200
.LBB57_197:                             ;   in Loop: Header=BB57_200 Depth=2
	s_or_b64 exec, exec, s[34:35]
	s_waitcnt lgkmcnt(0)
	s_barrier
	ds_read_b32 v2, v7 offset:3072
	s_waitcnt lgkmcnt(0)
	s_barrier
	v_cmp_neq_f16_e32 vcc, 0, v2
	s_cbranch_vccnz .LBB57_203
; %bb.198:                              ;   in Loop: Header=BB57_200 Depth=2
	v_add_u32_e32 v6, s36, v6
	v_cmp_le_i32_e32 vcc, s9, v6
	v_add_u32_e32 v1, s38, v1
	s_mov_b64 s[34:35], 0
	s_orn2_b64 vcc, vcc, exec
.LBB57_199:                             ;   in Loop: Header=BB57_200 Depth=2
	s_and_b64 vcc, exec, vcc
	s_or_b64 s[88:89], vcc, s[88:89]
	s_andn2_b64 s[94:95], s[94:95], exec
	s_and_b64 s[34:35], s[34:35], exec
	s_or_b64 s[94:95], s[94:95], s[34:35]
	s_andn2_b64 exec, exec, s[88:89]
	s_cbranch_execz .LBB57_204
.LBB57_200:                             ;   Parent Loop BB57_7 Depth=1
                                        ; =>  This Inner Loop Header: Depth=2
	v_cmp_gt_i32_e32 vcc, s28, v6
	s_and_saveexec_b64 s[34:35], vcc
	s_cbranch_execz .LBB57_197
; %bb.201:                              ;   in Loop: Header=BB57_200 Depth=2
	v_ashrrev_i32_e32 v2, 31, v1
	v_lshlrev_b64 v[38:39], 1, v[1:2]
	v_mov_b32_e32 v2, s30
	v_add_co_u32_e32 v38, vcc, s41, v38
	v_addc_co_u32_e32 v39, vcc, v2, v39, vcc
	global_load_ushort v2, v[38:39], off
	s_waitcnt vmcnt(0)
	v_cmp_lt_i16_e32 vcc, -1, v2
	v_cndmask_b32_e32 v13, v33, v34, vcc
	v_xor_b32_sdwa v13, v13, v2 dst_sel:DWORD dst_unused:UNUSED_PAD src0_sel:DWORD src1_sel:WORD_0
	v_cmp_o_f16_e32 vcc, v2, v2
	v_cndmask_b32_e32 v13, v33, v13, vcc
	v_and_b32_e32 v13, v13, v37
	v_cmp_eq_u32_e32 vcc, v13, v28
	s_and_b64 exec, exec, vcc
	s_cbranch_execz .LBB57_197
; %bb.202:                              ;   in Loop: Header=BB57_200 Depth=2
	v_perm_b32 v2, v2, s29, v36
	ds_write_b32 v7, v2 offset:3072
	s_branch .LBB57_197
.LBB57_203:                             ;   in Loop: Header=BB57_200 Depth=2
	s_mov_b64 vcc, -1
                                        ; implicit-def: $vgpr6
                                        ; implicit-def: $vgpr1
	s_mov_b64 s[34:35], -1
	s_branch .LBB57_199
.LBB57_204:                             ;   in Loop: Header=BB57_7 Depth=1
	s_or_b64 exec, exec, s[88:89]
	v_lshrrev_b32_e32 v38, 16, v2
	s_and_b64 s[88:89], s[94:95], exec
.LBB57_205:                             ;   in Loop: Header=BB57_7 Depth=1
	s_or_b64 exec, exec, s[92:93]
.LBB57_206:                             ;   in Loop: Header=BB57_7 Depth=1
	s_and_b64 vcc, exec, s[90:91]
	s_cbranch_vccz .LBB57_218
; %bb.207:                              ;   in Loop: Header=BB57_7 Depth=1
	s_add_i32 s49, s48, s37
	s_abs_i32 s35, s49
	s_mul_hi_u32 s80, s35, s8
	s_mul_i32 s80, s80, s36
	s_sub_i32 s35, s35, s80
	s_ashr_i32 s34, s49, 31
	s_sub_i32 s80, s35, s36
	s_cmp_ge_u32 s35, s36
	s_cselect_b32 s35, s80, s35
	s_sub_i32 s80, s35, s36
	s_cmp_ge_u32 s35, s36
	s_cselect_b32 s35, s80, s35
	s_xor_b32 s35, s35, s34
	s_sub_i32 s34, s34, s35
	s_add_i32 s49, s49, s34
	v_cmp_gt_i32_e32 vcc, s49, v0
                                        ; implicit-def: $vgpr38
	s_and_saveexec_b64 s[80:81], vcc
	s_cbranch_execz .LBB57_217
; %bb.208:                              ;   in Loop: Header=BB57_7 Depth=1
	s_mov_b64 s[82:83], 0
	v_mov_b32_e32 v1, v16
	v_mov_b32_e32 v2, v0
                                        ; implicit-def: $sgpr90_sgpr91
	s_branch .LBB57_212
.LBB57_209:                             ;   in Loop: Header=BB57_212 Depth=2
	s_or_b64 exec, exec, s[34:35]
	s_waitcnt lgkmcnt(0)
	s_barrier
	ds_read_b32 v6, v7 offset:3072
	s_waitcnt lgkmcnt(0)
	s_barrier
	v_cmp_eq_f16_e32 vcc, 0, v6
	s_cbranch_vccz .LBB57_215
; %bb.210:                              ;   in Loop: Header=BB57_212 Depth=2
	v_add_u32_e32 v2, s36, v2
	v_cmp_le_i32_e32 vcc, s49, v2
	v_add_u32_e32 v1, s52, v1
	s_mov_b64 s[34:35], 0
	s_orn2_b64 s[92:93], vcc, exec
.LBB57_211:                             ;   in Loop: Header=BB57_212 Depth=2
	s_and_b64 s[92:93], exec, s[92:93]
	s_or_b64 s[82:83], s[92:93], s[82:83]
	s_andn2_b64 s[90:91], s[90:91], exec
	s_and_b64 s[34:35], s[34:35], exec
	s_or_b64 s[90:91], s[90:91], s[34:35]
	s_andn2_b64 exec, exec, s[82:83]
	s_cbranch_execz .LBB57_216
.LBB57_212:                             ;   Parent Loop BB57_7 Depth=1
                                        ; =>  This Inner Loop Header: Depth=2
	v_cmp_gt_i32_e32 vcc, s48, v2
	s_and_saveexec_b64 s[34:35], vcc
	s_cbranch_execz .LBB57_209
; %bb.213:                              ;   in Loop: Header=BB57_212 Depth=2
	ds_read_u16 v6, v1
	s_waitcnt lgkmcnt(0)
	v_cmp_lt_i16_e32 vcc, -1, v6
	v_cndmask_b32_e32 v13, v33, v34, vcc
	v_xor_b32_sdwa v13, v13, v6 dst_sel:DWORD dst_unused:UNUSED_PAD src0_sel:DWORD src1_sel:WORD_0
	v_cmp_o_f16_e32 vcc, v6, v6
	v_cndmask_b32_e32 v13, v33, v13, vcc
	v_and_b32_e32 v13, v13, v37
	v_cmp_eq_u32_e32 vcc, v13, v28
	s_and_b64 exec, exec, vcc
	s_cbranch_execz .LBB57_209
; %bb.214:                              ;   in Loop: Header=BB57_212 Depth=2
	v_perm_b32 v6, v6, s29, v36
	ds_write_b32 v7, v6 offset:3072
	s_branch .LBB57_209
.LBB57_215:                             ;   in Loop: Header=BB57_212 Depth=2
	s_mov_b64 s[92:93], -1
                                        ; implicit-def: $vgpr2
                                        ; implicit-def: $vgpr1
	s_mov_b64 s[34:35], -1
	s_branch .LBB57_211
.LBB57_216:                             ;   in Loop: Header=BB57_7 Depth=1
	s_or_b64 exec, exec, s[82:83]
	s_andn2_b64 s[34:35], s[88:89], exec
	s_and_b64 s[48:49], s[90:91], exec
	v_lshrrev_b32_e32 v38, 16, v6
	s_or_b64 s[88:89], s[34:35], s[48:49]
.LBB57_217:                             ;   in Loop: Header=BB57_7 Depth=1
	s_or_b64 exec, exec, s[80:81]
	s_mov_b64 s[80:81], 0
	s_mov_b64 s[82:83], -1
.LBB57_218:                             ;   in Loop: Header=BB57_7 Depth=1
	s_orn2_b64 s[88:89], s[88:89], exec
.LBB57_219:                             ;   in Loop: Header=BB57_7 Depth=1
	s_or_b64 exec, exec, s[86:87]
	s_mov_b64 s[34:35], 0
	s_and_saveexec_b64 s[86:87], s[88:89]
	s_cbranch_execz .LBB57_230
; %bb.220:                              ;   in Loop: Header=BB57_7 Depth=1
	s_xor_b64 s[34:35], s[84:85], -1
	v_mov_b32_e32 v4, 1
	v_mov_b32_e32 v1, 1
	s_and_saveexec_b64 s[84:85], s[34:35]
	s_cbranch_execz .LBB57_229
; %bb.221:                              ;   in Loop: Header=BB57_7 Depth=1
	v_cmp_ge_i32_e32 vcc, s53, v12
	s_and_saveexec_b64 s[34:35], vcc
	s_xor_b64 s[88:89], exec, s[34:35]
	s_cbranch_execz .LBB57_226
; %bb.222:                              ;   in Loop: Header=BB57_7 Depth=1
	ds_read_b32 v1, v7 offset:4096
	v_or_b32_e32 v28, v28, v3
	v_or_b32_e32 v37, v37, v3
	s_waitcnt lgkmcnt(0)
	v_cmp_ne_u32_e32 vcc, 0, v1
	s_cbranch_vccnz .LBB57_226
; %bb.223:                              ;   in Loop: Header=BB57_7 Depth=1
	s_and_saveexec_b64 s[34:35], s[0:1]
; %bb.224:                              ;   in Loop: Header=BB57_7 Depth=1
	v_mov_b32_e32 v1, s53
	ds_write_b32 v7, v1 offset:4100
; %bb.225:                              ;   in Loop: Header=BB57_7 Depth=1
	s_or_b64 exec, exec, s[34:35]
	s_waitcnt lgkmcnt(0)
	s_barrier
.LBB57_226:                             ;   in Loop: Header=BB57_7 Depth=1
	s_andn2_saveexec_b64 s[34:35], s[88:89]
; %bb.227:                              ;   in Loop: Header=BB57_7 Depth=1
	v_subrev_u32_e32 v12, s53, v12
; %bb.228:                              ;   in Loop: Header=BB57_7 Depth=1
	s_or_b64 exec, exec, s[34:35]
	v_mov_b32_e32 v4, 8
	v_mov_b32_e32 v1, v12
.LBB57_229:                             ;   in Loop: Header=BB57_7 Depth=1
	s_or_b64 exec, exec, s[84:85]
	s_mov_b64 s[34:35], exec
	v_mov_b32_e32 v12, v1
.LBB57_230:                             ;   in Loop: Header=BB57_7 Depth=1
	s_or_b64 exec, exec, s[86:87]
	s_orn2_b64 s[84:85], s[34:35], exec
.LBB57_231:                             ;   in Loop: Header=BB57_7 Depth=1
	s_or_b64 exec, exec, s[78:79]
	s_andn2_b64 s[34:35], s[74:75], exec
	s_and_b64 s[48:49], s[82:83], exec
	s_or_b64 s[74:75], s[34:35], s[48:49]
	s_andn2_b64 s[34:35], s[72:73], exec
	s_and_b64 s[48:49], s[80:81], exec
	s_or_b64 s[72:73], s[34:35], s[48:49]
	s_and_b64 s[82:83], s[84:85], exec
	v_mov_b32_e32 v13, v12
.LBB57_232:                             ;   in Loop: Header=BB57_7 Depth=1
	s_or_b64 exec, exec, s[76:77]
	s_orn2_b64 s[76:77], s[82:83], exec
.LBB57_233:                             ;   in Loop: Header=BB57_7 Depth=1
	s_or_b64 exec, exec, s[70:71]
	s_andn2_b64 s[26:27], s[26:27], exec
	s_and_b64 s[34:35], s[74:75], exec
	s_or_b64 s[26:27], s[26:27], s[34:35]
	s_andn2_b64 s[24:25], s[24:25], exec
	s_and_b64 s[34:35], s[72:73], exec
	s_or_b64 s[24:25], s[24:25], s[34:35]
	s_and_b64 s[74:75], s[76:77], exec
	v_mov_b32_e32 v12, v13
.LBB57_234:                             ;   in Loop: Header=BB57_7 Depth=1
	s_or_b64 exec, exec, s[68:69]
	s_orn2_b64 s[68:69], s[74:75], exec
.LBB57_235:                             ;   in Loop: Header=BB57_7 Depth=1
	s_or_b64 exec, exec, s[22:23]
	s_mov_b64 s[70:71], 0
                                        ; implicit-def: $sgpr48
	s_and_saveexec_b64 s[22:23], s[68:69]
	s_xor_b64 s[22:23], exec, s[22:23]
	s_cbranch_execz .LBB57_5
; %bb.236:                              ;   in Loop: Header=BB57_7 Depth=1
	v_and_b32_e32 v1, 7, v4
	v_cmp_eq_u32_e32 vcc, 0, v1
	s_mov_b64 s[20:21], -1
	s_mov_b64 s[34:35], -1
                                        ; implicit-def: $sgpr48
	s_and_saveexec_b64 s[68:69], vcc
	s_cbranch_execz .LBB57_4
; %bb.237:                              ;   in Loop: Header=BB57_7 Depth=1
	v_add_u32_e32 v1, -2, v32
	v_cmp_eq_u32_e32 vcc, 0, v32
	s_xor_b32 s48, s40, 1
	s_xor_b64 s[34:35], exec, -1
	s_orn2_b64 s[20:21], vcc, exec
	v_mov_b32_e32 v32, v1
	s_branch .LBB57_4
.LBB57_238:
	s_or_b64 exec, exec, s[54:55]
	s_xor_b64 s[6:7], s[60:61], -1
	s_xor_b64 s[4:5], s[56:57], -1
	;; [unrolled: 1-line block ×3, first 2 shown]
	s_mov_b64 s[2:3], 0
	s_and_saveexec_b64 s[10:11], s[4:5]
	s_xor_b64 s[4:5], exec, s[10:11]
	s_cbranch_execnz .LBB57_243
; %bb.239:
	s_andn2_saveexec_b64 s[0:1], s[4:5]
	s_cbranch_execnz .LBB57_263
.LBB57_240:
	s_or_b64 exec, exec, s[0:1]
	s_and_saveexec_b64 s[0:1], s[2:3]
.LBB57_241:
	; divergent unreachable
.LBB57_242:
	s_endpgm
.LBB57_243:
	s_and_saveexec_b64 s[2:3], s[6:7]
	s_xor_b64 s[6:7], exec, s[2:3]
	s_cbranch_execz .LBB57_261
; %bb.244:
	s_and_saveexec_b64 s[2:3], s[8:9]
	s_xor_b64 s[2:3], exec, s[2:3]
; %bb.245:
	v_and_b32_e32 v1, 0x8000, v28
	v_mov_b32_e32 v2, 0x8000
	v_mov_b32_e32 v3, 0xffff
	v_cmp_eq_u32_e32 vcc, 0, v1
	v_cndmask_b32_e32 v1, v2, v3, vcc
	v_xor_b32_e32 v38, v1, v28
; %bb.246:
	s_or_b64 exec, exec, s[2:3]
	s_and_saveexec_b64 s[2:3], s[0:1]
	v_readlane_b32 s22, v44, 18
	v_readlane_b32 s23, v44, 14
	;; [unrolled: 1-line block ×5, first 2 shown]
; %bb.247:
	v_mov_b32_e32 v1, 0
	v_mov_b32_e32 v2, s28
	ds_write_b32 v1, v2 offset:4108
; %bb.248:
	s_or_b64 exec, exec, s[2:3]
	v_mov_b32_e32 v1, 0
	s_waitcnt lgkmcnt(0)
	s_barrier
	ds_read_b32 v1, v1 offset:4108
	s_waitcnt lgkmcnt(0)
	v_min_i32_e32 v1, s28, v1
	v_cmp_lt_i32_e32 vcc, v0, v1
	s_and_saveexec_b64 s[8:9], vcc
	s_cbranch_execz .LBB57_258
; %bb.249:
	v_cmp_u_f16_e32 vcc, v38, v38
	s_mov_b64 s[10:11], 0
	v_mov_b32_e32 v3, s30
	s_xor_b64 s[14:15], vcc, -1
                                        ; implicit-def: $sgpr12_sgpr13
                                        ; implicit-def: $sgpr18_sgpr19
                                        ; implicit-def: $sgpr16_sgpr17
	s_branch .LBB57_251
.LBB57_250:                             ;   in Loop: Header=BB57_251 Depth=1
	s_or_b64 exec, exec, s[2:3]
	s_and_b64 s[2:3], exec, s[18:19]
	s_or_b64 s[10:11], s[2:3], s[10:11]
	s_andn2_b64 s[2:3], s[12:13], exec
	s_and_b64 s[12:13], s[16:17], exec
	s_or_b64 s[12:13], s[2:3], s[12:13]
	s_andn2_b64 exec, exec, s[10:11]
	s_cbranch_execz .LBB57_253
.LBB57_251:                             ; =>This Inner Loop Header: Depth=1
	v_ashrrev_i32_e32 v6, 31, v5
	v_lshlrev_b64 v[6:7], 1, v[5:6]
	v_mov_b32_e32 v2, v0
	v_add_co_u32_e32 v6, vcc, s41, v6
	v_addc_co_u32_e32 v7, vcc, v3, v7, vcc
	global_load_ushort v4, v[6:7], off
	s_or_b64 s[16:17], s[16:17], exec
	s_or_b64 s[18:19], s[18:19], exec
                                        ; implicit-def: $vgpr0
	s_waitcnt vmcnt(0)
	v_cmp_o_f16_e64 s[2:3], v4, v4
	v_cmp_neq_f16_e32 vcc, v4, v38
	s_or_b64 s[2:3], s[14:15], s[2:3]
	s_and_b64 s[20:21], vcc, s[2:3]
	s_and_saveexec_b64 s[2:3], s[20:21]
	s_cbranch_execz .LBB57_250
; %bb.252:                              ;   in Loop: Header=BB57_251 Depth=1
	v_add_u32_e32 v0, s36, v2
	v_cmp_ge_i32_e32 vcc, v0, v1
	s_andn2_b64 s[18:19], s[18:19], exec
	s_and_b64 s[20:21], vcc, exec
	v_add_u32_e32 v5, s38, v5
	s_andn2_b64 s[16:17], s[16:17], exec
	s_or_b64 s[18:19], s[18:19], s[20:21]
	s_branch .LBB57_250
.LBB57_253:
	s_or_b64 exec, exec, s[10:11]
	s_and_saveexec_b64 s[2:3], s[12:13]
	s_xor_b64 s[2:3], exec, s[2:3]
	s_cbranch_execz .LBB57_258
; %bb.254:
	s_mov_b64 s[2:3], exec
	s_brev_b32 s10, -2
.LBB57_255:                             ; =>This Inner Loop Header: Depth=1
	s_ff1_i32_b64 s11, s[2:3]
	v_readlane_b32 s14, v2, s11
	s_lshl_b64 s[12:13], 1, s11
	s_min_i32 s10, s10, s14
	s_andn2_b64 s[2:3], s[2:3], s[12:13]
	s_cmp_lg_u64 s[2:3], 0
	s_cbranch_scc1 .LBB57_255
; %bb.256:
	v_mbcnt_lo_u32_b32 v0, exec_lo, 0
	v_mbcnt_hi_u32_b32 v0, exec_hi, v0
	v_cmp_eq_u32_e32 vcc, 0, v0
	s_and_saveexec_b64 s[2:3], vcc
	s_xor_b64 s[2:3], exec, s[2:3]
; %bb.257:
	v_mov_b32_e32 v0, 0
	v_mov_b32_e32 v1, s10
	ds_min_i32 v0, v1 offset:4108
.LBB57_258:
	s_or_b64 exec, exec, s[8:9]
	s_waitcnt lgkmcnt(0)
	s_barrier
	s_and_saveexec_b64 s[2:3], s[0:1]
	s_cbranch_execz .LBB57_260
; %bb.259:
	v_readlane_b32 s10, v44, 8
	v_readlane_b32 s11, v44, 9
	s_mul_i32 s1, s11, s10
	v_readlane_b32 s0, v44, 13
	s_sub_i32 s1, s25, s1
	s_xor_b32 s0, s24, s0
	s_add_i32 s8, s11, 1
	s_sub_i32 s9, s1, s10
	s_cmp_ge_u32 s1, s10
	s_cselect_b32 s8, s8, s11
	s_cselect_b32 s1, s9, s1
	s_add_i32 s9, s8, 1
	s_cmp_ge_u32 s1, s10
	s_cselect_b32 s1, s9, s8
	s_xor_b32 s1, s1, s0
	s_sub_i32 s0, s1, s0
	s_mul_i32 s1, s0, s26
	v_readlane_b32 s8, v44, 6
	s_sub_i32 s1, s22, s1
	v_readlane_b32 s9, v44, 7
	v_readlane_b32 s11, v44, 10
	;; [unrolled: 1-line block ×3, first 2 shown]
	s_mul_i32 s1, s1, s9
	s_mul_i32 s0, s0, s8
	;; [unrolled: 1-line block ×3, first 2 shown]
	s_add_i32 s0, s0, s1
	v_readlane_b32 s1, v44, 15
	s_sub_i32 s8, s25, s8
	s_xor_b32 s1, s24, s1
	s_add_i32 s9, s12, 1
	s_sub_i32 s10, s8, s11
	s_cmp_ge_u32 s8, s11
	s_cselect_b32 s9, s9, s12
	s_cselect_b32 s8, s10, s8
	s_add_i32 s10, s9, 1
	s_cmp_ge_u32 s8, s11
	s_cselect_b32 s8, s10, s9
	s_xor_b32 s8, s8, s1
	s_sub_i32 s1, s8, s1
	s_mul_i32 s8, s1, s23
	v_readlane_b32 s10, v44, 2
	s_sub_i32 s8, s22, s8
	v_readlane_b32 s11, v44, 3
	s_mul_i32 s8, s8, s11
	s_mul_i32 s1, s1, s10
	s_add_i32 s8, s1, s8
	s_ashr_i32 s1, s0, 31
	v_mov_b32_e32 v2, 0
	s_lshl_b64 s[0:1], s[0:1], 1
	v_readlane_b32 s10, v44, 0
	ds_read_b32 v0, v2 offset:4108
	v_readlane_b32 s11, v44, 1
	s_add_u32 s0, s10, s0
	s_addc_u32 s1, s11, s1
	s_ashr_i32 s9, s8, 31
	s_lshl_b64 s[8:9], s[8:9], 3
	v_readlane_b32 s10, v44, 4
	v_readlane_b32 s11, v44, 5
	s_add_u32 s8, s10, s8
	s_addc_u32 s9, s11, s9
	s_waitcnt lgkmcnt(0)
	v_ashrrev_i32_e32 v1, 31, v0
	global_store_dwordx2 v2, v[0:1], s[8:9]
	global_store_short v2, v38, s[0:1]
.LBB57_260:
	s_or_b64 exec, exec, s[2:3]
.LBB57_261:
	s_or_saveexec_b64 s[0:1], s[6:7]
	s_mov_b64 s[2:3], 0
	s_xor_b64 exec, exec, s[0:1]
	s_cbranch_execnz .LBB57_264
.LBB57_262:
	s_or_b64 exec, exec, s[0:1]
	s_and_b64 s[2:3], s[2:3], exec
	s_andn2_saveexec_b64 s[0:1], s[4:5]
	s_cbranch_execz .LBB57_240
.LBB57_263:
	s_or_b64 s[2:3], s[2:3], exec
	s_trap 2
	s_or_b64 exec, exec, s[0:1]
	s_and_saveexec_b64 s[0:1], s[2:3]
	s_cbranch_execnz .LBB57_241
	s_branch .LBB57_242
.LBB57_264:
	s_mov_b64 s[2:3], exec
	s_trap 2
	s_branch .LBB57_262
	.section	.rodata,"a",@progbits
	.p2align	6, 0x0
	.amdhsa_kernel _ZN2at6native12_GLOBAL__N_114gatherKthValueIN3c104HalfEiLi2EEEvNS_4cuda6detail10TensorInfoIKT_T0_EESA_SA_SA_SA_NS7_IS8_SA_EENS7_IlSA_EE
		.amdhsa_group_segment_fixed_size 4112
		.amdhsa_private_segment_fixed_size 0
		.amdhsa_kernarg_size 920
		.amdhsa_user_sgpr_count 6
		.amdhsa_user_sgpr_private_segment_buffer 1
		.amdhsa_user_sgpr_dispatch_ptr 0
		.amdhsa_user_sgpr_queue_ptr 0
		.amdhsa_user_sgpr_kernarg_segment_ptr 1
		.amdhsa_user_sgpr_dispatch_id 0
		.amdhsa_user_sgpr_flat_scratch_init 0
		.amdhsa_user_sgpr_private_segment_size 0
		.amdhsa_uses_dynamic_stack 0
		.amdhsa_system_sgpr_private_segment_wavefront_offset 0
		.amdhsa_system_sgpr_workgroup_id_x 1
		.amdhsa_system_sgpr_workgroup_id_y 1
		.amdhsa_system_sgpr_workgroup_id_z 1
		.amdhsa_system_sgpr_workgroup_info 0
		.amdhsa_system_vgpr_workitem_id 0
		.amdhsa_next_free_vgpr 45
		.amdhsa_next_free_sgpr 96
		.amdhsa_reserve_vcc 1
		.amdhsa_reserve_flat_scratch 0
		.amdhsa_float_round_mode_32 0
		.amdhsa_float_round_mode_16_64 0
		.amdhsa_float_denorm_mode_32 3
		.amdhsa_float_denorm_mode_16_64 3
		.amdhsa_dx10_clamp 1
		.amdhsa_ieee_mode 1
		.amdhsa_fp16_overflow 0
		.amdhsa_exception_fp_ieee_invalid_op 0
		.amdhsa_exception_fp_denorm_src 0
		.amdhsa_exception_fp_ieee_div_zero 0
		.amdhsa_exception_fp_ieee_overflow 0
		.amdhsa_exception_fp_ieee_underflow 0
		.amdhsa_exception_fp_ieee_inexact 0
		.amdhsa_exception_int_div_zero 0
	.end_amdhsa_kernel
	.section	.text._ZN2at6native12_GLOBAL__N_114gatherKthValueIN3c104HalfEiLi2EEEvNS_4cuda6detail10TensorInfoIKT_T0_EESA_SA_SA_SA_NS7_IS8_SA_EENS7_IlSA_EE,"axG",@progbits,_ZN2at6native12_GLOBAL__N_114gatherKthValueIN3c104HalfEiLi2EEEvNS_4cuda6detail10TensorInfoIKT_T0_EESA_SA_SA_SA_NS7_IS8_SA_EENS7_IlSA_EE,comdat
.Lfunc_end57:
	.size	_ZN2at6native12_GLOBAL__N_114gatherKthValueIN3c104HalfEiLi2EEEvNS_4cuda6detail10TensorInfoIKT_T0_EESA_SA_SA_SA_NS7_IS8_SA_EENS7_IlSA_EE, .Lfunc_end57-_ZN2at6native12_GLOBAL__N_114gatherKthValueIN3c104HalfEiLi2EEEvNS_4cuda6detail10TensorInfoIKT_T0_EESA_SA_SA_SA_NS7_IS8_SA_EENS7_IlSA_EE
                                        ; -- End function
	.set _ZN2at6native12_GLOBAL__N_114gatherKthValueIN3c104HalfEiLi2EEEvNS_4cuda6detail10TensorInfoIKT_T0_EESA_SA_SA_SA_NS7_IS8_SA_EENS7_IlSA_EE.num_vgpr, 45
	.set _ZN2at6native12_GLOBAL__N_114gatherKthValueIN3c104HalfEiLi2EEEvNS_4cuda6detail10TensorInfoIKT_T0_EESA_SA_SA_SA_NS7_IS8_SA_EENS7_IlSA_EE.num_agpr, 0
	.set _ZN2at6native12_GLOBAL__N_114gatherKthValueIN3c104HalfEiLi2EEEvNS_4cuda6detail10TensorInfoIKT_T0_EESA_SA_SA_SA_NS7_IS8_SA_EENS7_IlSA_EE.numbered_sgpr, 96
	.set _ZN2at6native12_GLOBAL__N_114gatherKthValueIN3c104HalfEiLi2EEEvNS_4cuda6detail10TensorInfoIKT_T0_EESA_SA_SA_SA_NS7_IS8_SA_EENS7_IlSA_EE.num_named_barrier, 0
	.set _ZN2at6native12_GLOBAL__N_114gatherKthValueIN3c104HalfEiLi2EEEvNS_4cuda6detail10TensorInfoIKT_T0_EESA_SA_SA_SA_NS7_IS8_SA_EENS7_IlSA_EE.private_seg_size, 0
	.set _ZN2at6native12_GLOBAL__N_114gatherKthValueIN3c104HalfEiLi2EEEvNS_4cuda6detail10TensorInfoIKT_T0_EESA_SA_SA_SA_NS7_IS8_SA_EENS7_IlSA_EE.uses_vcc, 1
	.set _ZN2at6native12_GLOBAL__N_114gatherKthValueIN3c104HalfEiLi2EEEvNS_4cuda6detail10TensorInfoIKT_T0_EESA_SA_SA_SA_NS7_IS8_SA_EENS7_IlSA_EE.uses_flat_scratch, 0
	.set _ZN2at6native12_GLOBAL__N_114gatherKthValueIN3c104HalfEiLi2EEEvNS_4cuda6detail10TensorInfoIKT_T0_EESA_SA_SA_SA_NS7_IS8_SA_EENS7_IlSA_EE.has_dyn_sized_stack, 0
	.set _ZN2at6native12_GLOBAL__N_114gatherKthValueIN3c104HalfEiLi2EEEvNS_4cuda6detail10TensorInfoIKT_T0_EESA_SA_SA_SA_NS7_IS8_SA_EENS7_IlSA_EE.has_recursion, 0
	.set _ZN2at6native12_GLOBAL__N_114gatherKthValueIN3c104HalfEiLi2EEEvNS_4cuda6detail10TensorInfoIKT_T0_EESA_SA_SA_SA_NS7_IS8_SA_EENS7_IlSA_EE.has_indirect_call, 0
	.section	.AMDGPU.csdata,"",@progbits
; Kernel info:
; codeLenInByte = 9624
; TotalNumSgprs: 100
; NumVgprs: 45
; ScratchSize: 0
; MemoryBound: 0
; FloatMode: 240
; IeeeMode: 1
; LDSByteSize: 4112 bytes/workgroup (compile time only)
; SGPRBlocks: 12
; VGPRBlocks: 11
; NumSGPRsForWavesPerEU: 100
; NumVGPRsForWavesPerEU: 45
; Occupancy: 5
; WaveLimiterHint : 1
; COMPUTE_PGM_RSRC2:SCRATCH_EN: 0
; COMPUTE_PGM_RSRC2:USER_SGPR: 6
; COMPUTE_PGM_RSRC2:TRAP_HANDLER: 0
; COMPUTE_PGM_RSRC2:TGID_X_EN: 1
; COMPUTE_PGM_RSRC2:TGID_Y_EN: 1
; COMPUTE_PGM_RSRC2:TGID_Z_EN: 1
; COMPUTE_PGM_RSRC2:TIDIG_COMP_CNT: 0
	.section	.text._ZN2at6native12_GLOBAL__N_114gatherKthValueIN3c104HalfEiLi3EEEvNS_4cuda6detail10TensorInfoIKT_T0_EESA_SA_SA_SA_NS7_IS8_SA_EENS7_IlSA_EE,"axG",@progbits,_ZN2at6native12_GLOBAL__N_114gatherKthValueIN3c104HalfEiLi3EEEvNS_4cuda6detail10TensorInfoIKT_T0_EESA_SA_SA_SA_NS7_IS8_SA_EENS7_IlSA_EE,comdat
	.globl	_ZN2at6native12_GLOBAL__N_114gatherKthValueIN3c104HalfEiLi3EEEvNS_4cuda6detail10TensorInfoIKT_T0_EESA_SA_SA_SA_NS7_IS8_SA_EENS7_IlSA_EE ; -- Begin function _ZN2at6native12_GLOBAL__N_114gatherKthValueIN3c104HalfEiLi3EEEvNS_4cuda6detail10TensorInfoIKT_T0_EESA_SA_SA_SA_NS7_IS8_SA_EENS7_IlSA_EE
	.p2align	8
	.type	_ZN2at6native12_GLOBAL__N_114gatherKthValueIN3c104HalfEiLi3EEEvNS_4cuda6detail10TensorInfoIKT_T0_EESA_SA_SA_SA_NS7_IS8_SA_EENS7_IlSA_EE,@function
_ZN2at6native12_GLOBAL__N_114gatherKthValueIN3c104HalfEiLi3EEEvNS_4cuda6detail10TensorInfoIKT_T0_EESA_SA_SA_SA_NS7_IS8_SA_EENS7_IlSA_EE: ; @_ZN2at6native12_GLOBAL__N_114gatherKthValueIN3c104HalfEiLi3EEEvNS_4cuda6detail10TensorInfoIKT_T0_EESA_SA_SA_SA_NS7_IS8_SA_EENS7_IlSA_EE
; %bb.0:
	s_load_dwordx2 s[14:15], s[4:5], 0x298
	s_load_dwordx4 s[40:43], s[4:5], 0xd8
	s_add_u32 s12, s4, 0x298
	s_addc_u32 s13, s5, 0
	s_waitcnt lgkmcnt(0)
	s_mul_i32 s0, s15, s8
	s_add_i32 s0, s0, s7
	s_mul_i32 s0, s0, s14
	s_add_i32 s24, s0, s6
	s_cmp_ge_i32 s24, s42
	s_cbranch_scc1 .LBB58_242
; %bb.1:
	s_load_dwordx2 s[2:3], s[4:5], 0xc
	s_load_dwordx2 s[26:27], s[4:5], 0xf4
	s_ashr_i32 s1, s24, 31
	s_abs_i32 s8, s24
	s_load_dwordx4 s[28:31], s[4:5], 0x154
	s_waitcnt lgkmcnt(0)
	s_abs_i32 s0, s3
	v_cvt_f32_u32_e32 v1, s0
	s_ashr_i32 s7, s3, 31
	s_xor_b32 s9, s1, s7
	s_sub_i32 s7, 0, s0
	v_rcp_iflag_f32_e32 v1, v1
                                        ; implicit-def: $vgpr44 : SGPR spill to VGPR lane
                                        ; kill: killed $sgpr4 killed $sgpr5
	v_writelane_b32 v44, s28, 0
	v_writelane_b32 v44, s29, 1
	v_mul_f32_e32 v1, 0x4f7ffffe, v1
	v_cvt_u32_f32_e32 v1, v1
	v_writelane_b32 v44, s30, 2
	v_writelane_b32 v44, s31, 3
	v_readfirstlane_b32 s10, v1
	s_mul_i32 s7, s7, s10
	s_mul_hi_u32 s7, s10, s7
	s_add_i32 s10, s10, s7
	s_mul_hi_u32 s7, s8, s10
	s_mul_i32 s10, s7, s0
	s_sub_i32 s10, s8, s10
	s_add_i32 s11, s7, 1
	s_sub_i32 s15, s10, s0
	s_cmp_ge_u32 s10, s0
	s_cselect_b32 s7, s11, s7
	s_cselect_b32 s10, s15, s10
	s_add_i32 s11, s7, 1
	s_cmp_ge_u32 s10, s0
	s_cselect_b32 s0, s11, s7
	s_abs_i32 s7, s2
	v_cvt_f32_u32_e32 v1, s7
	s_abs_i32 s11, s27
	v_cvt_f32_u32_e32 v2, s11
	s_xor_b32 s0, s0, s9
	v_rcp_iflag_f32_e32 v1, v1
	s_sub_i32 s16, 0, s7
	v_rcp_iflag_f32_e32 v2, v2
	s_sub_i32 s19, s0, s9
	v_mul_f32_e32 v1, 0x4f7ffffe, v1
	v_cvt_u32_f32_e32 v1, v1
	v_mul_f32_e32 v2, 0x4f7ffffe, v2
	v_cvt_u32_f32_e32 v2, v2
	s_ashr_i32 s10, s27, 31
	v_readfirstlane_b32 s0, v1
	s_mul_i32 s16, s16, s0
	s_mul_hi_u32 s9, s0, s16
	s_add_i32 s0, s0, s9
	s_sub_i32 s9, 0, s11
	v_readfirstlane_b32 s16, v2
	s_mul_i32 s9, s9, s16
	s_mul_hi_u32 s9, s16, s9
	s_add_i32 s16, s16, s9
	s_mul_hi_u32 s9, s8, s16
	s_mul_i32 s16, s9, s11
	s_sub_i32 s16, s8, s16
	s_ashr_i32 s15, s2, 31
	s_xor_b32 s10, s1, s10
	s_ashr_i32 s20, s19, 31
	s_abs_i32 s21, s19
	s_add_i32 s17, s9, 1
	s_sub_i32 s18, s16, s11
	s_cmp_ge_u32 s16, s11
	s_cselect_b32 s9, s17, s9
	s_cselect_b32 s16, s18, s16
	s_add_i32 s17, s9, 1
	s_cmp_ge_u32 s16, s11
	s_cselect_b32 s9, s17, s9
	s_load_dwordx2 s[16:17], s[4:5], 0x0
	s_load_dwordx4 s[28:31], s[4:5], 0x22c
	s_abs_i32 s11, s26
	v_cvt_f32_u32_e32 v1, s11
	s_xor_b32 s9, s9, s10
	s_sub_i32 s25, s9, s10
	s_waitcnt lgkmcnt(0)
	v_writelane_b32 v44, s28, 4
	v_writelane_b32 v44, s29, 5
	;; [unrolled: 1-line block ×4, first 2 shown]
	v_rcp_iflag_f32_e32 v1, v1
	s_load_dwordx2 s[28:29], s[4:5], 0x1cc
	s_load_dwordx2 s[22:23], s[4:5], 0x1c0
	s_sub_i32 s10, 0, s11
	s_abs_i32 s30, s25
	v_mul_f32_e32 v1, 0x4f7ffffe, v1
	s_waitcnt lgkmcnt(0)
	s_abs_i32 s9, s29
	v_cvt_u32_f32_e32 v1, v1
	v_cvt_f32_u32_e32 v2, s9
	v_writelane_b32 v44, s22, 8
	v_writelane_b32 v44, s23, 9
	;; [unrolled: 1-line block ×3, first 2 shown]
	v_readfirstlane_b32 s11, v1
	v_rcp_iflag_f32_e32 v1, v2
	s_mul_i32 s10, s10, s11
	s_mul_hi_u32 s10, s11, s10
	s_add_i32 s22, s11, s10
	v_mul_f32_e32 v1, 0x4f7ffffe, v1
	v_cvt_u32_f32_e32 v1, v1
	s_ashr_i32 s10, s29, 31
	s_xor_b32 s1, s1, s10
	s_sub_i32 s10, 0, s9
	v_readfirstlane_b32 s11, v1
	s_mul_i32 s10, s10, s11
	s_mul_hi_u32 s10, s11, s10
	s_add_i32 s11, s11, s10
	s_mul_hi_u32 s10, s8, s11
	s_mul_i32 s11, s10, s9
	s_sub_i32 s8, s8, s11
	s_add_i32 s11, s10, 1
	s_sub_i32 s18, s8, s9
	s_cmp_ge_u32 s8, s9
	s_cselect_b32 s10, s11, s10
	s_cselect_b32 s8, s18, s8
	s_add_i32 s11, s10, 1
	s_cmp_ge_u32 s8, s9
	s_cselect_b32 s23, s11, s10
	s_abs_i32 s31, s28
	v_cvt_f32_u32_e32 v1, s31
	s_load_dwordx2 s[8:9], s[4:5], 0xe8
	s_mov_b32 s18, 0
	v_rcp_iflag_f32_e32 v1, v1
	s_waitcnt lgkmcnt(0)
	v_writelane_b32 v44, s8, 11
	v_writelane_b32 v44, s9, 12
	v_mul_f32_e32 v1, 0x4f7ffffe, v1
	v_cvt_u32_f32_e32 v1, v1
	s_load_dwordx4 s[8:11], s[4:5], 0x6c
	s_waitcnt lgkmcnt(0)
	s_mul_hi_u32 s11, s21, s0
	v_writelane_b32 v44, s30, 13
	s_mul_hi_u32 s0, s30, s22
	v_writelane_b32 v44, s0, 14
	s_xor_b32 s0, s23, s1
	s_sub_i32 s30, s0, s1
	s_sub_i32 s0, 0, s31
	v_readfirstlane_b32 s1, v1
	s_mul_i32 s0, s0, s1
	s_mul_hi_u32 s0, s1, s0
	s_abs_i32 s4, s30
	v_writelane_b32 v44, s31, 15
	s_add_i32 s1, s1, s0
	v_writelane_b32 v44, s4, 16
	s_mul_hi_u32 s0, s4, s1
	v_writelane_b32 v44, s0, 17
	v_cmp_eq_u32_e64 s[0:1], 0, v0
	s_and_saveexec_b64 s[4:5], s[0:1]
; %bb.2:
	v_mov_b32_e32 v1, 0
	v_mov_b32_e32 v2, s40
	;; [unrolled: 1-line block ×3, first 2 shown]
	ds_write_b96 v1, v[1:3] offset:4096
; %bb.3:
	s_or_b64 exec, exec, s[4:5]
	v_writelane_b32 v44, s25, 18
	s_ashr_i32 s4, s25, 31
	v_writelane_b32 v44, s4, 19
	v_writelane_b32 v44, s26, 20
	;; [unrolled: 1-line block ×3, first 2 shown]
	s_ashr_i32 s4, s26, 31
	v_writelane_b32 v44, s4, 22
	v_writelane_b32 v44, s30, 23
	s_ashr_i32 s4, s30, 31
	v_writelane_b32 v44, s4, 24
	v_writelane_b32 v44, s28, 25
	s_mul_i32 s3, s19, s3
	s_mul_i32 s5, s11, s7
	v_writelane_b32 v44, s29, 26
	s_ashr_i32 s4, s28, 31
	s_sub_i32 s3, s24, s3
	s_sub_i32 s5, s21, s5
	v_writelane_b32 v44, s4, 27
	s_mul_i32 s3, s3, s10
	s_xor_b32 s4, s20, s15
	s_add_i32 s10, s11, 1
	s_sub_i32 s15, s5, s7
	s_cmp_ge_u32 s5, s7
	s_cselect_b32 s10, s10, s11
	s_cselect_b32 s5, s15, s5
	s_add_i32 s11, s10, 1
	s_cmp_ge_u32 s5, s7
	s_cselect_b32 s5, s11, s10
	s_xor_b32 s5, s5, s4
	s_sub_i32 s4, s5, s4
	s_mul_i32 s2, s4, s2
	s_sub_i32 s2, s19, s2
	s_mul_i32 s2, s2, s9
	s_add_i32 s2, s2, s3
	s_mul_i32 s4, s4, s8
	s_add_i32 s2, s2, s4
	s_waitcnt lgkmcnt(0)
	s_barrier
	s_load_dword s4, s[12:13], 0xc
	v_mul_lo_u32 v5, s43, v0
	s_ashr_i32 s3, s2, 31
	v_mov_b32_e32 v7, 0
	s_lshl_b64 s[2:3], s[2:3], 1
	v_mbcnt_lo_u32_b32 v1, -1, 0
	v_mov_b32_e32 v6, v7
	s_add_u32 s42, s16, s2
	v_mbcnt_hi_u32_b32 v15, -1, v1
	v_lshlrev_b64 v[1:2], 1, v[5:6]
	s_addc_u32 s27, s17, s3
	s_waitcnt lgkmcnt(0)
	s_and_b32 s26, s4, 0xffff
	s_bfe_u32 s7, s4, 0xa0006
	v_cmp_gt_u32_e32 vcc, 64, v0
	v_cmp_gt_i32_e64 s[4:5], 4, v15
	s_and_b64 s[48:49], vcc, s[4:5]
	v_mov_b32_e32 v18, s27
	v_add_co_u32_e32 v8, vcc, s42, v1
	v_addc_co_u32_e32 v9, vcc, v18, v2, vcc
	v_lshlrev_b64 v[2:3], v15, -1
	s_add_i32 s33, s26, -1
	s_lshl_b32 s45, s26, 2
	s_add_i32 s57, s33, s40
	v_not_b32_e32 v21, v2
	v_lshrrev_b32_e32 v2, 2, v0
	v_writelane_b32 v44, s24, 28
	s_cmpk_gt_i32 s40, 0x600
	v_cmp_gt_u32_e64 s[8:9], s40, v0
	v_and_b32_e32 v2, 0xf0, v2
	s_cselect_b64 s[50:51], -1, 0
	v_writelane_b32 v44, s8, 29
	s_cmp_gt_u32 s26, 63
	v_or_b32_e32 v22, 0xc00, v2
	v_cvt_f32_u32_e32 v2, s45
	v_writelane_b32 v44, s9, 30
	v_cmp_gt_i32_e64 s[8:9], s40, v0
	s_cselect_b64 s[52:53], -1, 0
	s_cmp_lt_u32 s6, s14
	v_writelane_b32 v44, s8, 31
	s_cselect_b32 s6, 12, 18
	v_writelane_b32 v44, s9, 32
	s_add_u32 s8, s12, s6
	s_addc_u32 s9, s13, 0
	v_rcp_iflag_f32_e32 v2, v2
	v_writelane_b32 v44, s8, 33
	s_add_i32 s6, s7, -1
	v_writelane_b32 v44, s9, 34
	s_bfe_u32 s8, s26, 0x30006
	s_and_b32 s6, s6, 0xffff
	s_cmp_gt_u32 s6, 6
	s_cselect_b64 s[10:11], -1, 0
	v_mul_f32_e32 v2, 0x4f7ffffe, v2
	v_writelane_b32 v44, s10, 35
	s_and_b32 s19, s7, 0x3f8
	v_cvt_u32_f32_e32 v2, v2
	v_writelane_b32 v44, s11, 36
	s_cmp_lg_u32 s8, 0
	v_writelane_b32 v44, s8, 37
	s_cselect_b64 s[6:7], -1, 0
	v_writelane_b32 v44, s6, 38
	v_writelane_b32 v44, s7, 39
	s_sub_i32 s6, 0, s45
	v_readfirstlane_b32 s7, v2
	s_mul_i32 s6, s6, s7
	s_mul_hi_u32 s6, s7, s6
	s_add_i32 s8, s7, s6
	s_mul_hi_u32 s6, s40, s8
	s_mul_i32 s6, s6, s45
	s_sub_i32 s6, s40, s6
	s_sub_i32 s7, s6, s45
	s_cmp_ge_u32 s6, s45
	s_cselect_b32 s6, s7, s6
	s_sub_i32 s7, s6, s45
	s_cmp_ge_u32 s6, s45
	s_cselect_b32 s6, s7, s6
	s_sub_i32 s9, s40, s6
	v_add_u32_e32 v23, s9, v0
	v_cvt_f32_u32_e32 v4, s26
	v_mul_lo_u32 v2, v23, s43
	v_not_b32_e32 v20, v3
	s_sub_i32 s17, 0, s26
	v_rcp_iflag_f32_e32 v4, v4
	v_ashrrev_i32_e32 v3, 31, v2
	v_lshlrev_b64 v[2:3], 1, v[2:3]
	s_abs_i32 s16, s57
	v_add_co_u32_e32 v10, vcc, s42, v2
	v_mul_f32_e32 v2, 0x4f7ffffe, v4
	v_cvt_u32_f32_e32 v2, v2
	s_ashr_i32 s7, s57, 31
	v_lshlrev_b32_e32 v14, 2, v0
	v_lshlrev_b32_e32 v16, 1, v0
	v_readfirstlane_b32 s20, v2
	s_mul_i32 s17, s17, s20
	s_mul_hi_u32 s17, s20, s17
	s_add_i32 s56, s20, s17
	s_mul_hi_u32 s17, s16, s56
	s_mul_i32 s17, s17, s26
	s_sub_i32 s16, s16, s17
	s_sub_i32 s17, s16, s26
	s_cmp_ge_u32 s16, s26
	s_cselect_b32 s16, s17, s16
	s_sub_i32 s17, s16, s26
	v_mul_lo_u32 v2, s43, v14
	s_cmp_ge_u32 s16, s26
	s_cselect_b32 s16, s17, s16
	s_xor_b32 s16, s16, s7
	s_sub_i32 s7, s7, s16
	v_add_u32_e32 v24, s43, v2
	v_or_b32_e32 v2, 2, v14
	s_add_i32 s57, s57, s7
	v_mul_lo_u32 v25, s43, v2
	v_or_b32_e32 v2, 3, v14
	s_add_i32 s7, s26, s40
	v_mul_lo_u32 v26, s43, v2
	v_add_u32_e32 v2, s7, v0
	v_subrev_u32_e32 v2, s6, v2
	v_mul_lo_u32 v29, s43, v2
	v_lshlrev_b32_e32 v1, 2, v15
	v_mov_b32_e32 v6, s27
	v_cmp_gt_i32_e64 s[16:17], s57, v0
	s_mul_i32 s44, s43, s26
	v_cmp_eq_u32_e64 s[2:3], 0, v15
	v_cmp_gt_u32_e64 s[4:5], 2, v0
	v_add_u32_e32 v17, 0xc00, v16
	v_and_b32_e32 v19, 0x100, v1
	v_cmp_gt_i32_e64 s[10:11], s9, v14
	v_cmp_gt_u32_e64 s[12:13], s40, v23
	v_addc_co_u32_e32 v11, vcc, v6, v3, vcc
	v_cmp_gt_i32_e64 s[14:15], s40, v23
	v_writelane_b32 v44, s16, 40
	s_lshl_b32 s58, s44, 2
	v_lshlrev_b32_e32 v27, 2, v5
	v_lshlrev_b32_e32 v30, 3, v0
	s_lshl_b32 s59, s26, 3
	s_lshl_b32 s54, s26, 1
	v_or_b32_e32 v31, 0xc00, v1
	s_mov_b64 s[60:61], 0
	v_mov_b32_e32 v32, 14
	v_mov_b32_e32 v39, s41
	s_movk_i32 s41, 0x3c00
	v_mov_b32_e32 v33, 0xffff
	v_mov_b32_e32 v34, 0x8000
	v_mov_b32_e32 v35, -1
	v_mov_b32_e32 v36, 0x5040100
	v_mov_b32_e32 v38, 0
	;; [unrolled: 1-line block ×4, first 2 shown]
	v_writelane_b32 v44, s17, 41
                                        ; implicit-def: $sgpr62_sgpr63
                                        ; implicit-def: $sgpr66_sgpr67
                                        ; implicit-def: $sgpr64_sgpr65
                                        ; implicit-def: $sgpr70_sgpr71
                                        ; implicit-def: $sgpr72_sgpr73
                                        ; implicit-def: $sgpr68_sgpr69
	s_branch .LBB58_7
.LBB58_4:                               ;   in Loop: Header=BB58_7 Depth=1
	s_or_b64 exec, exec, s[30:31]
	s_and_b64 s[30:31], s[28:29], exec
	s_andn2_b64 s[74:75], s[74:75], exec
	s_andn2_b64 s[24:25], s[24:25], exec
	s_orn2_b64 s[20:21], s[20:21], exec
.LBB58_5:                               ;   in Loop: Header=BB58_7 Depth=1
	s_or_b64 exec, exec, s[22:23]
	s_andn2_b64 s[22:23], s[68:69], exec
	s_and_b64 s[28:29], s[30:31], exec
	s_or_b64 s[68:69], s[22:23], s[28:29]
	s_andn2_b64 s[22:23], s[72:73], exec
	s_and_b64 s[28:29], s[74:75], exec
	s_or_b64 s[72:73], s[22:23], s[28:29]
	;; [unrolled: 3-line block ×3, first 2 shown]
	s_orn2_b64 s[20:21], s[20:21], exec
.LBB58_6:                               ;   in Loop: Header=BB58_7 Depth=1
	s_or_b64 exec, exec, s[6:7]
	s_and_b64 s[6:7], exec, s[20:21]
	s_or_b64 s[60:61], s[6:7], s[60:61]
	s_andn2_b64 s[6:7], s[64:65], exec
	s_and_b64 s[20:21], s[68:69], exec
	s_or_b64 s[64:65], s[6:7], s[20:21]
	s_andn2_b64 s[6:7], s[66:67], exec
	s_and_b64 s[20:21], s[72:73], exec
	;; [unrolled: 3-line block ×3, first 2 shown]
	s_or_b64 s[62:63], s[6:7], s[20:21]
	s_mov_b32 s18, s16
	v_mov_b32_e32 v39, v12
	s_andn2_b64 exec, exec, s[60:61]
	s_cbranch_execz .LBB58_238
.LBB58_7:                               ; =>This Loop Header: Depth=1
                                        ;     Child Loop BB58_12 Depth 2
                                        ;     Child Loop BB58_27 Depth 2
	;; [unrolled: 1-line block ×16, first 2 shown]
	ds_read_b64 v[1:2], v7 offset:4096
	s_waitcnt lgkmcnt(0)
	v_readfirstlane_b32 s34, v1
	s_cmp_gt_i32 s34, 0
	s_cbranch_scc1 .LBB58_34
; %bb.8:                                ;   in Loop: Header=BB58_7 Depth=1
	s_and_b64 vcc, exec, s[50:51]
	s_cbranch_vccz .LBB58_20
; %bb.9:                                ;   in Loop: Header=BB58_7 Depth=1
	s_movk_i32 s6, 0x601
	v_cmp_gt_i32_e32 vcc, s6, v2
	s_mov_b64 s[20:21], 0
	s_mov_b64 s[6:7], 0
	s_cbranch_vccz .LBB58_21
; %bb.10:                               ;   in Loop: Header=BB58_7 Depth=1
	v_readlane_b32 s6, v44, 33
	v_readlane_b32 s7, v44, 34
	s_nop 4
	global_load_ushort v1, v7, s[6:7]
	global_load_ushort v4, v[8:9], off
	s_mov_b64 s[22:23], 0
	v_mov_b32_e32 v3, v0
	s_waitcnt vmcnt(1)
	v_add_u32_e32 v2, v0, v1
	v_mul_lo_u32 v6, s43, v2
	v_mul_lo_u32 v2, s43, v1
	s_branch .LBB58_12
.LBB58_11:                              ;   in Loop: Header=BB58_12 Depth=2
	s_or_b64 exec, exec, s[6:7]
	v_cmp_le_i32_e32 vcc, s40, v3
	v_add_u32_e32 v6, v6, v2
	s_or_b64 s[22:23], vcc, s[22:23]
	v_mov_b32_e32 v4, v12
	s_andn2_b64 exec, exec, s[22:23]
	s_cbranch_execz .LBB58_66
.LBB58_12:                              ;   Parent Loop BB58_7 Depth=1
                                        ; =>  This Inner Loop Header: Depth=2
	v_add_u32_e32 v3, v3, v1
	v_cmp_gt_u32_e32 vcc, s40, v3
	s_waitcnt lgkmcnt(0)
	v_mov_b32_e32 v13, 0
	v_mov_b32_e32 v12, 0
	s_and_saveexec_b64 s[6:7], vcc
	s_cbranch_execz .LBB58_14
; %bb.13:                               ;   in Loop: Header=BB58_12 Depth=2
	v_lshlrev_b64 v[40:41], 1, v[6:7]
	v_add_co_u32_e32 v40, vcc, s42, v40
	v_addc_co_u32_e32 v41, vcc, v18, v41, vcc
	global_load_ushort v12, v[40:41], off
.LBB58_14:                              ;   in Loop: Header=BB58_12 Depth=2
	s_or_b64 exec, exec, s[6:7]
	s_waitcnt vmcnt(0)
	v_cmp_lt_i16_e32 vcc, -1, v4
	v_cndmask_b32_e32 v40, v33, v34, vcc
	v_xor_b32_sdwa v40, v40, v4 dst_sel:DWORD dst_unused:UNUSED_PAD src0_sel:DWORD src1_sel:WORD_0
	v_cmp_o_f16_e32 vcc, v4, v4
	v_cndmask_b32_e32 v40, v33, v40, vcc
	v_and_b32_e32 v40, v40, v37
	v_cmp_eq_u32_e32 vcc, v40, v28
	s_cmp_lg_u64 vcc, 0
	s_cselect_b64 s[6:7], -1, 0
	s_and_b64 s[6:7], s[2:3], s[6:7]
	s_and_saveexec_b64 s[24:25], s[6:7]
	s_cbranch_execz .LBB58_18
; %bb.15:                               ;   in Loop: Header=BB58_12 Depth=2
	s_mov_b64 s[30:31], exec
	v_mbcnt_lo_u32_b32 v13, s30, 0
	v_mbcnt_hi_u32_b32 v13, s31, v13
	s_bcnt1_i32_b64 s16, vcc
	v_cmp_eq_u32_e64 s[6:7], 0, v13
                                        ; implicit-def: $vgpr40
	s_and_saveexec_b64 s[28:29], s[6:7]
; %bb.16:                               ;   in Loop: Header=BB58_12 Depth=2
	s_bcnt1_i32_b64 s6, s[30:31]
	s_mul_i32 s6, s16, s6
	v_mov_b32_e32 v40, s6
	ds_add_rtn_u32 v40, v7, v40 offset:4104
; %bb.17:                               ;   in Loop: Header=BB58_12 Depth=2
	s_or_b64 exec, exec, s[28:29]
	s_waitcnt lgkmcnt(0)
	v_readfirstlane_b32 s6, v40
	v_mov_b32_e32 v40, s6
	v_mad_u32_u24 v13, s16, v13, v40
.LBB58_18:                              ;   in Loop: Header=BB58_12 Depth=2
	s_or_b64 exec, exec, s[24:25]
	ds_bpermute_b32 v13, v19, v13
	s_and_saveexec_b64 s[6:7], vcc
	s_cbranch_execz .LBB58_11
; %bb.19:                               ;   in Loop: Header=BB58_12 Depth=2
	v_and_b32_e32 v41, vcc_lo, v21
	v_and_b32_e32 v40, vcc_hi, v20
	v_bcnt_u32_b32 v41, v41, 0
	v_bcnt_u32_b32 v40, v40, v41
	v_lshlrev_b32_e32 v40, 1, v40
	s_waitcnt lgkmcnt(0)
	v_lshl_add_u32 v13, v13, 1, v40
	ds_write_b16 v13, v4
	s_branch .LBB58_11
.LBB58_20:                              ;   in Loop: Header=BB58_7 Depth=1
	s_mov_b64 s[20:21], -1
	s_mov_b64 s[6:7], 0
.LBB58_21:                              ;   in Loop: Header=BB58_7 Depth=1
	s_and_b64 vcc, exec, s[20:21]
	s_cbranch_vccz .LBB58_32
.LBB58_22:                              ;   in Loop: Header=BB58_7 Depth=1
	v_mov_b32_e32 v1, 0
	s_mov_b64 s[6:7], exec
	v_readlane_b32 s16, v44, 29
	v_readlane_b32 s17, v44, 30
	s_and_b64 s[16:17], s[6:7], s[16:17]
	s_mov_b64 exec, s[16:17]
	s_cbranch_execz .LBB58_24
; %bb.23:                               ;   in Loop: Header=BB58_7 Depth=1
	global_load_ushort v1, v[8:9], off
.LBB58_24:                              ;   in Loop: Header=BB58_7 Depth=1
	s_or_b64 exec, exec, s[6:7]
	s_mov_b64 s[6:7], exec
	v_readlane_b32 s16, v44, 31
	v_readlane_b32 s17, v44, 32
	s_and_b64 s[16:17], s[6:7], s[16:17]
	s_mov_b64 exec, s[16:17]
	s_cbranch_execz .LBB58_29
; %bb.25:                               ;   in Loop: Header=BB58_7 Depth=1
	v_readlane_b32 s16, v44, 33
	v_readlane_b32 s17, v44, 34
	s_mov_b64 s[20:21], 0
	v_mov_b32_e32 v12, v16
	v_mov_b32_e32 v13, v0
	s_nop 1
	global_load_ushort v2, v7, s[16:17]
	s_waitcnt vmcnt(0)
	v_add_u32_e32 v4, v0, v2
	v_mul_lo_u32 v6, s43, v4
	v_mul_lo_u32 v4, s43, v2
	v_lshlrev_b32_e32 v3, 1, v2
	s_branch .LBB58_27
.LBB58_26:                              ;   in Loop: Header=BB58_27 Depth=2
	s_or_b64 exec, exec, s[22:23]
	v_cmp_le_i32_e32 vcc, s40, v13
	ds_write_b16 v12, v1
	v_add_u32_e32 v12, v12, v3
	v_add_u32_e32 v6, v6, v4
	s_or_b64 s[20:21], vcc, s[20:21]
	s_waitcnt vmcnt(0)
	v_mov_b32_e32 v1, v40
	s_andn2_b64 exec, exec, s[20:21]
	s_cbranch_execz .LBB58_29
.LBB58_27:                              ;   Parent Loop BB58_7 Depth=1
                                        ; =>  This Inner Loop Header: Depth=2
	v_add_u32_e32 v13, v13, v2
	v_cmp_gt_u32_e32 vcc, s40, v13
	v_mov_b32_e32 v40, 0
	s_and_saveexec_b64 s[22:23], vcc
	s_cbranch_execz .LBB58_26
; %bb.28:                               ;   in Loop: Header=BB58_27 Depth=2
	v_lshlrev_b64 v[40:41], 1, v[6:7]
	v_mov_b32_e32 v42, s27
	v_add_co_u32_e32 v40, vcc, s42, v40
	v_addc_co_u32_e32 v41, vcc, v42, v41, vcc
	global_load_ushort v40, v[40:41], off
	s_branch .LBB58_26
.LBB58_29:                              ;   in Loop: Header=BB58_7 Depth=1
	s_or_b64 exec, exec, s[6:7]
	s_waitcnt vmcnt(0) lgkmcnt(0)
	s_barrier
	s_and_saveexec_b64 s[6:7], s[0:1]
; %bb.30:                               ;   in Loop: Header=BB58_7 Depth=1
	v_mov_b32_e32 v1, s40
	ds_write_b32 v7, v1 offset:4096
; %bb.31:                               ;   in Loop: Header=BB58_7 Depth=1
	s_or_b64 exec, exec, s[6:7]
	s_mov_b64 s[6:7], -1
	s_waitcnt lgkmcnt(0)
	s_barrier
.LBB58_32:                              ;   in Loop: Header=BB58_7 Depth=1
	s_and_b64 vcc, exec, s[6:7]
	s_cbranch_vccz .LBB58_34
; %bb.33:                               ;   in Loop: Header=BB58_7 Depth=1
	ds_read_b32 v1, v7 offset:4096
	s_waitcnt lgkmcnt(0)
	v_readfirstlane_b32 s34, v1
.LBB58_34:                              ;   in Loop: Header=BB58_7 Depth=1
	s_cmp_lt_i32 s34, 1
	s_mov_b64 s[6:7], -1
                                        ; implicit-def: $vgpr1
	s_cbranch_scc1 .LBB58_44
; %bb.35:                               ;   in Loop: Header=BB58_7 Depth=1
	s_and_b64 vcc, exec, s[6:7]
	s_cbranch_vccnz .LBB58_57
.LBB58_36:                              ;   in Loop: Header=BB58_7 Depth=1
	s_lshl_b32 s16, s18, 6
	s_and_saveexec_b64 s[6:7], s[2:3]
.LBB58_37:                              ;   in Loop: Header=BB58_7 Depth=1
	v_lshl_add_u32 v6, s16, 2, v22
	ds_write_b128 v6, v[1:4]
.LBB58_38:                              ;   in Loop: Header=BB58_7 Depth=1
	s_or_b64 exec, exec, s[6:7]
	s_waitcnt vmcnt(0) lgkmcnt(0)
	s_barrier
	s_and_saveexec_b64 s[6:7], s[48:49]
	s_cbranch_execz .LBB58_74
; %bb.39:                               ;   in Loop: Header=BB58_7 Depth=1
	s_andn2_b64 vcc, exec, s[52:53]
	v_mov_b32_e32 v1, 0
	s_cbranch_vccnz .LBB58_73
; %bb.40:                               ;   in Loop: Header=BB58_7 Depth=1
	v_readlane_b32 s20, v44, 35
	v_readlane_b32 s21, v44, 36
	s_andn2_b64 vcc, exec, s[20:21]
	s_cbranch_vccnz .LBB58_69
; %bb.41:                               ;   in Loop: Header=BB58_7 Depth=1
	v_lshl_add_u32 v2, s18, 8, v31
	s_mov_b32 s17, 0
	v_mov_b32_e32 v1, 0
.LBB58_42:                              ;   Parent Loop BB58_7 Depth=1
                                        ; =>  This Inner Loop Header: Depth=2
	ds_read2_b32 v[3:4], v2 offset1:4
	ds_read2_b32 v[12:13], v2 offset0:8 offset1:12
	ds_read2_b32 v[40:41], v2 offset0:16 offset1:20
	;; [unrolled: 1-line block ×3, first 2 shown]
	s_add_i32 s17, s17, 8
	s_waitcnt lgkmcnt(3)
	v_add3_u32 v1, v3, v1, v4
	s_waitcnt lgkmcnt(2)
	v_add3_u32 v1, v12, v1, v13
	;; [unrolled: 2-line block ×3, first 2 shown]
	v_add_u32_e32 v2, 0x80, v2
	s_cmp_eq_u32 s19, s17
	s_waitcnt lgkmcnt(0)
	v_add3_u32 v1, v42, v1, v43
	s_cbranch_scc0 .LBB58_42
; %bb.43:                               ;   in Loop: Header=BB58_7 Depth=1
	s_mov_b32 s17, s19
	s_branch .LBB58_70
.LBB58_44:                              ;   in Loop: Header=BB58_7 Depth=1
	v_mov_b32_e32 v1, 0
	v_mov_b32_e32 v2, 0
	;; [unrolled: 1-line block ×4, first 2 shown]
	s_and_saveexec_b64 s[74:75], s[10:11]
	s_cbranch_execnz .LBB58_47
; %bb.45:                               ;   in Loop: Header=BB58_7 Depth=1
	s_or_b64 exec, exec, s[74:75]
	v_mov_b32_e32 v40, 0
	s_and_saveexec_b64 s[6:7], s[12:13]
	s_cbranch_execnz .LBB58_50
.LBB58_46:                              ;   in Loop: Header=BB58_7 Depth=1
	s_or_b64 exec, exec, s[6:7]
	s_and_saveexec_b64 s[20:21], s[14:15]
	s_cbranch_execnz .LBB58_51
	s_branch .LBB58_56
.LBB58_47:                              ;   in Loop: Header=BB58_7 Depth=1
	s_mov_b32 s28, 0
	s_mov_b64 s[76:77], 0
	s_mov_b32 s29, 0
	s_mov_b32 s30, 0
	;; [unrolled: 1-line block ×4, first 2 shown]
	v_mov_b32_e32 v6, v14
.LBB58_48:                              ;   Parent Loop BB58_7 Depth=1
                                        ; =>  This Inner Loop Header: Depth=2
	v_add_u32_e32 v1, s28, v27
	v_ashrrev_i32_e32 v2, 31, v1
	v_lshlrev_b64 v[1:2], 1, v[1:2]
	v_mov_b32_e32 v3, s27
	v_add_co_u32_e32 v1, vcc, s42, v1
	v_addc_co_u32_e32 v2, vcc, v3, v2, vcc
	global_load_ushort v4, v[1:2], off
	v_add_u32_e32 v1, s28, v24
	v_ashrrev_i32_e32 v2, 31, v1
	v_lshlrev_b64 v[1:2], 1, v[1:2]
	v_add_u32_e32 v6, s45, v6
	v_add_co_u32_e32 v1, vcc, s42, v1
	v_addc_co_u32_e32 v2, vcc, v3, v2, vcc
	global_load_ushort v12, v[1:2], off
	v_add_u32_e32 v1, s28, v25
	v_ashrrev_i32_e32 v2, 31, v1
	v_lshlrev_b64 v[1:2], 1, v[1:2]
	v_add_co_u32_e32 v1, vcc, s42, v1
	v_addc_co_u32_e32 v2, vcc, v3, v2, vcc
	global_load_ushort v13, v[1:2], off
	v_add_u32_e32 v1, s28, v26
	v_ashrrev_i32_e32 v2, 31, v1
	v_lshlrev_b64 v[1:2], 1, v[1:2]
	s_add_i32 s28, s28, s58
	v_add_co_u32_e32 v1, vcc, s42, v1
	v_addc_co_u32_e32 v2, vcc, v3, v2, vcc
	global_load_ushort v1, v[1:2], off
	s_waitcnt vmcnt(3)
	v_cmp_lt_i16_e32 vcc, -1, v4
	v_cndmask_b32_e32 v2, v33, v34, vcc
	v_cmp_o_f16_e32 vcc, v4, v4
	v_xor_b32_sdwa v2, v2, v4 dst_sel:DWORD dst_unused:UNUSED_PAD src0_sel:DWORD src1_sel:WORD_0
	v_cndmask_b32_e32 v2, v33, v2, vcc
	s_waitcnt vmcnt(2)
	v_cmp_lt_i16_e32 vcc, -1, v12
	v_cndmask_b32_e32 v3, v33, v34, vcc
	v_cmp_o_f16_e32 vcc, v12, v12
	v_xor_b32_sdwa v3, v3, v12 dst_sel:DWORD dst_unused:UNUSED_PAD src0_sel:DWORD src1_sel:WORD_0
	v_cndmask_b32_e32 v3, v33, v3, vcc
	;; [unrolled: 6-line block ×3, first 2 shown]
	s_waitcnt vmcnt(0)
	v_cmp_lt_i16_e32 vcc, -1, v1
	v_cndmask_b32_e32 v12, v33, v34, vcc
	v_cmp_o_f16_e32 vcc, v1, v1
	v_xor_b32_sdwa v1, v12, v1 dst_sel:DWORD dst_unused:UNUSED_PAD src0_sel:DWORD src1_sel:WORD_0
	v_and_b32_e32 v12, v2, v37
	v_bfe_u32 v2, v2, v32, 2
	v_cndmask_b32_e32 v1, v33, v1, vcc
	v_cmp_eq_u32_e32 vcc, v12, v28
	v_and_b32_e32 v12, v3, v37
	v_bfe_u32 v3, v3, v32, 2
	v_cmp_eq_u32_e64 s[24:25], 0, v2
	v_cmp_eq_u32_e64 s[6:7], v12, v28
	v_and_b32_e32 v12, v4, v37
	v_bfe_u32 v4, v4, v32, 2
	s_and_b64 s[16:17], vcc, s[24:25]
	v_cmp_eq_u32_e64 s[24:25], 0, v3
	v_cmp_eq_u32_e64 s[20:21], v12, v28
	v_and_b32_e32 v12, v1, v37
	v_bfe_u32 v1, v1, v32, 2
	s_and_b64 s[36:37], s[6:7], s[24:25]
	v_cmp_eq_u32_e64 s[24:25], 0, v4
	v_cmp_eq_u32_e64 s[22:23], v12, v28
	s_and_b64 s[38:39], s[20:21], s[24:25]
	v_cmp_eq_u32_e64 s[24:25], 0, v1
	v_cndmask_b32_e64 v12, 0, 1, s[16:17]
	s_and_b64 s[46:47], s[22:23], s[24:25]
	v_cmp_ne_u32_e64 s[24:25], 0, v12
	v_cndmask_b32_e64 v12, 0, 1, s[36:37]
	s_bcnt1_i32_b64 s16, s[24:25]
	v_cmp_ne_u32_e64 s[24:25], 0, v12
	v_cndmask_b32_e64 v12, 0, 1, s[38:39]
	s_bcnt1_i32_b64 s17, s[24:25]
	v_cmp_ne_u32_e64 s[24:25], 0, v12
	v_cndmask_b32_e64 v12, 0, 1, s[46:47]
	s_add_i32 s16, s35, s16
	s_bcnt1_i32_b64 s36, s[24:25]
	v_cmp_ne_u32_e64 s[24:25], 0, v12
	s_add_i32 s16, s16, s17
	s_bcnt1_i32_b64 s24, s[24:25]
	s_add_i32 s16, s16, s36
	s_add_i32 s35, s16, s24
	v_cmp_eq_u32_e64 s[24:25], 1, v2
	s_and_b64 s[16:17], vcc, s[24:25]
	v_cmp_eq_u32_e64 s[24:25], 1, v3
	s_and_b64 s[36:37], s[6:7], s[24:25]
	v_cmp_eq_u32_e64 s[24:25], 1, v4
	s_and_b64 s[38:39], s[20:21], s[24:25]
	v_cmp_eq_u32_e64 s[24:25], 1, v1
	v_cndmask_b32_e64 v12, 0, 1, s[16:17]
	s_and_b64 s[46:47], s[22:23], s[24:25]
	v_cmp_ne_u32_e64 s[24:25], 0, v12
	v_cndmask_b32_e64 v12, 0, 1, s[36:37]
	s_bcnt1_i32_b64 s16, s[24:25]
	v_cmp_ne_u32_e64 s[24:25], 0, v12
	v_cndmask_b32_e64 v12, 0, 1, s[38:39]
	s_bcnt1_i32_b64 s17, s[24:25]
	v_cmp_ne_u32_e64 s[24:25], 0, v12
	v_cndmask_b32_e64 v12, 0, 1, s[46:47]
	s_add_i32 s16, s31, s16
	s_bcnt1_i32_b64 s36, s[24:25]
	v_cmp_ne_u32_e64 s[24:25], 0, v12
	s_add_i32 s16, s16, s17
	s_bcnt1_i32_b64 s24, s[24:25]
	s_add_i32 s16, s16, s36
	s_add_i32 s31, s16, s24
	v_cmp_eq_u32_e64 s[24:25], 2, v2
	s_and_b64 s[16:17], vcc, s[24:25]
	v_cmp_eq_u32_e64 s[24:25], 2, v3
	s_and_b64 s[36:37], s[6:7], s[24:25]
	v_cmp_eq_u32_e64 s[24:25], 2, v4
	s_and_b64 s[38:39], s[20:21], s[24:25]
	v_cmp_eq_u32_e64 s[24:25], 2, v1
	v_cndmask_b32_e64 v12, 0, 1, s[16:17]
	s_and_b64 s[46:47], s[22:23], s[24:25]
	v_cmp_ne_u32_e64 s[24:25], 0, v12
	v_cndmask_b32_e64 v12, 0, 1, s[36:37]
	s_bcnt1_i32_b64 s16, s[24:25]
	v_cmp_ne_u32_e64 s[24:25], 0, v12
	v_cndmask_b32_e64 v12, 0, 1, s[38:39]
	s_bcnt1_i32_b64 s17, s[24:25]
	v_cmp_ne_u32_e64 s[24:25], 0, v12
	v_cndmask_b32_e64 v12, 0, 1, s[46:47]
	s_add_i32 s16, s30, s16
	s_bcnt1_i32_b64 s36, s[24:25]
	v_cmp_ne_u32_e64 s[24:25], 0, v12
	s_add_i32 s16, s16, s17
	s_bcnt1_i32_b64 s24, s[24:25]
	s_add_i32 s16, s16, s36
	s_add_i32 s30, s16, s24
	v_cmp_eq_u32_e64 s[24:25], 3, v2
	s_and_b64 s[16:17], vcc, s[24:25]
	v_cmp_eq_u32_e32 vcc, 3, v3
	s_and_b64 s[6:7], s[6:7], vcc
	v_cmp_eq_u32_e32 vcc, 3, v4
	s_and_b64 s[20:21], s[20:21], vcc
	v_cmp_eq_u32_e32 vcc, 3, v1
	v_cndmask_b32_e64 v1, 0, 1, s[16:17]
	s_and_b64 s[22:23], s[22:23], vcc
	v_cmp_ne_u32_e32 vcc, 0, v1
	v_cndmask_b32_e64 v1, 0, 1, s[6:7]
	s_bcnt1_i32_b64 s16, vcc
	v_cmp_ne_u32_e32 vcc, 0, v1
	v_cndmask_b32_e64 v1, 0, 1, s[20:21]
	s_bcnt1_i32_b64 s6, vcc
	v_cmp_ne_u32_e32 vcc, 0, v1
	v_cndmask_b32_e64 v1, 0, 1, s[22:23]
	s_add_i32 s16, s29, s16
	s_bcnt1_i32_b64 s7, vcc
	v_cmp_ne_u32_e32 vcc, 0, v1
	s_add_i32 s6, s16, s6
	s_bcnt1_i32_b64 s17, vcc
	s_add_i32 s6, s6, s7
	s_add_i32 s29, s6, s17
	v_cmp_le_i32_e32 vcc, s9, v6
	s_or_b64 s[76:77], vcc, s[76:77]
	v_mov_b32_e32 v1, s35
	v_mov_b32_e32 v2, s31
	;; [unrolled: 1-line block ×4, first 2 shown]
	s_andn2_b64 exec, exec, s[76:77]
	s_cbranch_execnz .LBB58_48
; %bb.49:                               ;   in Loop: Header=BB58_7 Depth=1
	s_or_b64 exec, exec, s[76:77]
	s_or_b64 exec, exec, s[74:75]
	v_mov_b32_e32 v40, 0
	s_and_saveexec_b64 s[6:7], s[12:13]
	s_cbranch_execz .LBB58_46
.LBB58_50:                              ;   in Loop: Header=BB58_7 Depth=1
	global_load_ushort v40, v[10:11], off
	s_or_b64 exec, exec, s[6:7]
	s_and_saveexec_b64 s[20:21], s[14:15]
	s_cbranch_execz .LBB58_56
.LBB58_51:                              ;   in Loop: Header=BB58_7 Depth=1
	s_mov_b64 s[22:23], 0
	v_mov_b32_e32 v12, v29
	v_mov_b32_e32 v6, v23
	s_branch .LBB58_53
.LBB58_52:                              ;   in Loop: Header=BB58_53 Depth=2
	s_or_b64 exec, exec, s[6:7]
	s_waitcnt vmcnt(0)
	v_cmp_lt_i16_e32 vcc, -1, v40
	v_cndmask_b32_e32 v41, v33, v34, vcc
	v_xor_b32_sdwa v41, v41, v40 dst_sel:DWORD dst_unused:UNUSED_PAD src0_sel:DWORD src1_sel:WORD_0
	v_cmp_o_f16_e32 vcc, v40, v40
	v_cndmask_b32_e32 v40, v33, v41, vcc
	v_and_b32_e32 v41, v40, v37
	v_bfe_u32 v40, v40, v32, 2
	v_cmp_eq_u32_e32 vcc, v41, v28
	v_cmp_eq_u32_e64 s[6:7], 0, v40
	s_and_b64 s[6:7], vcc, s[6:7]
	v_cndmask_b32_e64 v41, 0, 1, s[6:7]
	v_cmp_ne_u32_e64 s[6:7], 0, v41
	s_bcnt1_i32_b64 s6, s[6:7]
	v_add_u32_e32 v1, s6, v1
	v_cmp_eq_u32_e64 s[6:7], 1, v40
	s_and_b64 s[6:7], vcc, s[6:7]
	v_cndmask_b32_e64 v41, 0, 1, s[6:7]
	v_cmp_ne_u32_e64 s[6:7], 0, v41
	s_bcnt1_i32_b64 s6, s[6:7]
	v_add_u32_e32 v2, s6, v2
	;; [unrolled: 6-line block ×3, first 2 shown]
	v_cmp_eq_u32_e64 s[6:7], 3, v40
	s_and_b64 s[6:7], vcc, s[6:7]
	v_cndmask_b32_e64 v40, 0, 1, s[6:7]
	v_cmp_ne_u32_e32 vcc, 0, v40
	s_bcnt1_i32_b64 s6, vcc
	v_cmp_le_i32_e32 vcc, s40, v6
	v_add_u32_e32 v4, s6, v4
	v_add_u32_e32 v12, s44, v12
	s_or_b64 s[22:23], vcc, s[22:23]
	v_mov_b32_e32 v40, v13
	s_andn2_b64 exec, exec, s[22:23]
	s_cbranch_execz .LBB58_55
.LBB58_53:                              ;   Parent Loop BB58_7 Depth=1
                                        ; =>  This Inner Loop Header: Depth=2
	v_add_u32_e32 v6, s26, v6
	v_cmp_gt_u32_e32 vcc, s40, v6
	v_mov_b32_e32 v13, 0
	s_and_saveexec_b64 s[6:7], vcc
	s_cbranch_execz .LBB58_52
; %bb.54:                               ;   in Loop: Header=BB58_53 Depth=2
	v_ashrrev_i32_e32 v13, 31, v12
	v_lshlrev_b64 v[41:42], 1, v[12:13]
	v_mov_b32_e32 v13, s27
	v_add_co_u32_e32 v41, vcc, s42, v41
	v_addc_co_u32_e32 v42, vcc, v13, v42, vcc
	global_load_ushort v13, v[41:42], off
	s_branch .LBB58_52
.LBB58_55:                              ;   in Loop: Header=BB58_7 Depth=1
	s_or_b64 exec, exec, s[22:23]
.LBB58_56:                              ;   in Loop: Header=BB58_7 Depth=1
	s_or_b64 exec, exec, s[20:21]
	s_branch .LBB58_36
.LBB58_57:                              ;   in Loop: Header=BB58_7 Depth=1
	s_mul_hi_u32 s6, s34, s8
	s_mul_i32 s6, s6, s45
	s_sub_i32 s6, s34, s6
	s_sub_i32 s7, s6, s45
	s_cmp_ge_u32 s6, s45
	s_cselect_b32 s6, s7, s6
	s_sub_i32 s7, s6, s45
	s_cmp_ge_u32 s6, s45
	s_cselect_b32 s6, s7, s6
	s_sub_i32 s28, s34, s6
	v_cmp_gt_u32_e32 vcc, s28, v14
	v_mov_b32_e32 v1, 0
	v_mov_b32_e32 v2, 0
	;; [unrolled: 1-line block ×4, first 2 shown]
	s_and_saveexec_b64 s[74:75], vcc
	s_cbranch_execz .LBB58_61
; %bb.58:                               ;   in Loop: Header=BB58_7 Depth=1
	s_mov_b32 s29, 0
	s_mov_b64 s[76:77], 0
	v_mov_b32_e32 v6, v30
	s_mov_b32 s30, 0
	s_mov_b32 s31, 0
	;; [unrolled: 1-line block ×3, first 2 shown]
	v_mov_b32_e32 v12, v14
.LBB58_59:                              ;   Parent Loop BB58_7 Depth=1
                                        ; =>  This Inner Loop Header: Depth=2
	ds_read_b64 v[1:2], v6
	v_add_u32_e32 v12, s45, v12
	v_add_u32_e32 v6, s59, v6
	s_waitcnt lgkmcnt(0)
	v_cmp_lt_i16_e32 vcc, -1, v1
	v_cndmask_b32_e32 v3, v33, v34, vcc
	v_cmp_o_f16_e32 vcc, v1, v1
	v_xor_b32_sdwa v3, v3, v1 dst_sel:DWORD dst_unused:UNUSED_PAD src0_sel:DWORD src1_sel:WORD_0
	v_cndmask_b32_e32 v3, v33, v3, vcc
	v_cmp_gt_i16_sdwa vcc, v1, v35 src0_sel:WORD_1 src1_sel:DWORD
	v_cndmask_b32_e32 v4, v33, v34, vcc
	v_cmp_o_f16_sdwa vcc, v1, v1 src0_sel:WORD_1 src1_sel:WORD_1
	v_xor_b32_sdwa v1, v4, v1 dst_sel:DWORD dst_unused:UNUSED_PAD src0_sel:DWORD src1_sel:WORD_1
	v_cndmask_b32_e32 v1, v33, v1, vcc
	v_cmp_lt_i16_e32 vcc, -1, v2
	v_cndmask_b32_e32 v4, v33, v34, vcc
	v_cmp_o_f16_e32 vcc, v2, v2
	v_xor_b32_sdwa v4, v4, v2 dst_sel:DWORD dst_unused:UNUSED_PAD src0_sel:DWORD src1_sel:WORD_0
	v_cndmask_b32_e32 v4, v33, v4, vcc
	v_cmp_gt_i16_sdwa vcc, v2, v35 src0_sel:WORD_1 src1_sel:DWORD
	v_cndmask_b32_e32 v13, v33, v34, vcc
	v_cmp_o_f16_sdwa vcc, v2, v2 src0_sel:WORD_1 src1_sel:WORD_1
	v_xor_b32_sdwa v2, v13, v2 dst_sel:DWORD dst_unused:UNUSED_PAD src0_sel:DWORD src1_sel:WORD_1
	v_and_b32_e32 v13, v3, v37
	v_bfe_u32 v3, v3, v32, 2
	v_cndmask_b32_e32 v2, v33, v2, vcc
	v_cmp_eq_u32_e32 vcc, v13, v28
	v_and_b32_e32 v13, v1, v37
	v_bfe_u32 v1, v1, v32, 2
	v_cmp_eq_u32_e64 s[24:25], 0, v3
	v_cmp_eq_u32_e64 s[6:7], v13, v28
	v_and_b32_e32 v13, v4, v37
	v_bfe_u32 v4, v4, v32, 2
	s_and_b64 s[16:17], vcc, s[24:25]
	v_cmp_eq_u32_e64 s[24:25], 0, v1
	v_cmp_eq_u32_e64 s[20:21], v13, v28
	v_and_b32_e32 v13, v2, v37
	v_bfe_u32 v2, v2, v32, 2
	s_and_b64 s[36:37], s[6:7], s[24:25]
	v_cmp_eq_u32_e64 s[24:25], 0, v4
	v_cmp_eq_u32_e64 s[22:23], v13, v28
	s_and_b64 s[38:39], s[20:21], s[24:25]
	v_cmp_eq_u32_e64 s[24:25], 0, v2
	v_cndmask_b32_e64 v13, 0, 1, s[16:17]
	s_and_b64 s[46:47], s[22:23], s[24:25]
	v_cmp_ne_u32_e64 s[24:25], 0, v13
	v_cndmask_b32_e64 v13, 0, 1, s[36:37]
	s_bcnt1_i32_b64 s16, s[24:25]
	v_cmp_ne_u32_e64 s[24:25], 0, v13
	v_cndmask_b32_e64 v13, 0, 1, s[38:39]
	s_bcnt1_i32_b64 s17, s[24:25]
	v_cmp_ne_u32_e64 s[24:25], 0, v13
	v_cndmask_b32_e64 v13, 0, 1, s[46:47]
	s_add_i32 s16, s35, s16
	s_bcnt1_i32_b64 s36, s[24:25]
	v_cmp_ne_u32_e64 s[24:25], 0, v13
	s_add_i32 s16, s16, s17
	s_bcnt1_i32_b64 s24, s[24:25]
	s_add_i32 s16, s16, s36
	s_add_i32 s35, s16, s24
	v_cmp_eq_u32_e64 s[24:25], 1, v3
	s_and_b64 s[16:17], vcc, s[24:25]
	v_cmp_eq_u32_e64 s[24:25], 1, v1
	s_and_b64 s[36:37], s[6:7], s[24:25]
	v_cmp_eq_u32_e64 s[24:25], 1, v4
	s_and_b64 s[38:39], s[20:21], s[24:25]
	v_cmp_eq_u32_e64 s[24:25], 1, v2
	v_cndmask_b32_e64 v13, 0, 1, s[16:17]
	s_and_b64 s[46:47], s[22:23], s[24:25]
	v_cmp_ne_u32_e64 s[24:25], 0, v13
	v_cndmask_b32_e64 v13, 0, 1, s[36:37]
	s_bcnt1_i32_b64 s16, s[24:25]
	v_cmp_ne_u32_e64 s[24:25], 0, v13
	v_cndmask_b32_e64 v13, 0, 1, s[38:39]
	s_bcnt1_i32_b64 s17, s[24:25]
	v_cmp_ne_u32_e64 s[24:25], 0, v13
	v_cndmask_b32_e64 v13, 0, 1, s[46:47]
	s_add_i32 s16, s31, s16
	s_bcnt1_i32_b64 s36, s[24:25]
	v_cmp_ne_u32_e64 s[24:25], 0, v13
	s_add_i32 s16, s16, s17
	s_bcnt1_i32_b64 s24, s[24:25]
	s_add_i32 s16, s16, s36
	s_add_i32 s31, s16, s24
	v_cmp_eq_u32_e64 s[24:25], 2, v3
	s_and_b64 s[16:17], vcc, s[24:25]
	v_cmp_eq_u32_e64 s[24:25], 2, v1
	s_and_b64 s[36:37], s[6:7], s[24:25]
	v_cmp_eq_u32_e64 s[24:25], 2, v4
	s_and_b64 s[38:39], s[20:21], s[24:25]
	v_cmp_eq_u32_e64 s[24:25], 2, v2
	v_cndmask_b32_e64 v13, 0, 1, s[16:17]
	s_and_b64 s[46:47], s[22:23], s[24:25]
	v_cmp_ne_u32_e64 s[24:25], 0, v13
	v_cndmask_b32_e64 v13, 0, 1, s[36:37]
	s_bcnt1_i32_b64 s16, s[24:25]
	v_cmp_ne_u32_e64 s[24:25], 0, v13
	v_cndmask_b32_e64 v13, 0, 1, s[38:39]
	s_bcnt1_i32_b64 s17, s[24:25]
	v_cmp_ne_u32_e64 s[24:25], 0, v13
	v_cndmask_b32_e64 v13, 0, 1, s[46:47]
	s_add_i32 s16, s30, s16
	s_bcnt1_i32_b64 s36, s[24:25]
	v_cmp_ne_u32_e64 s[24:25], 0, v13
	s_add_i32 s16, s16, s17
	s_bcnt1_i32_b64 s24, s[24:25]
	s_add_i32 s16, s16, s36
	s_add_i32 s30, s16, s24
	v_cmp_eq_u32_e64 s[24:25], 3, v3
	s_and_b64 s[16:17], vcc, s[24:25]
	v_cmp_eq_u32_e32 vcc, 3, v1
	s_and_b64 s[6:7], s[6:7], vcc
	v_cmp_eq_u32_e32 vcc, 3, v4
	s_and_b64 s[20:21], s[20:21], vcc
	v_cmp_eq_u32_e32 vcc, 3, v2
	v_cndmask_b32_e64 v1, 0, 1, s[16:17]
	s_and_b64 s[22:23], s[22:23], vcc
	v_cmp_ne_u32_e32 vcc, 0, v1
	v_cndmask_b32_e64 v1, 0, 1, s[6:7]
	s_bcnt1_i32_b64 s16, vcc
	v_cmp_ne_u32_e32 vcc, 0, v1
	v_cndmask_b32_e64 v1, 0, 1, s[20:21]
	s_bcnt1_i32_b64 s6, vcc
	v_cmp_ne_u32_e32 vcc, 0, v1
	v_cndmask_b32_e64 v1, 0, 1, s[22:23]
	s_add_i32 s16, s29, s16
	s_bcnt1_i32_b64 s7, vcc
	v_cmp_ne_u32_e32 vcc, 0, v1
	s_add_i32 s6, s16, s6
	s_bcnt1_i32_b64 s17, vcc
	s_add_i32 s6, s6, s7
	s_add_i32 s29, s6, s17
	v_cmp_le_i32_e32 vcc, s28, v12
	s_or_b64 s[76:77], vcc, s[76:77]
	v_mov_b32_e32 v1, s35
	v_mov_b32_e32 v2, s31
	;; [unrolled: 1-line block ×4, first 2 shown]
	s_andn2_b64 exec, exec, s[76:77]
	s_cbranch_execnz .LBB58_59
; %bb.60:                               ;   in Loop: Header=BB58_7 Depth=1
	s_or_b64 exec, exec, s[76:77]
.LBB58_61:                              ;   in Loop: Header=BB58_7 Depth=1
	s_or_b64 exec, exec, s[74:75]
	v_add_u32_e32 v6, s28, v0
	v_cmp_gt_i32_e32 vcc, s34, v6
	s_and_saveexec_b64 s[20:21], vcc
	s_cbranch_execz .LBB58_65
; %bb.62:                               ;   in Loop: Header=BB58_7 Depth=1
	v_lshlrev_b32_e32 v12, 1, v6
	s_mov_b64 s[22:23], 0
.LBB58_63:                              ;   Parent Loop BB58_7 Depth=1
                                        ; =>  This Inner Loop Header: Depth=2
	ds_read_u16 v13, v12
	v_add_u32_e32 v6, s26, v6
	v_add_u32_e32 v12, s54, v12
	s_waitcnt lgkmcnt(0)
	v_cmp_lt_i16_e32 vcc, -1, v13
	s_waitcnt vmcnt(0)
	v_cndmask_b32_e32 v40, v33, v34, vcc
	v_cmp_o_f16_e32 vcc, v13, v13
	v_xor_b32_sdwa v13, v40, v13 dst_sel:DWORD dst_unused:UNUSED_PAD src0_sel:DWORD src1_sel:WORD_0
	v_cndmask_b32_e32 v13, v33, v13, vcc
	v_and_b32_e32 v40, v13, v37
	v_bfe_u32 v13, v13, v32, 2
	v_cmp_eq_u32_e32 vcc, v40, v28
	v_cmp_eq_u32_e64 s[6:7], 0, v13
	s_and_b64 s[6:7], vcc, s[6:7]
	v_cndmask_b32_e64 v40, 0, 1, s[6:7]
	v_cmp_ne_u32_e64 s[6:7], 0, v40
	s_bcnt1_i32_b64 s6, s[6:7]
	v_add_u32_e32 v1, s6, v1
	v_cmp_eq_u32_e64 s[6:7], 1, v13
	s_and_b64 s[6:7], vcc, s[6:7]
	v_cndmask_b32_e64 v40, 0, 1, s[6:7]
	v_cmp_ne_u32_e64 s[6:7], 0, v40
	s_bcnt1_i32_b64 s6, s[6:7]
	v_add_u32_e32 v2, s6, v2
	;; [unrolled: 6-line block ×3, first 2 shown]
	v_cmp_eq_u32_e64 s[6:7], 3, v13
	s_and_b64 s[6:7], vcc, s[6:7]
	v_cndmask_b32_e64 v13, 0, 1, s[6:7]
	v_cmp_ne_u32_e32 vcc, 0, v13
	s_bcnt1_i32_b64 s6, vcc
	v_cmp_le_i32_e32 vcc, s34, v6
	v_add_u32_e32 v4, s6, v4
	s_or_b64 s[22:23], vcc, s[22:23]
	s_andn2_b64 exec, exec, s[22:23]
	s_cbranch_execnz .LBB58_63
; %bb.64:                               ;   in Loop: Header=BB58_7 Depth=1
	s_or_b64 exec, exec, s[22:23]
.LBB58_65:                              ;   in Loop: Header=BB58_7 Depth=1
	s_or_b64 exec, exec, s[20:21]
	s_lshl_b32 s16, s18, 6
	s_and_saveexec_b64 s[6:7], s[2:3]
	s_cbranch_execnz .LBB58_37
	s_branch .LBB58_38
.LBB58_66:                              ;   in Loop: Header=BB58_7 Depth=1
	s_or_b64 exec, exec, s[22:23]
	s_waitcnt lgkmcnt(0)
	s_barrier
	s_and_saveexec_b64 s[6:7], s[0:1]
	s_cbranch_execz .LBB58_68
; %bb.67:                               ;   in Loop: Header=BB58_7 Depth=1
	ds_read_b32 v1, v7 offset:4104
	s_waitcnt lgkmcnt(0)
	ds_write_b32 v7, v1 offset:4096
.LBB58_68:                              ;   in Loop: Header=BB58_7 Depth=1
	s_or_b64 exec, exec, s[6:7]
	s_waitcnt lgkmcnt(0)
	s_barrier
	s_mov_b64 s[6:7], -1
	s_and_b64 vcc, exec, s[20:21]
	s_cbranch_vccnz .LBB58_22
	s_branch .LBB58_32
.LBB58_69:                              ;   in Loop: Header=BB58_7 Depth=1
	v_mov_b32_e32 v1, 0
	s_mov_b32 s17, 0
.LBB58_70:                              ;   in Loop: Header=BB58_7 Depth=1
	v_readlane_b32 s20, v44, 38
	v_readlane_b32 s21, v44, 39
	s_andn2_b64 vcc, exec, s[20:21]
	s_cbranch_vccnz .LBB58_73
; %bb.71:                               ;   in Loop: Header=BB58_7 Depth=1
	s_lshl_b32 s20, s18, 8
	s_lshl_b32 s17, s17, 4
	s_add_i32 s20, s20, s17
	v_add_u32_e32 v2, s20, v31
	v_readlane_b32 s17, v44, 37
.LBB58_72:                              ;   Parent Loop BB58_7 Depth=1
                                        ; =>  This Inner Loop Header: Depth=2
	ds_read_b32 v3, v2
	s_add_i32 s17, s17, -1
	v_add_u32_e32 v2, 16, v2
	s_cmp_lg_u32 s17, 0
	s_waitcnt lgkmcnt(0)
	v_add_u32_e32 v1, v3, v1
	s_cbranch_scc1 .LBB58_72
.LBB58_73:                              ;   in Loop: Header=BB58_7 Depth=1
	v_add_lshl_u32 v2, s16, v15, 2
	ds_write_b32 v2, v1 offset:3072
.LBB58_74:                              ;   in Loop: Header=BB58_7 Depth=1
	s_or_b64 exec, exec, s[6:7]
	s_lshl_b32 s6, s16, 2
	v_mov_b32_e32 v1, s6
	s_waitcnt lgkmcnt(0)
	s_barrier
	ds_read_b128 v[1:4], v1 offset:3072
	v_cmp_eq_u32_e32 vcc, 1, v39
	s_mov_b64 s[20:21], -1
	s_mov_b64 s[28:29], -1
                                        ; implicit-def: $sgpr74_sgpr75
                                        ; implicit-def: $sgpr24_sgpr25
	s_waitcnt lgkmcnt(0)
	v_readfirstlane_b32 s46, v1
	s_cmp_eq_u32 s46, 1
	v_readfirstlane_b32 s90, v3
	v_lshlrev_b32_e64 v3, v32, 3
	s_cselect_b64 s[6:7], -1, 0
	v_readfirstlane_b32 s82, v2
	v_readfirstlane_b32 s55, v4
	v_not_b32_e32 v6, v3
	s_and_b64 s[22:23], s[6:7], vcc
	s_and_saveexec_b64 s[6:7], s[22:23]
	s_cbranch_execz .LBB58_102
; %bb.75:                               ;   in Loop: Header=BB58_7 Depth=1
	ds_read_b32 v1, v7 offset:4096
	s_waitcnt lgkmcnt(0)
	s_barrier
	v_readfirstlane_b32 s16, v1
	s_and_saveexec_b64 s[24:25], s[4:5]
; %bb.76:                               ;   in Loop: Header=BB58_7 Depth=1
	ds_write_b16 v17, v7
; %bb.77:                               ;   in Loop: Header=BB58_7 Depth=1
	s_or_b64 exec, exec, s[24:25]
	v_and_b32_e32 v28, v28, v6
	v_or_b32_e32 v37, v37, v3
	s_mov_b64 s[24:25], -1
	s_mov_b64 s[74:75], 0
	s_cmp_lt_i32 s16, 1
	s_mov_b64 s[34:35], 0
	s_mov_b64 s[76:77], -1
	s_waitcnt lgkmcnt(0)
	s_barrier
                                        ; implicit-def: $vgpr38
	s_cbranch_scc0 .LBB58_89
; %bb.78:                               ;   in Loop: Header=BB58_7 Depth=1
	s_mov_b64 s[76:77], 0
                                        ; implicit-def: $vgpr38
	s_mov_b64 s[28:29], exec
	v_readlane_b32 s30, v44, 40
	v_readlane_b32 s31, v44, 41
	s_and_b64 s[30:31], s[28:29], s[30:31]
	s_mov_b64 exec, s[30:31]
	s_cbranch_execz .LBB58_88
; %bb.79:                               ;   in Loop: Header=BB58_7 Depth=1
	s_mov_b64 s[30:31], 0
	v_mov_b32_e32 v1, v5
	v_mov_b32_e32 v4, v0
                                        ; implicit-def: $sgpr34_sgpr35
	s_branch .LBB58_83
.LBB58_80:                              ;   in Loop: Header=BB58_83 Depth=2
	s_or_b64 exec, exec, s[36:37]
	s_waitcnt lgkmcnt(0)
	s_barrier
	ds_read_b32 v2, v7 offset:3072
	s_waitcnt lgkmcnt(0)
	s_barrier
	v_cmp_neq_f16_e32 vcc, 0, v2
	s_cbranch_vccnz .LBB58_86
; %bb.81:                               ;   in Loop: Header=BB58_83 Depth=2
	v_add_u32_e32 v4, s26, v4
	v_cmp_le_i32_e32 vcc, s57, v4
	v_add_u32_e32 v1, s44, v1
	s_mov_b64 s[36:37], 0
	s_orn2_b64 s[38:39], vcc, exec
.LBB58_82:                              ;   in Loop: Header=BB58_83 Depth=2
	s_and_b64 s[38:39], exec, s[38:39]
	s_or_b64 s[30:31], s[38:39], s[30:31]
	s_andn2_b64 s[34:35], s[34:35], exec
	s_and_b64 s[36:37], s[36:37], exec
	s_or_b64 s[34:35], s[34:35], s[36:37]
	s_andn2_b64 exec, exec, s[30:31]
	s_cbranch_execz .LBB58_87
.LBB58_83:                              ;   Parent Loop BB58_7 Depth=1
                                        ; =>  This Inner Loop Header: Depth=2
	v_cmp_gt_i32_e32 vcc, s40, v4
	s_and_saveexec_b64 s[36:37], vcc
	s_cbranch_execz .LBB58_80
; %bb.84:                               ;   in Loop: Header=BB58_83 Depth=2
	v_ashrrev_i32_e32 v2, 31, v1
	v_lshlrev_b64 v[12:13], 1, v[1:2]
	v_mov_b32_e32 v2, s27
	v_add_co_u32_e32 v12, vcc, s42, v12
	v_addc_co_u32_e32 v13, vcc, v2, v13, vcc
	global_load_ushort v2, v[12:13], off
	s_waitcnt vmcnt(0)
	v_cmp_lt_i16_e32 vcc, -1, v2
	v_cndmask_b32_e32 v12, v33, v34, vcc
	v_xor_b32_sdwa v12, v12, v2 dst_sel:DWORD dst_unused:UNUSED_PAD src0_sel:DWORD src1_sel:WORD_0
	v_cmp_o_f16_e32 vcc, v2, v2
	v_cndmask_b32_e32 v12, v33, v12, vcc
	v_and_b32_e32 v12, v12, v37
	v_cmp_eq_u32_e32 vcc, v12, v28
	s_and_b64 exec, exec, vcc
	s_cbranch_execz .LBB58_80
; %bb.85:                               ;   in Loop: Header=BB58_83 Depth=2
	v_perm_b32 v2, v2, s41, v36
	ds_write_b32 v7, v2 offset:3072
	s_branch .LBB58_80
.LBB58_86:                              ;   in Loop: Header=BB58_83 Depth=2
	s_mov_b64 s[38:39], -1
                                        ; implicit-def: $vgpr4
                                        ; implicit-def: $vgpr1
	s_mov_b64 s[36:37], -1
	s_branch .LBB58_82
.LBB58_87:                              ;   in Loop: Header=BB58_7 Depth=1
	s_or_b64 exec, exec, s[30:31]
	v_lshrrev_b32_e32 v38, 16, v2
	s_and_b64 s[34:35], s[34:35], exec
.LBB58_88:                              ;   in Loop: Header=BB58_7 Depth=1
	s_or_b64 exec, exec, s[28:29]
.LBB58_89:                              ;   in Loop: Header=BB58_7 Depth=1
	s_and_b64 vcc, exec, s[76:77]
	s_cbranch_vccz .LBB58_101
; %bb.90:                               ;   in Loop: Header=BB58_7 Depth=1
	s_add_i32 s17, s16, s33
	s_abs_i32 s25, s17
	s_mul_hi_u32 s28, s25, s56
	s_mul_i32 s28, s28, s26
	s_sub_i32 s25, s25, s28
	s_ashr_i32 s24, s17, 31
	s_sub_i32 s28, s25, s26
	s_cmp_ge_u32 s25, s26
	s_cselect_b32 s25, s28, s25
	s_sub_i32 s28, s25, s26
	s_cmp_ge_u32 s25, s26
	s_cselect_b32 s25, s28, s25
	s_xor_b32 s25, s25, s24
	s_sub_i32 s24, s24, s25
	s_add_i32 s17, s17, s24
	v_cmp_gt_i32_e32 vcc, s17, v0
                                        ; implicit-def: $vgpr38
	s_and_saveexec_b64 s[24:25], vcc
	s_cbranch_execz .LBB58_100
; %bb.91:                               ;   in Loop: Header=BB58_7 Depth=1
	s_mov_b64 s[28:29], 0
	v_mov_b32_e32 v1, v16
	v_mov_b32_e32 v2, v0
                                        ; implicit-def: $sgpr30_sgpr31
	s_branch .LBB58_95
.LBB58_92:                              ;   in Loop: Header=BB58_95 Depth=2
	s_or_b64 exec, exec, s[36:37]
	s_waitcnt lgkmcnt(0)
	s_barrier
	ds_read_b32 v4, v7 offset:3072
	s_waitcnt lgkmcnt(0)
	s_barrier
	v_cmp_neq_f16_e32 vcc, 0, v4
	s_cbranch_vccnz .LBB58_98
; %bb.93:                               ;   in Loop: Header=BB58_95 Depth=2
	v_add_u32_e32 v2, s26, v2
	v_cmp_le_i32_e32 vcc, s17, v2
	v_add_u32_e32 v1, s54, v1
	s_mov_b64 s[36:37], 0
	s_orn2_b64 s[38:39], vcc, exec
.LBB58_94:                              ;   in Loop: Header=BB58_95 Depth=2
	s_and_b64 s[38:39], exec, s[38:39]
	s_or_b64 s[28:29], s[38:39], s[28:29]
	s_andn2_b64 s[30:31], s[30:31], exec
	s_and_b64 s[36:37], s[36:37], exec
	s_or_b64 s[30:31], s[30:31], s[36:37]
	s_andn2_b64 exec, exec, s[28:29]
	s_cbranch_execz .LBB58_99
.LBB58_95:                              ;   Parent Loop BB58_7 Depth=1
                                        ; =>  This Inner Loop Header: Depth=2
	v_cmp_gt_i32_e32 vcc, s16, v2
	s_and_saveexec_b64 s[36:37], vcc
	s_cbranch_execz .LBB58_92
; %bb.96:                               ;   in Loop: Header=BB58_95 Depth=2
	ds_read_u16 v4, v1
	s_waitcnt lgkmcnt(0)
	v_cmp_lt_i16_e32 vcc, -1, v4
	v_cndmask_b32_e32 v12, v33, v34, vcc
	v_xor_b32_sdwa v12, v12, v4 dst_sel:DWORD dst_unused:UNUSED_PAD src0_sel:DWORD src1_sel:WORD_0
	v_cmp_o_f16_e32 vcc, v4, v4
	v_cndmask_b32_e32 v12, v33, v12, vcc
	v_and_b32_e32 v12, v12, v37
	v_cmp_eq_u32_e32 vcc, v12, v28
	s_and_b64 exec, exec, vcc
	s_cbranch_execz .LBB58_92
; %bb.97:                               ;   in Loop: Header=BB58_95 Depth=2
	v_perm_b32 v4, v4, s41, v36
	ds_write_b32 v7, v4 offset:3072
	s_branch .LBB58_92
.LBB58_98:                              ;   in Loop: Header=BB58_95 Depth=2
	s_mov_b64 s[38:39], -1
                                        ; implicit-def: $vgpr2
                                        ; implicit-def: $vgpr1
	s_mov_b64 s[36:37], -1
	s_branch .LBB58_94
.LBB58_99:                              ;   in Loop: Header=BB58_7 Depth=1
	s_or_b64 exec, exec, s[28:29]
	s_andn2_b64 s[16:17], s[34:35], exec
	s_and_b64 s[28:29], s[30:31], exec
	v_lshrrev_b32_e32 v38, 16, v4
	s_or_b64 s[34:35], s[16:17], s[28:29]
.LBB58_100:                             ;   in Loop: Header=BB58_7 Depth=1
	s_or_b64 exec, exec, s[24:25]
	s_mov_b64 s[24:25], 0
	s_mov_b64 s[74:75], -1
.LBB58_101:                             ;   in Loop: Header=BB58_7 Depth=1
	s_orn2_b64 s[28:29], s[34:35], exec
.LBB58_102:                             ;   in Loop: Header=BB58_7 Depth=1
	s_or_b64 exec, exec, s[6:7]
	s_andn2_b64 s[6:7], s[72:73], exec
	s_and_b64 s[30:31], s[74:75], exec
	s_or_b64 s[72:73], s[6:7], s[30:31]
	s_andn2_b64 s[6:7], s[70:71], exec
	s_and_b64 s[24:25], s[24:25], exec
	v_readfirstlane_b32 s16, v0
	s_andn2_b64 s[68:69], s[68:69], exec
	s_or_b64 s[70:71], s[6:7], s[24:25]
                                        ; implicit-def: $vgpr12
	s_and_saveexec_b64 s[6:7], s[28:29]
	s_cbranch_execz .LBB58_6
; %bb.103:                              ;   in Loop: Header=BB58_7 Depth=1
	s_xor_b64 s[16:17], s[22:23], -1
	s_mov_b64 s[22:23], 0
	v_mov_b32_e32 v12, 1
	v_mov_b32_e32 v4, 1
	s_and_saveexec_b64 s[20:21], s[16:17]
	s_cbranch_execz .LBB58_112
; %bb.104:                              ;   in Loop: Header=BB58_7 Depth=1
	v_cmp_ge_i32_e32 vcc, s46, v39
	s_and_saveexec_b64 s[16:17], vcc
	s_xor_b64 s[22:23], exec, s[16:17]
	s_cbranch_execz .LBB58_109
; %bb.105:                              ;   in Loop: Header=BB58_7 Depth=1
	ds_read_b32 v1, v7 offset:4096
	v_and_b32_e32 v28, v28, v6
	v_or_b32_e32 v37, v37, v3
	s_waitcnt lgkmcnt(0)
	v_cmp_ne_u32_e32 vcc, 0, v1
	s_cbranch_vccnz .LBB58_109
; %bb.106:                              ;   in Loop: Header=BB58_7 Depth=1
	s_and_saveexec_b64 s[24:25], s[0:1]
; %bb.107:                              ;   in Loop: Header=BB58_7 Depth=1
	v_mov_b32_e32 v1, s46
	ds_write_b32 v7, v1 offset:4100
; %bb.108:                              ;   in Loop: Header=BB58_7 Depth=1
	s_or_b64 exec, exec, s[24:25]
	s_waitcnt lgkmcnt(0)
	s_barrier
.LBB58_109:                             ;   in Loop: Header=BB58_7 Depth=1
	s_or_saveexec_b64 s[22:23], s[22:23]
	s_mov_b64 s[24:25], 0
	v_mov_b32_e32 v4, 8
	s_xor_b64 exec, exec, s[22:23]
; %bb.110:                              ;   in Loop: Header=BB58_7 Depth=1
	v_subrev_u32_e32 v39, s46, v39
	v_mov_b32_e32 v4, 0
	s_mov_b64 s[24:25], exec
; %bb.111:                              ;   in Loop: Header=BB58_7 Depth=1
	s_or_b64 exec, exec, s[22:23]
	s_and_b64 s[22:23], s[24:25], exec
	v_mov_b32_e32 v12, v39
.LBB58_112:                             ;   in Loop: Header=BB58_7 Depth=1
	s_or_b64 exec, exec, s[20:21]
	s_mov_b64 s[20:21], -1
	s_mov_b64 s[28:29], -1
                                        ; implicit-def: $sgpr24_sgpr25
                                        ; implicit-def: $sgpr74_sgpr75
	s_and_saveexec_b64 s[16:17], s[22:23]
	s_xor_b64 s[22:23], exec, s[16:17]
	s_cbranch_execz .LBB58_235
; %bb.113:                              ;   in Loop: Header=BB58_7 Depth=1
	s_cmp_eq_u32 s82, 1
	s_cselect_b64 s[16:17], -1, 0
	v_cmp_eq_u32_e32 vcc, 1, v12
	s_and_b64 s[78:79], s[16:17], vcc
                                        ; implicit-def: $sgpr74_sgpr75
                                        ; implicit-def: $sgpr24_sgpr25
	s_and_saveexec_b64 s[76:77], s[78:79]
	s_cbranch_execz .LBB58_141
; %bb.114:                              ;   in Loop: Header=BB58_7 Depth=1
	ds_read_b32 v1, v7 offset:4096
	s_waitcnt lgkmcnt(0)
	s_barrier
	v_readfirstlane_b32 s83, v1
	s_and_saveexec_b64 s[24:25], s[4:5]
; %bb.115:                              ;   in Loop: Header=BB58_7 Depth=1
	ds_write_b16 v17, v7
; %bb.116:                              ;   in Loop: Header=BB58_7 Depth=1
	s_or_b64 exec, exec, s[24:25]
	v_and_b32_e32 v1, v28, v6
	v_lshl_or_b32 v28, 1, v32, v1
	v_or_b32_e32 v37, v37, v3
	s_mov_b64 s[24:25], -1
	s_mov_b64 s[74:75], 0
	s_cmp_gt_i32 s83, 0
	s_mov_b64 s[80:81], 0
	s_mov_b64 s[34:35], -1
	s_waitcnt lgkmcnt(0)
	s_barrier
                                        ; implicit-def: $vgpr38
	s_cbranch_scc1 .LBB58_128
; %bb.117:                              ;   in Loop: Header=BB58_7 Depth=1
	s_mov_b64 s[34:35], 0
                                        ; implicit-def: $vgpr38
	s_mov_b64 s[46:47], exec
	v_readlane_b32 s16, v44, 40
	v_readlane_b32 s17, v44, 41
	s_and_b64 s[16:17], s[46:47], s[16:17]
	s_mov_b64 exec, s[16:17]
	s_cbranch_execz .LBB58_127
; %bb.118:                              ;   in Loop: Header=BB58_7 Depth=1
	s_mov_b64 s[28:29], 0
	v_mov_b32_e32 v1, v5
	v_mov_b32_e32 v13, v0
                                        ; implicit-def: $sgpr30_sgpr31
	s_branch .LBB58_122
.LBB58_119:                             ;   in Loop: Header=BB58_122 Depth=2
	s_or_b64 exec, exec, s[80:81]
	s_waitcnt lgkmcnt(0)
	s_barrier
	ds_read_b32 v2, v7 offset:3072
	s_waitcnt lgkmcnt(0)
	s_barrier
	v_cmp_neq_f16_e32 vcc, 0, v2
	s_cbranch_vccnz .LBB58_125
; %bb.120:                              ;   in Loop: Header=BB58_122 Depth=2
	v_add_u32_e32 v13, s26, v13
	v_cmp_le_i32_e32 vcc, s57, v13
	v_add_u32_e32 v1, s44, v1
	s_mov_b64 s[36:37], 0
	s_orn2_b64 s[38:39], vcc, exec
.LBB58_121:                             ;   in Loop: Header=BB58_122 Depth=2
	s_and_b64 s[16:17], exec, s[38:39]
	s_or_b64 s[28:29], s[16:17], s[28:29]
	s_andn2_b64 s[16:17], s[30:31], exec
	s_and_b64 s[30:31], s[36:37], exec
	s_or_b64 s[30:31], s[16:17], s[30:31]
	s_andn2_b64 exec, exec, s[28:29]
	s_cbranch_execz .LBB58_126
.LBB58_122:                             ;   Parent Loop BB58_7 Depth=1
                                        ; =>  This Inner Loop Header: Depth=2
	v_cmp_gt_i32_e32 vcc, s40, v13
	s_and_saveexec_b64 s[80:81], vcc
	s_cbranch_execz .LBB58_119
; %bb.123:                              ;   in Loop: Header=BB58_122 Depth=2
	v_ashrrev_i32_e32 v2, 31, v1
	v_lshlrev_b64 v[38:39], 1, v[1:2]
	v_mov_b32_e32 v2, s27
	v_add_co_u32_e32 v38, vcc, s42, v38
	v_addc_co_u32_e32 v39, vcc, v2, v39, vcc
	global_load_ushort v2, v[38:39], off
	s_waitcnt vmcnt(0)
	v_cmp_lt_i16_e32 vcc, -1, v2
	v_cndmask_b32_e32 v38, v33, v34, vcc
	v_xor_b32_sdwa v38, v38, v2 dst_sel:DWORD dst_unused:UNUSED_PAD src0_sel:DWORD src1_sel:WORD_0
	v_cmp_o_f16_e32 vcc, v2, v2
	v_cndmask_b32_e32 v38, v33, v38, vcc
	v_and_b32_e32 v38, v38, v37
	v_cmp_eq_u32_e32 vcc, v38, v28
	s_and_b64 exec, exec, vcc
	s_cbranch_execz .LBB58_119
; %bb.124:                              ;   in Loop: Header=BB58_122 Depth=2
	v_perm_b32 v2, v2, s41, v36
	ds_write_b32 v7, v2 offset:3072
	s_branch .LBB58_119
.LBB58_125:                             ;   in Loop: Header=BB58_122 Depth=2
	s_mov_b64 s[38:39], -1
                                        ; implicit-def: $vgpr13
                                        ; implicit-def: $vgpr1
	s_mov_b64 s[36:37], -1
	s_branch .LBB58_121
.LBB58_126:                             ;   in Loop: Header=BB58_7 Depth=1
	s_or_b64 exec, exec, s[28:29]
	v_lshrrev_b32_e32 v38, 16, v2
	s_and_b64 s[80:81], s[30:31], exec
.LBB58_127:                             ;   in Loop: Header=BB58_7 Depth=1
	s_or_b64 exec, exec, s[46:47]
.LBB58_128:                             ;   in Loop: Header=BB58_7 Depth=1
	s_and_b64 vcc, exec, s[34:35]
	s_cbranch_vccz .LBB58_140
; %bb.129:                              ;   in Loop: Header=BB58_7 Depth=1
	s_add_i32 s16, s83, s33
	s_abs_i32 s24, s16
	s_mul_hi_u32 s25, s24, s56
	s_mul_i32 s25, s25, s26
	s_sub_i32 s24, s24, s25
	s_ashr_i32 s17, s16, 31
	s_sub_i32 s25, s24, s26
	s_cmp_ge_u32 s24, s26
	s_cselect_b32 s24, s25, s24
	s_sub_i32 s25, s24, s26
	s_cmp_ge_u32 s24, s26
	s_cselect_b32 s24, s25, s24
	s_xor_b32 s24, s24, s17
	s_sub_i32 s17, s17, s24
	s_add_i32 s16, s16, s17
	v_cmp_gt_i32_e32 vcc, s16, v0
                                        ; implicit-def: $vgpr38
	s_and_saveexec_b64 s[24:25], vcc
	s_cbranch_execz .LBB58_139
; %bb.130:                              ;   in Loop: Header=BB58_7 Depth=1
	s_mov_b64 s[28:29], 0
	v_mov_b32_e32 v1, v16
	v_mov_b32_e32 v2, v0
                                        ; implicit-def: $sgpr30_sgpr31
	s_branch .LBB58_134
.LBB58_131:                             ;   in Loop: Header=BB58_134 Depth=2
	s_or_b64 exec, exec, s[34:35]
	s_waitcnt lgkmcnt(0)
	s_barrier
	ds_read_b32 v13, v7 offset:3072
	s_waitcnt lgkmcnt(0)
	s_barrier
	v_cmp_eq_f16_e32 vcc, 0, v13
	s_cbranch_vccz .LBB58_137
; %bb.132:                              ;   in Loop: Header=BB58_134 Depth=2
	v_add_u32_e32 v2, s26, v2
	v_cmp_le_i32_e32 vcc, s16, v2
	v_add_u32_e32 v1, s54, v1
	s_mov_b64 s[34:35], 0
	s_orn2_b64 s[36:37], vcc, exec
.LBB58_133:                             ;   in Loop: Header=BB58_134 Depth=2
	s_and_b64 s[36:37], exec, s[36:37]
	s_or_b64 s[28:29], s[36:37], s[28:29]
	s_andn2_b64 s[30:31], s[30:31], exec
	s_and_b64 s[34:35], s[34:35], exec
	s_or_b64 s[30:31], s[30:31], s[34:35]
	s_andn2_b64 exec, exec, s[28:29]
	s_cbranch_execz .LBB58_138
.LBB58_134:                             ;   Parent Loop BB58_7 Depth=1
                                        ; =>  This Inner Loop Header: Depth=2
	v_cmp_gt_i32_e32 vcc, s83, v2
	s_and_saveexec_b64 s[34:35], vcc
	s_cbranch_execz .LBB58_131
; %bb.135:                              ;   in Loop: Header=BB58_134 Depth=2
	ds_read_u16 v13, v1
	s_waitcnt lgkmcnt(0)
	v_cmp_lt_i16_e32 vcc, -1, v13
	v_cndmask_b32_e32 v38, v33, v34, vcc
	v_xor_b32_sdwa v38, v38, v13 dst_sel:DWORD dst_unused:UNUSED_PAD src0_sel:DWORD src1_sel:WORD_0
	v_cmp_o_f16_e32 vcc, v13, v13
	v_cndmask_b32_e32 v38, v33, v38, vcc
	v_and_b32_e32 v38, v38, v37
	v_cmp_eq_u32_e32 vcc, v38, v28
	s_and_b64 exec, exec, vcc
	s_cbranch_execz .LBB58_131
; %bb.136:                              ;   in Loop: Header=BB58_134 Depth=2
	v_perm_b32 v13, v13, s41, v36
	ds_write_b32 v7, v13 offset:3072
	s_branch .LBB58_131
.LBB58_137:                             ;   in Loop: Header=BB58_134 Depth=2
	s_mov_b64 s[36:37], -1
                                        ; implicit-def: $vgpr2
                                        ; implicit-def: $vgpr1
	s_mov_b64 s[34:35], -1
	s_branch .LBB58_133
.LBB58_138:                             ;   in Loop: Header=BB58_7 Depth=1
	s_or_b64 exec, exec, s[28:29]
	s_andn2_b64 s[16:17], s[80:81], exec
	s_and_b64 s[28:29], s[30:31], exec
	v_lshrrev_b32_e32 v38, 16, v13
	s_or_b64 s[80:81], s[16:17], s[28:29]
.LBB58_139:                             ;   in Loop: Header=BB58_7 Depth=1
	s_or_b64 exec, exec, s[24:25]
	s_mov_b64 s[24:25], 0
	s_mov_b64 s[74:75], -1
.LBB58_140:                             ;   in Loop: Header=BB58_7 Depth=1
	s_orn2_b64 s[28:29], s[80:81], exec
.LBB58_141:                             ;   in Loop: Header=BB58_7 Depth=1
	s_or_b64 exec, exec, s[76:77]
	s_mov_b64 s[30:31], 0
	s_and_saveexec_b64 s[76:77], s[28:29]
	s_cbranch_execz .LBB58_234
; %bb.142:                              ;   in Loop: Header=BB58_7 Depth=1
	s_xor_b64 s[16:17], s[78:79], -1
	v_mov_b32_e32 v13, 1
	v_mov_b32_e32 v4, 1
	s_and_saveexec_b64 s[34:35], s[16:17]
	s_cbranch_execz .LBB58_151
; %bb.143:                              ;   in Loop: Header=BB58_7 Depth=1
	v_cmp_ge_i32_e32 vcc, s82, v12
	s_and_saveexec_b64 s[16:17], vcc
	s_xor_b64 s[28:29], exec, s[16:17]
	s_cbranch_execz .LBB58_148
; %bb.144:                              ;   in Loop: Header=BB58_7 Depth=1
	v_and_b32_e32 v1, v28, v6
	v_lshl_or_b32 v28, 1, v32, v1
	ds_read_b32 v1, v7 offset:4096
	v_or_b32_e32 v37, v37, v3
	s_waitcnt lgkmcnt(0)
	v_cmp_ne_u32_e32 vcc, 0, v1
	s_cbranch_vccnz .LBB58_148
; %bb.145:                              ;   in Loop: Header=BB58_7 Depth=1
	s_and_saveexec_b64 s[30:31], s[0:1]
; %bb.146:                              ;   in Loop: Header=BB58_7 Depth=1
	v_mov_b32_e32 v1, s82
	ds_write_b32 v7, v1 offset:4100
; %bb.147:                              ;   in Loop: Header=BB58_7 Depth=1
	s_or_b64 exec, exec, s[30:31]
	s_waitcnt lgkmcnt(0)
	s_barrier
.LBB58_148:                             ;   in Loop: Header=BB58_7 Depth=1
	s_or_saveexec_b64 s[28:29], s[28:29]
	s_mov_b64 s[30:31], 0
	v_mov_b32_e32 v4, 8
	s_xor_b64 exec, exec, s[28:29]
; %bb.149:                              ;   in Loop: Header=BB58_7 Depth=1
	v_subrev_u32_e32 v12, s82, v12
	v_mov_b32_e32 v4, 0
	s_mov_b64 s[30:31], exec
; %bb.150:                              ;   in Loop: Header=BB58_7 Depth=1
	s_or_b64 exec, exec, s[28:29]
	s_and_b64 s[30:31], s[30:31], exec
	v_mov_b32_e32 v13, v12
.LBB58_151:                             ;   in Loop: Header=BB58_7 Depth=1
	s_or_b64 exec, exec, s[34:35]
	s_mov_b64 s[28:29], -1
                                        ; implicit-def: $sgpr80_sgpr81
                                        ; implicit-def: $sgpr82_sgpr83
	s_and_saveexec_b64 s[78:79], s[30:31]
	s_cbranch_execz .LBB58_233
; %bb.152:                              ;   in Loop: Header=BB58_7 Depth=1
	s_cmp_eq_u32 s90, 1
	s_cselect_b64 s[16:17], -1, 0
	v_cmp_eq_u32_e32 vcc, 1, v13
	s_and_b64 s[86:87], s[16:17], vcc
                                        ; implicit-def: $sgpr82_sgpr83
                                        ; implicit-def: $sgpr80_sgpr81
	s_and_saveexec_b64 s[84:85], s[86:87]
	s_cbranch_execz .LBB58_180
; %bb.153:                              ;   in Loop: Header=BB58_7 Depth=1
	ds_read_b32 v1, v7 offset:4096
	s_waitcnt lgkmcnt(0)
	s_barrier
	v_readfirstlane_b32 s91, v1
	s_and_saveexec_b64 s[28:29], s[4:5]
; %bb.154:                              ;   in Loop: Header=BB58_7 Depth=1
	ds_write_b16 v17, v7
; %bb.155:                              ;   in Loop: Header=BB58_7 Depth=1
	s_or_b64 exec, exec, s[28:29]
	v_and_b32_e32 v1, v28, v6
	v_lshl_or_b32 v28, 2, v32, v1
	v_or_b32_e32 v37, v37, v3
	s_mov_b64 s[80:81], -1
	s_mov_b64 s[82:83], 0
	s_cmp_gt_i32 s91, 0
	s_mov_b64 s[88:89], 0
	s_mov_b64 s[34:35], -1
	s_waitcnt lgkmcnt(0)
	s_barrier
                                        ; implicit-def: $vgpr38
	s_cbranch_scc1 .LBB58_167
; %bb.156:                              ;   in Loop: Header=BB58_7 Depth=1
	s_mov_b64 s[34:35], 0
                                        ; implicit-def: $vgpr38
	s_mov_b64 s[46:47], exec
	v_readlane_b32 s16, v44, 40
	v_readlane_b32 s17, v44, 41
	s_and_b64 s[16:17], s[46:47], s[16:17]
	s_mov_b64 exec, s[16:17]
	s_cbranch_execz .LBB58_166
; %bb.157:                              ;   in Loop: Header=BB58_7 Depth=1
	s_mov_b64 s[28:29], 0
	v_mov_b32_e32 v1, v5
	v_mov_b32_e32 v12, v0
                                        ; implicit-def: $sgpr30_sgpr31
	s_branch .LBB58_161
.LBB58_158:                             ;   in Loop: Header=BB58_161 Depth=2
	s_or_b64 exec, exec, s[88:89]
	s_waitcnt lgkmcnt(0)
	s_barrier
	ds_read_b32 v2, v7 offset:3072
	s_waitcnt lgkmcnt(0)
	s_barrier
	v_cmp_neq_f16_e32 vcc, 0, v2
	s_cbranch_vccnz .LBB58_164
; %bb.159:                              ;   in Loop: Header=BB58_161 Depth=2
	v_add_u32_e32 v12, s26, v12
	v_cmp_le_i32_e32 vcc, s57, v12
	v_add_u32_e32 v1, s44, v1
	s_mov_b64 s[36:37], 0
	s_orn2_b64 s[38:39], vcc, exec
.LBB58_160:                             ;   in Loop: Header=BB58_161 Depth=2
	s_and_b64 s[16:17], exec, s[38:39]
	s_or_b64 s[28:29], s[16:17], s[28:29]
	s_andn2_b64 s[16:17], s[30:31], exec
	s_and_b64 s[30:31], s[36:37], exec
	s_or_b64 s[30:31], s[16:17], s[30:31]
	s_andn2_b64 exec, exec, s[28:29]
	s_cbranch_execz .LBB58_165
.LBB58_161:                             ;   Parent Loop BB58_7 Depth=1
                                        ; =>  This Inner Loop Header: Depth=2
	v_cmp_gt_i32_e32 vcc, s40, v12
	s_and_saveexec_b64 s[88:89], vcc
	s_cbranch_execz .LBB58_158
; %bb.162:                              ;   in Loop: Header=BB58_161 Depth=2
	v_ashrrev_i32_e32 v2, 31, v1
	v_lshlrev_b64 v[38:39], 1, v[1:2]
	v_mov_b32_e32 v2, s27
	v_add_co_u32_e32 v38, vcc, s42, v38
	v_addc_co_u32_e32 v39, vcc, v2, v39, vcc
	global_load_ushort v2, v[38:39], off
	s_waitcnt vmcnt(0)
	v_cmp_lt_i16_e32 vcc, -1, v2
	v_cndmask_b32_e32 v38, v33, v34, vcc
	v_xor_b32_sdwa v38, v38, v2 dst_sel:DWORD dst_unused:UNUSED_PAD src0_sel:DWORD src1_sel:WORD_0
	v_cmp_o_f16_e32 vcc, v2, v2
	v_cndmask_b32_e32 v38, v33, v38, vcc
	v_and_b32_e32 v38, v38, v37
	v_cmp_eq_u32_e32 vcc, v38, v28
	s_and_b64 exec, exec, vcc
	s_cbranch_execz .LBB58_158
; %bb.163:                              ;   in Loop: Header=BB58_161 Depth=2
	v_perm_b32 v2, v2, s41, v36
	ds_write_b32 v7, v2 offset:3072
	s_branch .LBB58_158
.LBB58_164:                             ;   in Loop: Header=BB58_161 Depth=2
	s_mov_b64 s[38:39], -1
                                        ; implicit-def: $vgpr12
                                        ; implicit-def: $vgpr1
	s_mov_b64 s[36:37], -1
	s_branch .LBB58_160
.LBB58_165:                             ;   in Loop: Header=BB58_7 Depth=1
	s_or_b64 exec, exec, s[28:29]
	v_lshrrev_b32_e32 v38, 16, v2
	s_and_b64 s[88:89], s[30:31], exec
.LBB58_166:                             ;   in Loop: Header=BB58_7 Depth=1
	s_or_b64 exec, exec, s[46:47]
.LBB58_167:                             ;   in Loop: Header=BB58_7 Depth=1
	s_and_b64 vcc, exec, s[34:35]
	s_cbranch_vccz .LBB58_179
; %bb.168:                              ;   in Loop: Header=BB58_7 Depth=1
	s_add_i32 s16, s91, s33
	s_abs_i32 s28, s16
	s_mul_hi_u32 s29, s28, s56
	s_mul_i32 s29, s29, s26
	s_sub_i32 s28, s28, s29
	s_ashr_i32 s17, s16, 31
	s_sub_i32 s29, s28, s26
	s_cmp_ge_u32 s28, s26
	s_cselect_b32 s28, s29, s28
	s_sub_i32 s29, s28, s26
	s_cmp_ge_u32 s28, s26
	s_cselect_b32 s28, s29, s28
	s_xor_b32 s28, s28, s17
	s_sub_i32 s17, s17, s28
	s_add_i32 s16, s16, s17
	v_cmp_gt_i32_e32 vcc, s16, v0
                                        ; implicit-def: $vgpr38
	s_and_saveexec_b64 s[28:29], vcc
	s_cbranch_execz .LBB58_178
; %bb.169:                              ;   in Loop: Header=BB58_7 Depth=1
	s_mov_b64 s[30:31], 0
	v_mov_b32_e32 v1, v16
	v_mov_b32_e32 v2, v0
                                        ; implicit-def: $sgpr34_sgpr35
	s_branch .LBB58_173
.LBB58_170:                             ;   in Loop: Header=BB58_173 Depth=2
	s_or_b64 exec, exec, s[36:37]
	s_waitcnt lgkmcnt(0)
	s_barrier
	ds_read_b32 v12, v7 offset:3072
	s_waitcnt lgkmcnt(0)
	s_barrier
	v_cmp_eq_f16_e32 vcc, 0, v12
	s_cbranch_vccz .LBB58_176
; %bb.171:                              ;   in Loop: Header=BB58_173 Depth=2
	v_add_u32_e32 v2, s26, v2
	v_cmp_le_i32_e32 vcc, s16, v2
	v_add_u32_e32 v1, s54, v1
	s_mov_b64 s[36:37], 0
	s_orn2_b64 s[38:39], vcc, exec
.LBB58_172:                             ;   in Loop: Header=BB58_173 Depth=2
	s_and_b64 s[38:39], exec, s[38:39]
	s_or_b64 s[30:31], s[38:39], s[30:31]
	s_andn2_b64 s[34:35], s[34:35], exec
	s_and_b64 s[36:37], s[36:37], exec
	s_or_b64 s[34:35], s[34:35], s[36:37]
	s_andn2_b64 exec, exec, s[30:31]
	s_cbranch_execz .LBB58_177
.LBB58_173:                             ;   Parent Loop BB58_7 Depth=1
                                        ; =>  This Inner Loop Header: Depth=2
	v_cmp_gt_i32_e32 vcc, s91, v2
	s_and_saveexec_b64 s[36:37], vcc
	s_cbranch_execz .LBB58_170
; %bb.174:                              ;   in Loop: Header=BB58_173 Depth=2
	ds_read_u16 v12, v1
	s_waitcnt lgkmcnt(0)
	v_cmp_lt_i16_e32 vcc, -1, v12
	v_cndmask_b32_e32 v38, v33, v34, vcc
	v_xor_b32_sdwa v38, v38, v12 dst_sel:DWORD dst_unused:UNUSED_PAD src0_sel:DWORD src1_sel:WORD_0
	v_cmp_o_f16_e32 vcc, v12, v12
	v_cndmask_b32_e32 v38, v33, v38, vcc
	v_and_b32_e32 v38, v38, v37
	v_cmp_eq_u32_e32 vcc, v38, v28
	s_and_b64 exec, exec, vcc
	s_cbranch_execz .LBB58_170
; %bb.175:                              ;   in Loop: Header=BB58_173 Depth=2
	v_perm_b32 v12, v12, s41, v36
	ds_write_b32 v7, v12 offset:3072
	s_branch .LBB58_170
.LBB58_176:                             ;   in Loop: Header=BB58_173 Depth=2
	s_mov_b64 s[38:39], -1
                                        ; implicit-def: $vgpr2
                                        ; implicit-def: $vgpr1
	s_mov_b64 s[36:37], -1
	s_branch .LBB58_172
.LBB58_177:                             ;   in Loop: Header=BB58_7 Depth=1
	s_or_b64 exec, exec, s[30:31]
	s_andn2_b64 s[16:17], s[88:89], exec
	s_and_b64 s[30:31], s[34:35], exec
	v_lshrrev_b32_e32 v38, 16, v12
	s_or_b64 s[88:89], s[16:17], s[30:31]
.LBB58_178:                             ;   in Loop: Header=BB58_7 Depth=1
	s_or_b64 exec, exec, s[28:29]
	s_mov_b64 s[80:81], 0
	s_mov_b64 s[82:83], -1
.LBB58_179:                             ;   in Loop: Header=BB58_7 Depth=1
	s_orn2_b64 s[28:29], s[88:89], exec
.LBB58_180:                             ;   in Loop: Header=BB58_7 Depth=1
	s_or_b64 exec, exec, s[84:85]
	s_mov_b64 s[30:31], 0
	s_and_saveexec_b64 s[84:85], s[28:29]
	s_cbranch_execz .LBB58_232
; %bb.181:                              ;   in Loop: Header=BB58_7 Depth=1
	s_xor_b64 s[16:17], s[86:87], -1
	v_mov_b32_e32 v12, 1
	v_mov_b32_e32 v4, 1
	s_and_saveexec_b64 s[34:35], s[16:17]
	s_cbranch_execz .LBB58_190
; %bb.182:                              ;   in Loop: Header=BB58_7 Depth=1
	v_cmp_ge_i32_e32 vcc, s90, v13
	s_and_saveexec_b64 s[16:17], vcc
	s_xor_b64 s[28:29], exec, s[16:17]
	s_cbranch_execz .LBB58_187
; %bb.183:                              ;   in Loop: Header=BB58_7 Depth=1
	v_and_b32_e32 v1, v28, v6
	v_lshl_or_b32 v28, 2, v32, v1
	ds_read_b32 v1, v7 offset:4096
	v_or_b32_e32 v37, v37, v3
	s_waitcnt lgkmcnt(0)
	v_cmp_ne_u32_e32 vcc, 0, v1
	s_cbranch_vccnz .LBB58_187
; %bb.184:                              ;   in Loop: Header=BB58_7 Depth=1
	s_and_saveexec_b64 s[30:31], s[0:1]
; %bb.185:                              ;   in Loop: Header=BB58_7 Depth=1
	v_mov_b32_e32 v1, s90
	ds_write_b32 v7, v1 offset:4100
; %bb.186:                              ;   in Loop: Header=BB58_7 Depth=1
	s_or_b64 exec, exec, s[30:31]
	s_waitcnt lgkmcnt(0)
	s_barrier
.LBB58_187:                             ;   in Loop: Header=BB58_7 Depth=1
	s_or_saveexec_b64 s[28:29], s[28:29]
	s_mov_b64 s[30:31], 0
	v_mov_b32_e32 v4, 8
	s_xor_b64 exec, exec, s[28:29]
; %bb.188:                              ;   in Loop: Header=BB58_7 Depth=1
	v_subrev_u32_e32 v13, s90, v13
	v_mov_b32_e32 v4, 0
	s_mov_b64 s[30:31], exec
; %bb.189:                              ;   in Loop: Header=BB58_7 Depth=1
	s_or_b64 exec, exec, s[28:29]
	s_and_b64 s[30:31], s[30:31], exec
	v_mov_b32_e32 v12, v13
.LBB58_190:                             ;   in Loop: Header=BB58_7 Depth=1
	s_or_b64 exec, exec, s[34:35]
	s_mov_b64 s[28:29], -1
                                        ; implicit-def: $sgpr90_sgpr91
                                        ; implicit-def: $sgpr88_sgpr89
	s_and_saveexec_b64 s[86:87], s[30:31]
	s_cbranch_execz .LBB58_231
; %bb.191:                              ;   in Loop: Header=BB58_7 Depth=1
	s_cmp_eq_u32 s55, 1
	s_cselect_b64 s[16:17], -1, 0
	v_cmp_eq_u32_e32 vcc, 1, v12
	s_and_b64 s[92:93], s[16:17], vcc
                                        ; implicit-def: $sgpr90_sgpr91
                                        ; implicit-def: $sgpr88_sgpr89
	s_and_saveexec_b64 s[94:95], s[92:93]
	s_cbranch_execz .LBB58_219
; %bb.192:                              ;   in Loop: Header=BB58_7 Depth=1
	ds_read_b32 v1, v7 offset:4096
	s_waitcnt lgkmcnt(0)
	s_barrier
	v_readfirstlane_b32 s16, v1
	s_and_saveexec_b64 s[28:29], s[4:5]
; %bb.193:                              ;   in Loop: Header=BB58_7 Depth=1
	ds_write_b16 v17, v7
; %bb.194:                              ;   in Loop: Header=BB58_7 Depth=1
	s_or_b64 exec, exec, s[28:29]
	v_or_b32_e32 v28, v28, v3
	v_or_b32_e32 v37, v37, v3
	s_mov_b64 s[88:89], -1
	s_mov_b64 s[90:91], 0
	s_cmp_gt_i32 s16, 0
	s_mov_b64 s[34:35], 0
	s_mov_b64 s[46:47], -1
	s_waitcnt lgkmcnt(0)
	s_barrier
                                        ; implicit-def: $vgpr38
	s_cbranch_scc1 .LBB58_206
; %bb.195:                              ;   in Loop: Header=BB58_7 Depth=1
	s_mov_b64 s[46:47], 0
                                        ; implicit-def: $vgpr38
	s_mov_b64 s[28:29], exec
	v_readlane_b32 s30, v44, 40
	v_readlane_b32 s31, v44, 41
	s_and_b64 s[30:31], s[28:29], s[30:31]
	s_mov_b64 exec, s[30:31]
	s_cbranch_execz .LBB58_205
; %bb.196:                              ;   in Loop: Header=BB58_7 Depth=1
	s_mov_b64 s[30:31], 0
	v_mov_b32_e32 v1, v5
	v_mov_b32_e32 v6, v0
                                        ; implicit-def: $sgpr34_sgpr35
	s_branch .LBB58_200
.LBB58_197:                             ;   in Loop: Header=BB58_200 Depth=2
	s_or_b64 exec, exec, s[36:37]
	s_waitcnt lgkmcnt(0)
	s_barrier
	ds_read_b32 v2, v7 offset:3072
	s_waitcnt lgkmcnt(0)
	s_barrier
	v_cmp_neq_f16_e32 vcc, 0, v2
	s_cbranch_vccnz .LBB58_203
; %bb.198:                              ;   in Loop: Header=BB58_200 Depth=2
	v_add_u32_e32 v6, s26, v6
	v_cmp_le_i32_e32 vcc, s57, v6
	v_add_u32_e32 v1, s44, v1
	s_mov_b64 s[36:37], 0
	s_orn2_b64 s[38:39], vcc, exec
.LBB58_199:                             ;   in Loop: Header=BB58_200 Depth=2
	s_and_b64 s[38:39], exec, s[38:39]
	s_or_b64 s[30:31], s[38:39], s[30:31]
	s_andn2_b64 s[34:35], s[34:35], exec
	s_and_b64 s[36:37], s[36:37], exec
	s_or_b64 s[34:35], s[34:35], s[36:37]
	s_andn2_b64 exec, exec, s[30:31]
	s_cbranch_execz .LBB58_204
.LBB58_200:                             ;   Parent Loop BB58_7 Depth=1
                                        ; =>  This Inner Loop Header: Depth=2
	v_cmp_gt_i32_e32 vcc, s40, v6
	s_and_saveexec_b64 s[36:37], vcc
	s_cbranch_execz .LBB58_197
; %bb.201:                              ;   in Loop: Header=BB58_200 Depth=2
	v_ashrrev_i32_e32 v2, 31, v1
	v_lshlrev_b64 v[38:39], 1, v[1:2]
	v_mov_b32_e32 v2, s27
	v_add_co_u32_e32 v38, vcc, s42, v38
	v_addc_co_u32_e32 v39, vcc, v2, v39, vcc
	global_load_ushort v2, v[38:39], off
	s_waitcnt vmcnt(0)
	v_cmp_lt_i16_e32 vcc, -1, v2
	v_cndmask_b32_e32 v13, v33, v34, vcc
	v_xor_b32_sdwa v13, v13, v2 dst_sel:DWORD dst_unused:UNUSED_PAD src0_sel:DWORD src1_sel:WORD_0
	v_cmp_o_f16_e32 vcc, v2, v2
	v_cndmask_b32_e32 v13, v33, v13, vcc
	v_and_b32_e32 v13, v13, v37
	v_cmp_eq_u32_e32 vcc, v13, v28
	s_and_b64 exec, exec, vcc
	s_cbranch_execz .LBB58_197
; %bb.202:                              ;   in Loop: Header=BB58_200 Depth=2
	v_perm_b32 v2, v2, s41, v36
	ds_write_b32 v7, v2 offset:3072
	s_branch .LBB58_197
.LBB58_203:                             ;   in Loop: Header=BB58_200 Depth=2
	s_mov_b64 s[38:39], -1
                                        ; implicit-def: $vgpr6
                                        ; implicit-def: $vgpr1
	s_mov_b64 s[36:37], -1
	s_branch .LBB58_199
.LBB58_204:                             ;   in Loop: Header=BB58_7 Depth=1
	s_or_b64 exec, exec, s[30:31]
	v_lshrrev_b32_e32 v38, 16, v2
	s_and_b64 s[34:35], s[34:35], exec
.LBB58_205:                             ;   in Loop: Header=BB58_7 Depth=1
	s_or_b64 exec, exec, s[28:29]
.LBB58_206:                             ;   in Loop: Header=BB58_7 Depth=1
	s_and_b64 vcc, exec, s[46:47]
	s_cbranch_vccz .LBB58_218
; %bb.207:                              ;   in Loop: Header=BB58_7 Depth=1
	s_add_i32 s17, s16, s33
	s_abs_i32 s29, s17
	s_mul_hi_u32 s30, s29, s56
	s_mul_i32 s30, s30, s26
	s_sub_i32 s29, s29, s30
	s_ashr_i32 s28, s17, 31
	s_sub_i32 s30, s29, s26
	s_cmp_ge_u32 s29, s26
	s_cselect_b32 s29, s30, s29
	s_sub_i32 s30, s29, s26
	s_cmp_ge_u32 s29, s26
	s_cselect_b32 s29, s30, s29
	s_xor_b32 s29, s29, s28
	s_sub_i32 s28, s28, s29
	s_add_i32 s17, s17, s28
	v_cmp_gt_i32_e32 vcc, s17, v0
                                        ; implicit-def: $vgpr38
	s_and_saveexec_b64 s[28:29], vcc
	s_cbranch_execz .LBB58_217
; %bb.208:                              ;   in Loop: Header=BB58_7 Depth=1
	s_mov_b64 s[30:31], 0
	v_mov_b32_e32 v1, v16
	v_mov_b32_e32 v2, v0
                                        ; implicit-def: $sgpr46_sgpr47
	s_branch .LBB58_212
.LBB58_209:                             ;   in Loop: Header=BB58_212 Depth=2
	s_or_b64 exec, exec, s[36:37]
	s_waitcnt lgkmcnt(0)
	s_barrier
	ds_read_b32 v6, v7 offset:3072
	s_waitcnt lgkmcnt(0)
	s_barrier
	v_cmp_eq_f16_e32 vcc, 0, v6
	s_cbranch_vccz .LBB58_215
; %bb.210:                              ;   in Loop: Header=BB58_212 Depth=2
	v_add_u32_e32 v2, s26, v2
	v_cmp_le_i32_e32 vcc, s17, v2
	v_add_u32_e32 v1, s54, v1
	s_mov_b64 s[36:37], 0
	s_orn2_b64 s[38:39], vcc, exec
.LBB58_211:                             ;   in Loop: Header=BB58_212 Depth=2
	s_and_b64 s[38:39], exec, s[38:39]
	s_or_b64 s[30:31], s[38:39], s[30:31]
	s_andn2_b64 s[38:39], s[46:47], exec
	s_and_b64 s[36:37], s[36:37], exec
	s_or_b64 s[46:47], s[38:39], s[36:37]
	s_andn2_b64 exec, exec, s[30:31]
	s_cbranch_execz .LBB58_216
.LBB58_212:                             ;   Parent Loop BB58_7 Depth=1
                                        ; =>  This Inner Loop Header: Depth=2
	v_cmp_gt_i32_e32 vcc, s16, v2
	s_and_saveexec_b64 s[36:37], vcc
	s_cbranch_execz .LBB58_209
; %bb.213:                              ;   in Loop: Header=BB58_212 Depth=2
	ds_read_u16 v6, v1
	s_waitcnt lgkmcnt(0)
	v_cmp_lt_i16_e32 vcc, -1, v6
	v_cndmask_b32_e32 v13, v33, v34, vcc
	v_xor_b32_sdwa v13, v13, v6 dst_sel:DWORD dst_unused:UNUSED_PAD src0_sel:DWORD src1_sel:WORD_0
	v_cmp_o_f16_e32 vcc, v6, v6
	v_cndmask_b32_e32 v13, v33, v13, vcc
	v_and_b32_e32 v13, v13, v37
	v_cmp_eq_u32_e32 vcc, v13, v28
	s_and_b64 exec, exec, vcc
	s_cbranch_execz .LBB58_209
; %bb.214:                              ;   in Loop: Header=BB58_212 Depth=2
	v_perm_b32 v6, v6, s41, v36
	ds_write_b32 v7, v6 offset:3072
	s_branch .LBB58_209
.LBB58_215:                             ;   in Loop: Header=BB58_212 Depth=2
	s_mov_b64 s[38:39], -1
                                        ; implicit-def: $vgpr2
                                        ; implicit-def: $vgpr1
	s_mov_b64 s[36:37], -1
	s_branch .LBB58_211
.LBB58_216:                             ;   in Loop: Header=BB58_7 Depth=1
	s_or_b64 exec, exec, s[30:31]
	s_andn2_b64 s[16:17], s[34:35], exec
	s_and_b64 s[30:31], s[46:47], exec
	v_lshrrev_b32_e32 v38, 16, v6
	s_or_b64 s[34:35], s[16:17], s[30:31]
.LBB58_217:                             ;   in Loop: Header=BB58_7 Depth=1
	s_or_b64 exec, exec, s[28:29]
	s_mov_b64 s[88:89], 0
	s_mov_b64 s[90:91], -1
.LBB58_218:                             ;   in Loop: Header=BB58_7 Depth=1
	s_orn2_b64 s[28:29], s[34:35], exec
.LBB58_219:                             ;   in Loop: Header=BB58_7 Depth=1
	s_or_b64 exec, exec, s[94:95]
	s_mov_b64 s[30:31], 0
	s_and_saveexec_b64 s[34:35], s[28:29]
	s_cbranch_execz .LBB58_230
; %bb.220:                              ;   in Loop: Header=BB58_7 Depth=1
	s_xor_b64 s[16:17], s[92:93], -1
	v_mov_b32_e32 v4, 1
	v_mov_b32_e32 v1, 1
	s_and_saveexec_b64 s[28:29], s[16:17]
	s_cbranch_execz .LBB58_229
; %bb.221:                              ;   in Loop: Header=BB58_7 Depth=1
	v_cmp_ge_i32_e32 vcc, s55, v12
	s_and_saveexec_b64 s[16:17], vcc
	s_xor_b64 s[30:31], exec, s[16:17]
	s_cbranch_execz .LBB58_226
; %bb.222:                              ;   in Loop: Header=BB58_7 Depth=1
	ds_read_b32 v1, v7 offset:4096
	v_or_b32_e32 v28, v28, v3
	v_or_b32_e32 v37, v37, v3
	s_waitcnt lgkmcnt(0)
	v_cmp_ne_u32_e32 vcc, 0, v1
	s_cbranch_vccnz .LBB58_226
; %bb.223:                              ;   in Loop: Header=BB58_7 Depth=1
	s_and_saveexec_b64 s[36:37], s[0:1]
; %bb.224:                              ;   in Loop: Header=BB58_7 Depth=1
	v_mov_b32_e32 v1, s55
	ds_write_b32 v7, v1 offset:4100
; %bb.225:                              ;   in Loop: Header=BB58_7 Depth=1
	s_or_b64 exec, exec, s[36:37]
	s_waitcnt lgkmcnt(0)
	s_barrier
.LBB58_226:                             ;   in Loop: Header=BB58_7 Depth=1
	s_andn2_saveexec_b64 s[30:31], s[30:31]
; %bb.227:                              ;   in Loop: Header=BB58_7 Depth=1
	v_subrev_u32_e32 v12, s55, v12
; %bb.228:                              ;   in Loop: Header=BB58_7 Depth=1
	s_or_b64 exec, exec, s[30:31]
	v_mov_b32_e32 v4, 8
	v_mov_b32_e32 v1, v12
.LBB58_229:                             ;   in Loop: Header=BB58_7 Depth=1
	s_or_b64 exec, exec, s[28:29]
	s_mov_b64 s[30:31], exec
	v_mov_b32_e32 v12, v1
.LBB58_230:                             ;   in Loop: Header=BB58_7 Depth=1
	s_or_b64 exec, exec, s[34:35]
	s_orn2_b64 s[28:29], s[30:31], exec
.LBB58_231:                             ;   in Loop: Header=BB58_7 Depth=1
	s_or_b64 exec, exec, s[86:87]
	s_andn2_b64 s[16:17], s[82:83], exec
	s_and_b64 s[30:31], s[90:91], exec
	s_or_b64 s[82:83], s[16:17], s[30:31]
	s_andn2_b64 s[16:17], s[80:81], exec
	s_and_b64 s[30:31], s[88:89], exec
	s_or_b64 s[80:81], s[16:17], s[30:31]
	s_and_b64 s[30:31], s[28:29], exec
	v_mov_b32_e32 v13, v12
.LBB58_232:                             ;   in Loop: Header=BB58_7 Depth=1
	s_or_b64 exec, exec, s[84:85]
	s_orn2_b64 s[28:29], s[30:31], exec
.LBB58_233:                             ;   in Loop: Header=BB58_7 Depth=1
	s_or_b64 exec, exec, s[78:79]
	s_andn2_b64 s[16:17], s[74:75], exec
	s_and_b64 s[30:31], s[82:83], exec
	s_or_b64 s[74:75], s[16:17], s[30:31]
	s_andn2_b64 s[16:17], s[24:25], exec
	s_and_b64 s[24:25], s[80:81], exec
	s_or_b64 s[24:25], s[16:17], s[24:25]
	s_and_b64 s[30:31], s[28:29], exec
	v_mov_b32_e32 v12, v13
.LBB58_234:                             ;   in Loop: Header=BB58_7 Depth=1
	s_or_b64 exec, exec, s[76:77]
	s_orn2_b64 s[28:29], s[30:31], exec
.LBB58_235:                             ;   in Loop: Header=BB58_7 Depth=1
	s_or_b64 exec, exec, s[22:23]
	s_mov_b64 s[30:31], 0
                                        ; implicit-def: $sgpr16
	s_and_saveexec_b64 s[22:23], s[28:29]
	s_xor_b64 s[22:23], exec, s[22:23]
	s_cbranch_execz .LBB58_5
; %bb.236:                              ;   in Loop: Header=BB58_7 Depth=1
	v_and_b32_e32 v1, 7, v4
	v_cmp_eq_u32_e32 vcc, 0, v1
	s_mov_b64 s[20:21], -1
	s_mov_b64 s[28:29], -1
                                        ; implicit-def: $sgpr16
	s_and_saveexec_b64 s[30:31], vcc
	s_cbranch_execz .LBB58_4
; %bb.237:                              ;   in Loop: Header=BB58_7 Depth=1
	v_add_u32_e32 v1, -2, v32
	v_cmp_eq_u32_e32 vcc, 0, v32
	s_xor_b32 s16, s18, 1
	s_xor_b64 s[28:29], exec, -1
	s_orn2_b64 s[20:21], vcc, exec
	v_mov_b32_e32 v32, v1
	s_branch .LBB58_4
.LBB58_238:
	s_or_b64 exec, exec, s[60:61]
	s_xor_b64 s[6:7], s[66:67], -1
	s_xor_b64 s[4:5], s[62:63], -1
	;; [unrolled: 1-line block ×3, first 2 shown]
	s_mov_b64 s[2:3], 0
	s_and_saveexec_b64 s[10:11], s[4:5]
	s_xor_b64 s[4:5], exec, s[10:11]
	s_cbranch_execnz .LBB58_243
; %bb.239:
	s_andn2_saveexec_b64 s[0:1], s[4:5]
	s_cbranch_execnz .LBB58_263
.LBB58_240:
	s_or_b64 exec, exec, s[0:1]
	s_and_saveexec_b64 s[0:1], s[2:3]
.LBB58_241:
	; divergent unreachable
.LBB58_242:
	s_endpgm
.LBB58_243:
	s_and_saveexec_b64 s[2:3], s[6:7]
	s_xor_b64 s[6:7], exec, s[2:3]
	s_cbranch_execz .LBB58_261
; %bb.244:
	s_and_saveexec_b64 s[2:3], s[8:9]
	s_xor_b64 s[2:3], exec, s[2:3]
; %bb.245:
	v_and_b32_e32 v1, 0x8000, v28
	v_mov_b32_e32 v2, 0x8000
	v_mov_b32_e32 v3, 0xffff
	v_cmp_eq_u32_e32 vcc, 0, v1
	v_cndmask_b32_e32 v1, v2, v3, vcc
	v_xor_b32_e32 v38, v1, v28
; %bb.246:
	s_or_b64 exec, exec, s[2:3]
	s_and_saveexec_b64 s[2:3], s[0:1]
	v_readlane_b32 s24, v44, 20
	v_readlane_b32 s28, v44, 25
	v_readlane_b32 s22, v44, 28
	v_readlane_b32 s25, v44, 21
	v_readlane_b32 s29, v44, 26
	v_readlane_b32 s23, v44, 18
	v_readlane_b32 s30, v44, 23
; %bb.247:
	v_mov_b32_e32 v1, 0
	v_mov_b32_e32 v2, s40
	ds_write_b32 v1, v2 offset:4108
; %bb.248:
	s_or_b64 exec, exec, s[2:3]
	v_mov_b32_e32 v1, 0
	s_waitcnt lgkmcnt(0)
	s_barrier
	ds_read_b32 v1, v1 offset:4108
	s_waitcnt lgkmcnt(0)
	v_min_i32_e32 v1, s40, v1
	v_cmp_lt_i32_e32 vcc, v0, v1
	s_and_saveexec_b64 s[8:9], vcc
	s_cbranch_execz .LBB58_258
; %bb.249:
	v_cmp_u_f16_e32 vcc, v38, v38
	s_mov_b64 s[10:11], 0
	v_mov_b32_e32 v3, s27
	s_xor_b64 s[14:15], vcc, -1
                                        ; implicit-def: $sgpr12_sgpr13
                                        ; implicit-def: $sgpr18_sgpr19
                                        ; implicit-def: $sgpr16_sgpr17
	s_branch .LBB58_251
.LBB58_250:                             ;   in Loop: Header=BB58_251 Depth=1
	s_or_b64 exec, exec, s[2:3]
	s_and_b64 s[2:3], exec, s[18:19]
	s_or_b64 s[10:11], s[2:3], s[10:11]
	s_andn2_b64 s[2:3], s[12:13], exec
	s_and_b64 s[12:13], s[16:17], exec
	s_or_b64 s[12:13], s[2:3], s[12:13]
	s_andn2_b64 exec, exec, s[10:11]
	s_cbranch_execz .LBB58_253
.LBB58_251:                             ; =>This Inner Loop Header: Depth=1
	v_ashrrev_i32_e32 v6, 31, v5
	v_lshlrev_b64 v[6:7], 1, v[5:6]
	v_mov_b32_e32 v2, v0
	v_add_co_u32_e32 v6, vcc, s42, v6
	v_addc_co_u32_e32 v7, vcc, v3, v7, vcc
	global_load_ushort v4, v[6:7], off
	s_or_b64 s[16:17], s[16:17], exec
	s_or_b64 s[18:19], s[18:19], exec
                                        ; implicit-def: $vgpr0
	s_waitcnt vmcnt(0)
	v_cmp_o_f16_e64 s[2:3], v4, v4
	v_cmp_neq_f16_e32 vcc, v4, v38
	s_or_b64 s[2:3], s[14:15], s[2:3]
	s_and_b64 s[20:21], vcc, s[2:3]
	s_and_saveexec_b64 s[2:3], s[20:21]
	s_cbranch_execz .LBB58_250
; %bb.252:                              ;   in Loop: Header=BB58_251 Depth=1
	v_add_u32_e32 v0, s26, v2
	v_cmp_ge_i32_e32 vcc, v0, v1
	s_andn2_b64 s[18:19], s[18:19], exec
	s_and_b64 s[20:21], vcc, exec
	v_add_u32_e32 v5, s44, v5
	s_andn2_b64 s[16:17], s[16:17], exec
	s_or_b64 s[18:19], s[18:19], s[20:21]
	s_branch .LBB58_250
.LBB58_253:
	s_or_b64 exec, exec, s[10:11]
	s_and_saveexec_b64 s[2:3], s[12:13]
	s_xor_b64 s[2:3], exec, s[2:3]
	s_cbranch_execz .LBB58_258
; %bb.254:
	s_mov_b64 s[2:3], exec
	s_brev_b32 s10, -2
.LBB58_255:                             ; =>This Inner Loop Header: Depth=1
	s_ff1_i32_b64 s11, s[2:3]
	v_readlane_b32 s14, v2, s11
	s_lshl_b64 s[12:13], 1, s11
	s_min_i32 s10, s10, s14
	s_andn2_b64 s[2:3], s[2:3], s[12:13]
	s_cmp_lg_u64 s[2:3], 0
	s_cbranch_scc1 .LBB58_255
; %bb.256:
	v_mbcnt_lo_u32_b32 v0, exec_lo, 0
	v_mbcnt_hi_u32_b32 v0, exec_hi, v0
	v_cmp_eq_u32_e32 vcc, 0, v0
	s_and_saveexec_b64 s[2:3], vcc
	s_xor_b64 s[2:3], exec, s[2:3]
; %bb.257:
	v_mov_b32_e32 v0, 0
	v_mov_b32_e32 v1, s10
	ds_min_i32 v0, v1 offset:4108
.LBB58_258:
	s_or_b64 exec, exec, s[8:9]
	s_waitcnt lgkmcnt(0)
	s_barrier
	s_and_saveexec_b64 s[2:3], s[0:1]
	s_cbranch_execz .LBB58_260
; %bb.259:
	v_readlane_b32 s8, v44, 0
	s_mul_i32 s0, s23, s25
	v_readlane_b32 s10, v44, 2
	s_sub_i32 s0, s22, s0
	v_readlane_b32 s9, v44, 1
	v_readlane_b32 s11, v44, 3
	s_mov_b32 s14, s10
	s_mov_b64 s[12:13], s[8:9]
	s_mul_i32 s0, s0, s14
	v_readlane_b32 s1, v44, 19
	v_readlane_b32 s8, v44, 22
	;; [unrolled: 1-line block ×4, first 2 shown]
	s_xor_b32 s1, s1, s8
	s_mul_i32 s8, s14, s11
	v_readlane_b32 s9, v44, 13
	s_sub_i32 s8, s9, s8
	s_add_i32 s9, s14, 1
	s_sub_i32 s10, s8, s11
	s_cmp_ge_u32 s8, s11
	s_cselect_b32 s9, s9, s14
	s_cselect_b32 s8, s10, s8
	s_add_i32 s10, s9, 1
	s_cmp_ge_u32 s8, s11
	s_cselect_b32 s8, s10, s9
	s_xor_b32 s8, s8, s1
	s_sub_i32 s1, s8, s1
	s_mul_i32 s8, s1, s24
	s_sub_i32 s8, s23, s8
	s_mul_i32 s8, s8, s13
	s_add_i32 s0, s8, s0
	s_mul_i32 s1, s1, s12
	v_readlane_b32 s8, v44, 4
	s_add_i32 s0, s0, s1
	s_mul_i32 s1, s30, s29
	v_readlane_b32 s10, v44, 6
	s_sub_i32 s1, s22, s1
	v_readlane_b32 s9, v44, 5
	s_mov_b32 s14, s10
	s_mov_b64 s[12:13], s[8:9]
	s_mul_i32 s1, s1, s14
	v_readlane_b32 s8, v44, 24
	v_readlane_b32 s9, v44, 27
	;; [unrolled: 1-line block ×4, first 2 shown]
	s_xor_b32 s8, s8, s9
	s_mul_i32 s9, s15, s14
	v_readlane_b32 s10, v44, 16
	v_readlane_b32 s11, v44, 7
	s_sub_i32 s9, s10, s9
	s_add_i32 s10, s15, 1
	s_sub_i32 s11, s9, s14
	s_cmp_ge_u32 s9, s14
	s_cselect_b32 s10, s10, s15
	s_cselect_b32 s9, s11, s9
	s_add_i32 s11, s10, 1
	s_cmp_ge_u32 s9, s14
	s_cselect_b32 s9, s11, s10
	s_xor_b32 s9, s9, s8
	s_sub_i32 s8, s9, s8
	s_mul_i32 s9, s8, s28
	s_sub_i32 s9, s30, s9
	s_mul_i32 s9, s9, s13
	s_add_i32 s1, s9, s1
	s_mul_i32 s8, s8, s12
	s_add_i32 s8, s1, s8
	s_ashr_i32 s1, s0, 31
	v_mov_b32_e32 v2, 0
	s_lshl_b64 s[0:1], s[0:1], 1
	v_readlane_b32 s10, v44, 11
	ds_read_b32 v0, v2 offset:4108
	v_readlane_b32 s11, v44, 12
	s_add_u32 s0, s10, s0
	s_addc_u32 s1, s11, s1
	s_ashr_i32 s9, s8, 31
	s_lshl_b64 s[8:9], s[8:9], 3
	v_readlane_b32 s10, v44, 8
	v_readlane_b32 s11, v44, 9
	s_add_u32 s8, s10, s8
	s_addc_u32 s9, s11, s9
	s_waitcnt lgkmcnt(0)
	v_ashrrev_i32_e32 v1, 31, v0
	global_store_dwordx2 v2, v[0:1], s[8:9]
	global_store_short v2, v38, s[0:1]
.LBB58_260:
	s_or_b64 exec, exec, s[2:3]
.LBB58_261:
	s_or_saveexec_b64 s[0:1], s[6:7]
	s_mov_b64 s[2:3], 0
	s_xor_b64 exec, exec, s[0:1]
	s_cbranch_execnz .LBB58_264
.LBB58_262:
	s_or_b64 exec, exec, s[0:1]
	s_and_b64 s[2:3], s[2:3], exec
	s_andn2_saveexec_b64 s[0:1], s[4:5]
	s_cbranch_execz .LBB58_240
.LBB58_263:
	s_or_b64 s[2:3], s[2:3], exec
	s_trap 2
	s_or_b64 exec, exec, s[0:1]
	s_and_saveexec_b64 s[0:1], s[2:3]
	s_cbranch_execnz .LBB58_241
	s_branch .LBB58_242
.LBB58_264:
	s_mov_b64 s[2:3], exec
	s_trap 2
	s_branch .LBB58_262
	.section	.rodata,"a",@progbits
	.p2align	6, 0x0
	.amdhsa_kernel _ZN2at6native12_GLOBAL__N_114gatherKthValueIN3c104HalfEiLi3EEEvNS_4cuda6detail10TensorInfoIKT_T0_EESA_SA_SA_SA_NS7_IS8_SA_EENS7_IlSA_EE
		.amdhsa_group_segment_fixed_size 4112
		.amdhsa_private_segment_fixed_size 0
		.amdhsa_kernarg_size 920
		.amdhsa_user_sgpr_count 6
		.amdhsa_user_sgpr_private_segment_buffer 1
		.amdhsa_user_sgpr_dispatch_ptr 0
		.amdhsa_user_sgpr_queue_ptr 0
		.amdhsa_user_sgpr_kernarg_segment_ptr 1
		.amdhsa_user_sgpr_dispatch_id 0
		.amdhsa_user_sgpr_flat_scratch_init 0
		.amdhsa_user_sgpr_private_segment_size 0
		.amdhsa_uses_dynamic_stack 0
		.amdhsa_system_sgpr_private_segment_wavefront_offset 0
		.amdhsa_system_sgpr_workgroup_id_x 1
		.amdhsa_system_sgpr_workgroup_id_y 1
		.amdhsa_system_sgpr_workgroup_id_z 1
		.amdhsa_system_sgpr_workgroup_info 0
		.amdhsa_system_vgpr_workitem_id 0
		.amdhsa_next_free_vgpr 45
		.amdhsa_next_free_sgpr 96
		.amdhsa_reserve_vcc 1
		.amdhsa_reserve_flat_scratch 0
		.amdhsa_float_round_mode_32 0
		.amdhsa_float_round_mode_16_64 0
		.amdhsa_float_denorm_mode_32 3
		.amdhsa_float_denorm_mode_16_64 3
		.amdhsa_dx10_clamp 1
		.amdhsa_ieee_mode 1
		.amdhsa_fp16_overflow 0
		.amdhsa_exception_fp_ieee_invalid_op 0
		.amdhsa_exception_fp_denorm_src 0
		.amdhsa_exception_fp_ieee_div_zero 0
		.amdhsa_exception_fp_ieee_overflow 0
		.amdhsa_exception_fp_ieee_underflow 0
		.amdhsa_exception_fp_ieee_inexact 0
		.amdhsa_exception_int_div_zero 0
	.end_amdhsa_kernel
	.section	.text._ZN2at6native12_GLOBAL__N_114gatherKthValueIN3c104HalfEiLi3EEEvNS_4cuda6detail10TensorInfoIKT_T0_EESA_SA_SA_SA_NS7_IS8_SA_EENS7_IlSA_EE,"axG",@progbits,_ZN2at6native12_GLOBAL__N_114gatherKthValueIN3c104HalfEiLi3EEEvNS_4cuda6detail10TensorInfoIKT_T0_EESA_SA_SA_SA_NS7_IS8_SA_EENS7_IlSA_EE,comdat
.Lfunc_end58:
	.size	_ZN2at6native12_GLOBAL__N_114gatherKthValueIN3c104HalfEiLi3EEEvNS_4cuda6detail10TensorInfoIKT_T0_EESA_SA_SA_SA_NS7_IS8_SA_EENS7_IlSA_EE, .Lfunc_end58-_ZN2at6native12_GLOBAL__N_114gatherKthValueIN3c104HalfEiLi3EEEvNS_4cuda6detail10TensorInfoIKT_T0_EESA_SA_SA_SA_NS7_IS8_SA_EENS7_IlSA_EE
                                        ; -- End function
	.set _ZN2at6native12_GLOBAL__N_114gatherKthValueIN3c104HalfEiLi3EEEvNS_4cuda6detail10TensorInfoIKT_T0_EESA_SA_SA_SA_NS7_IS8_SA_EENS7_IlSA_EE.num_vgpr, 45
	.set _ZN2at6native12_GLOBAL__N_114gatherKthValueIN3c104HalfEiLi3EEEvNS_4cuda6detail10TensorInfoIKT_T0_EESA_SA_SA_SA_NS7_IS8_SA_EENS7_IlSA_EE.num_agpr, 0
	.set _ZN2at6native12_GLOBAL__N_114gatherKthValueIN3c104HalfEiLi3EEEvNS_4cuda6detail10TensorInfoIKT_T0_EESA_SA_SA_SA_NS7_IS8_SA_EENS7_IlSA_EE.numbered_sgpr, 96
	.set _ZN2at6native12_GLOBAL__N_114gatherKthValueIN3c104HalfEiLi3EEEvNS_4cuda6detail10TensorInfoIKT_T0_EESA_SA_SA_SA_NS7_IS8_SA_EENS7_IlSA_EE.num_named_barrier, 0
	.set _ZN2at6native12_GLOBAL__N_114gatherKthValueIN3c104HalfEiLi3EEEvNS_4cuda6detail10TensorInfoIKT_T0_EESA_SA_SA_SA_NS7_IS8_SA_EENS7_IlSA_EE.private_seg_size, 0
	.set _ZN2at6native12_GLOBAL__N_114gatherKthValueIN3c104HalfEiLi3EEEvNS_4cuda6detail10TensorInfoIKT_T0_EESA_SA_SA_SA_NS7_IS8_SA_EENS7_IlSA_EE.uses_vcc, 1
	.set _ZN2at6native12_GLOBAL__N_114gatherKthValueIN3c104HalfEiLi3EEEvNS_4cuda6detail10TensorInfoIKT_T0_EESA_SA_SA_SA_NS7_IS8_SA_EENS7_IlSA_EE.uses_flat_scratch, 0
	.set _ZN2at6native12_GLOBAL__N_114gatherKthValueIN3c104HalfEiLi3EEEvNS_4cuda6detail10TensorInfoIKT_T0_EESA_SA_SA_SA_NS7_IS8_SA_EENS7_IlSA_EE.has_dyn_sized_stack, 0
	.set _ZN2at6native12_GLOBAL__N_114gatherKthValueIN3c104HalfEiLi3EEEvNS_4cuda6detail10TensorInfoIKT_T0_EESA_SA_SA_SA_NS7_IS8_SA_EENS7_IlSA_EE.has_recursion, 0
	.set _ZN2at6native12_GLOBAL__N_114gatherKthValueIN3c104HalfEiLi3EEEvNS_4cuda6detail10TensorInfoIKT_T0_EESA_SA_SA_SA_NS7_IS8_SA_EENS7_IlSA_EE.has_indirect_call, 0
	.section	.AMDGPU.csdata,"",@progbits
; Kernel info:
; codeLenInByte = 10260
; TotalNumSgprs: 100
; NumVgprs: 45
; ScratchSize: 0
; MemoryBound: 0
; FloatMode: 240
; IeeeMode: 1
; LDSByteSize: 4112 bytes/workgroup (compile time only)
; SGPRBlocks: 12
; VGPRBlocks: 11
; NumSGPRsForWavesPerEU: 100
; NumVGPRsForWavesPerEU: 45
; Occupancy: 5
; WaveLimiterHint : 1
; COMPUTE_PGM_RSRC2:SCRATCH_EN: 0
; COMPUTE_PGM_RSRC2:USER_SGPR: 6
; COMPUTE_PGM_RSRC2:TRAP_HANDLER: 0
; COMPUTE_PGM_RSRC2:TGID_X_EN: 1
; COMPUTE_PGM_RSRC2:TGID_Y_EN: 1
; COMPUTE_PGM_RSRC2:TGID_Z_EN: 1
; COMPUTE_PGM_RSRC2:TIDIG_COMP_CNT: 0
	.section	.text._ZN2at6native12_GLOBAL__N_114gatherKthValueIN3c104HalfEiLin1EEEvNS_4cuda6detail10TensorInfoIKT_T0_EESA_SA_SA_SA_NS7_IS8_SA_EENS7_IlSA_EE,"axG",@progbits,_ZN2at6native12_GLOBAL__N_114gatherKthValueIN3c104HalfEiLin1EEEvNS_4cuda6detail10TensorInfoIKT_T0_EESA_SA_SA_SA_NS7_IS8_SA_EENS7_IlSA_EE,comdat
	.globl	_ZN2at6native12_GLOBAL__N_114gatherKthValueIN3c104HalfEiLin1EEEvNS_4cuda6detail10TensorInfoIKT_T0_EESA_SA_SA_SA_NS7_IS8_SA_EENS7_IlSA_EE ; -- Begin function _ZN2at6native12_GLOBAL__N_114gatherKthValueIN3c104HalfEiLin1EEEvNS_4cuda6detail10TensorInfoIKT_T0_EESA_SA_SA_SA_NS7_IS8_SA_EENS7_IlSA_EE
	.p2align	8
	.type	_ZN2at6native12_GLOBAL__N_114gatherKthValueIN3c104HalfEiLin1EEEvNS_4cuda6detail10TensorInfoIKT_T0_EESA_SA_SA_SA_NS7_IS8_SA_EENS7_IlSA_EE,@function
_ZN2at6native12_GLOBAL__N_114gatherKthValueIN3c104HalfEiLin1EEEvNS_4cuda6detail10TensorInfoIKT_T0_EESA_SA_SA_SA_NS7_IS8_SA_EENS7_IlSA_EE: ; @_ZN2at6native12_GLOBAL__N_114gatherKthValueIN3c104HalfEiLin1EEEvNS_4cuda6detail10TensorInfoIKT_T0_EESA_SA_SA_SA_NS7_IS8_SA_EENS7_IlSA_EE
; %bb.0:
	s_load_dwordx2 s[12:13], s[4:5], 0x298
	s_load_dwordx4 s[28:31], s[4:5], 0xd8
	s_add_u32 s10, s4, 0x298
	s_addc_u32 s11, s5, 0
	s_waitcnt lgkmcnt(0)
	s_mul_i32 s0, s13, s8
	s_add_i32 s0, s0, s7
	s_mul_i32 s0, s0, s12
	s_add_i32 s33, s0, s6
	s_cmp_ge_i32 s33, s30
	s_cbranch_scc1 .LBB59_251
; %bb.1:
	s_load_dword s0, s[4:5], 0xd0
	s_mov_b32 s3, 0
	s_mov_b32 s2, s33
	s_waitcnt lgkmcnt(0)
	s_cmp_lt_i32 s0, 2
	s_cbranch_scc1 .LBB59_4
; %bb.2:
	s_add_i32 s2, s0, -1
	s_add_i32 s7, s0, 1
	s_lshl_b64 s[0:1], s[2:3], 2
	s_add_u32 s0, s4, s0
	s_addc_u32 s1, s5, s1
	s_add_u32 s0, s0, 8
	s_addc_u32 s1, s1, 0
	s_mov_b32 s2, s33
.LBB59_3:                               ; =>This Inner Loop Header: Depth=1
	s_load_dword s8, s[0:1], 0x0
	s_load_dword s13, s[0:1], 0x64
	s_mov_b32 s9, s2
	s_abs_i32 s2, s2
	s_waitcnt lgkmcnt(0)
	s_abs_i32 s15, s8
	v_cvt_f32_u32_e32 v1, s15
	s_sub_i32 s16, 0, s15
	s_xor_b32 s14, s9, s8
	s_ashr_i32 s14, s14, 31
	v_rcp_iflag_f32_e32 v1, v1
	v_mul_f32_e32 v1, 0x4f7ffffe, v1
	v_cvt_u32_f32_e32 v1, v1
	v_readfirstlane_b32 s17, v1
	s_mul_i32 s16, s16, s17
	s_mul_hi_u32 s16, s17, s16
	s_add_i32 s17, s17, s16
	s_mul_hi_u32 s16, s2, s17
	s_mul_i32 s17, s16, s15
	s_sub_i32 s2, s2, s17
	s_add_i32 s18, s16, 1
	s_sub_i32 s17, s2, s15
	s_cmp_ge_u32 s2, s15
	s_cselect_b32 s16, s18, s16
	s_cselect_b32 s2, s17, s2
	s_add_i32 s17, s16, 1
	s_cmp_ge_u32 s2, s15
	s_cselect_b32 s2, s17, s16
	s_xor_b32 s2, s2, s14
	s_sub_i32 s2, s2, s14
	s_mul_i32 s8, s2, s8
	s_sub_i32 s8, s9, s8
	s_mul_i32 s8, s13, s8
	s_add_i32 s7, s7, -1
	s_add_i32 s3, s8, s3
	s_add_u32 s0, s0, -4
	s_addc_u32 s1, s1, -1
	s_cmp_gt_u32 s7, 2
	s_cbranch_scc1 .LBB59_3
.LBB59_4:
	s_load_dword s8, s[4:5], 0x1b8
	s_add_u32 s0, s4, 0xe8
	s_addc_u32 s1, s5, 0
	s_mov_b32 s35, 0
	s_mov_b32 s30, s33
	s_waitcnt lgkmcnt(0)
	s_cmp_lt_i32 s8, 2
	s_cbranch_scc1 .LBB59_7
; %bb.5:
	s_add_i32 s34, s8, -1
	s_add_i32 s7, s8, 1
	s_lshl_b64 s[8:9], s[34:35], 2
	s_add_u32 s8, s0, s8
	s_addc_u32 s9, s1, s9
	s_add_u32 s8, s8, 8
	s_addc_u32 s9, s9, 0
	s_mov_b32 s30, s33
.LBB59_6:                               ; =>This Inner Loop Header: Depth=1
	s_load_dword s13, s[8:9], 0x0
	s_load_dword s15, s[8:9], 0x64
	s_abs_i32 s16, s30
	s_mov_b32 s14, s30
	s_waitcnt lgkmcnt(0)
	s_abs_i32 s18, s13
	v_cvt_f32_u32_e32 v1, s18
	s_sub_i32 s19, 0, s18
	s_xor_b32 s17, s30, s13
	s_ashr_i32 s17, s17, 31
	v_rcp_iflag_f32_e32 v1, v1
	v_mul_f32_e32 v1, 0x4f7ffffe, v1
	v_cvt_u32_f32_e32 v1, v1
	v_readfirstlane_b32 s20, v1
	s_mul_i32 s19, s19, s20
	s_mul_hi_u32 s19, s20, s19
	s_add_i32 s20, s20, s19
	s_mul_hi_u32 s19, s16, s20
	s_mul_i32 s20, s19, s18
	s_sub_i32 s16, s16, s20
	s_add_i32 s21, s19, 1
	s_sub_i32 s20, s16, s18
	s_cmp_ge_u32 s16, s18
	s_cselect_b32 s19, s21, s19
	s_cselect_b32 s16, s20, s16
	s_add_i32 s20, s19, 1
	s_cmp_ge_u32 s16, s18
	s_cselect_b32 s16, s20, s19
	s_xor_b32 s16, s16, s17
	s_sub_i32 s30, s16, s17
	s_mul_i32 s13, s30, s13
	s_sub_i32 s13, s14, s13
	s_mul_i32 s13, s15, s13
	s_add_i32 s7, s7, -1
	s_add_i32 s35, s13, s35
	s_add_u32 s8, s8, -4
	s_addc_u32 s9, s9, -1
	s_cmp_gt_u32 s7, 2
	s_cbranch_scc1 .LBB59_6
.LBB59_7:
	s_load_dword s7, s[4:5], 0x6c
	s_load_dword s14, s[4:5], 0x290
	s_add_u32 s8, s4, 0x1c0
	s_addc_u32 s9, s5, 0
	s_mov_b32 s37, 0
	s_waitcnt lgkmcnt(0)
	s_cmp_lt_i32 s14, 2
	s_cbranch_scc1 .LBB59_10
; %bb.8:
	s_add_i32 s36, s14, -1
	s_add_i32 s13, s14, 1
	s_lshl_b64 s[14:15], s[36:37], 2
	s_add_u32 s8, s8, s14
	s_addc_u32 s9, s9, s15
	s_add_u32 s8, s8, 8
	s_addc_u32 s9, s9, 0
.LBB59_9:                               ; =>This Inner Loop Header: Depth=1
	s_load_dword s14, s[8:9], 0x0
	s_load_dword s16, s[8:9], 0x64
	s_abs_i32 s17, s33
	s_mov_b32 s15, s33
	s_waitcnt lgkmcnt(0)
	s_abs_i32 s19, s14
	v_cvt_f32_u32_e32 v1, s19
	s_sub_i32 s20, 0, s19
	s_xor_b32 s18, s33, s14
	s_ashr_i32 s18, s18, 31
	v_rcp_iflag_f32_e32 v1, v1
	v_mul_f32_e32 v1, 0x4f7ffffe, v1
	v_cvt_u32_f32_e32 v1, v1
	v_readfirstlane_b32 s21, v1
	s_mul_i32 s20, s20, s21
	s_mul_hi_u32 s20, s21, s20
	s_add_i32 s21, s21, s20
	s_mul_hi_u32 s20, s17, s21
	s_mul_i32 s21, s20, s19
	s_sub_i32 s17, s17, s21
	s_add_i32 s22, s20, 1
	s_sub_i32 s21, s17, s19
	s_cmp_ge_u32 s17, s19
	s_cselect_b32 s20, s22, s20
	s_cselect_b32 s17, s21, s17
	s_add_i32 s21, s20, 1
	s_cmp_ge_u32 s17, s19
	s_cselect_b32 s17, s21, s20
	s_xor_b32 s17, s17, s18
	s_sub_i32 s33, s17, s18
	s_mul_i32 s14, s33, s14
	s_sub_i32 s14, s15, s14
	s_mul_i32 s14, s16, s14
	s_add_i32 s13, s13, -1
	s_add_i32 s37, s14, s37
	s_add_u32 s8, s8, -4
	s_addc_u32 s9, s9, -1
	s_cmp_gt_u32 s13, 2
	s_cbranch_scc1 .LBB59_9
.LBB59_10:
	s_load_dword s0, s[0:1], 0x6c
                                        ; implicit-def: $vgpr44 : SGPR spill to VGPR lane
	s_mov_b32 s50, 0
	s_waitcnt lgkmcnt(0)
	v_writelane_b32 v44, s0, 0
	s_load_dwordx2 s[8:9], s[4:5], 0x0
	s_load_dwordx2 s[0:1], s[4:5], 0xe8
	s_waitcnt lgkmcnt(0)
	v_writelane_b32 v44, s0, 1
	v_writelane_b32 v44, s1, 2
	s_load_dwordx2 s[0:1], s[4:5], 0x1c0
	s_waitcnt lgkmcnt(0)
	v_writelane_b32 v44, s0, 3
	v_writelane_b32 v44, s1, 4
	v_cmp_eq_u32_e64 s[0:1], 0, v0
	s_and_saveexec_b64 s[14:15], s[0:1]
; %bb.11:
	v_mov_b32_e32 v1, 0
	v_mov_b32_e32 v2, s28
	;; [unrolled: 1-line block ×3, first 2 shown]
	ds_write_b96 v1, v[1:3] offset:4096
; %bb.12:
	s_or_b64 exec, exec, s[14:15]
	s_load_dword s4, s[4:5], 0x22c
	s_mul_i32 s2, s7, s2
	s_waitcnt lgkmcnt(0)
	s_barrier
	v_writelane_b32 v44, s4, 5
	s_load_dword s4, s[10:11], 0xc
	v_mul_lo_u32 v5, s31, v0
	s_add_i32 s2, s2, s3
	s_ashr_i32 s3, s2, 31
	v_mov_b32_e32 v7, 0
	s_lshl_b64 s[2:3], s[2:3], 1
	v_mbcnt_lo_u32_b32 v1, -1, 0
	v_mov_b32_e32 v6, v7
	s_add_u32 s34, s8, s2
	v_mbcnt_hi_u32_b32 v15, -1, v1
	v_lshlrev_b64 v[1:2], 1, v[5:6]
	s_addc_u32 s40, s9, s3
	s_waitcnt lgkmcnt(0)
	s_and_b32 s36, s4, 0xffff
	s_bfe_u32 s7, s4, 0xa0006
	v_cmp_gt_u32_e32 vcc, 64, v0
	v_cmp_gt_i32_e64 s[4:5], 4, v15
	s_and_b64 s[42:43], vcc, s[4:5]
	v_mov_b32_e32 v18, s40
	v_add_co_u32_e32 v8, vcc, s34, v1
	v_addc_co_u32_e32 v9, vcc, v18, v2, vcc
	v_lshlrev_b64 v[2:3], v15, -1
	s_add_i32 s8, s36, -1
	s_lshl_b32 s18, s36, 2
	s_add_i32 s53, s8, s28
	v_not_b32_e32 v21, v2
	v_lshrrev_b32_e32 v2, 2, v0
	v_writelane_b32 v44, s8, 6
	s_cmpk_gt_i32 s28, 0x600
	v_cmp_gt_u32_e64 s[8:9], s28, v0
	v_and_b32_e32 v2, 0xf0, v2
	s_cselect_b64 s[44:45], -1, 0
	v_writelane_b32 v44, s8, 7
	s_cmp_gt_u32 s36, 63
	v_or_b32_e32 v22, 0xc00, v2
	v_cvt_f32_u32_e32 v2, s18
	v_writelane_b32 v44, s9, 8
	v_cmp_gt_i32_e64 s[8:9], s28, v0
	s_cselect_b64 s[46:47], -1, 0
	s_cmp_lt_u32 s6, s12
	v_writelane_b32 v44, s8, 9
	s_cselect_b32 s6, 12, 18
	v_writelane_b32 v44, s9, 10
	s_add_u32 s8, s10, s6
	s_addc_u32 s9, s11, 0
	v_rcp_iflag_f32_e32 v2, v2
	v_writelane_b32 v44, s8, 11
	s_add_i32 s6, s7, -1
	v_writelane_b32 v44, s9, 12
	s_bfe_u32 s8, s36, 0x30006
	s_and_b32 s6, s6, 0xffff
	s_cmp_gt_u32 s6, 6
	s_cselect_b64 s[10:11], -1, 0
	v_mul_f32_e32 v2, 0x4f7ffffe, v2
	v_writelane_b32 v44, s10, 13
	s_and_b32 s51, s7, 0x3f8
	v_cvt_u32_f32_e32 v2, v2
	v_writelane_b32 v44, s11, 14
	s_cmp_lg_u32 s8, 0
	v_writelane_b32 v44, s8, 15
	s_cselect_b64 s[6:7], -1, 0
	v_writelane_b32 v44, s6, 16
	v_writelane_b32 v44, s7, 17
	s_sub_i32 s6, 0, s18
	v_readfirstlane_b32 s7, v2
	s_mul_i32 s6, s6, s7
	s_mul_hi_u32 s6, s7, s6
	s_add_i32 s8, s7, s6
	s_mul_hi_u32 s6, s28, s8
	s_mul_i32 s6, s6, s18
	s_sub_i32 s6, s28, s6
	s_sub_i32 s7, s6, s18
	s_cmp_ge_u32 s6, s18
	s_cselect_b32 s6, s7, s6
	s_sub_i32 s7, s6, s18
	s_cmp_ge_u32 s6, s18
	s_cselect_b32 s6, s7, s6
	s_sub_i32 s9, s28, s6
	v_add_u32_e32 v23, s9, v0
	v_cvt_f32_u32_e32 v4, s36
	v_mul_lo_u32 v2, v23, s31
	v_not_b32_e32 v20, v3
	s_sub_i32 s17, 0, s36
	v_rcp_iflag_f32_e32 v4, v4
	v_ashrrev_i32_e32 v3, 31, v2
	v_lshlrev_b64 v[2:3], 1, v[2:3]
	s_abs_i32 s16, s53
	v_add_co_u32_e32 v10, vcc, s34, v2
	v_mul_f32_e32 v2, 0x4f7ffffe, v4
	v_cvt_u32_f32_e32 v2, v2
	s_ashr_i32 s7, s53, 31
	v_lshlrev_b32_e32 v14, 2, v0
	v_lshlrev_b32_e32 v16, 1, v0
	v_readfirstlane_b32 s19, v2
	s_mul_i32 s17, s17, s19
	s_mul_hi_u32 s17, s19, s17
	s_add_i32 s52, s19, s17
	s_mul_hi_u32 s17, s16, s52
	s_mul_i32 s17, s17, s36
	s_sub_i32 s16, s16, s17
	s_sub_i32 s17, s16, s36
	s_cmp_ge_u32 s16, s36
	s_cselect_b32 s16, s17, s16
	s_sub_i32 s17, s16, s36
	v_mul_lo_u32 v2, s31, v14
	s_cmp_ge_u32 s16, s36
	s_cselect_b32 s16, s17, s16
	s_xor_b32 s16, s16, s7
	s_sub_i32 s7, s7, s16
	v_add_u32_e32 v24, s31, v2
	v_or_b32_e32 v2, 2, v14
	s_add_i32 s53, s53, s7
	v_mul_lo_u32 v25, s31, v2
	v_or_b32_e32 v2, 3, v14
	s_add_i32 s7, s36, s28
	v_mul_lo_u32 v26, s31, v2
	v_add_u32_e32 v2, s7, v0
	v_subrev_u32_e32 v2, s6, v2
	v_mul_lo_u32 v29, s31, v2
	v_cmp_gt_i32_e64 s[16:17], s53, v0
	v_lshlrev_b32_e32 v1, 2, v15
	v_mov_b32_e32 v6, s40
	v_writelane_b32 v44, s16, 18
	s_mul_i32 s41, s31, s36
	v_cmp_eq_u32_e64 s[2:3], 0, v15
	v_cmp_gt_u32_e64 s[4:5], 2, v0
	v_add_u32_e32 v17, 0xc00, v16
	v_and_b32_e32 v19, 0x100, v1
	v_cmp_gt_i32_e64 s[10:11], s9, v14
	v_cmp_gt_u32_e64 s[12:13], s28, v23
	v_addc_co_u32_e32 v11, vcc, v6, v3, vcc
	v_cmp_gt_i32_e64 s[14:15], s28, v23
	v_writelane_b32 v44, s17, 19
	s_lshl_b32 s48, s41, 2
	v_lshlrev_b32_e32 v27, 2, v5
	v_lshlrev_b32_e32 v30, 3, v0
	s_lshl_b32 s49, s36, 3
	s_lshl_b32 s16, s36, 1
	v_or_b32_e32 v31, 0xc00, v1
	s_mov_b64 s[54:55], 0
	v_mov_b32_e32 v32, 14
	v_mov_b32_e32 v39, s29
	s_movk_i32 s17, 0x3c00
	v_mov_b32_e32 v33, 0xffff
	v_mov_b32_e32 v34, 0x8000
	v_mov_b32_e32 v35, -1
	v_mov_b32_e32 v36, 0x5040100
	v_mov_b32_e32 v38, 0
	;; [unrolled: 1-line block ×4, first 2 shown]
                                        ; implicit-def: $sgpr56_sgpr57
                                        ; implicit-def: $sgpr60_sgpr61
                                        ; implicit-def: $sgpr58_sgpr59
                                        ; implicit-def: $sgpr64_sgpr65
                                        ; implicit-def: $sgpr66_sgpr67
                                        ; implicit-def: $sgpr62_sgpr63
	s_branch .LBB59_16
.LBB59_13:                              ;   in Loop: Header=BB59_16 Depth=1
	s_or_b64 exec, exec, s[68:69]
	s_and_b64 s[70:71], s[38:39], exec
	s_andn2_b64 s[26:27], s[26:27], exec
	s_andn2_b64 s[24:25], s[24:25], exec
	s_orn2_b64 s[20:21], s[20:21], exec
.LBB59_14:                              ;   in Loop: Header=BB59_16 Depth=1
	s_or_b64 exec, exec, s[22:23]
	s_andn2_b64 s[22:23], s[62:63], exec
	s_and_b64 s[38:39], s[70:71], exec
	s_or_b64 s[62:63], s[22:23], s[38:39]
	s_andn2_b64 s[22:23], s[66:67], exec
	s_and_b64 s[26:27], s[26:27], exec
	s_or_b64 s[66:67], s[22:23], s[26:27]
	;; [unrolled: 3-line block ×3, first 2 shown]
	s_orn2_b64 s[20:21], s[20:21], exec
.LBB59_15:                              ;   in Loop: Header=BB59_16 Depth=1
	s_or_b64 exec, exec, s[6:7]
	s_and_b64 s[6:7], exec, s[20:21]
	s_or_b64 s[54:55], s[6:7], s[54:55]
	s_andn2_b64 s[6:7], s[58:59], exec
	s_and_b64 s[20:21], s[62:63], exec
	s_or_b64 s[58:59], s[6:7], s[20:21]
	s_andn2_b64 s[6:7], s[60:61], exec
	s_and_b64 s[20:21], s[66:67], exec
	;; [unrolled: 3-line block ×3, first 2 shown]
	s_or_b64 s[56:57], s[6:7], s[20:21]
	s_mov_b32 s50, s19
	v_mov_b32_e32 v39, v12
	s_andn2_b64 exec, exec, s[54:55]
	s_cbranch_execz .LBB59_247
.LBB59_16:                              ; =>This Loop Header: Depth=1
                                        ;     Child Loop BB59_21 Depth 2
                                        ;     Child Loop BB59_36 Depth 2
	;; [unrolled: 1-line block ×16, first 2 shown]
	ds_read_b64 v[1:2], v7 offset:4096
	s_waitcnt lgkmcnt(0)
	v_readfirstlane_b32 s29, v1
	s_cmp_gt_i32 s29, 0
	s_cbranch_scc1 .LBB59_43
; %bb.17:                               ;   in Loop: Header=BB59_16 Depth=1
	s_and_b64 vcc, exec, s[44:45]
	s_cbranch_vccz .LBB59_29
; %bb.18:                               ;   in Loop: Header=BB59_16 Depth=1
	s_movk_i32 s6, 0x601
	v_cmp_gt_i32_e32 vcc, s6, v2
	s_mov_b64 s[20:21], 0
	s_mov_b64 s[6:7], 0
	s_cbranch_vccz .LBB59_30
; %bb.19:                               ;   in Loop: Header=BB59_16 Depth=1
	v_readlane_b32 s6, v44, 11
	v_readlane_b32 s7, v44, 12
	s_nop 4
	global_load_ushort v1, v7, s[6:7]
	global_load_ushort v4, v[8:9], off
	s_mov_b64 s[22:23], 0
	v_mov_b32_e32 v3, v0
	s_waitcnt vmcnt(1)
	v_add_u32_e32 v2, v0, v1
	v_mul_lo_u32 v6, s31, v2
	v_mul_lo_u32 v2, s31, v1
	s_branch .LBB59_21
.LBB59_20:                              ;   in Loop: Header=BB59_21 Depth=2
	s_or_b64 exec, exec, s[6:7]
	v_cmp_le_i32_e32 vcc, s28, v3
	v_add_u32_e32 v6, v6, v2
	s_or_b64 s[22:23], vcc, s[22:23]
	v_mov_b32_e32 v4, v12
	s_andn2_b64 exec, exec, s[22:23]
	s_cbranch_execz .LBB59_75
.LBB59_21:                              ;   Parent Loop BB59_16 Depth=1
                                        ; =>  This Inner Loop Header: Depth=2
	v_add_u32_e32 v3, v3, v1
	v_cmp_gt_u32_e32 vcc, s28, v3
	s_waitcnt lgkmcnt(0)
	v_mov_b32_e32 v13, 0
	v_mov_b32_e32 v12, 0
	s_and_saveexec_b64 s[6:7], vcc
	s_cbranch_execz .LBB59_23
; %bb.22:                               ;   in Loop: Header=BB59_21 Depth=2
	v_lshlrev_b64 v[40:41], 1, v[6:7]
	v_add_co_u32_e32 v40, vcc, s34, v40
	v_addc_co_u32_e32 v41, vcc, v18, v41, vcc
	global_load_ushort v12, v[40:41], off
.LBB59_23:                              ;   in Loop: Header=BB59_21 Depth=2
	s_or_b64 exec, exec, s[6:7]
	s_waitcnt vmcnt(0)
	v_cmp_lt_i16_e32 vcc, -1, v4
	v_cndmask_b32_e32 v40, v33, v34, vcc
	v_xor_b32_sdwa v40, v40, v4 dst_sel:DWORD dst_unused:UNUSED_PAD src0_sel:DWORD src1_sel:WORD_0
	v_cmp_o_f16_e32 vcc, v4, v4
	v_cndmask_b32_e32 v40, v33, v40, vcc
	v_and_b32_e32 v40, v40, v37
	v_cmp_eq_u32_e32 vcc, v40, v28
	s_cmp_lg_u64 vcc, 0
	s_cselect_b64 s[6:7], -1, 0
	s_and_b64 s[6:7], s[2:3], s[6:7]
	s_and_saveexec_b64 s[24:25], s[6:7]
	s_cbranch_execz .LBB59_27
; %bb.24:                               ;   in Loop: Header=BB59_21 Depth=2
	s_mov_b64 s[38:39], exec
	v_mbcnt_lo_u32_b32 v13, s38, 0
	v_mbcnt_hi_u32_b32 v13, s39, v13
	s_bcnt1_i32_b64 s19, vcc
	v_cmp_eq_u32_e64 s[6:7], 0, v13
                                        ; implicit-def: $vgpr40
	s_and_saveexec_b64 s[26:27], s[6:7]
; %bb.25:                               ;   in Loop: Header=BB59_21 Depth=2
	s_bcnt1_i32_b64 s6, s[38:39]
	s_mul_i32 s6, s19, s6
	v_mov_b32_e32 v40, s6
	ds_add_rtn_u32 v40, v7, v40 offset:4104
; %bb.26:                               ;   in Loop: Header=BB59_21 Depth=2
	s_or_b64 exec, exec, s[26:27]
	s_waitcnt lgkmcnt(0)
	v_readfirstlane_b32 s6, v40
	v_mov_b32_e32 v40, s6
	v_mad_u32_u24 v13, s19, v13, v40
.LBB59_27:                              ;   in Loop: Header=BB59_21 Depth=2
	s_or_b64 exec, exec, s[24:25]
	ds_bpermute_b32 v13, v19, v13
	s_and_saveexec_b64 s[6:7], vcc
	s_cbranch_execz .LBB59_20
; %bb.28:                               ;   in Loop: Header=BB59_21 Depth=2
	v_and_b32_e32 v41, vcc_lo, v21
	v_and_b32_e32 v40, vcc_hi, v20
	v_bcnt_u32_b32 v41, v41, 0
	v_bcnt_u32_b32 v40, v40, v41
	v_lshlrev_b32_e32 v40, 1, v40
	s_waitcnt lgkmcnt(0)
	v_lshl_add_u32 v13, v13, 1, v40
	ds_write_b16 v13, v4
	s_branch .LBB59_20
.LBB59_29:                              ;   in Loop: Header=BB59_16 Depth=1
	s_mov_b64 s[20:21], -1
	s_mov_b64 s[6:7], 0
.LBB59_30:                              ;   in Loop: Header=BB59_16 Depth=1
	s_and_b64 vcc, exec, s[20:21]
	s_cbranch_vccz .LBB59_41
.LBB59_31:                              ;   in Loop: Header=BB59_16 Depth=1
	v_mov_b32_e32 v1, 0
	s_mov_b64 s[6:7], exec
	v_readlane_b32 s20, v44, 7
	v_readlane_b32 s21, v44, 8
	s_and_b64 s[20:21], s[6:7], s[20:21]
	s_mov_b64 exec, s[20:21]
	s_cbranch_execz .LBB59_33
; %bb.32:                               ;   in Loop: Header=BB59_16 Depth=1
	global_load_ushort v1, v[8:9], off
.LBB59_33:                              ;   in Loop: Header=BB59_16 Depth=1
	s_or_b64 exec, exec, s[6:7]
	s_mov_b64 s[6:7], exec
	v_readlane_b32 s20, v44, 9
	v_readlane_b32 s21, v44, 10
	s_and_b64 s[20:21], s[6:7], s[20:21]
	s_mov_b64 exec, s[20:21]
	s_cbranch_execz .LBB59_38
; %bb.34:                               ;   in Loop: Header=BB59_16 Depth=1
	v_readlane_b32 s20, v44, 11
	v_readlane_b32 s21, v44, 12
	v_mov_b32_e32 v12, v16
	v_mov_b32_e32 v13, v0
	s_nop 2
	global_load_ushort v2, v7, s[20:21]
	s_mov_b64 s[20:21], 0
	s_waitcnt vmcnt(0)
	v_add_u32_e32 v4, v0, v2
	v_mul_lo_u32 v6, s31, v4
	v_mul_lo_u32 v4, s31, v2
	v_lshlrev_b32_e32 v3, 1, v2
	s_branch .LBB59_36
.LBB59_35:                              ;   in Loop: Header=BB59_36 Depth=2
	s_or_b64 exec, exec, s[22:23]
	v_cmp_le_i32_e32 vcc, s28, v13
	ds_write_b16 v12, v1
	v_add_u32_e32 v12, v12, v3
	v_add_u32_e32 v6, v6, v4
	s_or_b64 s[20:21], vcc, s[20:21]
	s_waitcnt vmcnt(0)
	v_mov_b32_e32 v1, v40
	s_andn2_b64 exec, exec, s[20:21]
	s_cbranch_execz .LBB59_38
.LBB59_36:                              ;   Parent Loop BB59_16 Depth=1
                                        ; =>  This Inner Loop Header: Depth=2
	v_add_u32_e32 v13, v13, v2
	v_cmp_gt_u32_e32 vcc, s28, v13
	v_mov_b32_e32 v40, 0
	s_and_saveexec_b64 s[22:23], vcc
	s_cbranch_execz .LBB59_35
; %bb.37:                               ;   in Loop: Header=BB59_36 Depth=2
	v_lshlrev_b64 v[40:41], 1, v[6:7]
	v_mov_b32_e32 v42, s40
	v_add_co_u32_e32 v40, vcc, s34, v40
	v_addc_co_u32_e32 v41, vcc, v42, v41, vcc
	global_load_ushort v40, v[40:41], off
	s_branch .LBB59_35
.LBB59_38:                              ;   in Loop: Header=BB59_16 Depth=1
	s_or_b64 exec, exec, s[6:7]
	s_waitcnt vmcnt(0) lgkmcnt(0)
	s_barrier
	s_and_saveexec_b64 s[6:7], s[0:1]
; %bb.39:                               ;   in Loop: Header=BB59_16 Depth=1
	v_mov_b32_e32 v1, s28
	ds_write_b32 v7, v1 offset:4096
; %bb.40:                               ;   in Loop: Header=BB59_16 Depth=1
	s_or_b64 exec, exec, s[6:7]
	s_mov_b64 s[6:7], -1
	s_waitcnt lgkmcnt(0)
	s_barrier
.LBB59_41:                              ;   in Loop: Header=BB59_16 Depth=1
	s_and_b64 vcc, exec, s[6:7]
	s_cbranch_vccz .LBB59_43
; %bb.42:                               ;   in Loop: Header=BB59_16 Depth=1
	ds_read_b32 v1, v7 offset:4096
	s_waitcnt lgkmcnt(0)
	v_readfirstlane_b32 s29, v1
.LBB59_43:                              ;   in Loop: Header=BB59_16 Depth=1
	s_cmp_lt_i32 s29, 1
	s_mov_b64 s[6:7], -1
                                        ; implicit-def: $vgpr1
	s_cbranch_scc1 .LBB59_53
; %bb.44:                               ;   in Loop: Header=BB59_16 Depth=1
	s_and_b64 vcc, exec, s[6:7]
	s_cbranch_vccnz .LBB59_66
.LBB59_45:                              ;   in Loop: Header=BB59_16 Depth=1
	s_lshl_b32 s19, s50, 6
	s_and_saveexec_b64 s[6:7], s[2:3]
.LBB59_46:                              ;   in Loop: Header=BB59_16 Depth=1
	v_lshl_add_u32 v6, s19, 2, v22
	ds_write_b128 v6, v[1:4]
.LBB59_47:                              ;   in Loop: Header=BB59_16 Depth=1
	s_or_b64 exec, exec, s[6:7]
	s_waitcnt vmcnt(0) lgkmcnt(0)
	s_barrier
	s_and_saveexec_b64 s[6:7], s[42:43]
	s_cbranch_execz .LBB59_83
; %bb.48:                               ;   in Loop: Header=BB59_16 Depth=1
	s_andn2_b64 vcc, exec, s[46:47]
	v_mov_b32_e32 v1, 0
	s_cbranch_vccnz .LBB59_82
; %bb.49:                               ;   in Loop: Header=BB59_16 Depth=1
	v_readlane_b32 s20, v44, 13
	v_readlane_b32 s21, v44, 14
	s_andn2_b64 vcc, exec, s[20:21]
	s_cbranch_vccnz .LBB59_78
; %bb.50:                               ;   in Loop: Header=BB59_16 Depth=1
	v_lshl_add_u32 v2, s50, 8, v31
	s_mov_b32 s20, 0
	v_mov_b32_e32 v1, 0
.LBB59_51:                              ;   Parent Loop BB59_16 Depth=1
                                        ; =>  This Inner Loop Header: Depth=2
	ds_read2_b32 v[3:4], v2 offset1:4
	ds_read2_b32 v[12:13], v2 offset0:8 offset1:12
	ds_read2_b32 v[40:41], v2 offset0:16 offset1:20
	;; [unrolled: 1-line block ×3, first 2 shown]
	s_add_i32 s20, s20, 8
	s_waitcnt lgkmcnt(3)
	v_add3_u32 v1, v3, v1, v4
	s_waitcnt lgkmcnt(2)
	v_add3_u32 v1, v12, v1, v13
	;; [unrolled: 2-line block ×3, first 2 shown]
	v_add_u32_e32 v2, 0x80, v2
	s_cmp_eq_u32 s51, s20
	s_waitcnt lgkmcnt(0)
	v_add3_u32 v1, v42, v1, v43
	s_cbranch_scc0 .LBB59_51
; %bb.52:                               ;   in Loop: Header=BB59_16 Depth=1
	s_mov_b32 s20, s51
	s_branch .LBB59_79
.LBB59_53:                              ;   in Loop: Header=BB59_16 Depth=1
	v_mov_b32_e32 v1, 0
	v_mov_b32_e32 v2, 0
	;; [unrolled: 1-line block ×4, first 2 shown]
	s_and_saveexec_b64 s[26:27], s[10:11]
	s_cbranch_execnz .LBB59_56
; %bb.54:                               ;   in Loop: Header=BB59_16 Depth=1
	s_or_b64 exec, exec, s[26:27]
	v_mov_b32_e32 v40, 0
	s_and_saveexec_b64 s[6:7], s[12:13]
	s_cbranch_execnz .LBB59_59
.LBB59_55:                              ;   in Loop: Header=BB59_16 Depth=1
	s_or_b64 exec, exec, s[6:7]
	s_and_saveexec_b64 s[20:21], s[14:15]
	s_cbranch_execnz .LBB59_60
	s_branch .LBB59_65
.LBB59_56:                              ;   in Loop: Header=BB59_16 Depth=1
	s_mov_b32 s38, 0
	s_mov_b64 s[68:69], 0
	s_mov_b32 s39, 0
	s_mov_b32 s70, 0
	;; [unrolled: 1-line block ×4, first 2 shown]
	v_mov_b32_e32 v6, v14
.LBB59_57:                              ;   Parent Loop BB59_16 Depth=1
                                        ; =>  This Inner Loop Header: Depth=2
	v_add_u32_e32 v1, s38, v27
	v_ashrrev_i32_e32 v2, 31, v1
	v_lshlrev_b64 v[1:2], 1, v[1:2]
	v_mov_b32_e32 v3, s40
	v_add_co_u32_e32 v1, vcc, s34, v1
	v_addc_co_u32_e32 v2, vcc, v3, v2, vcc
	global_load_ushort v4, v[1:2], off
	v_add_u32_e32 v1, s38, v24
	v_ashrrev_i32_e32 v2, 31, v1
	v_lshlrev_b64 v[1:2], 1, v[1:2]
	v_add_u32_e32 v6, s18, v6
	v_add_co_u32_e32 v1, vcc, s34, v1
	v_addc_co_u32_e32 v2, vcc, v3, v2, vcc
	global_load_ushort v12, v[1:2], off
	v_add_u32_e32 v1, s38, v25
	v_ashrrev_i32_e32 v2, 31, v1
	v_lshlrev_b64 v[1:2], 1, v[1:2]
	v_add_co_u32_e32 v1, vcc, s34, v1
	v_addc_co_u32_e32 v2, vcc, v3, v2, vcc
	global_load_ushort v13, v[1:2], off
	v_add_u32_e32 v1, s38, v26
	v_ashrrev_i32_e32 v2, 31, v1
	v_lshlrev_b64 v[1:2], 1, v[1:2]
	s_add_i32 s38, s38, s48
	v_add_co_u32_e32 v1, vcc, s34, v1
	v_addc_co_u32_e32 v2, vcc, v3, v2, vcc
	global_load_ushort v1, v[1:2], off
	s_waitcnt vmcnt(3)
	v_cmp_lt_i16_e32 vcc, -1, v4
	v_cndmask_b32_e32 v2, v33, v34, vcc
	v_cmp_o_f16_e32 vcc, v4, v4
	v_xor_b32_sdwa v2, v2, v4 dst_sel:DWORD dst_unused:UNUSED_PAD src0_sel:DWORD src1_sel:WORD_0
	v_cndmask_b32_e32 v2, v33, v2, vcc
	s_waitcnt vmcnt(2)
	v_cmp_lt_i16_e32 vcc, -1, v12
	v_cndmask_b32_e32 v3, v33, v34, vcc
	v_cmp_o_f16_e32 vcc, v12, v12
	v_xor_b32_sdwa v3, v3, v12 dst_sel:DWORD dst_unused:UNUSED_PAD src0_sel:DWORD src1_sel:WORD_0
	v_cndmask_b32_e32 v3, v33, v3, vcc
	s_waitcnt vmcnt(1)
	v_cmp_lt_i16_e32 vcc, -1, v13
	v_cndmask_b32_e32 v4, v33, v34, vcc
	v_cmp_o_f16_e32 vcc, v13, v13
	v_xor_b32_sdwa v4, v4, v13 dst_sel:DWORD dst_unused:UNUSED_PAD src0_sel:DWORD src1_sel:WORD_0
	v_cndmask_b32_e32 v4, v33, v4, vcc
	s_waitcnt vmcnt(0)
	v_cmp_lt_i16_e32 vcc, -1, v1
	v_cndmask_b32_e32 v12, v33, v34, vcc
	v_cmp_o_f16_e32 vcc, v1, v1
	v_xor_b32_sdwa v1, v12, v1 dst_sel:DWORD dst_unused:UNUSED_PAD src0_sel:DWORD src1_sel:WORD_0
	v_and_b32_e32 v12, v2, v37
	v_bfe_u32 v2, v2, v32, 2
	v_cndmask_b32_e32 v1, v33, v1, vcc
	v_cmp_eq_u32_e32 vcc, v12, v28
	v_and_b32_e32 v12, v3, v37
	v_bfe_u32 v3, v3, v32, 2
	v_cmp_eq_u32_e64 s[24:25], 0, v2
	v_cmp_eq_u32_e64 s[6:7], v12, v28
	v_and_b32_e32 v12, v4, v37
	v_bfe_u32 v4, v4, v32, 2
	s_and_b64 s[74:75], vcc, s[24:25]
	v_cmp_eq_u32_e64 s[24:25], 0, v3
	v_cmp_eq_u32_e64 s[20:21], v12, v28
	v_and_b32_e32 v12, v1, v37
	v_bfe_u32 v1, v1, v32, 2
	s_and_b64 s[76:77], s[6:7], s[24:25]
	v_cmp_eq_u32_e64 s[24:25], 0, v4
	v_cmp_eq_u32_e64 s[22:23], v12, v28
	s_and_b64 s[78:79], s[20:21], s[24:25]
	v_cmp_eq_u32_e64 s[24:25], 0, v1
	v_cndmask_b32_e64 v12, 0, 1, s[74:75]
	s_and_b64 s[80:81], s[22:23], s[24:25]
	v_cmp_ne_u32_e64 s[24:25], 0, v12
	v_cndmask_b32_e64 v12, 0, 1, s[76:77]
	s_bcnt1_i32_b64 s19, s[24:25]
	v_cmp_ne_u32_e64 s[24:25], 0, v12
	v_cndmask_b32_e64 v12, 0, 1, s[78:79]
	s_bcnt1_i32_b64 s73, s[24:25]
	v_cmp_ne_u32_e64 s[24:25], 0, v12
	v_cndmask_b32_e64 v12, 0, 1, s[80:81]
	s_add_i32 s19, s72, s19
	s_bcnt1_i32_b64 s74, s[24:25]
	v_cmp_ne_u32_e64 s[24:25], 0, v12
	s_add_i32 s19, s19, s73
	s_bcnt1_i32_b64 s24, s[24:25]
	s_add_i32 s19, s19, s74
	s_add_i32 s72, s19, s24
	v_cmp_eq_u32_e64 s[24:25], 1, v2
	s_and_b64 s[74:75], vcc, s[24:25]
	v_cmp_eq_u32_e64 s[24:25], 1, v3
	s_and_b64 s[76:77], s[6:7], s[24:25]
	v_cmp_eq_u32_e64 s[24:25], 1, v4
	s_and_b64 s[78:79], s[20:21], s[24:25]
	v_cmp_eq_u32_e64 s[24:25], 1, v1
	v_cndmask_b32_e64 v12, 0, 1, s[74:75]
	s_and_b64 s[80:81], s[22:23], s[24:25]
	v_cmp_ne_u32_e64 s[24:25], 0, v12
	v_cndmask_b32_e64 v12, 0, 1, s[76:77]
	s_bcnt1_i32_b64 s19, s[24:25]
	v_cmp_ne_u32_e64 s[24:25], 0, v12
	v_cndmask_b32_e64 v12, 0, 1, s[78:79]
	s_bcnt1_i32_b64 s73, s[24:25]
	v_cmp_ne_u32_e64 s[24:25], 0, v12
	v_cndmask_b32_e64 v12, 0, 1, s[80:81]
	s_add_i32 s19, s71, s19
	s_bcnt1_i32_b64 s74, s[24:25]
	v_cmp_ne_u32_e64 s[24:25], 0, v12
	s_add_i32 s19, s19, s73
	s_bcnt1_i32_b64 s24, s[24:25]
	s_add_i32 s19, s19, s74
	s_add_i32 s71, s19, s24
	v_cmp_eq_u32_e64 s[24:25], 2, v2
	s_and_b64 s[74:75], vcc, s[24:25]
	v_cmp_eq_u32_e64 s[24:25], 2, v3
	s_and_b64 s[76:77], s[6:7], s[24:25]
	v_cmp_eq_u32_e64 s[24:25], 2, v4
	s_and_b64 s[78:79], s[20:21], s[24:25]
	v_cmp_eq_u32_e64 s[24:25], 2, v1
	v_cndmask_b32_e64 v12, 0, 1, s[74:75]
	s_and_b64 s[80:81], s[22:23], s[24:25]
	v_cmp_ne_u32_e64 s[24:25], 0, v12
	v_cndmask_b32_e64 v12, 0, 1, s[76:77]
	s_bcnt1_i32_b64 s19, s[24:25]
	v_cmp_ne_u32_e64 s[24:25], 0, v12
	v_cndmask_b32_e64 v12, 0, 1, s[78:79]
	s_bcnt1_i32_b64 s73, s[24:25]
	v_cmp_ne_u32_e64 s[24:25], 0, v12
	v_cndmask_b32_e64 v12, 0, 1, s[80:81]
	s_add_i32 s19, s70, s19
	s_bcnt1_i32_b64 s74, s[24:25]
	v_cmp_ne_u32_e64 s[24:25], 0, v12
	s_add_i32 s19, s19, s73
	s_bcnt1_i32_b64 s24, s[24:25]
	s_add_i32 s19, s19, s74
	s_add_i32 s70, s19, s24
	v_cmp_eq_u32_e64 s[24:25], 3, v2
	s_and_b64 s[24:25], vcc, s[24:25]
	v_cmp_eq_u32_e32 vcc, 3, v3
	s_and_b64 s[6:7], s[6:7], vcc
	v_cmp_eq_u32_e32 vcc, 3, v4
	s_and_b64 s[20:21], s[20:21], vcc
	v_cmp_eq_u32_e32 vcc, 3, v1
	v_cndmask_b32_e64 v1, 0, 1, s[24:25]
	s_and_b64 s[22:23], s[22:23], vcc
	v_cmp_ne_u32_e32 vcc, 0, v1
	v_cndmask_b32_e64 v1, 0, 1, s[6:7]
	s_bcnt1_i32_b64 s19, vcc
	v_cmp_ne_u32_e32 vcc, 0, v1
	v_cndmask_b32_e64 v1, 0, 1, s[20:21]
	s_bcnt1_i32_b64 s6, vcc
	v_cmp_ne_u32_e32 vcc, 0, v1
	v_cndmask_b32_e64 v1, 0, 1, s[22:23]
	s_add_i32 s19, s39, s19
	s_bcnt1_i32_b64 s7, vcc
	v_cmp_ne_u32_e32 vcc, 0, v1
	s_add_i32 s6, s19, s6
	s_bcnt1_i32_b64 s20, vcc
	s_add_i32 s6, s6, s7
	s_add_i32 s39, s6, s20
	v_cmp_le_i32_e32 vcc, s9, v6
	s_or_b64 s[68:69], vcc, s[68:69]
	v_mov_b32_e32 v1, s72
	v_mov_b32_e32 v2, s71
	;; [unrolled: 1-line block ×4, first 2 shown]
	s_andn2_b64 exec, exec, s[68:69]
	s_cbranch_execnz .LBB59_57
; %bb.58:                               ;   in Loop: Header=BB59_16 Depth=1
	s_or_b64 exec, exec, s[68:69]
	s_or_b64 exec, exec, s[26:27]
	v_mov_b32_e32 v40, 0
	s_and_saveexec_b64 s[6:7], s[12:13]
	s_cbranch_execz .LBB59_55
.LBB59_59:                              ;   in Loop: Header=BB59_16 Depth=1
	global_load_ushort v40, v[10:11], off
	s_or_b64 exec, exec, s[6:7]
	s_and_saveexec_b64 s[20:21], s[14:15]
	s_cbranch_execz .LBB59_65
.LBB59_60:                              ;   in Loop: Header=BB59_16 Depth=1
	s_mov_b64 s[22:23], 0
	v_mov_b32_e32 v12, v29
	v_mov_b32_e32 v6, v23
	s_branch .LBB59_62
.LBB59_61:                              ;   in Loop: Header=BB59_62 Depth=2
	s_or_b64 exec, exec, s[6:7]
	s_waitcnt vmcnt(0)
	v_cmp_lt_i16_e32 vcc, -1, v40
	v_cndmask_b32_e32 v41, v33, v34, vcc
	v_xor_b32_sdwa v41, v41, v40 dst_sel:DWORD dst_unused:UNUSED_PAD src0_sel:DWORD src1_sel:WORD_0
	v_cmp_o_f16_e32 vcc, v40, v40
	v_cndmask_b32_e32 v40, v33, v41, vcc
	v_and_b32_e32 v41, v40, v37
	v_bfe_u32 v40, v40, v32, 2
	v_cmp_eq_u32_e32 vcc, v41, v28
	v_cmp_eq_u32_e64 s[6:7], 0, v40
	s_and_b64 s[6:7], vcc, s[6:7]
	v_cndmask_b32_e64 v41, 0, 1, s[6:7]
	v_cmp_ne_u32_e64 s[6:7], 0, v41
	s_bcnt1_i32_b64 s6, s[6:7]
	v_add_u32_e32 v1, s6, v1
	v_cmp_eq_u32_e64 s[6:7], 1, v40
	s_and_b64 s[6:7], vcc, s[6:7]
	v_cndmask_b32_e64 v41, 0, 1, s[6:7]
	v_cmp_ne_u32_e64 s[6:7], 0, v41
	s_bcnt1_i32_b64 s6, s[6:7]
	v_add_u32_e32 v2, s6, v2
	;; [unrolled: 6-line block ×3, first 2 shown]
	v_cmp_eq_u32_e64 s[6:7], 3, v40
	s_and_b64 s[6:7], vcc, s[6:7]
	v_cndmask_b32_e64 v40, 0, 1, s[6:7]
	v_cmp_ne_u32_e32 vcc, 0, v40
	s_bcnt1_i32_b64 s6, vcc
	v_cmp_le_i32_e32 vcc, s28, v6
	v_add_u32_e32 v4, s6, v4
	v_add_u32_e32 v12, s41, v12
	s_or_b64 s[22:23], vcc, s[22:23]
	v_mov_b32_e32 v40, v13
	s_andn2_b64 exec, exec, s[22:23]
	s_cbranch_execz .LBB59_64
.LBB59_62:                              ;   Parent Loop BB59_16 Depth=1
                                        ; =>  This Inner Loop Header: Depth=2
	v_add_u32_e32 v6, s36, v6
	v_cmp_gt_u32_e32 vcc, s28, v6
	v_mov_b32_e32 v13, 0
	s_and_saveexec_b64 s[6:7], vcc
	s_cbranch_execz .LBB59_61
; %bb.63:                               ;   in Loop: Header=BB59_62 Depth=2
	v_ashrrev_i32_e32 v13, 31, v12
	v_lshlrev_b64 v[41:42], 1, v[12:13]
	v_mov_b32_e32 v13, s40
	v_add_co_u32_e32 v41, vcc, s34, v41
	v_addc_co_u32_e32 v42, vcc, v13, v42, vcc
	global_load_ushort v13, v[41:42], off
	s_branch .LBB59_61
.LBB59_64:                              ;   in Loop: Header=BB59_16 Depth=1
	s_or_b64 exec, exec, s[22:23]
.LBB59_65:                              ;   in Loop: Header=BB59_16 Depth=1
	s_or_b64 exec, exec, s[20:21]
	s_branch .LBB59_45
.LBB59_66:                              ;   in Loop: Header=BB59_16 Depth=1
	s_mul_hi_u32 s6, s29, s8
	s_mul_i32 s6, s6, s18
	s_sub_i32 s6, s29, s6
	s_sub_i32 s7, s6, s18
	s_cmp_ge_u32 s6, s18
	s_cselect_b32 s6, s7, s6
	s_sub_i32 s7, s6, s18
	s_cmp_ge_u32 s6, s18
	s_cselect_b32 s6, s7, s6
	s_sub_i32 s38, s29, s6
	v_cmp_gt_u32_e32 vcc, s38, v14
	v_mov_b32_e32 v1, 0
	v_mov_b32_e32 v2, 0
	;; [unrolled: 1-line block ×4, first 2 shown]
	s_and_saveexec_b64 s[26:27], vcc
	s_cbranch_execz .LBB59_70
; %bb.67:                               ;   in Loop: Header=BB59_16 Depth=1
	s_mov_b32 s39, 0
	s_mov_b64 s[68:69], 0
	v_mov_b32_e32 v6, v30
	s_mov_b32 s70, 0
	s_mov_b32 s71, 0
	;; [unrolled: 1-line block ×3, first 2 shown]
	v_mov_b32_e32 v12, v14
.LBB59_68:                              ;   Parent Loop BB59_16 Depth=1
                                        ; =>  This Inner Loop Header: Depth=2
	ds_read_b64 v[1:2], v6
	v_add_u32_e32 v12, s18, v12
	v_add_u32_e32 v6, s49, v6
	s_waitcnt lgkmcnt(0)
	v_cmp_lt_i16_e32 vcc, -1, v1
	v_cndmask_b32_e32 v3, v33, v34, vcc
	v_cmp_o_f16_e32 vcc, v1, v1
	v_xor_b32_sdwa v3, v3, v1 dst_sel:DWORD dst_unused:UNUSED_PAD src0_sel:DWORD src1_sel:WORD_0
	v_cndmask_b32_e32 v3, v33, v3, vcc
	v_cmp_gt_i16_sdwa vcc, v1, v35 src0_sel:WORD_1 src1_sel:DWORD
	v_cndmask_b32_e32 v4, v33, v34, vcc
	v_cmp_o_f16_sdwa vcc, v1, v1 src0_sel:WORD_1 src1_sel:WORD_1
	v_xor_b32_sdwa v1, v4, v1 dst_sel:DWORD dst_unused:UNUSED_PAD src0_sel:DWORD src1_sel:WORD_1
	v_cndmask_b32_e32 v1, v33, v1, vcc
	v_cmp_lt_i16_e32 vcc, -1, v2
	v_cndmask_b32_e32 v4, v33, v34, vcc
	v_cmp_o_f16_e32 vcc, v2, v2
	v_xor_b32_sdwa v4, v4, v2 dst_sel:DWORD dst_unused:UNUSED_PAD src0_sel:DWORD src1_sel:WORD_0
	v_cndmask_b32_e32 v4, v33, v4, vcc
	v_cmp_gt_i16_sdwa vcc, v2, v35 src0_sel:WORD_1 src1_sel:DWORD
	v_cndmask_b32_e32 v13, v33, v34, vcc
	v_cmp_o_f16_sdwa vcc, v2, v2 src0_sel:WORD_1 src1_sel:WORD_1
	v_xor_b32_sdwa v2, v13, v2 dst_sel:DWORD dst_unused:UNUSED_PAD src0_sel:DWORD src1_sel:WORD_1
	v_and_b32_e32 v13, v3, v37
	v_bfe_u32 v3, v3, v32, 2
	v_cndmask_b32_e32 v2, v33, v2, vcc
	v_cmp_eq_u32_e32 vcc, v13, v28
	v_and_b32_e32 v13, v1, v37
	v_bfe_u32 v1, v1, v32, 2
	v_cmp_eq_u32_e64 s[24:25], 0, v3
	v_cmp_eq_u32_e64 s[6:7], v13, v28
	v_and_b32_e32 v13, v4, v37
	v_bfe_u32 v4, v4, v32, 2
	s_and_b64 s[74:75], vcc, s[24:25]
	v_cmp_eq_u32_e64 s[24:25], 0, v1
	v_cmp_eq_u32_e64 s[20:21], v13, v28
	v_and_b32_e32 v13, v2, v37
	v_bfe_u32 v2, v2, v32, 2
	s_and_b64 s[76:77], s[6:7], s[24:25]
	v_cmp_eq_u32_e64 s[24:25], 0, v4
	v_cmp_eq_u32_e64 s[22:23], v13, v28
	s_and_b64 s[78:79], s[20:21], s[24:25]
	v_cmp_eq_u32_e64 s[24:25], 0, v2
	v_cndmask_b32_e64 v13, 0, 1, s[74:75]
	s_and_b64 s[80:81], s[22:23], s[24:25]
	v_cmp_ne_u32_e64 s[24:25], 0, v13
	v_cndmask_b32_e64 v13, 0, 1, s[76:77]
	s_bcnt1_i32_b64 s19, s[24:25]
	v_cmp_ne_u32_e64 s[24:25], 0, v13
	v_cndmask_b32_e64 v13, 0, 1, s[78:79]
	s_bcnt1_i32_b64 s73, s[24:25]
	v_cmp_ne_u32_e64 s[24:25], 0, v13
	v_cndmask_b32_e64 v13, 0, 1, s[80:81]
	s_add_i32 s19, s72, s19
	s_bcnt1_i32_b64 s74, s[24:25]
	v_cmp_ne_u32_e64 s[24:25], 0, v13
	s_add_i32 s19, s19, s73
	s_bcnt1_i32_b64 s24, s[24:25]
	s_add_i32 s19, s19, s74
	s_add_i32 s72, s19, s24
	v_cmp_eq_u32_e64 s[24:25], 1, v3
	s_and_b64 s[74:75], vcc, s[24:25]
	v_cmp_eq_u32_e64 s[24:25], 1, v1
	s_and_b64 s[76:77], s[6:7], s[24:25]
	v_cmp_eq_u32_e64 s[24:25], 1, v4
	s_and_b64 s[78:79], s[20:21], s[24:25]
	v_cmp_eq_u32_e64 s[24:25], 1, v2
	v_cndmask_b32_e64 v13, 0, 1, s[74:75]
	s_and_b64 s[80:81], s[22:23], s[24:25]
	v_cmp_ne_u32_e64 s[24:25], 0, v13
	v_cndmask_b32_e64 v13, 0, 1, s[76:77]
	s_bcnt1_i32_b64 s19, s[24:25]
	v_cmp_ne_u32_e64 s[24:25], 0, v13
	v_cndmask_b32_e64 v13, 0, 1, s[78:79]
	s_bcnt1_i32_b64 s73, s[24:25]
	v_cmp_ne_u32_e64 s[24:25], 0, v13
	v_cndmask_b32_e64 v13, 0, 1, s[80:81]
	s_add_i32 s19, s71, s19
	s_bcnt1_i32_b64 s74, s[24:25]
	v_cmp_ne_u32_e64 s[24:25], 0, v13
	s_add_i32 s19, s19, s73
	s_bcnt1_i32_b64 s24, s[24:25]
	s_add_i32 s19, s19, s74
	s_add_i32 s71, s19, s24
	v_cmp_eq_u32_e64 s[24:25], 2, v3
	s_and_b64 s[74:75], vcc, s[24:25]
	v_cmp_eq_u32_e64 s[24:25], 2, v1
	s_and_b64 s[76:77], s[6:7], s[24:25]
	v_cmp_eq_u32_e64 s[24:25], 2, v4
	s_and_b64 s[78:79], s[20:21], s[24:25]
	v_cmp_eq_u32_e64 s[24:25], 2, v2
	v_cndmask_b32_e64 v13, 0, 1, s[74:75]
	s_and_b64 s[80:81], s[22:23], s[24:25]
	v_cmp_ne_u32_e64 s[24:25], 0, v13
	v_cndmask_b32_e64 v13, 0, 1, s[76:77]
	s_bcnt1_i32_b64 s19, s[24:25]
	v_cmp_ne_u32_e64 s[24:25], 0, v13
	v_cndmask_b32_e64 v13, 0, 1, s[78:79]
	s_bcnt1_i32_b64 s73, s[24:25]
	v_cmp_ne_u32_e64 s[24:25], 0, v13
	v_cndmask_b32_e64 v13, 0, 1, s[80:81]
	s_add_i32 s19, s70, s19
	s_bcnt1_i32_b64 s74, s[24:25]
	v_cmp_ne_u32_e64 s[24:25], 0, v13
	s_add_i32 s19, s19, s73
	s_bcnt1_i32_b64 s24, s[24:25]
	s_add_i32 s19, s19, s74
	s_add_i32 s70, s19, s24
	v_cmp_eq_u32_e64 s[24:25], 3, v3
	s_and_b64 s[24:25], vcc, s[24:25]
	v_cmp_eq_u32_e32 vcc, 3, v1
	s_and_b64 s[6:7], s[6:7], vcc
	v_cmp_eq_u32_e32 vcc, 3, v4
	s_and_b64 s[20:21], s[20:21], vcc
	v_cmp_eq_u32_e32 vcc, 3, v2
	v_cndmask_b32_e64 v1, 0, 1, s[24:25]
	s_and_b64 s[22:23], s[22:23], vcc
	v_cmp_ne_u32_e32 vcc, 0, v1
	v_cndmask_b32_e64 v1, 0, 1, s[6:7]
	s_bcnt1_i32_b64 s19, vcc
	v_cmp_ne_u32_e32 vcc, 0, v1
	v_cndmask_b32_e64 v1, 0, 1, s[20:21]
	s_bcnt1_i32_b64 s6, vcc
	v_cmp_ne_u32_e32 vcc, 0, v1
	v_cndmask_b32_e64 v1, 0, 1, s[22:23]
	s_add_i32 s19, s39, s19
	s_bcnt1_i32_b64 s7, vcc
	v_cmp_ne_u32_e32 vcc, 0, v1
	s_add_i32 s6, s19, s6
	s_bcnt1_i32_b64 s20, vcc
	s_add_i32 s6, s6, s7
	s_add_i32 s39, s6, s20
	v_cmp_le_i32_e32 vcc, s38, v12
	s_or_b64 s[68:69], vcc, s[68:69]
	v_mov_b32_e32 v1, s72
	v_mov_b32_e32 v2, s71
	;; [unrolled: 1-line block ×4, first 2 shown]
	s_andn2_b64 exec, exec, s[68:69]
	s_cbranch_execnz .LBB59_68
; %bb.69:                               ;   in Loop: Header=BB59_16 Depth=1
	s_or_b64 exec, exec, s[68:69]
.LBB59_70:                              ;   in Loop: Header=BB59_16 Depth=1
	s_or_b64 exec, exec, s[26:27]
	v_add_u32_e32 v6, s38, v0
	v_cmp_gt_i32_e32 vcc, s29, v6
	s_and_saveexec_b64 s[68:69], vcc
	s_cbranch_execz .LBB59_74
; %bb.71:                               ;   in Loop: Header=BB59_16 Depth=1
	v_lshlrev_b32_e32 v12, 1, v6
	s_mov_b64 s[70:71], 0
.LBB59_72:                              ;   Parent Loop BB59_16 Depth=1
                                        ; =>  This Inner Loop Header: Depth=2
	ds_read_u16 v13, v12
	v_add_u32_e32 v6, s36, v6
	v_cmp_le_i32_e32 vcc, s29, v6
	v_add_u32_e32 v12, s16, v12
	s_waitcnt lgkmcnt(0)
	v_cmp_lt_i16_e64 s[6:7], -1, v13
	s_waitcnt vmcnt(0)
	v_cndmask_b32_e64 v40, v33, v34, s[6:7]
	v_xor_b32_sdwa v40, v40, v13 dst_sel:DWORD dst_unused:UNUSED_PAD src0_sel:DWORD src1_sel:WORD_0
	v_cmp_o_f16_e64 s[6:7], v13, v13
	v_cndmask_b32_e64 v13, v33, v40, s[6:7]
	v_and_b32_e32 v40, v13, v37
	v_bfe_u32 v13, v13, v32, 2
	v_cmp_eq_u32_e64 s[6:7], v40, v28
	v_cmp_eq_u32_e64 s[20:21], 0, v13
	;; [unrolled: 1-line block ×3, first 2 shown]
	s_and_b64 s[20:21], s[6:7], s[20:21]
	v_cmp_eq_u32_e64 s[24:25], 2, v13
	v_cmp_eq_u32_e64 s[26:27], 3, v13
	v_cndmask_b32_e64 v13, 0, 1, s[20:21]
	s_and_b64 s[20:21], s[6:7], s[22:23]
	v_cndmask_b32_e64 v40, 0, 1, s[20:21]
	s_and_b64 s[20:21], s[6:7], s[24:25]
	s_and_b64 s[6:7], s[6:7], s[26:27]
	v_cndmask_b32_e64 v41, 0, 1, s[20:21]
	v_cndmask_b32_e64 v42, 0, 1, s[6:7]
	v_cmp_ne_u32_e64 s[6:7], 0, v13
	v_cmp_ne_u32_e64 s[20:21], 0, v40
	;; [unrolled: 1-line block ×4, first 2 shown]
	s_bcnt1_i32_b64 s6, s[6:7]
	s_bcnt1_i32_b64 s7, s[20:21]
	;; [unrolled: 1-line block ×4, first 2 shown]
	v_add_u32_e32 v1, s6, v1
	v_add_u32_e32 v2, s7, v2
	;; [unrolled: 1-line block ×3, first 2 shown]
	s_or_b64 s[70:71], vcc, s[70:71]
	v_add_u32_e32 v4, s20, v4
	s_andn2_b64 exec, exec, s[70:71]
	s_cbranch_execnz .LBB59_72
; %bb.73:                               ;   in Loop: Header=BB59_16 Depth=1
	s_or_b64 exec, exec, s[70:71]
.LBB59_74:                              ;   in Loop: Header=BB59_16 Depth=1
	s_or_b64 exec, exec, s[68:69]
	s_lshl_b32 s19, s50, 6
	s_and_saveexec_b64 s[6:7], s[2:3]
	s_cbranch_execnz .LBB59_46
	s_branch .LBB59_47
.LBB59_75:                              ;   in Loop: Header=BB59_16 Depth=1
	s_or_b64 exec, exec, s[22:23]
	s_waitcnt lgkmcnt(0)
	s_barrier
	s_and_saveexec_b64 s[6:7], s[0:1]
	s_cbranch_execz .LBB59_77
; %bb.76:                               ;   in Loop: Header=BB59_16 Depth=1
	ds_read_b32 v1, v7 offset:4104
	s_waitcnt lgkmcnt(0)
	ds_write_b32 v7, v1 offset:4096
.LBB59_77:                              ;   in Loop: Header=BB59_16 Depth=1
	s_or_b64 exec, exec, s[6:7]
	s_waitcnt lgkmcnt(0)
	s_barrier
	s_mov_b64 s[6:7], -1
	s_and_b64 vcc, exec, s[20:21]
	s_cbranch_vccnz .LBB59_31
	s_branch .LBB59_41
.LBB59_78:                              ;   in Loop: Header=BB59_16 Depth=1
	v_mov_b32_e32 v1, 0
	s_mov_b32 s20, 0
.LBB59_79:                              ;   in Loop: Header=BB59_16 Depth=1
	v_readlane_b32 s22, v44, 16
	v_readlane_b32 s23, v44, 17
	s_andn2_b64 vcc, exec, s[22:23]
	s_cbranch_vccnz .LBB59_82
; %bb.80:                               ;   in Loop: Header=BB59_16 Depth=1
	s_lshl_b32 s21, s50, 8
	s_lshl_b32 s20, s20, 4
	s_add_i32 s21, s21, s20
	v_add_u32_e32 v2, s21, v31
	v_readlane_b32 s20, v44, 15
.LBB59_81:                              ;   Parent Loop BB59_16 Depth=1
                                        ; =>  This Inner Loop Header: Depth=2
	ds_read_b32 v3, v2
	s_add_i32 s20, s20, -1
	v_add_u32_e32 v2, 16, v2
	s_cmp_lg_u32 s20, 0
	s_waitcnt lgkmcnt(0)
	v_add_u32_e32 v1, v3, v1
	s_cbranch_scc1 .LBB59_81
.LBB59_82:                              ;   in Loop: Header=BB59_16 Depth=1
	v_add_lshl_u32 v2, s19, v15, 2
	ds_write_b32 v2, v1 offset:3072
.LBB59_83:                              ;   in Loop: Header=BB59_16 Depth=1
	s_or_b64 exec, exec, s[6:7]
	s_lshl_b32 s6, s19, 2
	v_mov_b32_e32 v1, s6
	s_waitcnt lgkmcnt(0)
	s_barrier
	ds_read_b128 v[1:4], v1 offset:3072
	v_cmp_eq_u32_e32 vcc, 1, v39
	s_mov_b64 s[20:21], -1
	s_mov_b64 s[68:69], -1
                                        ; implicit-def: $sgpr26_sgpr27
                                        ; implicit-def: $sgpr24_sgpr25
	s_waitcnt lgkmcnt(0)
	v_readfirstlane_b32 s78, v1
	s_cmp_eq_u32 s78, 1
	v_readfirstlane_b32 s90, v3
	v_lshlrev_b32_e64 v3, v32, 3
	s_cselect_b64 s[6:7], -1, 0
	v_readfirstlane_b32 s82, v2
	v_readfirstlane_b32 s29, v4
	v_not_b32_e32 v6, v3
	s_and_b64 s[22:23], s[6:7], vcc
	s_and_saveexec_b64 s[6:7], s[22:23]
	s_cbranch_execz .LBB59_111
; %bb.84:                               ;   in Loop: Header=BB59_16 Depth=1
	ds_read_b32 v1, v7 offset:4096
	s_waitcnt lgkmcnt(0)
	s_barrier
	v_readfirstlane_b32 s19, v1
	s_and_saveexec_b64 s[24:25], s[4:5]
; %bb.85:                               ;   in Loop: Header=BB59_16 Depth=1
	ds_write_b16 v17, v7
; %bb.86:                               ;   in Loop: Header=BB59_16 Depth=1
	s_or_b64 exec, exec, s[24:25]
	v_and_b32_e32 v28, v28, v6
	v_or_b32_e32 v37, v37, v3
	s_mov_b64 s[24:25], -1
	s_mov_b64 s[26:27], 0
	s_cmp_lt_i32 s19, 1
	s_mov_b64 s[68:69], 0
	s_mov_b64 s[70:71], -1
	s_waitcnt lgkmcnt(0)
	s_barrier
                                        ; implicit-def: $vgpr38
	s_cbranch_scc0 .LBB59_98
; %bb.87:                               ;   in Loop: Header=BB59_16 Depth=1
	s_mov_b64 s[70:71], 0
                                        ; implicit-def: $vgpr38
	s_mov_b64 s[72:73], exec
	v_readlane_b32 s38, v44, 18
	v_readlane_b32 s39, v44, 19
	s_and_b64 s[38:39], s[72:73], s[38:39]
	s_mov_b64 exec, s[38:39]
	s_cbranch_execz .LBB59_97
; %bb.88:                               ;   in Loop: Header=BB59_16 Depth=1
	v_mov_b32_e32 v1, v5
	v_mov_b32_e32 v4, v0
                                        ; implicit-def: $sgpr74_sgpr75
	s_branch .LBB59_92
.LBB59_89:                              ;   in Loop: Header=BB59_92 Depth=2
	s_or_b64 exec, exec, s[38:39]
	s_waitcnt lgkmcnt(0)
	s_barrier
	ds_read_b32 v2, v7 offset:3072
	s_waitcnt lgkmcnt(0)
	s_barrier
	v_cmp_neq_f16_e32 vcc, 0, v2
	s_cbranch_vccnz .LBB59_95
; %bb.90:                               ;   in Loop: Header=BB59_92 Depth=2
	v_add_u32_e32 v4, s36, v4
	v_cmp_le_i32_e32 vcc, s53, v4
	v_add_u32_e32 v1, s41, v1
	s_mov_b64 s[38:39], 0
	s_orn2_b64 s[76:77], vcc, exec
.LBB59_91:                              ;   in Loop: Header=BB59_92 Depth=2
	s_and_b64 s[76:77], exec, s[76:77]
	s_or_b64 s[68:69], s[76:77], s[68:69]
	s_andn2_b64 s[74:75], s[74:75], exec
	s_and_b64 s[38:39], s[38:39], exec
	s_or_b64 s[74:75], s[74:75], s[38:39]
	s_andn2_b64 exec, exec, s[68:69]
	s_cbranch_execz .LBB59_96
.LBB59_92:                              ;   Parent Loop BB59_16 Depth=1
                                        ; =>  This Inner Loop Header: Depth=2
	v_cmp_gt_i32_e32 vcc, s28, v4
	s_and_saveexec_b64 s[38:39], vcc
	s_cbranch_execz .LBB59_89
; %bb.93:                               ;   in Loop: Header=BB59_92 Depth=2
	v_ashrrev_i32_e32 v2, 31, v1
	v_lshlrev_b64 v[12:13], 1, v[1:2]
	v_mov_b32_e32 v2, s40
	v_add_co_u32_e32 v12, vcc, s34, v12
	v_addc_co_u32_e32 v13, vcc, v2, v13, vcc
	global_load_ushort v2, v[12:13], off
	s_waitcnt vmcnt(0)
	v_cmp_lt_i16_e32 vcc, -1, v2
	v_cndmask_b32_e32 v12, v33, v34, vcc
	v_xor_b32_sdwa v12, v12, v2 dst_sel:DWORD dst_unused:UNUSED_PAD src0_sel:DWORD src1_sel:WORD_0
	v_cmp_o_f16_e32 vcc, v2, v2
	v_cndmask_b32_e32 v12, v33, v12, vcc
	v_and_b32_e32 v12, v12, v37
	v_cmp_eq_u32_e32 vcc, v12, v28
	s_and_b64 exec, exec, vcc
	s_cbranch_execz .LBB59_89
; %bb.94:                               ;   in Loop: Header=BB59_92 Depth=2
	v_perm_b32 v2, v2, s17, v36
	ds_write_b32 v7, v2 offset:3072
	s_branch .LBB59_89
.LBB59_95:                              ;   in Loop: Header=BB59_92 Depth=2
	s_mov_b64 s[76:77], -1
                                        ; implicit-def: $vgpr4
                                        ; implicit-def: $vgpr1
	s_mov_b64 s[38:39], -1
	s_branch .LBB59_91
.LBB59_96:                              ;   in Loop: Header=BB59_16 Depth=1
	s_or_b64 exec, exec, s[68:69]
	v_lshrrev_b32_e32 v38, 16, v2
	s_and_b64 s[68:69], s[74:75], exec
.LBB59_97:                              ;   in Loop: Header=BB59_16 Depth=1
	s_or_b64 exec, exec, s[72:73]
.LBB59_98:                              ;   in Loop: Header=BB59_16 Depth=1
	s_and_b64 vcc, exec, s[70:71]
	s_cbranch_vccz .LBB59_110
; %bb.99:                               ;   in Loop: Header=BB59_16 Depth=1
	v_readlane_b32 s24, v44, 6
	s_add_i32 s74, s19, s24
	s_abs_i32 s25, s74
	s_mul_hi_u32 s26, s25, s52
	s_mul_i32 s26, s26, s36
	s_sub_i32 s25, s25, s26
	s_ashr_i32 s24, s74, 31
	s_sub_i32 s26, s25, s36
	s_cmp_ge_u32 s25, s36
	s_cselect_b32 s25, s26, s25
	s_sub_i32 s26, s25, s36
	s_cmp_ge_u32 s25, s36
	s_cselect_b32 s25, s26, s25
	s_xor_b32 s25, s25, s24
	s_sub_i32 s24, s24, s25
	s_add_i32 s74, s74, s24
	v_cmp_gt_i32_e32 vcc, s74, v0
                                        ; implicit-def: $vgpr38
	s_and_saveexec_b64 s[24:25], vcc
	s_cbranch_execz .LBB59_109
; %bb.100:                              ;   in Loop: Header=BB59_16 Depth=1
	s_mov_b64 s[26:27], 0
	v_mov_b32_e32 v1, v16
	v_mov_b32_e32 v2, v0
                                        ; implicit-def: $sgpr70_sgpr71
	s_branch .LBB59_104
.LBB59_101:                             ;   in Loop: Header=BB59_104 Depth=2
	s_or_b64 exec, exec, s[38:39]
	s_waitcnt lgkmcnt(0)
	s_barrier
	ds_read_b32 v4, v7 offset:3072
	s_waitcnt lgkmcnt(0)
	s_barrier
	v_cmp_neq_f16_e32 vcc, 0, v4
	s_cbranch_vccnz .LBB59_107
; %bb.102:                              ;   in Loop: Header=BB59_104 Depth=2
	v_add_u32_e32 v2, s36, v2
	v_cmp_le_i32_e32 vcc, s74, v2
	v_add_u32_e32 v1, s16, v1
	s_mov_b64 s[38:39], 0
	s_orn2_b64 s[72:73], vcc, exec
.LBB59_103:                             ;   in Loop: Header=BB59_104 Depth=2
	s_and_b64 s[72:73], exec, s[72:73]
	s_or_b64 s[26:27], s[72:73], s[26:27]
	s_andn2_b64 s[70:71], s[70:71], exec
	s_and_b64 s[38:39], s[38:39], exec
	s_or_b64 s[70:71], s[70:71], s[38:39]
	s_andn2_b64 exec, exec, s[26:27]
	s_cbranch_execz .LBB59_108
.LBB59_104:                             ;   Parent Loop BB59_16 Depth=1
                                        ; =>  This Inner Loop Header: Depth=2
	v_cmp_gt_i32_e32 vcc, s19, v2
	s_and_saveexec_b64 s[38:39], vcc
	s_cbranch_execz .LBB59_101
; %bb.105:                              ;   in Loop: Header=BB59_104 Depth=2
	ds_read_u16 v4, v1
	s_waitcnt lgkmcnt(0)
	v_cmp_lt_i16_e32 vcc, -1, v4
	v_cndmask_b32_e32 v12, v33, v34, vcc
	v_xor_b32_sdwa v12, v12, v4 dst_sel:DWORD dst_unused:UNUSED_PAD src0_sel:DWORD src1_sel:WORD_0
	v_cmp_o_f16_e32 vcc, v4, v4
	v_cndmask_b32_e32 v12, v33, v12, vcc
	v_and_b32_e32 v12, v12, v37
	v_cmp_eq_u32_e32 vcc, v12, v28
	s_and_b64 exec, exec, vcc
	s_cbranch_execz .LBB59_101
; %bb.106:                              ;   in Loop: Header=BB59_104 Depth=2
	v_perm_b32 v4, v4, s17, v36
	ds_write_b32 v7, v4 offset:3072
	s_branch .LBB59_101
.LBB59_107:                             ;   in Loop: Header=BB59_104 Depth=2
	s_mov_b64 s[72:73], -1
                                        ; implicit-def: $vgpr2
                                        ; implicit-def: $vgpr1
	s_mov_b64 s[38:39], -1
	s_branch .LBB59_103
.LBB59_108:                             ;   in Loop: Header=BB59_16 Depth=1
	s_or_b64 exec, exec, s[26:27]
	s_andn2_b64 s[26:27], s[68:69], exec
	s_and_b64 s[38:39], s[70:71], exec
	v_lshrrev_b32_e32 v38, 16, v4
	s_or_b64 s[68:69], s[26:27], s[38:39]
.LBB59_109:                             ;   in Loop: Header=BB59_16 Depth=1
	s_or_b64 exec, exec, s[24:25]
	s_mov_b64 s[24:25], 0
	s_mov_b64 s[26:27], -1
.LBB59_110:                             ;   in Loop: Header=BB59_16 Depth=1
	s_orn2_b64 s[68:69], s[68:69], exec
.LBB59_111:                             ;   in Loop: Header=BB59_16 Depth=1
	s_or_b64 exec, exec, s[6:7]
	s_andn2_b64 s[6:7], s[66:67], exec
	s_and_b64 s[26:27], s[26:27], exec
	s_or_b64 s[66:67], s[6:7], s[26:27]
	s_andn2_b64 s[6:7], s[64:65], exec
	s_and_b64 s[24:25], s[24:25], exec
	v_readfirstlane_b32 s19, v0
	s_andn2_b64 s[62:63], s[62:63], exec
	s_or_b64 s[64:65], s[6:7], s[24:25]
                                        ; implicit-def: $vgpr12
	s_and_saveexec_b64 s[6:7], s[68:69]
	s_cbranch_execz .LBB59_15
; %bb.112:                              ;   in Loop: Header=BB59_16 Depth=1
	s_xor_b64 s[24:25], s[22:23], -1
	s_mov_b64 s[22:23], 0
	v_mov_b32_e32 v12, 1
	v_mov_b32_e32 v4, 1
	s_and_saveexec_b64 s[20:21], s[24:25]
	s_cbranch_execz .LBB59_121
; %bb.113:                              ;   in Loop: Header=BB59_16 Depth=1
	v_cmp_ge_i32_e32 vcc, s78, v39
	s_and_saveexec_b64 s[22:23], vcc
	s_xor_b64 s[22:23], exec, s[22:23]
	s_cbranch_execz .LBB59_118
; %bb.114:                              ;   in Loop: Header=BB59_16 Depth=1
	ds_read_b32 v1, v7 offset:4096
	v_and_b32_e32 v28, v28, v6
	v_or_b32_e32 v37, v37, v3
	s_waitcnt lgkmcnt(0)
	v_cmp_ne_u32_e32 vcc, 0, v1
	s_cbranch_vccnz .LBB59_118
; %bb.115:                              ;   in Loop: Header=BB59_16 Depth=1
	s_and_saveexec_b64 s[24:25], s[0:1]
; %bb.116:                              ;   in Loop: Header=BB59_16 Depth=1
	v_mov_b32_e32 v1, s78
	ds_write_b32 v7, v1 offset:4100
; %bb.117:                              ;   in Loop: Header=BB59_16 Depth=1
	s_or_b64 exec, exec, s[24:25]
	s_waitcnt lgkmcnt(0)
	s_barrier
.LBB59_118:                             ;   in Loop: Header=BB59_16 Depth=1
	s_or_saveexec_b64 s[22:23], s[22:23]
	s_mov_b64 s[24:25], 0
	v_mov_b32_e32 v4, 8
	s_xor_b64 exec, exec, s[22:23]
; %bb.119:                              ;   in Loop: Header=BB59_16 Depth=1
	s_mov_b64 s[24:25], exec
	v_subrev_u32_e32 v39, s78, v39
	v_mov_b32_e32 v4, 0
; %bb.120:                              ;   in Loop: Header=BB59_16 Depth=1
	s_or_b64 exec, exec, s[22:23]
	s_and_b64 s[22:23], s[24:25], exec
	v_mov_b32_e32 v12, v39
.LBB59_121:                             ;   in Loop: Header=BB59_16 Depth=1
	s_or_b64 exec, exec, s[20:21]
	s_mov_b64 s[20:21], -1
	s_mov_b64 s[68:69], -1
                                        ; implicit-def: $sgpr24_sgpr25
                                        ; implicit-def: $sgpr26_sgpr27
	s_and_saveexec_b64 s[38:39], s[22:23]
	s_xor_b64 s[22:23], exec, s[38:39]
	s_cbranch_execz .LBB59_244
; %bb.122:                              ;   in Loop: Header=BB59_16 Depth=1
	s_cmp_eq_u32 s82, 1
	s_cselect_b64 s[24:25], -1, 0
	v_cmp_eq_u32_e32 vcc, 1, v12
	s_and_b64 s[70:71], s[24:25], vcc
	s_mov_b64 s[72:73], -1
                                        ; implicit-def: $sgpr26_sgpr27
                                        ; implicit-def: $sgpr24_sgpr25
	s_and_saveexec_b64 s[68:69], s[70:71]
	s_cbranch_execz .LBB59_150
; %bb.123:                              ;   in Loop: Header=BB59_16 Depth=1
	ds_read_b32 v1, v7 offset:4096
	s_waitcnt lgkmcnt(0)
	s_barrier
	v_readfirstlane_b32 s83, v1
	s_and_saveexec_b64 s[24:25], s[4:5]
; %bb.124:                              ;   in Loop: Header=BB59_16 Depth=1
	ds_write_b16 v17, v7
; %bb.125:                              ;   in Loop: Header=BB59_16 Depth=1
	s_or_b64 exec, exec, s[24:25]
	v_and_b32_e32 v1, v28, v6
	v_lshl_or_b32 v28, 1, v32, v1
	v_or_b32_e32 v37, v37, v3
	s_mov_b64 s[24:25], -1
	s_mov_b64 s[26:27], 0
	s_cmp_gt_i32 s83, 0
	s_mov_b64 s[72:73], 0
	s_mov_b64 s[74:75], -1
	s_waitcnt lgkmcnt(0)
	s_barrier
                                        ; implicit-def: $vgpr38
	s_cbranch_scc1 .LBB59_137
; %bb.126:                              ;   in Loop: Header=BB59_16 Depth=1
	s_mov_b64 s[74:75], 0
                                        ; implicit-def: $vgpr38
	s_mov_b64 s[76:77], exec
	v_readlane_b32 s38, v44, 18
	v_readlane_b32 s39, v44, 19
	s_and_b64 s[38:39], s[76:77], s[38:39]
	s_mov_b64 exec, s[38:39]
	s_cbranch_execz .LBB59_136
; %bb.127:                              ;   in Loop: Header=BB59_16 Depth=1
	v_mov_b32_e32 v1, v5
	v_mov_b32_e32 v13, v0
                                        ; implicit-def: $sgpr78_sgpr79
	s_branch .LBB59_131
.LBB59_128:                             ;   in Loop: Header=BB59_131 Depth=2
	s_or_b64 exec, exec, s[80:81]
	s_waitcnt lgkmcnt(0)
	s_barrier
	ds_read_b32 v2, v7 offset:3072
	s_waitcnt lgkmcnt(0)
	s_barrier
	v_cmp_neq_f16_e32 vcc, 0, v2
	s_cbranch_vccnz .LBB59_134
; %bb.129:                              ;   in Loop: Header=BB59_131 Depth=2
	v_add_u32_e32 v13, s36, v13
	v_cmp_le_i32_e32 vcc, s53, v13
	v_add_u32_e32 v1, s41, v1
	s_mov_b64 s[38:39], 0
	s_orn2_b64 s[80:81], vcc, exec
.LBB59_130:                             ;   in Loop: Header=BB59_131 Depth=2
	s_and_b64 s[80:81], exec, s[80:81]
	s_or_b64 s[72:73], s[80:81], s[72:73]
	s_andn2_b64 s[78:79], s[78:79], exec
	s_and_b64 s[38:39], s[38:39], exec
	s_or_b64 s[78:79], s[78:79], s[38:39]
	s_andn2_b64 exec, exec, s[72:73]
	s_cbranch_execz .LBB59_135
.LBB59_131:                             ;   Parent Loop BB59_16 Depth=1
                                        ; =>  This Inner Loop Header: Depth=2
	v_cmp_gt_i32_e32 vcc, s28, v13
	s_and_saveexec_b64 s[80:81], vcc
	s_cbranch_execz .LBB59_128
; %bb.132:                              ;   in Loop: Header=BB59_131 Depth=2
	v_ashrrev_i32_e32 v2, 31, v1
	v_lshlrev_b64 v[38:39], 1, v[1:2]
	v_mov_b32_e32 v2, s40
	v_add_co_u32_e32 v38, vcc, s34, v38
	v_addc_co_u32_e32 v39, vcc, v2, v39, vcc
	global_load_ushort v2, v[38:39], off
	s_waitcnt vmcnt(0)
	v_cmp_lt_i16_e32 vcc, -1, v2
	v_cndmask_b32_e32 v38, v33, v34, vcc
	v_xor_b32_sdwa v38, v38, v2 dst_sel:DWORD dst_unused:UNUSED_PAD src0_sel:DWORD src1_sel:WORD_0
	v_cmp_o_f16_e32 vcc, v2, v2
	v_cndmask_b32_e32 v38, v33, v38, vcc
	v_and_b32_e32 v38, v38, v37
	v_cmp_eq_u32_e32 vcc, v38, v28
	s_and_b64 exec, exec, vcc
	s_cbranch_execz .LBB59_128
; %bb.133:                              ;   in Loop: Header=BB59_131 Depth=2
	v_perm_b32 v2, v2, s17, v36
	ds_write_b32 v7, v2 offset:3072
	s_branch .LBB59_128
.LBB59_134:                             ;   in Loop: Header=BB59_131 Depth=2
	s_mov_b64 s[80:81], -1
                                        ; implicit-def: $vgpr13
                                        ; implicit-def: $vgpr1
	s_mov_b64 s[38:39], -1
	s_branch .LBB59_130
.LBB59_135:                             ;   in Loop: Header=BB59_16 Depth=1
	s_or_b64 exec, exec, s[72:73]
	v_lshrrev_b32_e32 v38, 16, v2
	s_and_b64 s[72:73], s[78:79], exec
.LBB59_136:                             ;   in Loop: Header=BB59_16 Depth=1
	s_or_b64 exec, exec, s[76:77]
.LBB59_137:                             ;   in Loop: Header=BB59_16 Depth=1
	s_and_b64 vcc, exec, s[74:75]
	s_cbranch_vccz .LBB59_149
; %bb.138:                              ;   in Loop: Header=BB59_16 Depth=1
	v_readlane_b32 s19, v44, 6
	s_add_i32 s19, s83, s19
	s_abs_i32 s25, s19
	s_mul_hi_u32 s26, s25, s52
	s_mul_i32 s26, s26, s36
	s_sub_i32 s25, s25, s26
	s_ashr_i32 s24, s19, 31
	s_sub_i32 s26, s25, s36
	s_cmp_ge_u32 s25, s36
	s_cselect_b32 s25, s26, s25
	s_sub_i32 s26, s25, s36
	s_cmp_ge_u32 s25, s36
	s_cselect_b32 s25, s26, s25
	s_xor_b32 s25, s25, s24
	s_sub_i32 s24, s24, s25
	s_add_i32 s19, s19, s24
	v_cmp_gt_i32_e32 vcc, s19, v0
                                        ; implicit-def: $vgpr38
	s_and_saveexec_b64 s[24:25], vcc
	s_cbranch_execz .LBB59_148
; %bb.139:                              ;   in Loop: Header=BB59_16 Depth=1
	s_mov_b64 s[26:27], 0
	v_mov_b32_e32 v1, v16
	v_mov_b32_e32 v2, v0
                                        ; implicit-def: $sgpr74_sgpr75
	s_branch .LBB59_143
.LBB59_140:                             ;   in Loop: Header=BB59_143 Depth=2
	s_or_b64 exec, exec, s[38:39]
	s_waitcnt lgkmcnt(0)
	s_barrier
	ds_read_b32 v13, v7 offset:3072
	s_waitcnt lgkmcnt(0)
	s_barrier
	v_cmp_eq_f16_e32 vcc, 0, v13
	s_cbranch_vccz .LBB59_146
; %bb.141:                              ;   in Loop: Header=BB59_143 Depth=2
	v_add_u32_e32 v2, s36, v2
	v_cmp_le_i32_e32 vcc, s19, v2
	v_add_u32_e32 v1, s16, v1
	s_mov_b64 s[38:39], 0
	s_orn2_b64 s[76:77], vcc, exec
.LBB59_142:                             ;   in Loop: Header=BB59_143 Depth=2
	s_and_b64 s[76:77], exec, s[76:77]
	s_or_b64 s[26:27], s[76:77], s[26:27]
	s_andn2_b64 s[74:75], s[74:75], exec
	s_and_b64 s[38:39], s[38:39], exec
	s_or_b64 s[74:75], s[74:75], s[38:39]
	s_andn2_b64 exec, exec, s[26:27]
	s_cbranch_execz .LBB59_147
.LBB59_143:                             ;   Parent Loop BB59_16 Depth=1
                                        ; =>  This Inner Loop Header: Depth=2
	v_cmp_gt_i32_e32 vcc, s83, v2
	s_and_saveexec_b64 s[38:39], vcc
	s_cbranch_execz .LBB59_140
; %bb.144:                              ;   in Loop: Header=BB59_143 Depth=2
	ds_read_u16 v13, v1
	s_waitcnt lgkmcnt(0)
	v_cmp_lt_i16_e32 vcc, -1, v13
	v_cndmask_b32_e32 v38, v33, v34, vcc
	v_xor_b32_sdwa v38, v38, v13 dst_sel:DWORD dst_unused:UNUSED_PAD src0_sel:DWORD src1_sel:WORD_0
	v_cmp_o_f16_e32 vcc, v13, v13
	v_cndmask_b32_e32 v38, v33, v38, vcc
	v_and_b32_e32 v38, v38, v37
	v_cmp_eq_u32_e32 vcc, v38, v28
	s_and_b64 exec, exec, vcc
	s_cbranch_execz .LBB59_140
; %bb.145:                              ;   in Loop: Header=BB59_143 Depth=2
	v_perm_b32 v13, v13, s17, v36
	ds_write_b32 v7, v13 offset:3072
	s_branch .LBB59_140
.LBB59_146:                             ;   in Loop: Header=BB59_143 Depth=2
	s_mov_b64 s[76:77], -1
                                        ; implicit-def: $vgpr2
                                        ; implicit-def: $vgpr1
	s_mov_b64 s[38:39], -1
	s_branch .LBB59_142
.LBB59_147:                             ;   in Loop: Header=BB59_16 Depth=1
	s_or_b64 exec, exec, s[26:27]
	s_andn2_b64 s[26:27], s[72:73], exec
	s_and_b64 s[38:39], s[74:75], exec
	v_lshrrev_b32_e32 v38, 16, v13
	s_or_b64 s[72:73], s[26:27], s[38:39]
.LBB59_148:                             ;   in Loop: Header=BB59_16 Depth=1
	s_or_b64 exec, exec, s[24:25]
	s_mov_b64 s[24:25], 0
	s_mov_b64 s[26:27], -1
.LBB59_149:                             ;   in Loop: Header=BB59_16 Depth=1
	s_orn2_b64 s[72:73], s[72:73], exec
.LBB59_150:                             ;   in Loop: Header=BB59_16 Depth=1
	s_or_b64 exec, exec, s[68:69]
	s_mov_b64 s[74:75], 0
	s_and_saveexec_b64 s[68:69], s[72:73]
	s_cbranch_execz .LBB59_243
; %bb.151:                              ;   in Loop: Header=BB59_16 Depth=1
	s_xor_b64 s[38:39], s[70:71], -1
	s_mov_b64 s[78:79], 0
	v_mov_b32_e32 v13, 1
	v_mov_b32_e32 v4, 1
	s_and_saveexec_b64 s[70:71], s[38:39]
	s_cbranch_execz .LBB59_160
; %bb.152:                              ;   in Loop: Header=BB59_16 Depth=1
	v_cmp_ge_i32_e32 vcc, s82, v12
	s_and_saveexec_b64 s[38:39], vcc
	s_xor_b64 s[72:73], exec, s[38:39]
	s_cbranch_execz .LBB59_157
; %bb.153:                              ;   in Loop: Header=BB59_16 Depth=1
	ds_read_b32 v1, v7 offset:4096
	v_and_b32_e32 v2, v28, v6
	v_lshl_or_b32 v28, 1, v32, v2
	v_or_b32_e32 v37, v37, v3
	s_waitcnt lgkmcnt(0)
	v_cmp_ne_u32_e32 vcc, 0, v1
	s_cbranch_vccnz .LBB59_157
; %bb.154:                              ;   in Loop: Header=BB59_16 Depth=1
	s_and_saveexec_b64 s[38:39], s[0:1]
; %bb.155:                              ;   in Loop: Header=BB59_16 Depth=1
	v_mov_b32_e32 v1, s82
	ds_write_b32 v7, v1 offset:4100
; %bb.156:                              ;   in Loop: Header=BB59_16 Depth=1
	s_or_b64 exec, exec, s[38:39]
	s_waitcnt lgkmcnt(0)
	s_barrier
.LBB59_157:                             ;   in Loop: Header=BB59_16 Depth=1
	s_or_saveexec_b64 s[38:39], s[72:73]
	s_mov_b64 s[72:73], 0
	v_mov_b32_e32 v4, 8
	s_xor_b64 exec, exec, s[38:39]
; %bb.158:                              ;   in Loop: Header=BB59_16 Depth=1
	s_mov_b64 s[72:73], exec
	v_subrev_u32_e32 v12, s82, v12
	v_mov_b32_e32 v4, 0
; %bb.159:                              ;   in Loop: Header=BB59_16 Depth=1
	s_or_b64 exec, exec, s[38:39]
	s_and_b64 s[78:79], s[72:73], exec
	v_mov_b32_e32 v13, v12
.LBB59_160:                             ;   in Loop: Header=BB59_16 Depth=1
	s_or_b64 exec, exec, s[70:71]
	s_mov_b64 s[76:77], -1
                                        ; implicit-def: $sgpr72_sgpr73
                                        ; implicit-def: $sgpr74_sgpr75
	s_and_saveexec_b64 s[70:71], s[78:79]
	s_cbranch_execz .LBB59_242
; %bb.161:                              ;   in Loop: Header=BB59_16 Depth=1
	s_cmp_eq_u32 s90, 1
	s_cselect_b64 s[38:39], -1, 0
	v_cmp_eq_u32_e32 vcc, 1, v13
	s_and_b64 s[78:79], s[38:39], vcc
	s_mov_b64 s[80:81], -1
                                        ; implicit-def: $sgpr74_sgpr75
                                        ; implicit-def: $sgpr72_sgpr73
	s_and_saveexec_b64 s[76:77], s[78:79]
	s_cbranch_execz .LBB59_189
; %bb.162:                              ;   in Loop: Header=BB59_16 Depth=1
	ds_read_b32 v1, v7 offset:4096
	s_waitcnt lgkmcnt(0)
	s_barrier
	v_readfirstlane_b32 s91, v1
	s_and_saveexec_b64 s[38:39], s[4:5]
; %bb.163:                              ;   in Loop: Header=BB59_16 Depth=1
	ds_write_b16 v17, v7
; %bb.164:                              ;   in Loop: Header=BB59_16 Depth=1
	s_or_b64 exec, exec, s[38:39]
	v_and_b32_e32 v1, v28, v6
	v_lshl_or_b32 v28, 2, v32, v1
	v_or_b32_e32 v37, v37, v3
	s_mov_b64 s[72:73], -1
	s_mov_b64 s[74:75], 0
	s_cmp_gt_i32 s91, 0
	s_mov_b64 s[80:81], 0
	s_mov_b64 s[82:83], -1
	s_waitcnt lgkmcnt(0)
	s_barrier
                                        ; implicit-def: $vgpr38
	s_cbranch_scc1 .LBB59_176
; %bb.165:                              ;   in Loop: Header=BB59_16 Depth=1
	s_mov_b64 s[82:83], 0
                                        ; implicit-def: $vgpr38
	s_mov_b64 s[84:85], exec
	v_readlane_b32 s38, v44, 18
	v_readlane_b32 s39, v44, 19
	s_and_b64 s[38:39], s[84:85], s[38:39]
	s_mov_b64 exec, s[38:39]
	s_cbranch_execz .LBB59_175
; %bb.166:                              ;   in Loop: Header=BB59_16 Depth=1
	v_mov_b32_e32 v1, v5
	v_mov_b32_e32 v12, v0
                                        ; implicit-def: $sgpr86_sgpr87
	s_branch .LBB59_170
.LBB59_167:                             ;   in Loop: Header=BB59_170 Depth=2
	s_or_b64 exec, exec, s[88:89]
	s_waitcnt lgkmcnt(0)
	s_barrier
	ds_read_b32 v2, v7 offset:3072
	s_waitcnt lgkmcnt(0)
	s_barrier
	v_cmp_neq_f16_e32 vcc, 0, v2
	s_cbranch_vccnz .LBB59_173
; %bb.168:                              ;   in Loop: Header=BB59_170 Depth=2
	v_add_u32_e32 v12, s36, v12
	v_cmp_le_i32_e32 vcc, s53, v12
	v_add_u32_e32 v1, s41, v1
	s_mov_b64 s[38:39], 0
	s_orn2_b64 s[88:89], vcc, exec
.LBB59_169:                             ;   in Loop: Header=BB59_170 Depth=2
	s_and_b64 s[88:89], exec, s[88:89]
	s_or_b64 s[80:81], s[88:89], s[80:81]
	s_andn2_b64 s[86:87], s[86:87], exec
	s_and_b64 s[38:39], s[38:39], exec
	s_or_b64 s[86:87], s[86:87], s[38:39]
	s_andn2_b64 exec, exec, s[80:81]
	s_cbranch_execz .LBB59_174
.LBB59_170:                             ;   Parent Loop BB59_16 Depth=1
                                        ; =>  This Inner Loop Header: Depth=2
	v_cmp_gt_i32_e32 vcc, s28, v12
	s_and_saveexec_b64 s[88:89], vcc
	s_cbranch_execz .LBB59_167
; %bb.171:                              ;   in Loop: Header=BB59_170 Depth=2
	v_ashrrev_i32_e32 v2, 31, v1
	v_lshlrev_b64 v[38:39], 1, v[1:2]
	v_mov_b32_e32 v2, s40
	v_add_co_u32_e32 v38, vcc, s34, v38
	v_addc_co_u32_e32 v39, vcc, v2, v39, vcc
	global_load_ushort v2, v[38:39], off
	s_waitcnt vmcnt(0)
	v_cmp_lt_i16_e32 vcc, -1, v2
	v_cndmask_b32_e32 v38, v33, v34, vcc
	v_xor_b32_sdwa v38, v38, v2 dst_sel:DWORD dst_unused:UNUSED_PAD src0_sel:DWORD src1_sel:WORD_0
	v_cmp_o_f16_e32 vcc, v2, v2
	v_cndmask_b32_e32 v38, v33, v38, vcc
	v_and_b32_e32 v38, v38, v37
	v_cmp_eq_u32_e32 vcc, v38, v28
	s_and_b64 exec, exec, vcc
	s_cbranch_execz .LBB59_167
; %bb.172:                              ;   in Loop: Header=BB59_170 Depth=2
	v_perm_b32 v2, v2, s17, v36
	ds_write_b32 v7, v2 offset:3072
	s_branch .LBB59_167
.LBB59_173:                             ;   in Loop: Header=BB59_170 Depth=2
	s_mov_b64 s[88:89], -1
                                        ; implicit-def: $vgpr12
                                        ; implicit-def: $vgpr1
	s_mov_b64 s[38:39], -1
	s_branch .LBB59_169
.LBB59_174:                             ;   in Loop: Header=BB59_16 Depth=1
	s_or_b64 exec, exec, s[80:81]
	v_lshrrev_b32_e32 v38, 16, v2
	s_and_b64 s[80:81], s[86:87], exec
.LBB59_175:                             ;   in Loop: Header=BB59_16 Depth=1
	s_or_b64 exec, exec, s[84:85]
.LBB59_176:                             ;   in Loop: Header=BB59_16 Depth=1
	s_and_b64 vcc, exec, s[82:83]
	s_cbranch_vccz .LBB59_188
; %bb.177:                              ;   in Loop: Header=BB59_16 Depth=1
	v_readlane_b32 s19, v44, 6
	s_add_i32 s19, s91, s19
	s_abs_i32 s39, s19
	s_mul_hi_u32 s72, s39, s52
	s_mul_i32 s72, s72, s36
	s_sub_i32 s39, s39, s72
	s_ashr_i32 s38, s19, 31
	s_sub_i32 s72, s39, s36
	s_cmp_ge_u32 s39, s36
	s_cselect_b32 s39, s72, s39
	s_sub_i32 s72, s39, s36
	s_cmp_ge_u32 s39, s36
	s_cselect_b32 s39, s72, s39
	s_xor_b32 s39, s39, s38
	s_sub_i32 s38, s38, s39
	s_add_i32 s19, s19, s38
	v_cmp_gt_i32_e32 vcc, s19, v0
                                        ; implicit-def: $vgpr38
	s_and_saveexec_b64 s[72:73], vcc
	s_cbranch_execz .LBB59_187
; %bb.178:                              ;   in Loop: Header=BB59_16 Depth=1
	s_mov_b64 s[74:75], 0
	v_mov_b32_e32 v1, v16
	v_mov_b32_e32 v2, v0
                                        ; implicit-def: $sgpr82_sgpr83
	s_branch .LBB59_182
.LBB59_179:                             ;   in Loop: Header=BB59_182 Depth=2
	s_or_b64 exec, exec, s[38:39]
	s_waitcnt lgkmcnt(0)
	s_barrier
	ds_read_b32 v12, v7 offset:3072
	s_waitcnt lgkmcnt(0)
	s_barrier
	v_cmp_eq_f16_e32 vcc, 0, v12
	s_cbranch_vccz .LBB59_185
; %bb.180:                              ;   in Loop: Header=BB59_182 Depth=2
	v_add_u32_e32 v2, s36, v2
	v_cmp_le_i32_e32 vcc, s19, v2
	v_add_u32_e32 v1, s16, v1
	s_mov_b64 s[38:39], 0
	s_orn2_b64 s[84:85], vcc, exec
.LBB59_181:                             ;   in Loop: Header=BB59_182 Depth=2
	s_and_b64 s[84:85], exec, s[84:85]
	s_or_b64 s[74:75], s[84:85], s[74:75]
	s_andn2_b64 s[82:83], s[82:83], exec
	s_and_b64 s[38:39], s[38:39], exec
	s_or_b64 s[82:83], s[82:83], s[38:39]
	s_andn2_b64 exec, exec, s[74:75]
	s_cbranch_execz .LBB59_186
.LBB59_182:                             ;   Parent Loop BB59_16 Depth=1
                                        ; =>  This Inner Loop Header: Depth=2
	v_cmp_gt_i32_e32 vcc, s91, v2
	s_and_saveexec_b64 s[38:39], vcc
	s_cbranch_execz .LBB59_179
; %bb.183:                              ;   in Loop: Header=BB59_182 Depth=2
	ds_read_u16 v12, v1
	s_waitcnt lgkmcnt(0)
	v_cmp_lt_i16_e32 vcc, -1, v12
	v_cndmask_b32_e32 v38, v33, v34, vcc
	v_xor_b32_sdwa v38, v38, v12 dst_sel:DWORD dst_unused:UNUSED_PAD src0_sel:DWORD src1_sel:WORD_0
	v_cmp_o_f16_e32 vcc, v12, v12
	v_cndmask_b32_e32 v38, v33, v38, vcc
	v_and_b32_e32 v38, v38, v37
	v_cmp_eq_u32_e32 vcc, v38, v28
	s_and_b64 exec, exec, vcc
	s_cbranch_execz .LBB59_179
; %bb.184:                              ;   in Loop: Header=BB59_182 Depth=2
	v_perm_b32 v12, v12, s17, v36
	ds_write_b32 v7, v12 offset:3072
	s_branch .LBB59_179
.LBB59_185:                             ;   in Loop: Header=BB59_182 Depth=2
	s_mov_b64 s[84:85], -1
                                        ; implicit-def: $vgpr2
                                        ; implicit-def: $vgpr1
	s_mov_b64 s[38:39], -1
	s_branch .LBB59_181
.LBB59_186:                             ;   in Loop: Header=BB59_16 Depth=1
	s_or_b64 exec, exec, s[74:75]
	s_andn2_b64 s[38:39], s[80:81], exec
	s_and_b64 s[74:75], s[82:83], exec
	v_lshrrev_b32_e32 v38, 16, v12
	s_or_b64 s[80:81], s[38:39], s[74:75]
.LBB59_187:                             ;   in Loop: Header=BB59_16 Depth=1
	s_or_b64 exec, exec, s[72:73]
	s_mov_b64 s[72:73], 0
	s_mov_b64 s[74:75], -1
.LBB59_188:                             ;   in Loop: Header=BB59_16 Depth=1
	s_orn2_b64 s[80:81], s[80:81], exec
.LBB59_189:                             ;   in Loop: Header=BB59_16 Depth=1
	s_or_b64 exec, exec, s[76:77]
	s_mov_b64 s[82:83], 0
	s_and_saveexec_b64 s[76:77], s[80:81]
	s_cbranch_execz .LBB59_241
; %bb.190:                              ;   in Loop: Header=BB59_16 Depth=1
	s_xor_b64 s[38:39], s[78:79], -1
	s_mov_b64 s[86:87], 0
	v_mov_b32_e32 v12, 1
	v_mov_b32_e32 v4, 1
	s_and_saveexec_b64 s[78:79], s[38:39]
	s_cbranch_execz .LBB59_199
; %bb.191:                              ;   in Loop: Header=BB59_16 Depth=1
	v_cmp_ge_i32_e32 vcc, s90, v13
	s_and_saveexec_b64 s[38:39], vcc
	s_xor_b64 s[80:81], exec, s[38:39]
	s_cbranch_execz .LBB59_196
; %bb.192:                              ;   in Loop: Header=BB59_16 Depth=1
	ds_read_b32 v1, v7 offset:4096
	v_and_b32_e32 v2, v28, v6
	v_lshl_or_b32 v28, 2, v32, v2
	v_or_b32_e32 v37, v37, v3
	s_waitcnt lgkmcnt(0)
	v_cmp_ne_u32_e32 vcc, 0, v1
	s_cbranch_vccnz .LBB59_196
; %bb.193:                              ;   in Loop: Header=BB59_16 Depth=1
	s_and_saveexec_b64 s[38:39], s[0:1]
; %bb.194:                              ;   in Loop: Header=BB59_16 Depth=1
	v_mov_b32_e32 v1, s90
	ds_write_b32 v7, v1 offset:4100
; %bb.195:                              ;   in Loop: Header=BB59_16 Depth=1
	s_or_b64 exec, exec, s[38:39]
	s_waitcnt lgkmcnt(0)
	s_barrier
.LBB59_196:                             ;   in Loop: Header=BB59_16 Depth=1
	s_or_saveexec_b64 s[38:39], s[80:81]
	s_mov_b64 s[80:81], 0
	v_mov_b32_e32 v4, 8
	s_xor_b64 exec, exec, s[38:39]
; %bb.197:                              ;   in Loop: Header=BB59_16 Depth=1
	s_mov_b64 s[80:81], exec
	v_subrev_u32_e32 v13, s90, v13
	v_mov_b32_e32 v4, 0
; %bb.198:                              ;   in Loop: Header=BB59_16 Depth=1
	s_or_b64 exec, exec, s[38:39]
	s_and_b64 s[86:87], s[80:81], exec
	v_mov_b32_e32 v12, v13
.LBB59_199:                             ;   in Loop: Header=BB59_16 Depth=1
	s_or_b64 exec, exec, s[78:79]
	s_mov_b64 s[84:85], -1
                                        ; implicit-def: $sgpr82_sgpr83
                                        ; implicit-def: $sgpr80_sgpr81
	s_and_saveexec_b64 s[78:79], s[86:87]
	s_cbranch_execz .LBB59_240
; %bb.200:                              ;   in Loop: Header=BB59_16 Depth=1
	s_cmp_eq_u32 s29, 1
	s_cselect_b64 s[38:39], -1, 0
	v_cmp_eq_u32_e32 vcc, 1, v12
	s_and_b64 s[84:85], s[38:39], vcc
	s_mov_b64 s[88:89], -1
                                        ; implicit-def: $sgpr82_sgpr83
                                        ; implicit-def: $sgpr80_sgpr81
	s_and_saveexec_b64 s[86:87], s[84:85]
	s_cbranch_execz .LBB59_228
; %bb.201:                              ;   in Loop: Header=BB59_16 Depth=1
	ds_read_b32 v1, v7 offset:4096
	s_waitcnt lgkmcnt(0)
	s_barrier
	v_readfirstlane_b32 s19, v1
	s_and_saveexec_b64 s[38:39], s[4:5]
; %bb.202:                              ;   in Loop: Header=BB59_16 Depth=1
	ds_write_b16 v17, v7
; %bb.203:                              ;   in Loop: Header=BB59_16 Depth=1
	s_or_b64 exec, exec, s[38:39]
	v_or_b32_e32 v28, v28, v3
	v_or_b32_e32 v37, v37, v3
	s_mov_b64 s[80:81], -1
	s_mov_b64 s[82:83], 0
	s_cmp_gt_i32 s19, 0
	s_mov_b64 s[88:89], 0
	s_mov_b64 s[90:91], -1
	s_waitcnt lgkmcnt(0)
	s_barrier
                                        ; implicit-def: $vgpr38
	s_cbranch_scc1 .LBB59_215
; %bb.204:                              ;   in Loop: Header=BB59_16 Depth=1
	s_mov_b64 s[90:91], 0
                                        ; implicit-def: $vgpr38
	s_mov_b64 s[92:93], exec
	v_readlane_b32 s38, v44, 18
	v_readlane_b32 s39, v44, 19
	s_and_b64 s[38:39], s[92:93], s[38:39]
	s_mov_b64 exec, s[38:39]
	s_cbranch_execz .LBB59_214
; %bb.205:                              ;   in Loop: Header=BB59_16 Depth=1
	v_mov_b32_e32 v1, v5
	v_mov_b32_e32 v6, v0
                                        ; implicit-def: $sgpr94_sgpr95
	s_branch .LBB59_209
.LBB59_206:                             ;   in Loop: Header=BB59_209 Depth=2
	s_or_b64 exec, exec, s[38:39]
	s_waitcnt lgkmcnt(0)
	s_barrier
	ds_read_b32 v2, v7 offset:3072
	s_waitcnt lgkmcnt(0)
	s_barrier
	v_cmp_neq_f16_e32 vcc, 0, v2
	s_cbranch_vccnz .LBB59_212
; %bb.207:                              ;   in Loop: Header=BB59_209 Depth=2
	v_add_u32_e32 v6, s36, v6
	v_cmp_le_i32_e32 vcc, s53, v6
	v_add_u32_e32 v1, s41, v1
	s_mov_b64 s[38:39], 0
	s_orn2_b64 vcc, vcc, exec
.LBB59_208:                             ;   in Loop: Header=BB59_209 Depth=2
	s_and_b64 vcc, exec, vcc
	s_or_b64 s[88:89], vcc, s[88:89]
	s_andn2_b64 s[94:95], s[94:95], exec
	s_and_b64 s[38:39], s[38:39], exec
	s_or_b64 s[94:95], s[94:95], s[38:39]
	s_andn2_b64 exec, exec, s[88:89]
	s_cbranch_execz .LBB59_213
.LBB59_209:                             ;   Parent Loop BB59_16 Depth=1
                                        ; =>  This Inner Loop Header: Depth=2
	v_cmp_gt_i32_e32 vcc, s28, v6
	s_and_saveexec_b64 s[38:39], vcc
	s_cbranch_execz .LBB59_206
; %bb.210:                              ;   in Loop: Header=BB59_209 Depth=2
	v_ashrrev_i32_e32 v2, 31, v1
	v_lshlrev_b64 v[38:39], 1, v[1:2]
	v_mov_b32_e32 v2, s40
	v_add_co_u32_e32 v38, vcc, s34, v38
	v_addc_co_u32_e32 v39, vcc, v2, v39, vcc
	global_load_ushort v2, v[38:39], off
	s_waitcnt vmcnt(0)
	v_cmp_lt_i16_e32 vcc, -1, v2
	v_cndmask_b32_e32 v13, v33, v34, vcc
	v_xor_b32_sdwa v13, v13, v2 dst_sel:DWORD dst_unused:UNUSED_PAD src0_sel:DWORD src1_sel:WORD_0
	v_cmp_o_f16_e32 vcc, v2, v2
	v_cndmask_b32_e32 v13, v33, v13, vcc
	v_and_b32_e32 v13, v13, v37
	v_cmp_eq_u32_e32 vcc, v13, v28
	s_and_b64 exec, exec, vcc
	s_cbranch_execz .LBB59_206
; %bb.211:                              ;   in Loop: Header=BB59_209 Depth=2
	v_perm_b32 v2, v2, s17, v36
	ds_write_b32 v7, v2 offset:3072
	s_branch .LBB59_206
.LBB59_212:                             ;   in Loop: Header=BB59_209 Depth=2
	s_mov_b64 vcc, -1
                                        ; implicit-def: $vgpr6
                                        ; implicit-def: $vgpr1
	s_mov_b64 s[38:39], -1
	s_branch .LBB59_208
.LBB59_213:                             ;   in Loop: Header=BB59_16 Depth=1
	s_or_b64 exec, exec, s[88:89]
	v_lshrrev_b32_e32 v38, 16, v2
	s_and_b64 s[88:89], s[94:95], exec
.LBB59_214:                             ;   in Loop: Header=BB59_16 Depth=1
	s_or_b64 exec, exec, s[92:93]
.LBB59_215:                             ;   in Loop: Header=BB59_16 Depth=1
	s_and_b64 vcc, exec, s[90:91]
	s_cbranch_vccz .LBB59_227
; %bb.216:                              ;   in Loop: Header=BB59_16 Depth=1
	v_readlane_b32 s38, v44, 6
	s_add_i32 s94, s19, s38
	s_abs_i32 s39, s94
	s_mul_hi_u32 s80, s39, s52
	s_mul_i32 s80, s80, s36
	s_sub_i32 s39, s39, s80
	s_ashr_i32 s38, s94, 31
	s_sub_i32 s80, s39, s36
	s_cmp_ge_u32 s39, s36
	s_cselect_b32 s39, s80, s39
	s_sub_i32 s80, s39, s36
	s_cmp_ge_u32 s39, s36
	s_cselect_b32 s39, s80, s39
	s_xor_b32 s39, s39, s38
	s_sub_i32 s38, s38, s39
	s_add_i32 s94, s94, s38
	v_cmp_gt_i32_e32 vcc, s94, v0
                                        ; implicit-def: $vgpr38
	s_and_saveexec_b64 s[80:81], vcc
	s_cbranch_execz .LBB59_226
; %bb.217:                              ;   in Loop: Header=BB59_16 Depth=1
	s_mov_b64 s[82:83], 0
	v_mov_b32_e32 v1, v16
	v_mov_b32_e32 v2, v0
                                        ; implicit-def: $sgpr90_sgpr91
	s_branch .LBB59_221
.LBB59_218:                             ;   in Loop: Header=BB59_221 Depth=2
	s_or_b64 exec, exec, s[38:39]
	s_waitcnt lgkmcnt(0)
	s_barrier
	ds_read_b32 v6, v7 offset:3072
	s_waitcnt lgkmcnt(0)
	s_barrier
	v_cmp_eq_f16_e32 vcc, 0, v6
	s_cbranch_vccz .LBB59_224
; %bb.219:                              ;   in Loop: Header=BB59_221 Depth=2
	v_add_u32_e32 v2, s36, v2
	v_cmp_le_i32_e32 vcc, s94, v2
	v_add_u32_e32 v1, s16, v1
	s_mov_b64 s[38:39], 0
	s_orn2_b64 s[92:93], vcc, exec
.LBB59_220:                             ;   in Loop: Header=BB59_221 Depth=2
	s_and_b64 s[92:93], exec, s[92:93]
	s_or_b64 s[82:83], s[92:93], s[82:83]
	s_andn2_b64 s[90:91], s[90:91], exec
	s_and_b64 s[38:39], s[38:39], exec
	s_or_b64 s[90:91], s[90:91], s[38:39]
	s_andn2_b64 exec, exec, s[82:83]
	s_cbranch_execz .LBB59_225
.LBB59_221:                             ;   Parent Loop BB59_16 Depth=1
                                        ; =>  This Inner Loop Header: Depth=2
	v_cmp_gt_i32_e32 vcc, s19, v2
	s_and_saveexec_b64 s[38:39], vcc
	s_cbranch_execz .LBB59_218
; %bb.222:                              ;   in Loop: Header=BB59_221 Depth=2
	ds_read_u16 v6, v1
	s_waitcnt lgkmcnt(0)
	v_cmp_lt_i16_e32 vcc, -1, v6
	v_cndmask_b32_e32 v13, v33, v34, vcc
	v_xor_b32_sdwa v13, v13, v6 dst_sel:DWORD dst_unused:UNUSED_PAD src0_sel:DWORD src1_sel:WORD_0
	v_cmp_o_f16_e32 vcc, v6, v6
	v_cndmask_b32_e32 v13, v33, v13, vcc
	v_and_b32_e32 v13, v13, v37
	v_cmp_eq_u32_e32 vcc, v13, v28
	s_and_b64 exec, exec, vcc
	s_cbranch_execz .LBB59_218
; %bb.223:                              ;   in Loop: Header=BB59_221 Depth=2
	v_perm_b32 v6, v6, s17, v36
	ds_write_b32 v7, v6 offset:3072
	s_branch .LBB59_218
.LBB59_224:                             ;   in Loop: Header=BB59_221 Depth=2
	s_mov_b64 s[92:93], -1
                                        ; implicit-def: $vgpr2
                                        ; implicit-def: $vgpr1
	s_mov_b64 s[38:39], -1
	s_branch .LBB59_220
.LBB59_225:                             ;   in Loop: Header=BB59_16 Depth=1
	s_or_b64 exec, exec, s[82:83]
	s_andn2_b64 s[38:39], s[88:89], exec
	s_and_b64 s[82:83], s[90:91], exec
	v_lshrrev_b32_e32 v38, 16, v6
	s_or_b64 s[88:89], s[38:39], s[82:83]
.LBB59_226:                             ;   in Loop: Header=BB59_16 Depth=1
	s_or_b64 exec, exec, s[80:81]
	s_mov_b64 s[80:81], 0
	s_mov_b64 s[82:83], -1
.LBB59_227:                             ;   in Loop: Header=BB59_16 Depth=1
	s_orn2_b64 s[88:89], s[88:89], exec
.LBB59_228:                             ;   in Loop: Header=BB59_16 Depth=1
	s_or_b64 exec, exec, s[86:87]
	s_mov_b64 s[38:39], 0
	s_and_saveexec_b64 s[86:87], s[88:89]
	s_cbranch_execz .LBB59_239
; %bb.229:                              ;   in Loop: Header=BB59_16 Depth=1
	s_xor_b64 s[38:39], s[84:85], -1
	v_mov_b32_e32 v4, 1
	v_mov_b32_e32 v1, 1
	s_and_saveexec_b64 s[84:85], s[38:39]
	s_cbranch_execz .LBB59_238
; %bb.230:                              ;   in Loop: Header=BB59_16 Depth=1
	v_cmp_ge_i32_e32 vcc, s29, v12
	s_and_saveexec_b64 s[38:39], vcc
	s_xor_b64 s[88:89], exec, s[38:39]
	s_cbranch_execz .LBB59_235
; %bb.231:                              ;   in Loop: Header=BB59_16 Depth=1
	ds_read_b32 v1, v7 offset:4096
	v_or_b32_e32 v28, v28, v3
	v_or_b32_e32 v37, v37, v3
	s_waitcnt lgkmcnt(0)
	v_cmp_ne_u32_e32 vcc, 0, v1
	s_cbranch_vccnz .LBB59_235
; %bb.232:                              ;   in Loop: Header=BB59_16 Depth=1
	s_and_saveexec_b64 s[38:39], s[0:1]
; %bb.233:                              ;   in Loop: Header=BB59_16 Depth=1
	v_mov_b32_e32 v1, s29
	ds_write_b32 v7, v1 offset:4100
; %bb.234:                              ;   in Loop: Header=BB59_16 Depth=1
	s_or_b64 exec, exec, s[38:39]
	s_waitcnt lgkmcnt(0)
	s_barrier
.LBB59_235:                             ;   in Loop: Header=BB59_16 Depth=1
	s_andn2_saveexec_b64 s[38:39], s[88:89]
; %bb.236:                              ;   in Loop: Header=BB59_16 Depth=1
	v_subrev_u32_e32 v12, s29, v12
; %bb.237:                              ;   in Loop: Header=BB59_16 Depth=1
	s_or_b64 exec, exec, s[38:39]
	v_mov_b32_e32 v4, 8
	v_mov_b32_e32 v1, v12
.LBB59_238:                             ;   in Loop: Header=BB59_16 Depth=1
	s_or_b64 exec, exec, s[84:85]
	s_mov_b64 s[38:39], exec
	v_mov_b32_e32 v12, v1
.LBB59_239:                             ;   in Loop: Header=BB59_16 Depth=1
	s_or_b64 exec, exec, s[86:87]
	s_orn2_b64 s[84:85], s[38:39], exec
.LBB59_240:                             ;   in Loop: Header=BB59_16 Depth=1
	s_or_b64 exec, exec, s[78:79]
	s_andn2_b64 s[38:39], s[74:75], exec
	s_and_b64 s[74:75], s[82:83], exec
	s_or_b64 s[74:75], s[38:39], s[74:75]
	s_andn2_b64 s[38:39], s[72:73], exec
	s_and_b64 s[72:73], s[80:81], exec
	s_or_b64 s[72:73], s[38:39], s[72:73]
	s_and_b64 s[82:83], s[84:85], exec
	v_mov_b32_e32 v13, v12
.LBB59_241:                             ;   in Loop: Header=BB59_16 Depth=1
	s_or_b64 exec, exec, s[76:77]
	s_orn2_b64 s[76:77], s[82:83], exec
.LBB59_242:                             ;   in Loop: Header=BB59_16 Depth=1
	s_or_b64 exec, exec, s[70:71]
	s_andn2_b64 s[26:27], s[26:27], exec
	s_and_b64 s[38:39], s[74:75], exec
	s_or_b64 s[26:27], s[26:27], s[38:39]
	s_andn2_b64 s[24:25], s[24:25], exec
	s_and_b64 s[38:39], s[72:73], exec
	s_or_b64 s[24:25], s[24:25], s[38:39]
	s_and_b64 s[74:75], s[76:77], exec
	v_mov_b32_e32 v12, v13
.LBB59_243:                             ;   in Loop: Header=BB59_16 Depth=1
	s_or_b64 exec, exec, s[68:69]
	s_orn2_b64 s[68:69], s[74:75], exec
.LBB59_244:                             ;   in Loop: Header=BB59_16 Depth=1
	s_or_b64 exec, exec, s[22:23]
	s_mov_b64 s[70:71], 0
                                        ; implicit-def: $sgpr19
	s_and_saveexec_b64 s[22:23], s[68:69]
	s_xor_b64 s[22:23], exec, s[22:23]
	s_cbranch_execz .LBB59_14
; %bb.245:                              ;   in Loop: Header=BB59_16 Depth=1
	v_and_b32_e32 v1, 7, v4
	v_cmp_eq_u32_e32 vcc, 0, v1
	s_mov_b64 s[20:21], -1
	s_mov_b64 s[38:39], -1
                                        ; implicit-def: $sgpr19
	s_and_saveexec_b64 s[68:69], vcc
	s_cbranch_execz .LBB59_13
; %bb.246:                              ;   in Loop: Header=BB59_16 Depth=1
	v_add_u32_e32 v1, -2, v32
	v_cmp_eq_u32_e32 vcc, 0, v32
	s_xor_b32 s19, s50, 1
	s_xor_b64 s[38:39], exec, -1
	s_orn2_b64 s[20:21], vcc, exec
	v_mov_b32_e32 v32, v1
	s_branch .LBB59_13
.LBB59_247:
	s_or_b64 exec, exec, s[54:55]
	s_xor_b64 s[6:7], s[60:61], -1
	s_xor_b64 s[4:5], s[56:57], -1
	s_xor_b64 s[8:9], s[58:59], -1
	s_mov_b64 s[2:3], 0
	s_and_saveexec_b64 s[10:11], s[4:5]
	s_xor_b64 s[4:5], exec, s[10:11]
	s_cbranch_execnz .LBB59_252
; %bb.248:
	s_andn2_saveexec_b64 s[0:1], s[4:5]
	s_cbranch_execnz .LBB59_272
.LBB59_249:
	s_or_b64 exec, exec, s[0:1]
	s_and_saveexec_b64 s[0:1], s[2:3]
.LBB59_250:
	; divergent unreachable
.LBB59_251:
	s_endpgm
.LBB59_252:
	s_and_saveexec_b64 s[2:3], s[6:7]
	s_xor_b64 s[6:7], exec, s[2:3]
	s_cbranch_execz .LBB59_270
; %bb.253:
	s_and_saveexec_b64 s[2:3], s[8:9]
	s_xor_b64 s[2:3], exec, s[2:3]
; %bb.254:
	v_and_b32_e32 v1, 0x8000, v28
	v_mov_b32_e32 v2, 0x8000
	v_mov_b32_e32 v3, 0xffff
	v_cmp_eq_u32_e32 vcc, 0, v1
	v_cndmask_b32_e32 v1, v2, v3, vcc
	v_xor_b32_e32 v38, v1, v28
; %bb.255:
	s_or_b64 exec, exec, s[2:3]
	s_and_saveexec_b64 s[2:3], s[0:1]
; %bb.256:
	v_mov_b32_e32 v1, 0
	v_mov_b32_e32 v2, s28
	ds_write_b32 v1, v2 offset:4108
; %bb.257:
	s_or_b64 exec, exec, s[2:3]
	v_mov_b32_e32 v1, 0
	s_waitcnt lgkmcnt(0)
	s_barrier
	ds_read_b32 v1, v1 offset:4108
	s_waitcnt lgkmcnt(0)
	v_min_i32_e32 v1, s28, v1
	v_cmp_lt_i32_e32 vcc, v0, v1
	s_and_saveexec_b64 s[8:9], vcc
	s_cbranch_execz .LBB59_267
; %bb.258:
	v_cmp_u_f16_e32 vcc, v38, v38
	s_mov_b64 s[10:11], 0
	v_mov_b32_e32 v3, s40
	s_xor_b64 s[14:15], vcc, -1
                                        ; implicit-def: $sgpr12_sgpr13
                                        ; implicit-def: $sgpr18_sgpr19
                                        ; implicit-def: $sgpr16_sgpr17
	s_branch .LBB59_260
.LBB59_259:                             ;   in Loop: Header=BB59_260 Depth=1
	s_or_b64 exec, exec, s[2:3]
	s_and_b64 s[2:3], exec, s[18:19]
	s_or_b64 s[10:11], s[2:3], s[10:11]
	s_andn2_b64 s[2:3], s[12:13], exec
	s_and_b64 s[12:13], s[16:17], exec
	s_or_b64 s[12:13], s[2:3], s[12:13]
	s_andn2_b64 exec, exec, s[10:11]
	s_cbranch_execz .LBB59_262
.LBB59_260:                             ; =>This Inner Loop Header: Depth=1
	v_ashrrev_i32_e32 v6, 31, v5
	v_lshlrev_b64 v[6:7], 1, v[5:6]
	v_mov_b32_e32 v2, v0
	v_add_co_u32_e32 v6, vcc, s34, v6
	v_addc_co_u32_e32 v7, vcc, v3, v7, vcc
	global_load_ushort v4, v[6:7], off
	s_or_b64 s[16:17], s[16:17], exec
	s_or_b64 s[18:19], s[18:19], exec
                                        ; implicit-def: $vgpr0
	s_waitcnt vmcnt(0)
	v_cmp_o_f16_e64 s[2:3], v4, v4
	v_cmp_neq_f16_e32 vcc, v4, v38
	s_or_b64 s[2:3], s[14:15], s[2:3]
	s_and_b64 s[20:21], vcc, s[2:3]
	s_and_saveexec_b64 s[2:3], s[20:21]
	s_cbranch_execz .LBB59_259
; %bb.261:                              ;   in Loop: Header=BB59_260 Depth=1
	v_add_u32_e32 v0, s36, v2
	v_cmp_ge_i32_e32 vcc, v0, v1
	s_andn2_b64 s[18:19], s[18:19], exec
	s_and_b64 s[20:21], vcc, exec
	v_add_u32_e32 v5, s41, v5
	s_andn2_b64 s[16:17], s[16:17], exec
	s_or_b64 s[18:19], s[18:19], s[20:21]
	s_branch .LBB59_259
.LBB59_262:
	s_or_b64 exec, exec, s[10:11]
	s_and_saveexec_b64 s[2:3], s[12:13]
	s_xor_b64 s[2:3], exec, s[2:3]
	s_cbranch_execz .LBB59_267
; %bb.263:
	s_mov_b64 s[2:3], exec
	s_brev_b32 s10, -2
.LBB59_264:                             ; =>This Inner Loop Header: Depth=1
	s_ff1_i32_b64 s11, s[2:3]
	v_readlane_b32 s14, v2, s11
	s_lshl_b64 s[12:13], 1, s11
	s_min_i32 s10, s10, s14
	s_andn2_b64 s[2:3], s[2:3], s[12:13]
	s_cmp_lg_u64 s[2:3], 0
	s_cbranch_scc1 .LBB59_264
; %bb.265:
	v_mbcnt_lo_u32_b32 v0, exec_lo, 0
	v_mbcnt_hi_u32_b32 v0, exec_hi, v0
	v_cmp_eq_u32_e32 vcc, 0, v0
	s_and_saveexec_b64 s[2:3], vcc
	s_xor_b64 s[2:3], exec, s[2:3]
; %bb.266:
	v_mov_b32_e32 v0, 0
	v_mov_b32_e32 v1, s10
	ds_min_i32 v0, v1 offset:4108
.LBB59_267:
	s_or_b64 exec, exec, s[8:9]
	s_waitcnt lgkmcnt(0)
	s_barrier
	s_and_saveexec_b64 s[2:3], s[0:1]
	s_cbranch_execz .LBB59_269
; %bb.268:
	v_readlane_b32 s0, v44, 0
	s_mul_i32 s0, s0, s30
	v_readlane_b32 s1, v44, 5
	s_add_i32 s0, s0, s35
	s_mul_i32 s1, s1, s33
	s_add_i32 s8, s1, s37
	s_ashr_i32 s1, s0, 31
	v_mov_b32_e32 v2, 0
	s_lshl_b64 s[0:1], s[0:1], 1
	v_readlane_b32 s10, v44, 1
	ds_read_b32 v0, v2 offset:4108
	v_readlane_b32 s11, v44, 2
	s_add_u32 s0, s10, s0
	s_addc_u32 s1, s11, s1
	s_ashr_i32 s9, s8, 31
	s_lshl_b64 s[8:9], s[8:9], 3
	v_readlane_b32 s10, v44, 3
	v_readlane_b32 s11, v44, 4
	s_add_u32 s8, s10, s8
	s_addc_u32 s9, s11, s9
	s_waitcnt lgkmcnt(0)
	v_ashrrev_i32_e32 v1, 31, v0
	global_store_dwordx2 v2, v[0:1], s[8:9]
	global_store_short v2, v38, s[0:1]
.LBB59_269:
	s_or_b64 exec, exec, s[2:3]
.LBB59_270:
	s_or_saveexec_b64 s[0:1], s[6:7]
	s_mov_b64 s[2:3], 0
	s_xor_b64 exec, exec, s[0:1]
	s_cbranch_execnz .LBB59_273
.LBB59_271:
	s_or_b64 exec, exec, s[0:1]
	s_and_b64 s[2:3], s[2:3], exec
	s_andn2_saveexec_b64 s[0:1], s[4:5]
	s_cbranch_execz .LBB59_249
.LBB59_272:
	s_or_b64 s[2:3], s[2:3], exec
	s_trap 2
	s_or_b64 exec, exec, s[0:1]
	s_and_saveexec_b64 s[0:1], s[2:3]
	s_cbranch_execnz .LBB59_250
	s_branch .LBB59_251
.LBB59_273:
	s_mov_b64 s[2:3], exec
	s_trap 2
	s_branch .LBB59_271
	.section	.rodata,"a",@progbits
	.p2align	6, 0x0
	.amdhsa_kernel _ZN2at6native12_GLOBAL__N_114gatherKthValueIN3c104HalfEiLin1EEEvNS_4cuda6detail10TensorInfoIKT_T0_EESA_SA_SA_SA_NS7_IS8_SA_EENS7_IlSA_EE
		.amdhsa_group_segment_fixed_size 4112
		.amdhsa_private_segment_fixed_size 0
		.amdhsa_kernarg_size 920
		.amdhsa_user_sgpr_count 6
		.amdhsa_user_sgpr_private_segment_buffer 1
		.amdhsa_user_sgpr_dispatch_ptr 0
		.amdhsa_user_sgpr_queue_ptr 0
		.amdhsa_user_sgpr_kernarg_segment_ptr 1
		.amdhsa_user_sgpr_dispatch_id 0
		.amdhsa_user_sgpr_flat_scratch_init 0
		.amdhsa_user_sgpr_private_segment_size 0
		.amdhsa_uses_dynamic_stack 0
		.amdhsa_system_sgpr_private_segment_wavefront_offset 0
		.amdhsa_system_sgpr_workgroup_id_x 1
		.amdhsa_system_sgpr_workgroup_id_y 1
		.amdhsa_system_sgpr_workgroup_id_z 1
		.amdhsa_system_sgpr_workgroup_info 0
		.amdhsa_system_vgpr_workitem_id 0
		.amdhsa_next_free_vgpr 45
		.amdhsa_next_free_sgpr 96
		.amdhsa_reserve_vcc 1
		.amdhsa_reserve_flat_scratch 0
		.amdhsa_float_round_mode_32 0
		.amdhsa_float_round_mode_16_64 0
		.amdhsa_float_denorm_mode_32 3
		.amdhsa_float_denorm_mode_16_64 3
		.amdhsa_dx10_clamp 1
		.amdhsa_ieee_mode 1
		.amdhsa_fp16_overflow 0
		.amdhsa_exception_fp_ieee_invalid_op 0
		.amdhsa_exception_fp_denorm_src 0
		.amdhsa_exception_fp_ieee_div_zero 0
		.amdhsa_exception_fp_ieee_overflow 0
		.amdhsa_exception_fp_ieee_underflow 0
		.amdhsa_exception_fp_ieee_inexact 0
		.amdhsa_exception_int_div_zero 0
	.end_amdhsa_kernel
	.section	.text._ZN2at6native12_GLOBAL__N_114gatherKthValueIN3c104HalfEiLin1EEEvNS_4cuda6detail10TensorInfoIKT_T0_EESA_SA_SA_SA_NS7_IS8_SA_EENS7_IlSA_EE,"axG",@progbits,_ZN2at6native12_GLOBAL__N_114gatherKthValueIN3c104HalfEiLin1EEEvNS_4cuda6detail10TensorInfoIKT_T0_EESA_SA_SA_SA_NS7_IS8_SA_EENS7_IlSA_EE,comdat
.Lfunc_end59:
	.size	_ZN2at6native12_GLOBAL__N_114gatherKthValueIN3c104HalfEiLin1EEEvNS_4cuda6detail10TensorInfoIKT_T0_EESA_SA_SA_SA_NS7_IS8_SA_EENS7_IlSA_EE, .Lfunc_end59-_ZN2at6native12_GLOBAL__N_114gatherKthValueIN3c104HalfEiLin1EEEvNS_4cuda6detail10TensorInfoIKT_T0_EESA_SA_SA_SA_NS7_IS8_SA_EENS7_IlSA_EE
                                        ; -- End function
	.set _ZN2at6native12_GLOBAL__N_114gatherKthValueIN3c104HalfEiLin1EEEvNS_4cuda6detail10TensorInfoIKT_T0_EESA_SA_SA_SA_NS7_IS8_SA_EENS7_IlSA_EE.num_vgpr, 45
	.set _ZN2at6native12_GLOBAL__N_114gatherKthValueIN3c104HalfEiLin1EEEvNS_4cuda6detail10TensorInfoIKT_T0_EESA_SA_SA_SA_NS7_IS8_SA_EENS7_IlSA_EE.num_agpr, 0
	.set _ZN2at6native12_GLOBAL__N_114gatherKthValueIN3c104HalfEiLin1EEEvNS_4cuda6detail10TensorInfoIKT_T0_EESA_SA_SA_SA_NS7_IS8_SA_EENS7_IlSA_EE.numbered_sgpr, 96
	.set _ZN2at6native12_GLOBAL__N_114gatherKthValueIN3c104HalfEiLin1EEEvNS_4cuda6detail10TensorInfoIKT_T0_EESA_SA_SA_SA_NS7_IS8_SA_EENS7_IlSA_EE.num_named_barrier, 0
	.set _ZN2at6native12_GLOBAL__N_114gatherKthValueIN3c104HalfEiLin1EEEvNS_4cuda6detail10TensorInfoIKT_T0_EESA_SA_SA_SA_NS7_IS8_SA_EENS7_IlSA_EE.private_seg_size, 0
	.set _ZN2at6native12_GLOBAL__N_114gatherKthValueIN3c104HalfEiLin1EEEvNS_4cuda6detail10TensorInfoIKT_T0_EESA_SA_SA_SA_NS7_IS8_SA_EENS7_IlSA_EE.uses_vcc, 1
	.set _ZN2at6native12_GLOBAL__N_114gatherKthValueIN3c104HalfEiLin1EEEvNS_4cuda6detail10TensorInfoIKT_T0_EESA_SA_SA_SA_NS7_IS8_SA_EENS7_IlSA_EE.uses_flat_scratch, 0
	.set _ZN2at6native12_GLOBAL__N_114gatherKthValueIN3c104HalfEiLin1EEEvNS_4cuda6detail10TensorInfoIKT_T0_EESA_SA_SA_SA_NS7_IS8_SA_EENS7_IlSA_EE.has_dyn_sized_stack, 0
	.set _ZN2at6native12_GLOBAL__N_114gatherKthValueIN3c104HalfEiLin1EEEvNS_4cuda6detail10TensorInfoIKT_T0_EESA_SA_SA_SA_NS7_IS8_SA_EENS7_IlSA_EE.has_recursion, 0
	.set _ZN2at6native12_GLOBAL__N_114gatherKthValueIN3c104HalfEiLin1EEEvNS_4cuda6detail10TensorInfoIKT_T0_EESA_SA_SA_SA_NS7_IS8_SA_EENS7_IlSA_EE.has_indirect_call, 0
	.section	.AMDGPU.csdata,"",@progbits
; Kernel info:
; codeLenInByte = 9872
; TotalNumSgprs: 100
; NumVgprs: 45
; ScratchSize: 0
; MemoryBound: 0
; FloatMode: 240
; IeeeMode: 1
; LDSByteSize: 4112 bytes/workgroup (compile time only)
; SGPRBlocks: 12
; VGPRBlocks: 11
; NumSGPRsForWavesPerEU: 100
; NumVGPRsForWavesPerEU: 45
; Occupancy: 5
; WaveLimiterHint : 1
; COMPUTE_PGM_RSRC2:SCRATCH_EN: 0
; COMPUTE_PGM_RSRC2:USER_SGPR: 6
; COMPUTE_PGM_RSRC2:TRAP_HANDLER: 0
; COMPUTE_PGM_RSRC2:TGID_X_EN: 1
; COMPUTE_PGM_RSRC2:TGID_Y_EN: 1
; COMPUTE_PGM_RSRC2:TGID_Z_EN: 1
; COMPUTE_PGM_RSRC2:TIDIG_COMP_CNT: 0
	.section	.text._ZN2at6native12_GLOBAL__N_114gatherKthValueIN3c104HalfElLi1EEEvNS_4cuda6detail10TensorInfoIKT_T0_EESA_SA_SA_SA_NS7_IS8_SA_EENS7_IlSA_EE,"axG",@progbits,_ZN2at6native12_GLOBAL__N_114gatherKthValueIN3c104HalfElLi1EEEvNS_4cuda6detail10TensorInfoIKT_T0_EESA_SA_SA_SA_NS7_IS8_SA_EENS7_IlSA_EE,comdat
	.globl	_ZN2at6native12_GLOBAL__N_114gatherKthValueIN3c104HalfElLi1EEEvNS_4cuda6detail10TensorInfoIKT_T0_EESA_SA_SA_SA_NS7_IS8_SA_EENS7_IlSA_EE ; -- Begin function _ZN2at6native12_GLOBAL__N_114gatherKthValueIN3c104HalfElLi1EEEvNS_4cuda6detail10TensorInfoIKT_T0_EESA_SA_SA_SA_NS7_IS8_SA_EENS7_IlSA_EE
	.p2align	8
	.type	_ZN2at6native12_GLOBAL__N_114gatherKthValueIN3c104HalfElLi1EEEvNS_4cuda6detail10TensorInfoIKT_T0_EESA_SA_SA_SA_NS7_IS8_SA_EENS7_IlSA_EE,@function
_ZN2at6native12_GLOBAL__N_114gatherKthValueIN3c104HalfElLi1EEEvNS_4cuda6detail10TensorInfoIKT_T0_EESA_SA_SA_SA_NS7_IS8_SA_EENS7_IlSA_EE: ; @_ZN2at6native12_GLOBAL__N_114gatherKthValueIN3c104HalfElLi1EEEvNS_4cuda6detail10TensorInfoIKT_T0_EESA_SA_SA_SA_NS7_IS8_SA_EENS7_IlSA_EE
; %bb.0:
	s_load_dwordx2 s[18:19], s[4:5], 0x500
	s_load_dwordx8 s[24:31], s[4:5], 0x1a0
	s_add_u32 s14, s4, 0x500
	s_addc_u32 s15, s5, 0
	s_mov_b32 s11, 0
	s_waitcnt lgkmcnt(0)
	s_mul_i32 s0, s19, s8
	s_add_i32 s0, s0, s7
	s_mul_i32 s0, s0, s18
	s_add_i32 s10, s0, s6
	v_mov_b32_e32 v1, s10
	v_mov_b32_e32 v2, s11
	v_cmp_le_i64_e32 vcc, s[28:29], v[1:2]
	s_cbranch_vccnz .LBB60_282
; %bb.1:
	s_load_dwordx2 s[0:1], s[4:5], 0x430
                                        ; implicit-def: $vgpr59 : SGPR spill to VGPR lane
	s_waitcnt lgkmcnt(0)
	v_writelane_b32 v59, s0, 0
	v_writelane_b32 v59, s1, 1
	s_load_dwordx2 s[94:95], s[4:5], 0x360
	s_load_dwordx2 s[0:1], s[4:5], 0x290
	;; [unrolled: 1-line block ×4, first 2 shown]
	s_waitcnt lgkmcnt(0)
	v_writelane_b32 v59, s0, 2
	v_writelane_b32 v59, s1, 3
	s_load_dwordx2 s[0:1], s[4:5], 0x1c0
	s_waitcnt lgkmcnt(0)
	v_writelane_b32 v59, s0, 4
	v_writelane_b32 v59, s1, 5
	v_cmp_eq_u32_e64 s[0:1], 0, v0
	s_mov_b64 s[4:5], exec
	v_writelane_b32 v59, s0, 6
	v_writelane_b32 v59, s1, 7
	s_and_b64 s[0:1], s[4:5], s[0:1]
	s_mov_b64 exec, s[0:1]
	s_cbranch_execz .LBB60_3
; %bb.2:
	v_mov_b32_e32 v1, 0
	v_mov_b32_e32 v3, s24
	;; [unrolled: 1-line block ×4, first 2 shown]
	ds_write_b32 v1, v1 offset:5136
	ds_write_b128 v1, v[1:4] offset:5120
.LBB60_3:
	s_or_b64 exec, exec, s[4:5]
	s_mul_i32 s0, s9, s10
	s_mul_hi_u32 s1, s8, s10
	s_add_i32 s1, s1, s0
	s_mov_b32 s0, s10
	v_writelane_b32 v59, s0, 8
	v_writelane_b32 v59, s1, 9
	s_mul_i32 s0, s8, s10
	s_lshl_b64 s[0:1], s[0:1], 1
	s_add_u32 s42, s2, s0
	s_addc_u32 s43, s3, s1
	v_mad_u64_u32 v[4:5], s[0:1], s30, v0, 0
	v_mbcnt_lo_u32_b32 v1, -1, 0
	v_mbcnt_hi_u32_b32 v30, -1, v1
	v_mov_b32_e32 v1, v5
	v_mad_u64_u32 v[5:6], s[0:1], s31, v0, v[1:2]
	v_mov_b32_e32 v6, 0x600
	v_mov_b32_e32 v7, 0
	v_cmp_gt_i64_e64 s[0:1], s[24:25], v[6:7]
	v_lshlrev_b64 v[6:7], 1, v[4:5]
	v_cmp_gt_u32_e32 vcc, 64, v0
	v_cmp_gt_i32_e64 s[2:3], 4, v30
	s_and_b64 s[48:49], vcc, s[2:3]
	v_mov_b32_e32 v2, s43
	v_add_co_u32_e32 v12, vcc, s42, v6
	v_mov_b32_e32 v3, 0
	v_addc_co_u32_e32 v13, vcc, v2, v7, vcc
	v_lshlrev_b64 v[6:7], v30, -1
	v_add_u32_e32 v2, 2, v0
	v_cmp_gt_i64_e32 vcc, s[24:25], v[2:3]
	v_not_b32_e32 v31, v7
	v_mov_b32_e32 v7, s25
	v_mov_b32_e32 v1, v3
	v_writelane_b32 v59, s0, 10
	v_cndmask_b32_e32 v8, 0, v7, vcc
	v_mov_b32_e32 v7, s24
	v_writelane_b32 v59, s1, 11
	v_cmp_gt_i64_e64 s[0:1], s[24:25], v[0:1]
	v_cndmask_b32_e32 v2, v2, v7, vcc
	v_not_b32_e32 v7, v0
	v_add_co_u32_e32 v7, vcc, v2, v7
	v_writelane_b32 v59, s0, 12
	v_addc_co_u32_e32 v8, vcc, -1, v8, vcc
	v_writelane_b32 v59, s1, 13
	v_cmp_lt_u64_e64 s[0:1], 1, v[7:8]
	v_and_b32_e32 v14, -2, v7
	v_writelane_b32 v59, s0, 14
	v_mov_b32_e32 v15, v8
	v_writelane_b32 v59, s1, 15
	v_cmp_ne_u64_e64 s[0:1], v[7:8], v[14:15]
	v_lshlrev_b32_e32 v32, 3, v0
	v_writelane_b32 v59, s0, 16
	v_or_b32_e32 v7, 6, v32
	v_writelane_b32 v59, s1, 17
	v_mad_u64_u32 v[16:17], s[0:1], s30, v7, 0
	v_or_b32_e32 v9, 4, v32
	v_mad_u64_u32 v[18:19], s[0:1], s30, v9, 0
	v_mov_b32_e32 v2, v17
	v_mad_u64_u32 v[7:8], s[0:1], s31, v7, v[2:3]
	v_mov_b32_e32 v2, v19
	v_mad_u64_u32 v[8:9], s[0:1], s31, v9, v[2:3]
	v_or_b32_e32 v9, 2, v32
	v_mad_u64_u32 v[19:20], s[0:1], s30, v9, 0
	v_not_b32_e32 v33, v6
	v_mov_b32_e32 v34, v7
	v_mov_b32_e32 v2, v20
	v_mad_u64_u32 v[6:7], s[0:1], s31, v9, v[2:3]
	s_waitcnt lgkmcnt(0)
	s_barrier
	s_load_dword s0, s[14:15], 0xc
	v_lshlrev_b32_e32 v2, 2, v30
	v_and_b32_e32 v37, 0x100, v2
	v_lshrrev_b32_e32 v2, 1, v0
	v_and_b32_e32 v2, 0x1e0, v2
	s_waitcnt lgkmcnt(0)
	s_and_b32 s33, s0, 0xffff
	s_bfe_u32 s0, s0, 0xa0006
	s_cmp_gt_u32 s33, 63
	s_cselect_b64 s[2:3], -1, 0
	v_writelane_b32 v59, s2, 18
	s_add_u32 s1, s33, -1
	v_writelane_b32 v59, s3, 19
	s_addc_u32 s2, 0, -1
	s_add_u32 s3, s1, s24
	s_addc_u32 s53, s2, s25
	s_cmp_lt_u32 s6, s18
	v_writelane_b32 v59, s1, 20
	s_cselect_b32 s1, 12, 18
	s_add_u32 s54, s14, s1
	s_addc_u32 s55, s15, 0
	s_add_i32 s1, s0, -1
	s_bfe_u32 s6, s33, 0x30006
	s_and_b32 s1, s1, 0xffff
	s_cmp_gt_u32 s1, 6
	v_writelane_b32 v59, s2, 21
	s_cselect_b64 s[8:9], -1, 0
	v_writelane_b32 v59, s8, 22
	s_and_b32 s2, s0, 0x3f8
	v_writelane_b32 v59, s9, 23
	s_cmp_lg_u32 s6, 0
	v_writelane_b32 v59, s6, 24
	s_cselect_b64 s[0:1], -1, 0
	v_writelane_b32 v59, s0, 25
	v_or_b32_e32 v38, 0xc00, v2
	v_writelane_b32 v59, s1, 26
	v_mov_b32_e32 v2, s25
	v_add_co_u32_e32 v39, vcc, s24, v0
	s_mul_i32 s0, s31, s33
	s_mul_hi_u32 s1, s30, s33
	v_lshlrev_b64 v[22:23], 3, v[4:5]
	v_addc_co_u32_e32 v40, vcc, 0, v2, vcc
	v_mov_b32_e32 v2, 0xc00
	s_add_i32 s1, s1, s0
	s_mul_i32 s0, s30, s33
	v_lshlrev_b32_e32 v43, 1, v0
	v_mov_b32_e32 v24, s26
	s_mov_b32 s47, 0
	v_cmp_eq_u32_e64 s[4:5], 0, v30
	v_cmp_gt_u32_e64 s[16:17], 2, v0
	v_mov_b32_e32 v35, v8
	v_lshlrev_b32_e32 v20, 2, v0
	v_mov_b32_e32 v21, v3
	v_mov_b32_e32 v36, v6
	s_mov_b32 s34, s30
	s_mov_b32 s35, s31
	s_lshl_b64 s[60:61], s[30:31], 1
	s_lshl_b64 s[62:63], s[30:31], 3
	v_lshl_or_b32 v41, v30, 3, v2
	s_lshl_b64 s[44:45], s[0:1], 1
	s_lshl_b32 s0, s33, 1
	s_mov_b32 s8, 14
	s_mov_b64 s[64:65], 0
	s_movk_i32 s1, 0x3c00
	s_mov_b32 s9, 0
	v_add_u32_e32 v44, 0xc00, v43
	v_mov_b32_e32 v45, 0xffff
	v_mov_b32_e32 v46, 0x8000
	v_mov_b32_e32 v47, -1
	v_mov_b32_e32 v48, 0x5040100
	v_mov_b32_e32 v50, 0
	;; [unrolled: 1-line block ×4, first 2 shown]
	v_add_co_u32_e32 v17, vcc, v14, v0
	v_mov_b32_e32 v25, s27
                                        ; implicit-def: $sgpr66_sgpr67
                                        ; implicit-def: $sgpr70_sgpr71
                                        ; implicit-def: $sgpr68_sgpr69
                                        ; implicit-def: $sgpr74_sgpr75
                                        ; implicit-def: $sgpr76_sgpr77
                                        ; implicit-def: $sgpr72_sgpr73
	s_branch .LBB60_7
.LBB60_4:                               ;   in Loop: Header=BB60_7 Depth=1
	s_or_b64 exec, exec, s[20:21]
	s_and_b64 s[12:13], s[12:13], exec
	s_andn2_b64 s[78:79], s[78:79], exec
	s_andn2_b64 s[6:7], s[6:7], exec
	s_orn2_b64 s[20:21], s[14:15], exec
.LBB60_5:                               ;   in Loop: Header=BB60_7 Depth=1
	s_or_b64 exec, exec, s[10:11]
	s_andn2_b64 s[10:11], s[72:73], exec
	s_and_b64 s[12:13], s[12:13], exec
	s_or_b64 s[72:73], s[10:11], s[12:13]
	s_andn2_b64 s[10:11], s[76:77], exec
	s_and_b64 s[12:13], s[78:79], exec
	s_or_b64 s[76:77], s[10:11], s[12:13]
	;; [unrolled: 3-line block ×3, first 2 shown]
	s_orn2_b64 s[6:7], s[20:21], exec
.LBB60_6:                               ;   in Loop: Header=BB60_7 Depth=1
	s_or_b64 exec, exec, s[18:19]
	s_and_b64 s[6:7], exec, s[6:7]
	s_or_b64 s[64:65], s[6:7], s[64:65]
	s_andn2_b64 s[6:7], s[68:69], exec
	s_and_b64 s[10:11], s[72:73], exec
	s_or_b64 s[68:69], s[6:7], s[10:11]
	s_andn2_b64 s[6:7], s[70:71], exec
	s_and_b64 s[10:11], s[76:77], exec
	;; [unrolled: 3-line block ×3, first 2 shown]
	v_mov_b32_e32 v25, v9
	s_or_b64 s[66:67], s[6:7], s[10:11]
	v_mov_b32_e32 v24, v8
	s_andn2_b64 exec, exec, s[64:65]
	s_cbranch_execz .LBB60_278
.LBB60_7:                               ; =>This Loop Header: Depth=1
                                        ;     Child Loop BB60_12 Depth 2
                                        ;     Child Loop BB60_26 Depth 2
	;; [unrolled: 1-line block ×17, first 2 shown]
	ds_read_b128 v[4:7], v3 offset:5120
	s_waitcnt lgkmcnt(0)
	v_readfirstlane_b32 s23, v5
	v_readfirstlane_b32 s22, v4
	v_cmp_gt_i64_e64 s[6:7], s[22:23], 0
	s_and_b64 vcc, exec, s[6:7]
	s_cbranch_vccnz .LBB60_39
; %bb.8:                                ;   in Loop: Header=BB60_7 Depth=1
	v_readlane_b32 s6, v59, 10
	v_readlane_b32 s7, v59, 11
	s_and_b64 vcc, exec, s[6:7]
	s_cbranch_vccz .LBB60_20
; %bb.9:                                ;   in Loop: Header=BB60_7 Depth=1
	s_mov_b64 s[6:7], 0x601
	v_cmp_gt_i64_e32 vcc, s[6:7], v[6:7]
	s_mov_b64 s[18:19], 0
	s_mov_b64 s[6:7], 0
	s_cbranch_vccz .LBB60_21
; %bb.10:                               ;   in Loop: Header=BB60_7 Depth=1
	global_load_ushort v6, v3, s[54:55]
	global_load_ushort v2, v[12:13], off
	v_mov_b32_e32 v4, s42
	v_mov_b32_e32 v5, s43
	s_mov_b64 s[20:21], 0
	s_waitcnt vmcnt(1)
	v_and_b32_e32 v8, 0xffff, v6
	v_readfirstlane_b32 s10, v6
	v_add_co_u32_e32 v6, vcc, v0, v8
	v_addc_co_u32_e64 v7, s[6:7], 0, 0, vcc
	v_mul_lo_u32 v7, s60, v7
	v_mul_lo_u32 v9, s61, v6
	v_mad_u64_u32 v[4:5], s[6:7], s60, v6, v[4:5]
	s_and_b32 s10, 0xffff, s10
	s_mul_i32 s6, s61, s10
	s_mul_hi_u32 s7, s60, s10
	v_add3_u32 v5, v9, v5, v7
	v_mov_b32_e32 v7, v1
	s_mul_i32 s23, s60, s10
	s_add_i32 s28, s7, s6
	v_mov_b32_e32 v6, v0
	s_branch .LBB60_12
.LBB60_11:                              ;   in Loop: Header=BB60_12 Depth=2
	s_or_b64 exec, exec, s[6:7]
	v_mov_b32_e32 v2, s28
	v_add_co_u32_e32 v4, vcc, s23, v4
	v_addc_co_u32_e32 v5, vcc, v5, v2, vcc
	v_mov_b32_e32 v2, v9
	s_andn2_b64 exec, exec, s[20:21]
	s_cbranch_execz .LBB60_73
.LBB60_12:                              ;   Parent Loop BB60_7 Depth=1
                                        ; =>  This Inner Loop Header: Depth=2
	v_add_co_u32_e32 v6, vcc, v6, v8
	v_addc_co_u32_e32 v7, vcc, 0, v7, vcc
	v_cmp_gt_i64_e64 s[6:7], s[24:25], v[6:7]
	v_cmp_le_i64_e32 vcc, s[24:25], v[6:7]
	s_waitcnt lgkmcnt(0)
	v_mov_b32_e32 v10, 0
	v_mov_b32_e32 v9, 0
	s_and_saveexec_b64 s[10:11], s[6:7]
	s_cbranch_execz .LBB60_14
; %bb.13:                               ;   in Loop: Header=BB60_12 Depth=2
	global_load_ushort v9, v[4:5], off
.LBB60_14:                              ;   in Loop: Header=BB60_12 Depth=2
	s_or_b64 exec, exec, s[10:11]
	s_waitcnt vmcnt(0)
	v_cmp_lt_i16_e64 s[6:7], -1, v2
	v_cndmask_b32_e64 v11, v45, v46, s[6:7]
	v_xor_b32_sdwa v11, v11, v2 dst_sel:DWORD dst_unused:UNUSED_PAD src0_sel:DWORD src1_sel:WORD_0
	v_cmp_o_f16_e64 s[6:7], v2, v2
	v_cndmask_b32_e64 v11, v45, v11, s[6:7]
	v_and_b32_e32 v11, v11, v49
	v_cmp_eq_u32_e64 s[14:15], v11, v42
	s_cmp_lg_u64 s[14:15], 0
	s_cselect_b64 s[6:7], -1, 0
	s_and_b64 s[6:7], s[4:5], s[6:7]
	s_and_saveexec_b64 s[10:11], s[6:7]
	s_cbranch_execz .LBB60_18
; %bb.15:                               ;   in Loop: Header=BB60_12 Depth=2
	s_mov_b64 s[26:27], exec
	v_mbcnt_lo_u32_b32 v10, s26, 0
	v_mbcnt_hi_u32_b32 v10, s27, v10
	s_bcnt1_i32_b64 s29, s[14:15]
	v_cmp_eq_u32_e64 s[6:7], 0, v10
                                        ; implicit-def: $vgpr11
	s_and_saveexec_b64 s[12:13], s[6:7]
; %bb.16:                               ;   in Loop: Header=BB60_12 Depth=2
	s_bcnt1_i32_b64 s6, s[26:27]
	s_mul_i32 s6, s29, s6
	v_mov_b32_e32 v11, s6
	ds_add_rtn_u32 v11, v3, v11 offset:5136
; %bb.17:                               ;   in Loop: Header=BB60_12 Depth=2
	s_or_b64 exec, exec, s[12:13]
	s_waitcnt lgkmcnt(0)
	v_readfirstlane_b32 s6, v11
	v_mov_b32_e32 v11, s6
	v_mad_u32_u24 v10, s29, v10, v11
.LBB60_18:                              ;   in Loop: Header=BB60_12 Depth=2
	s_or_b64 exec, exec, s[10:11]
	ds_bpermute_b32 v10, v37, v10
	s_and_b64 s[6:7], exec, vcc
	s_or_b64 s[20:21], s[6:7], s[20:21]
	s_and_saveexec_b64 s[6:7], s[14:15]
	s_cbranch_execz .LBB60_11
; %bb.19:                               ;   in Loop: Header=BB60_12 Depth=2
	v_and_b32_e32 v26, s14, v33
	v_and_b32_e32 v11, s15, v31
	v_bcnt_u32_b32 v26, v26, 0
	v_bcnt_u32_b32 v11, v11, v26
	v_lshlrev_b32_e32 v11, 1, v11
	s_waitcnt lgkmcnt(0)
	v_lshl_add_u32 v10, v10, 1, v11
	ds_write_b16 v10, v2
	s_branch .LBB60_11
.LBB60_20:                              ;   in Loop: Header=BB60_7 Depth=1
	s_mov_b64 s[18:19], -1
	s_mov_b64 s[6:7], 0
.LBB60_21:                              ;   in Loop: Header=BB60_7 Depth=1
	s_and_b64 vcc, exec, s[18:19]
	s_cbranch_vccz .LBB60_37
.LBB60_22:                              ;   in Loop: Header=BB60_7 Depth=1
	s_mov_b64 s[14:15], exec
	v_readlane_b32 s6, v59, 12
	v_readlane_b32 s7, v59, 13
	s_and_b64 s[6:7], s[14:15], s[6:7]
	s_mov_b64 exec, s[6:7]
	s_cbranch_execz .LBB60_34
; %bb.23:                               ;   in Loop: Header=BB60_7 Depth=1
	global_load_ushort v2, v3, s[54:55]
	global_load_ushort v11, v[12:13], off
	v_mov_b32_e32 v6, v0
	s_waitcnt vmcnt(1)
	v_readfirstlane_b32 s6, v2
	v_add_u32_sdwa v2, v2, v0 dst_sel:DWORD dst_unused:UNUSED_PAD src0_sel:WORD_0 src1_sel:DWORD
	v_cmp_gt_i64_e32 vcc, s[24:25], v[2:3]
	s_and_saveexec_b64 s[18:19], vcc
	s_cbranch_execz .LBB60_33
; %bb.24:                               ;   in Loop: Header=BB60_7 Depth=1
	s_and_b32 s20, s6, 0xffff
	s_cmp_eq_u32 s20, 1
	v_readlane_b32 s10, v59, 14
                                        ; implicit-def: $vgpr6_vgpr7
	s_cselect_b64 s[6:7], -1, 0
	v_readlane_b32 s11, v59, 15
	v_mov_b32_e32 v8, v1
	v_mov_b32_e32 v5, v3
	s_and_b64 s[10:11], s[10:11], s[6:7]
	s_mov_b64 s[12:13], -1
	v_mov_b32_e32 v7, v0
	v_mov_b32_e32 v4, v2
	s_and_saveexec_b64 s[6:7], s[10:11]
	s_cbranch_execz .LBB60_28
; %bb.25:                               ;   in Loop: Header=BB60_7 Depth=1
	v_add_co_u32_e32 v4, vcc, 1, v2
	v_addc_co_u32_e64 v5, s[10:11], 0, 0, vcc
	v_mov_b32_e32 v8, v14
	v_mov_b32_e32 v7, v5
	s_waitcnt vmcnt(0)
	v_lshlrev_b32_e32 v26, 16, v11
	s_mov_b64 s[10:11], 0
	v_mov_b32_e32 v9, v15
	v_mov_b32_e32 v10, v43
	;; [unrolled: 1-line block ×5, first 2 shown]
.LBB60_26:                              ;   Parent Loop BB60_7 Depth=1
                                        ; =>  This Inner Loop Header: Depth=2
	v_mul_lo_u32 v53, v5, s34
	v_mul_lo_u32 v54, v4, s35
	v_mad_u64_u32 v[51:52], s[12:13], v4, s34, 0
	v_mul_lo_u32 v11, v7, s30
	v_mul_lo_u32 v29, v6, s31
	v_mad_u64_u32 v[27:28], s[12:13], v6, s30, 0
	v_add3_u32 v52, v52, v54, v53
	v_lshlrev_b64 v[51:52], 1, v[51:52]
	v_add3_u32 v28, v28, v29, v11
	v_mov_b32_e32 v55, s43
	v_lshlrev_b64 v[27:28], 1, v[27:28]
	v_add_co_u32_e32 v51, vcc, s42, v51
	v_addc_co_u32_e32 v52, vcc, v55, v52, vcc
	v_mov_b32_e32 v56, s43
	v_add_co_u32_e32 v27, vcc, s42, v27
	v_addc_co_u32_e32 v28, vcc, v56, v28, vcc
	global_load_ushort v29, v[51:52], off
	global_load_ushort v11, v[27:28], off
	v_add_co_u32_e32 v6, vcc, 2, v6
	v_addc_co_u32_e32 v7, vcc, 0, v7, vcc
	v_add_co_u32_e32 v4, vcc, 2, v4
	v_addc_co_u32_e32 v5, vcc, 0, v5, vcc
	v_add_co_u32_e32 v8, vcc, -2, v8
	v_addc_co_u32_e32 v9, vcc, -1, v9, vcc
	s_mov_b32 s12, 0x5040100
	v_cmp_eq_u64_e32 vcc, 0, v[8:9]
	s_or_b64 s[10:11], vcc, s[10:11]
	s_waitcnt vmcnt(1)
	v_alignbit_b32 v26, v29, v26, 16
	s_waitcnt vmcnt(0)
	v_perm_b32 v27, v11, v29, s12
	ds_write_b32 v10, v26
	v_add_u32_e32 v10, 4, v10
	v_mov_b32_e32 v26, v27
	s_andn2_b64 exec, exec, s[10:11]
	s_cbranch_execnz .LBB60_26
; %bb.27:                               ;   in Loop: Header=BB60_7 Depth=1
	s_or_b64 exec, exec, s[10:11]
	v_readlane_b32 s10, v59, 16
	v_add_co_u32_e32 v4, vcc, v2, v14
	v_readlane_b32 s11, v59, 17
	v_addc_co_u32_e32 v5, vcc, 0, v15, vcc
	v_add_co_u32_e32 v6, vcc, -1, v4
	s_orn2_b64 s[12:13], s[10:11], exec
	v_mov_b32_e32 v7, v17
	v_mov_b32_e32 v8, v18
.LBB60_28:                              ;   in Loop: Header=BB60_7 Depth=1
	s_or_b64 exec, exec, s[6:7]
	s_and_saveexec_b64 s[10:11], s[12:13]
	s_cbranch_execz .LBB60_32
; %bb.29:                               ;   in Loop: Header=BB60_7 Depth=1
	v_mov_b32_e32 v8, s42
	v_mov_b32_e32 v9, s43
	v_mad_u64_u32 v[9:10], s[6:7], s60, v4, v[8:9]
	v_mul_lo_u32 v2, s60, v5
	v_mul_lo_u32 v6, s61, v4
	s_mul_i32 s6, s61, s20
	s_mul_hi_u32 s7, s60, s20
	s_mov_b64 s[12:13], 0
	s_sub_u32 s21, 0, s20
	v_add3_u32 v10, v6, v10, v2
	s_add_i32 s23, s7, s6
	s_mul_i32 s26, s60, s20
.LBB60_30:                              ;   Parent Loop BB60_7 Depth=1
                                        ; =>  This Inner Loop Header: Depth=2
	s_waitcnt vmcnt(0)
	v_mov_b32_e32 v2, v11
	global_load_ushort v11, v[9:10], off
	v_mov_b32_e32 v27, v5
	v_mov_b32_e32 v26, v4
	v_lshlrev_b32_e32 v4, 1, v7
	ds_write_b16 v4, v2
	v_add_co_u32_e32 v4, vcc, s20, v26
	v_addc_co_u32_e32 v5, vcc, 0, v27, vcc
	v_mov_b32_e32 v2, s23
	v_add_co_u32_e32 v9, vcc, s26, v9
	v_addc_co_u32_e32 v10, vcc, v10, v2, vcc
	v_cmp_le_i64_e32 vcc, s[24:25], v[4:5]
	v_add_co_u32_e64 v6, s[6:7], s21, v4
	s_or_b64 s[12:13], vcc, s[12:13]
	v_mov_b32_e32 v7, v26
	v_mov_b32_e32 v8, v27
	s_andn2_b64 exec, exec, s[12:13]
	s_cbranch_execnz .LBB60_30
; %bb.31:                               ;   in Loop: Header=BB60_7 Depth=1
	s_or_b64 exec, exec, s[12:13]
.LBB60_32:                              ;   in Loop: Header=BB60_7 Depth=1
	s_or_b64 exec, exec, s[10:11]
.LBB60_33:                              ;   in Loop: Header=BB60_7 Depth=1
	s_or_b64 exec, exec, s[18:19]
	v_lshlrev_b32_e32 v2, 1, v6
	s_waitcnt vmcnt(0)
	ds_write_b16 v2, v11
.LBB60_34:                              ;   in Loop: Header=BB60_7 Depth=1
	s_or_b64 exec, exec, s[14:15]
	s_waitcnt lgkmcnt(0)
	s_barrier
	s_mov_b64 s[6:7], exec
	v_readlane_b32 s10, v59, 6
	v_readlane_b32 s11, v59, 7
	s_and_b64 s[10:11], s[6:7], s[10:11]
	s_mov_b64 exec, s[10:11]
; %bb.35:                               ;   in Loop: Header=BB60_7 Depth=1
	v_mov_b32_e32 v4, s24
	v_mov_b32_e32 v5, s25
	ds_write_b64 v3, v[4:5] offset:5120
; %bb.36:                               ;   in Loop: Header=BB60_7 Depth=1
	s_or_b64 exec, exec, s[6:7]
	s_mov_b64 s[6:7], -1
	s_waitcnt lgkmcnt(0)
	s_barrier
.LBB60_37:                              ;   in Loop: Header=BB60_7 Depth=1
	s_and_b64 vcc, exec, s[6:7]
	s_cbranch_vccz .LBB60_39
; %bb.38:                               ;   in Loop: Header=BB60_7 Depth=1
	ds_read_b64 v[4:5], v3 offset:5120
	s_waitcnt lgkmcnt(0)
	v_readfirstlane_b32 s22, v4
.LBB60_39:                              ;   in Loop: Header=BB60_7 Depth=1
	s_cmp_lt_i32 s22, 1
	s_mov_b64 s[6:7], -1
                                        ; implicit-def: $vgpr4_vgpr5
                                        ; implicit-def: $vgpr8_vgpr9
	s_cbranch_scc1 .LBB60_49
; %bb.40:                               ;   in Loop: Header=BB60_7 Depth=1
	s_and_b64 vcc, exec, s[6:7]
	s_cbranch_vccnz .LBB60_63
.LBB60_41:                              ;   in Loop: Header=BB60_7 Depth=1
	s_lshl_b32 s10, s9, 6
	s_and_saveexec_b64 s[6:7], s[4:5]
	s_cbranch_execz .LBB60_43
.LBB60_42:                              ;   in Loop: Header=BB60_7 Depth=1
	v_lshl_add_u32 v2, s10, 3, v38
	ds_write_b128 v2, v[4:7]
	ds_write_b128 v2, v[8:11] offset:16
.LBB60_43:                              ;   in Loop: Header=BB60_7 Depth=1
	s_or_b64 exec, exec, s[6:7]
	s_waitcnt lgkmcnt(0)
	s_barrier
	s_and_saveexec_b64 s[6:7], s[48:49]
	s_cbranch_execz .LBB60_81
; %bb.44:                               ;   in Loop: Header=BB60_7 Depth=1
	v_readlane_b32 s12, v59, 18
	v_mov_b32_e32 v4, 0
	v_readlane_b32 s13, v59, 19
	v_mov_b32_e32 v5, 0
	s_andn2_b64 vcc, exec, s[12:13]
	s_cbranch_vccnz .LBB60_80
; %bb.45:                               ;   in Loop: Header=BB60_7 Depth=1
	v_readlane_b32 s12, v59, 22
	v_readlane_b32 s13, v59, 23
	s_andn2_b64 vcc, exec, s[12:13]
	s_cbranch_vccnz .LBB60_76
; %bb.46:                               ;   in Loop: Header=BB60_7 Depth=1
	v_mov_b32_e32 v4, 0
	v_lshl_add_u32 v2, s9, 9, v41
	v_mov_b32_e32 v5, 0
	s_mov_b32 s11, 0
.LBB60_47:                              ;   Parent Loop BB60_7 Depth=1
                                        ; =>  This Inner Loop Header: Depth=2
	ds_read2_b64 v[6:9], v2 offset1:4
	ds_read2_b64 v[26:29], v2 offset0:8 offset1:12
	ds_read2_b64 v[51:54], v2 offset0:16 offset1:20
	;; [unrolled: 1-line block ×3, first 2 shown]
	s_add_i32 s11, s11, 8
	s_waitcnt lgkmcnt(3)
	v_add_co_u32_e32 v4, vcc, v6, v4
	v_addc_co_u32_e32 v5, vcc, v7, v5, vcc
	v_add_co_u32_e32 v4, vcc, v8, v4
	v_addc_co_u32_e32 v5, vcc, v9, v5, vcc
	s_waitcnt lgkmcnt(2)
	v_add_co_u32_e32 v4, vcc, v26, v4
	v_addc_co_u32_e32 v5, vcc, v27, v5, vcc
	v_add_co_u32_e32 v4, vcc, v28, v4
	v_addc_co_u32_e32 v5, vcc, v29, v5, vcc
	;; [unrolled: 5-line block ×3, first 2 shown]
	s_waitcnt lgkmcnt(0)
	v_add_co_u32_e32 v4, vcc, v55, v4
	v_addc_co_u32_e32 v5, vcc, v56, v5, vcc
	v_add_co_u32_e32 v4, vcc, v57, v4
	v_add_u32_e32 v2, 0x100, v2
	s_cmp_eq_u32 s2, s11
	v_addc_co_u32_e32 v5, vcc, v58, v5, vcc
	s_cbranch_scc0 .LBB60_47
; %bb.48:                               ;   in Loop: Header=BB60_7 Depth=1
	s_mov_b32 s11, s2
	s_branch .LBB60_77
.LBB60_49:                              ;   in Loop: Header=BB60_7 Depth=1
	global_load_ushort v2, v3, s[54:55]
	s_mov_b32 s6, s47
	s_waitcnt vmcnt(0)
	v_readfirstlane_b32 s7, v2
	s_and_b32 s23, s7, 0xffff
	s_lshl_b32 s10, s23, 2
	s_mov_b32 s7, s25
	s_cmp_lg_u64 s[6:7], 0
	s_cbranch_scc0 .LBB60_72
; %bb.50:                               ;   in Loop: Header=BB60_7 Depth=1
	s_add_u32 s6, s10, 0
	s_addc_u32 s7, 0, 0
	s_xor_b64 s[6:7], s[6:7], 0
	v_cvt_f32_u32_e32 v2, s6
	v_cvt_f32_u32_e32 v4, s7
	s_sub_u32 s11, 0, s6
	s_subb_u32 s14, 0, s7
	v_mac_f32_e32 v2, 0x4f800000, v4
	v_rcp_f32_e32 v2, v2
	v_mul_f32_e32 v2, 0x5f7ffffc, v2
	v_mul_f32_e32 v4, 0x2f800000, v2
	v_trunc_f32_e32 v4, v4
	v_mac_f32_e32 v2, 0xcf800000, v4
	v_cvt_u32_f32_e32 v4, v4
	v_cvt_u32_f32_e32 v2, v2
	v_readfirstlane_b32 s15, v4
	v_readfirstlane_b32 s12, v2
	s_mul_i32 s13, s11, s15
	s_mul_hi_u32 s19, s11, s12
	s_mul_i32 s18, s14, s12
	s_add_i32 s13, s19, s13
	s_mul_i32 s20, s11, s12
	s_add_i32 s13, s13, s18
	s_mul_i32 s19, s12, s13
	s_mul_hi_u32 s21, s12, s20
	s_mul_hi_u32 s18, s12, s13
	s_add_u32 s19, s21, s19
	s_addc_u32 s18, 0, s18
	s_mul_hi_u32 s26, s15, s20
	s_mul_i32 s20, s15, s20
	s_add_u32 s19, s19, s20
	s_mul_hi_u32 s21, s15, s13
	s_addc_u32 s18, s18, s26
	s_addc_u32 s19, s21, 0
	s_mul_i32 s13, s15, s13
	s_add_u32 s13, s18, s13
	s_addc_u32 s18, 0, s19
	s_add_u32 s19, s12, s13
	s_cselect_b64 s[12:13], -1, 0
	s_cmp_lg_u64 s[12:13], 0
	s_addc_u32 s15, s15, s18
	s_mul_i32 s12, s11, s15
	s_mul_hi_u32 s13, s11, s19
	s_add_i32 s12, s13, s12
	s_mul_i32 s14, s14, s19
	s_add_i32 s12, s12, s14
	s_mul_i32 s11, s11, s19
	s_mul_hi_u32 s14, s15, s11
	s_mul_i32 s18, s15, s11
	s_mul_i32 s21, s19, s12
	s_mul_hi_u32 s11, s19, s11
	s_mul_hi_u32 s20, s19, s12
	s_add_u32 s11, s11, s21
	s_addc_u32 s20, 0, s20
	s_add_u32 s11, s11, s18
	s_mul_hi_u32 s13, s15, s12
	s_addc_u32 s11, s20, s14
	s_addc_u32 s13, s13, 0
	s_mul_i32 s12, s15, s12
	s_add_u32 s11, s11, s12
	s_addc_u32 s14, 0, s13
	s_add_u32 s11, s19, s11
	s_cselect_b64 s[12:13], -1, 0
	s_cmp_lg_u64 s[12:13], 0
	s_addc_u32 s18, s15, s14
	s_ashr_i32 s12, s25, 31
	s_add_u32 s14, s24, s12
	s_mov_b32 s13, s12
	s_addc_u32 s15, s25, s12
	s_xor_b64 s[14:15], s[14:15], s[12:13]
	s_mul_i32 s20, s14, s18
	s_mul_hi_u32 s21, s14, s11
	s_mul_hi_u32 s19, s14, s18
	s_add_u32 s20, s21, s20
	s_addc_u32 s19, 0, s19
	s_mul_hi_u32 s26, s15, s11
	s_mul_i32 s11, s15, s11
	s_add_u32 s11, s20, s11
	s_mul_hi_u32 s21, s15, s18
	s_addc_u32 s11, s19, s26
	s_addc_u32 s19, s21, 0
	s_mul_i32 s18, s15, s18
	s_add_u32 s11, s11, s18
	s_addc_u32 s18, 0, s19
	s_mul_i32 s18, s6, s18
	s_mul_hi_u32 s19, s6, s11
	s_add_i32 s18, s19, s18
	s_mul_i32 s19, s7, s11
	s_add_i32 s26, s18, s19
	s_sub_i32 s20, s15, s26
	s_mul_i32 s11, s6, s11
	s_sub_u32 s11, s14, s11
	s_cselect_b64 s[18:19], -1, 0
	s_cmp_lg_u64 s[18:19], 0
	s_subb_u32 s14, s20, s7
	s_sub_u32 s27, s11, s6
	s_cselect_b64 s[20:21], -1, 0
	s_cmp_lg_u64 s[20:21], 0
	s_subb_u32 s28, s14, 0
	s_cmp_ge_u32 s28, s7
	s_cselect_b32 s29, -1, 0
	s_cmp_ge_u32 s27, s6
	s_cselect_b32 s36, -1, 0
	s_cmp_eq_u32 s28, s7
	s_cselect_b32 s29, s36, s29
	s_cmp_lg_u64 s[20:21], 0
	s_subb_u32 s14, s14, s7
	s_sub_u32 s36, s27, s6
	s_cselect_b64 s[20:21], -1, 0
	s_cmp_lg_u64 s[20:21], 0
	s_subb_u32 s14, s14, 0
	s_cmp_lg_u32 s29, 0
	s_cselect_b32 s20, s36, s27
	s_cselect_b32 s14, s14, s28
	s_cmp_lg_u64 s[18:19], 0
	s_subb_u32 s15, s15, s26
	s_cmp_ge_u32 s15, s7
	s_cselect_b32 s18, -1, 0
	s_cmp_ge_u32 s11, s6
	s_cselect_b32 s6, -1, 0
	s_cmp_eq_u32 s15, s7
	s_cselect_b32 s6, s6, s18
	s_cmp_lg_u32 s6, 0
	s_cselect_b32 s7, s14, s15
	s_cselect_b32 s6, s20, s11
	s_xor_b64 s[6:7], s[6:7], s[12:13]
	s_sub_u32 s26, s6, s12
	s_subb_u32 s27, s7, s12
	s_cbranch_execnz .LBB60_52
.LBB60_51:                              ;   in Loop: Header=BB60_7 Depth=1
	v_cvt_f32_u32_e32 v2, s10
	s_sub_i32 s6, 0, s10
	v_rcp_iflag_f32_e32 v2, v2
	v_mul_f32_e32 v2, 0x4f7ffffe, v2
	v_cvt_u32_f32_e32 v2, v2
	v_readfirstlane_b32 s7, v2
	s_mul_i32 s6, s6, s7
	s_mul_hi_u32 s6, s7, s6
	s_add_i32 s7, s7, s6
	s_mul_hi_u32 s6, s24, s7
	s_mul_i32 s6, s6, s10
	s_sub_i32 s6, s24, s6
	s_sub_i32 s7, s6, s10
	s_cmp_ge_u32 s6, s10
	s_cselect_b32 s6, s7, s6
	s_sub_i32 s7, s6, s10
	s_cmp_ge_u32 s6, s10
	s_cselect_b32 s46, s7, s6
	s_mov_b64 s[26:27], s[46:47]
.LBB60_52:                              ;   in Loop: Header=BB60_7 Depth=1
	s_sub_u32 s78, s24, s26
	s_subb_u32 s79, s25, s27
	v_cmp_gt_i64_e32 vcc, s[78:79], v[20:21]
	v_mov_b32_e32 v4, 0
	v_mov_b32_e32 v6, 0
	;; [unrolled: 1-line block ×8, first 2 shown]
	s_and_saveexec_b64 s[80:81], vcc
	s_cbranch_execz .LBB60_56
; %bb.53:                               ;   in Loop: Header=BB60_7 Depth=1
	s_mul_i32 s6, s63, s23
	s_mul_hi_u32 s7, s62, s23
	v_mov_b32_e32 v27, v21
	s_add_i32 s11, s7, s6
	s_mov_b64 s[82:83], 0
	s_mov_b64 s[84:85], s[42:43]
	;; [unrolled: 1-line block ×6, first 2 shown]
	v_mov_b32_e32 v26, v20
.LBB60_54:                              ;   Parent Loop BB60_7 Depth=1
                                        ; =>  This Inner Loop Header: Depth=2
	v_add_co_u32_e32 v4, vcc, s84, v22
	v_mov_b32_e32 v2, s85
	v_addc_co_u32_e32 v5, vcc, v2, v23, vcc
	global_load_ushort v6, v[4:5], off
	v_add_co_u32_e32 v4, vcc, s84, v19
	v_addc_co_u32_e32 v5, vcc, v2, v36, vcc
	global_load_ushort v7, v[4:5], off
	v_add_co_u32_e32 v4, vcc, s84, v18
	;; [unrolled: 3-line block ×3, first 2 shown]
	v_addc_co_u32_e32 v5, vcc, v2, v34, vcc
	global_load_ushort v2, v[4:5], off
	s_waitcnt vmcnt(3)
	v_cmp_lt_i16_e32 vcc, -1, v6
	v_cndmask_b32_e32 v4, v45, v46, vcc
	v_cmp_o_f16_e32 vcc, v6, v6
	v_xor_b32_sdwa v4, v4, v6 dst_sel:DWORD dst_unused:UNUSED_PAD src0_sel:DWORD src1_sel:WORD_0
	v_cndmask_b32_e32 v4, v45, v4, vcc
	s_waitcnt vmcnt(2)
	v_cmp_lt_i16_e32 vcc, -1, v7
	v_cndmask_b32_e32 v5, v45, v46, vcc
	v_cmp_o_f16_e32 vcc, v7, v7
	v_xor_b32_sdwa v5, v5, v7 dst_sel:DWORD dst_unused:UNUSED_PAD src0_sel:DWORD src1_sel:WORD_0
	v_cndmask_b32_e32 v5, v45, v5, vcc
	;; [unrolled: 6-line block ×3, first 2 shown]
	s_waitcnt vmcnt(0)
	v_cmp_lt_i16_e32 vcc, -1, v2
	v_cndmask_b32_e32 v7, v45, v46, vcc
	v_cmp_o_f16_e32 vcc, v2, v2
	v_xor_b32_sdwa v2, v7, v2 dst_sel:DWORD dst_unused:UNUSED_PAD src0_sel:DWORD src1_sel:WORD_0
	v_and_b32_e32 v7, v4, v49
	v_bfe_u32 v4, v4, s8, 2
	v_cndmask_b32_e32 v2, v45, v2, vcc
	v_cmp_eq_u32_e32 vcc, v7, v42
	v_and_b32_e32 v7, v5, v49
	v_bfe_u32 v5, v5, s8, 2
	v_cmp_eq_u32_e64 s[20:21], 0, v4
	v_cmp_eq_u32_e64 s[6:7], v7, v42
	v_and_b32_e32 v7, v6, v49
	v_bfe_u32 v6, v6, s8, 2
	s_and_b64 s[12:13], vcc, s[20:21]
	v_cmp_eq_u32_e64 s[20:21], 0, v5
	v_cmp_eq_u32_e64 s[14:15], v7, v42
	v_and_b32_e32 v7, v2, v49
	v_bfe_u32 v2, v2, s8, 2
	s_and_b64 s[28:29], s[6:7], s[20:21]
	v_cmp_eq_u32_e64 s[20:21], 0, v6
	v_cmp_eq_u32_e64 s[18:19], v7, v42
	s_and_b64 s[36:37], s[14:15], s[20:21]
	v_cmp_eq_u32_e64 s[20:21], 0, v2
	v_cndmask_b32_e64 v7, 0, 1, s[12:13]
	s_and_b64 s[38:39], s[18:19], s[20:21]
	v_cmp_ne_u32_e64 s[20:21], 0, v7
	v_cndmask_b32_e64 v7, 0, 1, s[28:29]
	s_bcnt1_i32_b64 s12, s[20:21]
	v_cmp_ne_u32_e64 s[20:21], 0, v7
	v_cndmask_b32_e64 v7, 0, 1, s[36:37]
	s_bcnt1_i32_b64 s13, s[20:21]
	;; [unrolled: 3-line block ×3, first 2 shown]
	v_cmp_ne_u32_e64 s[20:21], 0, v7
	s_bcnt1_i32_b64 s20, s[20:21]
	s_add_u32 s12, s12, s92
	s_addc_u32 s21, 0, s93
	s_add_u32 s12, s12, s13
	s_addc_u32 s13, s21, 0
	;; [unrolled: 2-line block ×3, first 2 shown]
	s_add_u32 s92, s12, s20
	v_cmp_eq_u32_e64 s[20:21], 1, v4
	s_addc_u32 s93, s13, 0
	s_and_b64 s[12:13], vcc, s[20:21]
	v_cmp_eq_u32_e64 s[20:21], 1, v5
	s_and_b64 s[28:29], s[6:7], s[20:21]
	v_cmp_eq_u32_e64 s[20:21], 1, v6
	s_and_b64 s[36:37], s[14:15], s[20:21]
	v_cmp_eq_u32_e64 s[20:21], 1, v2
	v_cndmask_b32_e64 v7, 0, 1, s[12:13]
	s_and_b64 s[38:39], s[18:19], s[20:21]
	v_cmp_ne_u32_e64 s[20:21], 0, v7
	v_cndmask_b32_e64 v7, 0, 1, s[28:29]
	s_bcnt1_i32_b64 s12, s[20:21]
	v_cmp_ne_u32_e64 s[20:21], 0, v7
	v_cndmask_b32_e64 v7, 0, 1, s[36:37]
	s_bcnt1_i32_b64 s13, s[20:21]
	;; [unrolled: 3-line block ×3, first 2 shown]
	v_cmp_ne_u32_e64 s[20:21], 0, v7
	s_bcnt1_i32_b64 s20, s[20:21]
	s_add_u32 s12, s12, s90
	s_addc_u32 s21, 0, s91
	s_add_u32 s12, s12, s13
	s_addc_u32 s13, s21, 0
	;; [unrolled: 2-line block ×3, first 2 shown]
	s_add_u32 s90, s12, s20
	v_cmp_eq_u32_e64 s[20:21], 2, v4
	s_addc_u32 s91, s13, 0
	s_and_b64 s[12:13], vcc, s[20:21]
	v_cmp_eq_u32_e64 s[20:21], 2, v5
	s_and_b64 s[28:29], s[6:7], s[20:21]
	v_cmp_eq_u32_e64 s[20:21], 2, v6
	s_and_b64 s[36:37], s[14:15], s[20:21]
	v_cmp_eq_u32_e64 s[20:21], 2, v2
	v_cndmask_b32_e64 v7, 0, 1, s[12:13]
	s_and_b64 s[38:39], s[18:19], s[20:21]
	v_cmp_ne_u32_e64 s[20:21], 0, v7
	v_cndmask_b32_e64 v7, 0, 1, s[28:29]
	s_bcnt1_i32_b64 s12, s[20:21]
	v_cmp_ne_u32_e64 s[20:21], 0, v7
	v_cndmask_b32_e64 v7, 0, 1, s[36:37]
	s_bcnt1_i32_b64 s13, s[20:21]
	;; [unrolled: 3-line block ×3, first 2 shown]
	v_cmp_ne_u32_e64 s[20:21], 0, v7
	s_bcnt1_i32_b64 s20, s[20:21]
	s_add_u32 s12, s12, s88
	s_addc_u32 s21, 0, s89
	s_add_u32 s12, s12, s13
	s_addc_u32 s13, s21, 0
	;; [unrolled: 2-line block ×3, first 2 shown]
	s_add_u32 s88, s12, s20
	v_cmp_eq_u32_e64 s[20:21], 3, v4
	s_addc_u32 s89, s13, 0
	s_and_b64 s[12:13], vcc, s[20:21]
	v_cmp_eq_u32_e32 vcc, 3, v5
	s_and_b64 s[6:7], s[6:7], vcc
	v_cmp_eq_u32_e32 vcc, 3, v6
	s_and_b64 s[14:15], s[14:15], vcc
	v_cmp_eq_u32_e32 vcc, 3, v2
	v_cndmask_b32_e64 v2, 0, 1, s[12:13]
	s_and_b64 s[18:19], s[18:19], vcc
	v_cmp_ne_u32_e32 vcc, 0, v2
	v_cndmask_b32_e64 v2, 0, 1, s[6:7]
	s_bcnt1_i32_b64 s12, vcc
	v_cmp_ne_u32_e32 vcc, 0, v2
	v_cndmask_b32_e64 v2, 0, 1, s[14:15]
	s_bcnt1_i32_b64 s6, vcc
	;; [unrolled: 3-line block ×3, first 2 shown]
	v_cmp_ne_u32_e32 vcc, 0, v2
	s_bcnt1_i32_b64 s13, vcc
	s_add_u32 s12, s12, s86
	s_addc_u32 s14, 0, s87
	s_add_u32 s6, s12, s6
	s_addc_u32 s12, s14, 0
	s_add_u32 s6, s6, s7
	s_addc_u32 s7, s12, 0
	s_add_u32 s86, s6, s13
	v_add_co_u32_e32 v26, vcc, s10, v26
	s_addc_u32 s87, s7, 0
	v_addc_co_u32_e32 v27, vcc, 0, v27, vcc
	s_mul_i32 s6, s62, s23
	s_add_u32 s84, s84, s6
	v_cmp_le_i64_e32 vcc, s[78:79], v[26:27]
	s_addc_u32 s85, s85, s11
	v_mov_b32_e32 v4, s92
	v_mov_b32_e32 v6, s90
	;; [unrolled: 1-line block ×4, first 2 shown]
	s_or_b64 s[82:83], vcc, s[82:83]
	v_mov_b32_e32 v5, s93
	v_mov_b32_e32 v7, s91
	;; [unrolled: 1-line block ×4, first 2 shown]
	s_andn2_b64 exec, exec, s[82:83]
	s_cbranch_execnz .LBB60_54
; %bb.55:                               ;   in Loop: Header=BB60_7 Depth=1
	s_or_b64 exec, exec, s[82:83]
.LBB60_56:                              ;   in Loop: Header=BB60_7 Depth=1
	s_or_b64 exec, exec, s[80:81]
	v_mov_b32_e32 v2, s79
	v_add_co_u32_e32 v26, vcc, s78, v0
	v_addc_co_u32_e32 v27, vcc, 0, v2, vcc
	v_cmp_gt_i64_e32 vcc, s[24:25], v[26:27]
	s_and_saveexec_b64 s[14:15], vcc
	s_cbranch_execz .LBB60_62
; %bb.57:                               ;   in Loop: Header=BB60_7 Depth=1
	v_mul_lo_u32 v2, v27, s30
	v_mul_lo_u32 v51, v26, s31
	v_mad_u64_u32 v[28:29], s[6:7], v26, s30, 0
	s_mul_i32 s19, s60, s23
	s_mov_b64 s[10:11], 0
	v_add3_u32 v29, v29, v51, v2
	v_lshlrev_b64 v[28:29], 1, v[28:29]
	v_mov_b32_e32 v2, s43
	v_add_co_u32_e32 v28, vcc, s42, v28
	v_addc_co_u32_e32 v29, vcc, v2, v29, vcc
	global_load_ushort v51, v[28:29], off
	v_add_co_u32_e32 v2, vcc, s23, v39
	v_addc_co_u32_e32 v28, vcc, 0, v40, vcc
	v_mov_b32_e32 v29, s27
	v_subrev_co_u32_e32 v2, vcc, s26, v2
	v_subb_co_u32_e32 v28, vcc, v28, v29, vcc
	v_mul_lo_u32 v52, s60, v28
	v_mov_b32_e32 v28, s42
	v_mov_b32_e32 v29, s43
	v_mul_lo_u32 v53, s61, v2
	v_mad_u64_u32 v[28:29], s[6:7], s60, v2, v[28:29]
	s_mul_i32 s6, s61, s23
	s_mul_hi_u32 s7, s60, s23
	v_add3_u32 v29, v53, v29, v52
	s_add_i32 s18, s7, s6
	s_branch .LBB60_59
.LBB60_58:                              ;   in Loop: Header=BB60_59 Depth=2
	s_or_b64 exec, exec, s[12:13]
	s_and_b64 s[6:7], exec, vcc
	s_waitcnt vmcnt(0)
	v_cmp_lt_i16_e32 vcc, -1, v51
	v_cndmask_b32_e32 v52, v45, v46, vcc
	v_xor_b32_sdwa v52, v52, v51 dst_sel:DWORD dst_unused:UNUSED_PAD src0_sel:DWORD src1_sel:WORD_0
	v_cmp_o_f16_e32 vcc, v51, v51
	v_cndmask_b32_e32 v51, v45, v52, vcc
	v_and_b32_e32 v52, v51, v49
	v_bfe_u32 v51, v51, s8, 2
	s_or_b64 s[10:11], s[6:7], s[10:11]
	v_cmp_eq_u32_e32 vcc, v52, v42
	v_cmp_eq_u32_e64 s[6:7], 0, v51
	s_and_b64 s[6:7], vcc, s[6:7]
	v_cndmask_b32_e64 v52, 0, 1, s[6:7]
	v_cmp_ne_u32_e64 s[6:7], 0, v52
	s_bcnt1_i32_b64 s6, s[6:7]
	v_add_co_u32_e64 v4, s[6:7], s6, v4
	v_addc_co_u32_e64 v5, s[6:7], 0, v5, s[6:7]
	v_cmp_eq_u32_e64 s[6:7], 1, v51
	s_and_b64 s[6:7], vcc, s[6:7]
	v_cndmask_b32_e64 v52, 0, 1, s[6:7]
	v_cmp_ne_u32_e64 s[6:7], 0, v52
	s_bcnt1_i32_b64 s6, s[6:7]
	v_add_co_u32_e64 v6, s[6:7], s6, v6
	v_addc_co_u32_e64 v7, s[6:7], 0, v7, s[6:7]
	v_cmp_eq_u32_e64 s[6:7], 2, v51
	s_and_b64 s[6:7], vcc, s[6:7]
	v_cndmask_b32_e64 v52, 0, 1, s[6:7]
	v_cmp_ne_u32_e64 s[6:7], 0, v52
	s_bcnt1_i32_b64 s6, s[6:7]
	v_add_co_u32_e64 v8, s[6:7], s6, v8
	v_addc_co_u32_e64 v9, s[6:7], 0, v9, s[6:7]
	v_cmp_eq_u32_e64 s[6:7], 3, v51
	s_and_b64 s[6:7], vcc, s[6:7]
	v_cndmask_b32_e64 v51, 0, 1, s[6:7]
	v_cmp_ne_u32_e32 vcc, 0, v51
	s_bcnt1_i32_b64 s6, vcc
	v_add_co_u32_e32 v10, vcc, s6, v10
	v_addc_co_u32_e32 v11, vcc, 0, v11, vcc
	v_mov_b32_e32 v51, s18
	v_add_co_u32_e32 v28, vcc, s19, v28
	v_addc_co_u32_e32 v29, vcc, v29, v51, vcc
	v_mov_b32_e32 v51, v2
	s_andn2_b64 exec, exec, s[10:11]
	s_cbranch_execz .LBB60_61
.LBB60_59:                              ;   Parent Loop BB60_7 Depth=1
                                        ; =>  This Inner Loop Header: Depth=2
	v_add_co_u32_e32 v26, vcc, s23, v26
	v_addc_co_u32_e32 v27, vcc, 0, v27, vcc
	v_cmp_gt_i64_e64 s[6:7], s[24:25], v[26:27]
	v_cmp_le_i64_e32 vcc, s[24:25], v[26:27]
	v_mov_b32_e32 v2, 0
	s_and_saveexec_b64 s[12:13], s[6:7]
	s_cbranch_execz .LBB60_58
; %bb.60:                               ;   in Loop: Header=BB60_59 Depth=2
	global_load_ushort v2, v[28:29], off
	s_branch .LBB60_58
.LBB60_61:                              ;   in Loop: Header=BB60_7 Depth=1
	s_or_b64 exec, exec, s[10:11]
.LBB60_62:                              ;   in Loop: Header=BB60_7 Depth=1
	s_or_b64 exec, exec, s[14:15]
	s_branch .LBB60_41
.LBB60_63:                              ;   in Loop: Header=BB60_7 Depth=1
	global_load_ushort v2, v3, s[54:55]
	v_mov_b32_e32 v8, 0
	v_mov_b32_e32 v9, 0
	s_waitcnt vmcnt(0)
	v_readfirstlane_b32 s6, v2
	s_and_b32 s10, 0xffff, s6
	s_lshl_b32 s11, s10, 2
	v_cvt_f32_u32_e32 v4, s11
	s_sub_i32 s6, 0, s11
	v_rcp_iflag_f32_e32 v6, v4
	v_mov_b32_e32 v4, 0
	v_mov_b32_e32 v5, 0
	v_mul_f32_e32 v6, 0x4f7ffffe, v6
	v_cvt_u32_f32_e32 v10, v6
	v_mov_b32_e32 v6, 0
	v_mov_b32_e32 v7, 0
	v_readfirstlane_b32 s7, v10
	s_mul_i32 s6, s6, s7
	s_mul_hi_u32 s6, s7, s6
	s_add_i32 s7, s7, s6
	s_mul_hi_u32 s6, s22, s7
	s_mul_i32 s7, s6, s11
	s_sub_i32 s7, s22, s7
	s_add_i32 s12, s6, 1
	s_sub_i32 s13, s7, s11
	s_cmp_ge_u32 s7, s11
	s_cselect_b32 s6, s12, s6
	s_cselect_b32 s7, s13, s7
	s_add_i32 s12, s6, 1
	s_cmp_ge_u32 s7, s11
	s_cselect_b32 s6, s12, s6
	s_mul_hi_u32 s27, s10, s6
	s_mul_i32 s26, s10, s6
	s_lshl_b64 s[78:79], s[26:27], 2
	v_cmp_gt_u64_e32 vcc, s[78:79], v[20:21]
	v_mov_b32_e32 v10, 0
	v_mov_b32_e32 v11, 0
	s_and_saveexec_b64 s[80:81], vcc
	s_cbranch_execz .LBB60_67
; %bb.64:                               ;   in Loop: Header=BB60_7 Depth=1
	v_mov_b32_e32 v27, v21
	s_lshl_b32 s12, s10, 3
	s_mov_b64 s[82:83], 0
	v_mov_b32_e32 v28, v32
	s_mov_b64 s[84:85], 0
	s_mov_b64 s[86:87], 0
	;; [unrolled: 1-line block ×4, first 2 shown]
	v_mov_b32_e32 v26, v20
.LBB60_65:                              ;   Parent Loop BB60_7 Depth=1
                                        ; =>  This Inner Loop Header: Depth=2
	ds_read_b64 v[4:5], v28
	v_add_u32_e32 v28, s12, v28
	s_waitcnt lgkmcnt(0)
	v_cmp_lt_i16_e32 vcc, -1, v4
	v_cndmask_b32_e32 v6, v45, v46, vcc
	v_cmp_o_f16_e32 vcc, v4, v4
	v_xor_b32_sdwa v6, v6, v4 dst_sel:DWORD dst_unused:UNUSED_PAD src0_sel:DWORD src1_sel:WORD_0
	v_cndmask_b32_e32 v6, v45, v6, vcc
	v_cmp_gt_i16_sdwa vcc, v4, v47 src0_sel:WORD_1 src1_sel:DWORD
	v_cndmask_b32_e32 v7, v45, v46, vcc
	v_cmp_o_f16_sdwa vcc, v4, v4 src0_sel:WORD_1 src1_sel:WORD_1
	v_xor_b32_sdwa v4, v7, v4 dst_sel:DWORD dst_unused:UNUSED_PAD src0_sel:DWORD src1_sel:WORD_1
	v_cndmask_b32_e32 v4, v45, v4, vcc
	v_cmp_lt_i16_e32 vcc, -1, v5
	v_cndmask_b32_e32 v7, v45, v46, vcc
	v_cmp_o_f16_e32 vcc, v5, v5
	v_xor_b32_sdwa v7, v7, v5 dst_sel:DWORD dst_unused:UNUSED_PAD src0_sel:DWORD src1_sel:WORD_0
	v_cndmask_b32_e32 v7, v45, v7, vcc
	v_cmp_gt_i16_sdwa vcc, v5, v47 src0_sel:WORD_1 src1_sel:DWORD
	v_cndmask_b32_e32 v8, v45, v46, vcc
	v_cmp_o_f16_sdwa vcc, v5, v5 src0_sel:WORD_1 src1_sel:WORD_1
	v_xor_b32_sdwa v5, v8, v5 dst_sel:DWORD dst_unused:UNUSED_PAD src0_sel:DWORD src1_sel:WORD_1
	v_and_b32_e32 v8, v6, v49
	v_bfe_u32 v6, v6, s8, 2
	v_cndmask_b32_e32 v5, v45, v5, vcc
	v_cmp_eq_u32_e32 vcc, v8, v42
	v_and_b32_e32 v8, v4, v49
	v_bfe_u32 v4, v4, s8, 2
	v_cmp_eq_u32_e64 s[20:21], 0, v6
	v_cmp_eq_u32_e64 s[6:7], v8, v42
	v_and_b32_e32 v8, v7, v49
	v_bfe_u32 v7, v7, s8, 2
	s_and_b64 s[28:29], vcc, s[20:21]
	v_cmp_eq_u32_e64 s[20:21], 0, v4
	v_cmp_eq_u32_e64 s[14:15], v8, v42
	v_and_b32_e32 v8, v5, v49
	v_bfe_u32 v5, v5, s8, 2
	s_and_b64 s[36:37], s[6:7], s[20:21]
	v_cmp_eq_u32_e64 s[20:21], 0, v7
	v_cmp_eq_u32_e64 s[18:19], v8, v42
	s_and_b64 s[38:39], s[14:15], s[20:21]
	v_cmp_eq_u32_e64 s[20:21], 0, v5
	v_cndmask_b32_e64 v8, 0, 1, s[28:29]
	s_and_b64 s[40:41], s[18:19], s[20:21]
	v_cmp_ne_u32_e64 s[20:21], 0, v8
	v_cndmask_b32_e64 v8, 0, 1, s[36:37]
	s_bcnt1_i32_b64 s13, s[20:21]
	v_cmp_ne_u32_e64 s[20:21], 0, v8
	v_cndmask_b32_e64 v8, 0, 1, s[38:39]
	s_bcnt1_i32_b64 s23, s[20:21]
	;; [unrolled: 3-line block ×3, first 2 shown]
	v_cmp_ne_u32_e64 s[20:21], 0, v8
	s_bcnt1_i32_b64 s20, s[20:21]
	s_add_u32 s13, s13, s90
	s_addc_u32 s21, 0, s91
	s_add_u32 s13, s13, s23
	s_addc_u32 s21, s21, 0
	;; [unrolled: 2-line block ×4, first 2 shown]
	v_cmp_eq_u32_e64 s[20:21], 1, v6
	s_and_b64 s[28:29], vcc, s[20:21]
	v_cmp_eq_u32_e64 s[20:21], 1, v4
	s_and_b64 s[36:37], s[6:7], s[20:21]
	v_cmp_eq_u32_e64 s[20:21], 1, v7
	s_and_b64 s[38:39], s[14:15], s[20:21]
	v_cmp_eq_u32_e64 s[20:21], 1, v5
	v_cndmask_b32_e64 v8, 0, 1, s[28:29]
	s_and_b64 s[40:41], s[18:19], s[20:21]
	v_cmp_ne_u32_e64 s[20:21], 0, v8
	v_cndmask_b32_e64 v8, 0, 1, s[36:37]
	s_bcnt1_i32_b64 s13, s[20:21]
	v_cmp_ne_u32_e64 s[20:21], 0, v8
	v_cndmask_b32_e64 v8, 0, 1, s[38:39]
	s_bcnt1_i32_b64 s23, s[20:21]
	;; [unrolled: 3-line block ×3, first 2 shown]
	v_cmp_ne_u32_e64 s[20:21], 0, v8
	s_bcnt1_i32_b64 s20, s[20:21]
	s_add_u32 s13, s13, s88
	s_addc_u32 s21, 0, s89
	s_add_u32 s13, s13, s23
	s_addc_u32 s21, s21, 0
	;; [unrolled: 2-line block ×4, first 2 shown]
	v_cmp_eq_u32_e64 s[20:21], 2, v6
	s_and_b64 s[28:29], vcc, s[20:21]
	v_cmp_eq_u32_e64 s[20:21], 2, v4
	s_and_b64 s[36:37], s[6:7], s[20:21]
	v_cmp_eq_u32_e64 s[20:21], 2, v7
	s_and_b64 s[38:39], s[14:15], s[20:21]
	v_cmp_eq_u32_e64 s[20:21], 2, v5
	v_cndmask_b32_e64 v8, 0, 1, s[28:29]
	s_and_b64 s[40:41], s[18:19], s[20:21]
	v_cmp_ne_u32_e64 s[20:21], 0, v8
	v_cndmask_b32_e64 v8, 0, 1, s[36:37]
	s_bcnt1_i32_b64 s13, s[20:21]
	v_cmp_ne_u32_e64 s[20:21], 0, v8
	v_cndmask_b32_e64 v8, 0, 1, s[38:39]
	s_bcnt1_i32_b64 s23, s[20:21]
	;; [unrolled: 3-line block ×3, first 2 shown]
	v_cmp_ne_u32_e64 s[20:21], 0, v8
	s_bcnt1_i32_b64 s20, s[20:21]
	s_add_u32 s13, s13, s86
	s_addc_u32 s21, 0, s87
	s_add_u32 s13, s13, s23
	s_addc_u32 s21, s21, 0
	;; [unrolled: 2-line block ×4, first 2 shown]
	v_cmp_eq_u32_e64 s[20:21], 3, v6
	s_and_b64 s[20:21], vcc, s[20:21]
	v_cmp_eq_u32_e32 vcc, 3, v4
	s_and_b64 s[6:7], s[6:7], vcc
	v_cmp_eq_u32_e32 vcc, 3, v7
	s_and_b64 s[14:15], s[14:15], vcc
	v_cmp_eq_u32_e32 vcc, 3, v5
	v_cndmask_b32_e64 v4, 0, 1, s[20:21]
	s_and_b64 s[18:19], s[18:19], vcc
	v_cmp_ne_u32_e32 vcc, 0, v4
	v_cndmask_b32_e64 v4, 0, 1, s[6:7]
	s_bcnt1_i32_b64 s13, vcc
	v_cmp_ne_u32_e32 vcc, 0, v4
	v_cndmask_b32_e64 v4, 0, 1, s[14:15]
	s_bcnt1_i32_b64 s6, vcc
	;; [unrolled: 3-line block ×3, first 2 shown]
	v_cmp_ne_u32_e32 vcc, 0, v4
	s_bcnt1_i32_b64 s14, vcc
	s_add_u32 s13, s13, s84
	s_addc_u32 s15, 0, s85
	s_add_u32 s6, s13, s6
	s_addc_u32 s13, s15, 0
	s_add_u32 s6, s6, s7
	v_add_co_u32_e32 v26, vcc, s11, v26
	s_addc_u32 s7, s13, 0
	v_addc_co_u32_e32 v27, vcc, 0, v27, vcc
	s_add_u32 s84, s6, s14
	v_cmp_le_u64_e32 vcc, s[78:79], v[26:27]
	s_addc_u32 s85, s7, 0
	v_mov_b32_e32 v4, s90
	v_mov_b32_e32 v6, s88
	;; [unrolled: 1-line block ×4, first 2 shown]
	s_or_b64 s[82:83], vcc, s[82:83]
	v_mov_b32_e32 v5, s91
	v_mov_b32_e32 v7, s89
	;; [unrolled: 1-line block ×4, first 2 shown]
	s_andn2_b64 exec, exec, s[82:83]
	s_cbranch_execnz .LBB60_65
; %bb.66:                               ;   in Loop: Header=BB60_7 Depth=1
	s_or_b64 exec, exec, s[82:83]
.LBB60_67:                              ;   in Loop: Header=BB60_7 Depth=1
	s_or_b64 exec, exec, s[80:81]
	v_mov_b32_e32 v27, s79
	v_add_co_u32_e32 v26, vcc, s78, v0
	s_and_b32 s46, s22, 0x7fffffff
	v_addc_co_u32_e32 v27, vcc, 0, v27, vcc
	v_cmp_gt_u64_e32 vcc, s[46:47], v[26:27]
	s_and_saveexec_b64 s[28:29], vcc
	s_cbranch_execz .LBB60_71
; %bb.68:                               ;   in Loop: Header=BB60_7 Depth=1
	v_lshl_add_u32 v28, s26, 3, v43
	s_lshl_b32 s10, s10, 1
	s_mov_b64 s[26:27], 0
.LBB60_69:                              ;   Parent Loop BB60_7 Depth=1
                                        ; =>  This Inner Loop Header: Depth=2
	ds_read_u16 v29, v28
	v_add_co_u32_sdwa v26, vcc, v26, v2 dst_sel:DWORD dst_unused:UNUSED_PAD src0_sel:DWORD src1_sel:WORD_0
	v_addc_co_u32_e32 v27, vcc, 0, v27, vcc
	s_waitcnt lgkmcnt(0)
	v_cmp_lt_i16_e64 s[6:7], -1, v29
	v_cndmask_b32_e64 v51, v45, v46, s[6:7]
	v_xor_b32_sdwa v51, v51, v29 dst_sel:DWORD dst_unused:UNUSED_PAD src0_sel:DWORD src1_sel:WORD_0
	v_cmp_o_f16_e64 s[6:7], v29, v29
	v_cndmask_b32_e64 v29, v45, v51, s[6:7]
	v_and_b32_e32 v51, v29, v49
	v_bfe_u32 v29, v29, s8, 2
	v_cmp_eq_u32_e64 s[6:7], v51, v42
	v_cmp_eq_u32_e64 s[14:15], 0, v29
	;; [unrolled: 1-line block ×3, first 2 shown]
	s_and_b64 s[12:13], s[6:7], s[14:15]
	v_cmp_eq_u32_e64 s[20:21], 2, v29
	v_cmp_eq_u32_e64 s[22:23], 3, v29
	v_cndmask_b32_e64 v29, 0, 1, s[12:13]
	s_and_b64 s[12:13], s[6:7], s[18:19]
	v_cndmask_b32_e64 v51, 0, 1, s[12:13]
	s_and_b64 s[12:13], s[6:7], s[20:21]
	s_and_b64 s[6:7], s[6:7], s[22:23]
	v_cndmask_b32_e64 v53, 0, 1, s[6:7]
	v_cmp_ne_u32_e64 s[6:7], 0, v29
	s_bcnt1_i32_b64 s6, s[6:7]
	v_cmp_ne_u32_e64 s[14:15], 0, v51
	v_add_co_u32_e64 v4, s[6:7], s6, v4
	v_cndmask_b32_e64 v52, 0, 1, s[12:13]
	s_bcnt1_i32_b64 s11, s[14:15]
	v_addc_co_u32_e64 v5, s[6:7], 0, v5, s[6:7]
	v_cmp_le_u64_e32 vcc, s[46:47], v[26:27]
	v_cmp_ne_u32_e64 s[18:19], 0, v52
	v_cmp_ne_u32_e64 s[20:21], 0, v53
	v_add_co_u32_e64 v6, s[6:7], s11, v6
	s_bcnt1_i32_b64 s12, s[18:19]
	s_bcnt1_i32_b64 s13, s[20:21]
	v_addc_co_u32_e64 v7, s[6:7], 0, v7, s[6:7]
	v_add_co_u32_e64 v8, s[6:7], s12, v8
	s_or_b64 s[26:27], vcc, s[26:27]
	v_add_co_u32_e32 v10, vcc, s13, v10
	v_add_u32_e32 v28, s10, v28
	v_addc_co_u32_e64 v9, s[6:7], 0, v9, s[6:7]
	v_addc_co_u32_e32 v11, vcc, 0, v11, vcc
	s_andn2_b64 exec, exec, s[26:27]
	s_cbranch_execnz .LBB60_69
; %bb.70:                               ;   in Loop: Header=BB60_7 Depth=1
	s_or_b64 exec, exec, s[26:27]
.LBB60_71:                              ;   in Loop: Header=BB60_7 Depth=1
	s_or_b64 exec, exec, s[28:29]
	s_lshl_b32 s10, s9, 6
	s_and_saveexec_b64 s[6:7], s[4:5]
	s_cbranch_execnz .LBB60_42
	s_branch .LBB60_43
.LBB60_72:                              ;   in Loop: Header=BB60_7 Depth=1
                                        ; implicit-def: $sgpr26_sgpr27
	s_branch .LBB60_51
.LBB60_73:                              ;   in Loop: Header=BB60_7 Depth=1
	s_or_b64 exec, exec, s[20:21]
	s_waitcnt lgkmcnt(0)
	s_barrier
	s_mov_b64 s[6:7], exec
	v_readlane_b32 s10, v59, 6
	v_readlane_b32 s11, v59, 7
	s_and_b64 s[10:11], s[6:7], s[10:11]
	s_mov_b64 exec, s[10:11]
	s_cbranch_execz .LBB60_75
; %bb.74:                               ;   in Loop: Header=BB60_7 Depth=1
	ds_read_b32 v4, v3 offset:5136
	s_waitcnt lgkmcnt(0)
	v_ashrrev_i32_e32 v5, 31, v4
	ds_write_b64 v3, v[4:5] offset:5120
.LBB60_75:                              ;   in Loop: Header=BB60_7 Depth=1
	s_or_b64 exec, exec, s[6:7]
	s_waitcnt lgkmcnt(0)
	s_barrier
	s_mov_b64 s[6:7], -1
	s_and_b64 vcc, exec, s[18:19]
	s_cbranch_vccnz .LBB60_22
	s_branch .LBB60_37
.LBB60_76:                              ;   in Loop: Header=BB60_7 Depth=1
	v_mov_b32_e32 v4, 0
	v_mov_b32_e32 v5, 0
	s_mov_b32 s11, 0
.LBB60_77:                              ;   in Loop: Header=BB60_7 Depth=1
	v_readlane_b32 s12, v59, 25
	v_readlane_b32 s13, v59, 26
	s_andn2_b64 vcc, exec, s[12:13]
	s_cbranch_vccnz .LBB60_80
; %bb.78:                               ;   in Loop: Header=BB60_7 Depth=1
	s_lshl_b32 s12, s9, 9
	s_lshl_b32 s11, s11, 5
	s_add_i32 s12, s12, s11
	v_add_u32_e32 v2, s12, v41
	v_readlane_b32 s11, v59, 24
.LBB60_79:                              ;   Parent Loop BB60_7 Depth=1
                                        ; =>  This Inner Loop Header: Depth=2
	ds_read_b64 v[6:7], v2
	s_add_i32 s11, s11, -1
	v_add_u32_e32 v2, 32, v2
	s_cmp_lg_u32 s11, 0
	s_waitcnt lgkmcnt(0)
	v_add_co_u32_e32 v4, vcc, v6, v4
	v_addc_co_u32_e32 v5, vcc, v7, v5, vcc
	s_cbranch_scc1 .LBB60_79
.LBB60_80:                              ;   in Loop: Header=BB60_7 Depth=1
	v_add_lshl_u32 v2, s10, v30, 3
	ds_write_b64 v2, v[4:5] offset:3072
.LBB60_81:                              ;   in Loop: Header=BB60_7 Depth=1
	s_or_b64 exec, exec, s[6:7]
	s_lshl_b32 s6, s10, 3
	v_mov_b32_e32 v2, s6
	s_waitcnt lgkmcnt(0)
	s_barrier
	ds_read_b128 v[8:11], v2 offset:3088
	ds_read_b128 v[4:7], v2 offset:3072
	v_cmp_eq_u64_e64 s[6:7], 1, v[24:25]
	s_lshl_b32 s50, 3, s8
	s_not_b32 s51, s50
	s_waitcnt lgkmcnt(1)
	v_readfirstlane_b32 s26, v8
	s_waitcnt lgkmcnt(0)
	v_cmp_eq_u64_e32 vcc, 1, v[4:5]
	v_readfirstlane_b32 s27, v9
	v_readfirstlane_b32 s14, v10
	;; [unrolled: 1-line block ×3, first 2 shown]
	s_and_b64 s[20:21], vcc, s[6:7]
	s_mov_b64 s[6:7], -1
	s_mov_b64 s[10:11], -1
                                        ; implicit-def: $sgpr36_sgpr37
                                        ; implicit-def: $sgpr28_sgpr29
	s_and_saveexec_b64 s[18:19], s[20:21]
	s_cbranch_execz .LBB60_115
; %bb.82:                               ;   in Loop: Header=BB60_7 Depth=1
	ds_read_b64 v[8:9], v3 offset:5120
	s_waitcnt lgkmcnt(0)
	s_barrier
	v_readfirstlane_b32 s22, v8
	v_readfirstlane_b32 s23, v9
	s_and_saveexec_b64 s[10:11], s[16:17]
; %bb.83:                               ;   in Loop: Header=BB60_7 Depth=1
	ds_write_b16 v44, v3
; %bb.84:                               ;   in Loop: Header=BB60_7 Depth=1
	s_or_b64 exec, exec, s[10:11]
	v_cmp_lt_i64_e64 s[10:11], s[22:23], 1
	v_and_b32_e32 v42, s51, v42
	v_or_b32_e32 v49, s50, v49
	s_mov_b64 s[28:29], -1
	s_mov_b64 s[36:37], 0
	s_and_b64 vcc, exec, s[10:11]
	s_mov_b64 s[38:39], 0
	s_mov_b64 s[40:41], -1
	s_waitcnt lgkmcnt(0)
	s_barrier
                                        ; implicit-def: $vgpr50
	s_cbranch_vccz .LBB60_99
; %bb.85:                               ;   in Loop: Header=BB60_7 Depth=1
	s_mov_b32 s52, s47
	s_cmp_lg_u64 s[52:53], 0
	s_cbranch_scc0 .LBB60_142
; %bb.86:                               ;   in Loop: Header=BB60_7 Depth=1
	s_add_u32 s10, s33, 0
	s_addc_u32 s11, 0, 0
	s_xor_b64 s[38:39], s[10:11], 0
	v_cvt_f32_u32_e32 v2, s38
	v_cvt_f32_u32_e32 v8, s39
	s_sub_u32 s12, 0, s38
	s_subb_u32 s13, 0, s39
	v_mac_f32_e32 v2, 0x4f800000, v8
	v_rcp_f32_e32 v2, v2
	v_mul_f32_e32 v2, 0x5f7ffffc, v2
	v_mul_f32_e32 v8, 0x2f800000, v2
	v_trunc_f32_e32 v8, v8
	v_mac_f32_e32 v2, 0xcf800000, v8
	v_cvt_u32_f32_e32 v8, v8
	v_cvt_u32_f32_e32 v2, v2
	v_readfirstlane_b32 s40, v8
	v_readfirstlane_b32 s10, v2
	s_mul_i32 s11, s12, s40
	s_mul_hi_u32 s46, s12, s10
	s_mul_i32 s41, s13, s10
	s_add_i32 s11, s46, s11
	s_mul_i32 s52, s12, s10
	s_add_i32 s11, s11, s41
	s_mul_i32 s46, s10, s11
	s_mul_hi_u32 s56, s10, s52
	s_mul_hi_u32 s41, s10, s11
	s_add_u32 s46, s56, s46
	s_addc_u32 s41, 0, s41
	s_mul_hi_u32 s57, s40, s52
	s_mul_i32 s52, s40, s52
	s_add_u32 s46, s46, s52
	s_mul_hi_u32 s56, s40, s11
	s_addc_u32 s41, s41, s57
	s_addc_u32 s46, s56, 0
	s_mul_i32 s11, s40, s11
	s_add_u32 s11, s41, s11
	s_addc_u32 s41, 0, s46
	s_add_u32 s46, s10, s11
	s_cselect_b64 s[10:11], -1, 0
	s_cmp_lg_u64 s[10:11], 0
	s_addc_u32 s40, s40, s41
	s_mul_i32 s10, s12, s40
	s_mul_hi_u32 s11, s12, s46
	s_add_i32 s10, s11, s10
	s_mul_i32 s13, s13, s46
	s_add_i32 s10, s10, s13
	s_mul_i32 s12, s12, s46
	s_mul_hi_u32 s13, s40, s12
	s_mul_i32 s41, s40, s12
	s_mul_i32 s56, s46, s10
	s_mul_hi_u32 s12, s46, s12
	s_mul_hi_u32 s52, s46, s10
	s_add_u32 s12, s12, s56
	s_addc_u32 s52, 0, s52
	s_add_u32 s12, s12, s41
	s_mul_hi_u32 s11, s40, s10
	s_addc_u32 s12, s52, s13
	s_addc_u32 s11, s11, 0
	s_mul_i32 s10, s40, s10
	s_add_u32 s10, s12, s10
	s_addc_u32 s12, 0, s11
	s_add_u32 s41, s46, s10
	s_cselect_b64 s[10:11], -1, 0
	s_cmp_lg_u64 s[10:11], 0
	s_addc_u32 s40, s40, s12
	s_ashr_i32 s12, s53, 31
	s_add_u32 s10, s3, s12
	s_mov_b32 s13, s12
	s_addc_u32 s11, s53, s12
	s_xor_b64 s[10:11], s[10:11], s[12:13]
	s_mul_i32 s52, s10, s40
	s_mul_hi_u32 s56, s10, s41
	s_mul_hi_u32 s46, s10, s40
	s_add_u32 s52, s56, s52
	s_addc_u32 s46, 0, s46
	s_mul_hi_u32 s57, s11, s41
	s_mul_i32 s41, s11, s41
	s_add_u32 s41, s52, s41
	s_mul_hi_u32 s56, s11, s40
	s_addc_u32 s41, s46, s57
	s_addc_u32 s46, s56, 0
	s_mul_i32 s40, s11, s40
	s_add_u32 s40, s41, s40
	s_addc_u32 s41, 0, s46
	s_mul_i32 s41, s38, s41
	s_mul_hi_u32 s46, s38, s40
	s_add_i32 s41, s46, s41
	s_mul_i32 s46, s39, s40
	s_add_i32 s46, s41, s46
	s_sub_i32 s52, s11, s46
	s_mul_i32 s40, s38, s40
	s_sub_u32 s10, s10, s40
	s_cselect_b64 s[40:41], -1, 0
	s_cmp_lg_u64 s[40:41], 0
	s_subb_u32 s52, s52, s39
	s_sub_u32 s58, s10, s38
	s_cselect_b64 s[56:57], -1, 0
	s_cmp_lg_u64 s[56:57], 0
	s_subb_u32 s59, s52, 0
	s_cmp_ge_u32 s59, s39
	s_cselect_b32 s78, -1, 0
	s_cmp_ge_u32 s58, s38
	s_cselect_b32 s79, -1, 0
	s_cmp_eq_u32 s59, s39
	s_cselect_b32 s78, s79, s78
	s_cmp_lg_u64 s[56:57], 0
	s_subb_u32 s52, s52, s39
	s_sub_u32 s79, s58, s38
	s_cselect_b64 s[56:57], -1, 0
	s_cmp_lg_u64 s[56:57], 0
	s_subb_u32 s52, s52, 0
	s_cmp_lg_u32 s78, 0
	s_cselect_b32 s56, s79, s58
	s_cselect_b32 s52, s52, s59
	s_cmp_lg_u64 s[40:41], 0
	s_subb_u32 s11, s11, s46
	s_cmp_ge_u32 s11, s39
	s_cselect_b32 s40, -1, 0
	s_cmp_ge_u32 s10, s38
	s_cselect_b32 s38, -1, 0
	s_cmp_eq_u32 s11, s39
	s_cselect_b32 s38, s38, s40
	s_cmp_lg_u32 s38, 0
	s_cselect_b32 s11, s52, s11
	s_cselect_b32 s10, s56, s10
	s_xor_b64 s[10:11], s[10:11], s[12:13]
	s_sub_u32 s10, s10, s12
	s_subb_u32 s11, s11, s12
	s_cbranch_execnz .LBB60_88
.LBB60_87:                              ;   in Loop: Header=BB60_7 Depth=1
	v_cvt_f32_u32_e32 v2, s33
	s_sub_i32 s10, 0, s33
	v_rcp_iflag_f32_e32 v2, v2
	v_mul_f32_e32 v2, 0x4f7ffffe, v2
	v_cvt_u32_f32_e32 v2, v2
	v_readfirstlane_b32 s11, v2
	s_mul_i32 s10, s10, s11
	s_mul_hi_u32 s10, s11, s10
	s_add_i32 s11, s11, s10
	s_mul_hi_u32 s10, s3, s11
	s_mul_i32 s10, s10, s33
	s_sub_i32 s10, s3, s10
	s_sub_i32 s11, s10, s33
	s_cmp_ge_u32 s10, s33
	s_cselect_b32 s10, s11, s10
	s_sub_i32 s11, s10, s33
	s_cmp_ge_u32 s10, s33
	s_cselect_b32 s46, s11, s10
	s_mov_b64 s[10:11], s[46:47]
.LBB60_88:                              ;   in Loop: Header=BB60_7 Depth=1
	s_sub_u32 s10, s3, s10
	s_subb_u32 s11, s53, s11
	v_cmp_gt_i64_e32 vcc, s[10:11], v[0:1]
	s_mov_b64 s[40:41], 0
	s_mov_b64 s[38:39], 0
                                        ; implicit-def: $vgpr50
	s_and_saveexec_b64 s[12:13], vcc
	s_cbranch_execz .LBB60_98
; %bb.89:                               ;   in Loop: Header=BB60_7 Depth=1
	v_mov_b32_e32 v8, v12
	v_mov_b32_e32 v11, v1
	;; [unrolled: 1-line block ×4, first 2 shown]
                                        ; implicit-def: $sgpr56_sgpr57
	s_branch .LBB60_93
.LBB60_90:                              ;   in Loop: Header=BB60_93 Depth=2
	s_or_b64 exec, exec, s[58:59]
	s_waitcnt lgkmcnt(0)
	s_barrier
	ds_read_b32 v2, v3 offset:3072
	s_waitcnt lgkmcnt(0)
	s_barrier
	v_cmp_neq_f16_e32 vcc, 0, v2
	s_cbranch_vccnz .LBB60_96
; %bb.91:                               ;   in Loop: Header=BB60_93 Depth=2
	v_add_co_u32_e32 v10, vcc, s33, v10
	v_addc_co_u32_e32 v11, vcc, 0, v11, vcc
	v_mov_b32_e32 v26, s45
	v_add_co_u32_e32 v8, vcc, s44, v8
	v_addc_co_u32_e32 v9, vcc, v9, v26, vcc
	v_cmp_le_i64_e32 vcc, s[10:11], v[10:11]
	s_mov_b64 s[58:59], 0
	s_orn2_b64 s[78:79], vcc, exec
.LBB60_92:                              ;   in Loop: Header=BB60_93 Depth=2
	s_and_b64 s[78:79], exec, s[78:79]
	s_or_b64 s[38:39], s[78:79], s[38:39]
	s_andn2_b64 s[56:57], s[56:57], exec
	s_and_b64 s[58:59], s[58:59], exec
	s_or_b64 s[56:57], s[56:57], s[58:59]
	s_andn2_b64 exec, exec, s[38:39]
	s_cbranch_execz .LBB60_97
.LBB60_93:                              ;   Parent Loop BB60_7 Depth=1
                                        ; =>  This Inner Loop Header: Depth=2
	v_cmp_gt_i64_e32 vcc, s[24:25], v[10:11]
	s_and_saveexec_b64 s[58:59], vcc
	s_cbranch_execz .LBB60_90
; %bb.94:                               ;   in Loop: Header=BB60_93 Depth=2
	global_load_ushort v2, v[8:9], off
	s_waitcnt vmcnt(0)
	v_cmp_lt_i16_e32 vcc, -1, v2
	v_cndmask_b32_e32 v26, v45, v46, vcc
	v_xor_b32_sdwa v26, v26, v2 dst_sel:DWORD dst_unused:UNUSED_PAD src0_sel:DWORD src1_sel:WORD_0
	v_cmp_o_f16_e32 vcc, v2, v2
	v_cndmask_b32_e32 v26, v45, v26, vcc
	v_and_b32_e32 v26, v26, v49
	v_cmp_eq_u32_e32 vcc, v26, v42
	s_and_b64 exec, exec, vcc
	s_cbranch_execz .LBB60_90
; %bb.95:                               ;   in Loop: Header=BB60_93 Depth=2
	v_perm_b32 v2, v2, s1, v48
	ds_write_b32 v3, v2 offset:3072
	s_branch .LBB60_90
.LBB60_96:                              ;   in Loop: Header=BB60_93 Depth=2
	s_mov_b64 s[78:79], -1
                                        ; implicit-def: $vgpr10_vgpr11
                                        ; implicit-def: $vgpr8_vgpr9
	s_mov_b64 s[58:59], -1
	s_branch .LBB60_92
.LBB60_97:                              ;   in Loop: Header=BB60_7 Depth=1
	s_or_b64 exec, exec, s[38:39]
	v_lshrrev_b32_e32 v50, 16, v2
	s_and_b64 s[38:39], s[56:57], exec
.LBB60_98:                              ;   in Loop: Header=BB60_7 Depth=1
	s_or_b64 exec, exec, s[12:13]
.LBB60_99:                              ;   in Loop: Header=BB60_7 Depth=1
	s_and_b64 vcc, exec, s[40:41]
	s_cbranch_vccz .LBB60_114
; %bb.100:                              ;   in Loop: Header=BB60_7 Depth=1
	v_readlane_b32 s10, v59, 20
	s_add_u32 s40, s22, s10
	v_readlane_b32 s10, v59, 21
	s_addc_u32 s29, s23, s10
	s_mov_b32 s28, s47
	s_cmp_lg_u64 s[28:29], 0
	s_cbranch_scc0 .LBB60_143
; %bb.101:                              ;   in Loop: Header=BB60_7 Depth=1
	s_add_u32 s10, s33, 0
	s_addc_u32 s11, 0, 0
	s_xor_b64 s[36:37], s[10:11], 0
	v_cvt_f32_u32_e32 v2, s36
	v_cvt_f32_u32_e32 v8, s37
	s_sub_u32 s12, 0, s36
	s_subb_u32 s13, 0, s37
	v_mac_f32_e32 v2, 0x4f800000, v8
	v_rcp_f32_e32 v2, v2
	v_mul_f32_e32 v2, 0x5f7ffffc, v2
	v_mul_f32_e32 v8, 0x2f800000, v2
	v_trunc_f32_e32 v8, v8
	v_mac_f32_e32 v2, 0xcf800000, v8
	v_cvt_u32_f32_e32 v8, v8
	v_cvt_u32_f32_e32 v2, v2
	v_readfirstlane_b32 s28, v8
	v_readfirstlane_b32 s10, v2
	s_mul_i32 s11, s12, s28
	s_mul_hi_u32 s46, s12, s10
	s_mul_i32 s41, s13, s10
	s_add_i32 s11, s46, s11
	s_mul_i32 s52, s12, s10
	s_add_i32 s11, s11, s41
	s_mul_i32 s46, s10, s11
	s_mul_hi_u32 s56, s10, s52
	s_mul_hi_u32 s41, s10, s11
	s_add_u32 s46, s56, s46
	s_addc_u32 s41, 0, s41
	s_mul_hi_u32 s57, s28, s52
	s_mul_i32 s52, s28, s52
	s_add_u32 s46, s46, s52
	s_mul_hi_u32 s56, s28, s11
	s_addc_u32 s41, s41, s57
	s_addc_u32 s46, s56, 0
	s_mul_i32 s11, s28, s11
	s_add_u32 s11, s41, s11
	s_addc_u32 s41, 0, s46
	s_add_u32 s46, s10, s11
	s_cselect_b64 s[10:11], -1, 0
	s_cmp_lg_u64 s[10:11], 0
	s_addc_u32 s28, s28, s41
	s_mul_i32 s10, s12, s28
	s_mul_hi_u32 s11, s12, s46
	s_add_i32 s10, s11, s10
	s_mul_i32 s13, s13, s46
	s_add_i32 s10, s10, s13
	s_mul_i32 s12, s12, s46
	s_mul_hi_u32 s13, s28, s12
	s_mul_i32 s41, s28, s12
	s_mul_i32 s56, s46, s10
	s_mul_hi_u32 s12, s46, s12
	s_mul_hi_u32 s52, s46, s10
	s_add_u32 s12, s12, s56
	s_addc_u32 s52, 0, s52
	s_add_u32 s12, s12, s41
	s_mul_hi_u32 s11, s28, s10
	s_addc_u32 s12, s52, s13
	s_addc_u32 s11, s11, 0
	s_mul_i32 s10, s28, s10
	s_add_u32 s10, s12, s10
	s_addc_u32 s12, 0, s11
	s_add_u32 s41, s46, s10
	s_cselect_b64 s[10:11], -1, 0
	s_cmp_lg_u64 s[10:11], 0
	s_addc_u32 s28, s28, s12
	s_ashr_i32 s12, s29, 31
	s_add_u32 s10, s40, s12
	s_mov_b32 s13, s12
	s_addc_u32 s11, s29, s12
	s_xor_b64 s[10:11], s[10:11], s[12:13]
	s_mul_i32 s52, s10, s28
	s_mul_hi_u32 s56, s10, s41
	s_mul_hi_u32 s46, s10, s28
	s_add_u32 s52, s56, s52
	s_addc_u32 s46, 0, s46
	s_mul_hi_u32 s57, s11, s41
	s_mul_i32 s41, s11, s41
	s_add_u32 s41, s52, s41
	s_mul_hi_u32 s56, s11, s28
	s_addc_u32 s41, s46, s57
	s_addc_u32 s46, s56, 0
	s_mul_i32 s28, s11, s28
	s_add_u32 s28, s41, s28
	s_addc_u32 s41, 0, s46
	s_mul_i32 s41, s36, s41
	s_mul_hi_u32 s46, s36, s28
	s_add_i32 s41, s46, s41
	s_mul_i32 s46, s37, s28
	s_add_i32 s41, s41, s46
	s_sub_i32 s46, s11, s41
	s_mul_i32 s28, s36, s28
	s_sub_u32 s10, s10, s28
	s_cselect_b64 s[56:57], -1, 0
	s_cmp_lg_u64 s[56:57], 0
	s_subb_u32 s28, s46, s37
	s_sub_u32 s46, s10, s36
	s_cselect_b64 s[58:59], -1, 0
	s_cmp_lg_u64 s[58:59], 0
	s_subb_u32 s52, s28, 0
	s_cmp_ge_u32 s52, s37
	s_cselect_b32 s78, -1, 0
	s_cmp_ge_u32 s46, s36
	s_cselect_b32 s79, -1, 0
	s_cmp_eq_u32 s52, s37
	s_cselect_b32 s78, s79, s78
	s_cmp_lg_u64 s[58:59], 0
	s_subb_u32 s28, s28, s37
	s_sub_u32 s79, s46, s36
	s_cselect_b64 s[58:59], -1, 0
	s_cmp_lg_u64 s[58:59], 0
	s_subb_u32 s28, s28, 0
	s_cmp_lg_u32 s78, 0
	s_cselect_b32 s46, s79, s46
	s_cselect_b32 s28, s28, s52
	s_cmp_lg_u64 s[56:57], 0
	s_subb_u32 s11, s11, s41
	s_cmp_ge_u32 s11, s37
	s_cselect_b32 s41, -1, 0
	s_cmp_ge_u32 s10, s36
	s_cselect_b32 s36, -1, 0
	s_cmp_eq_u32 s11, s37
	s_cselect_b32 s36, s36, s41
	s_cmp_lg_u32 s36, 0
	s_cselect_b32 s11, s28, s11
	s_cselect_b32 s10, s46, s10
	s_xor_b64 s[10:11], s[10:11], s[12:13]
	s_sub_u32 s10, s10, s12
	s_subb_u32 s11, s11, s12
	s_cbranch_execnz .LBB60_103
.LBB60_102:                             ;   in Loop: Header=BB60_7 Depth=1
	v_cvt_f32_u32_e32 v2, s33
	s_sub_i32 s10, 0, s33
	v_rcp_iflag_f32_e32 v2, v2
	v_mul_f32_e32 v2, 0x4f7ffffe, v2
	v_cvt_u32_f32_e32 v2, v2
	v_readfirstlane_b32 s11, v2
	s_mul_i32 s10, s10, s11
	s_mul_hi_u32 s10, s11, s10
	s_add_i32 s11, s11, s10
	s_mul_hi_u32 s10, s40, s11
	s_mul_i32 s10, s10, s33
	s_sub_i32 s10, s40, s10
	s_sub_i32 s11, s10, s33
	s_cmp_ge_u32 s10, s33
	s_cselect_b32 s10, s11, s10
	s_sub_i32 s11, s10, s33
	s_cmp_ge_u32 s10, s33
	s_cselect_b32 s46, s11, s10
	s_mov_b64 s[10:11], s[46:47]
.LBB60_103:                             ;   in Loop: Header=BB60_7 Depth=1
	s_sub_u32 s12, s40, s10
	s_subb_u32 s13, s29, s11
	v_cmp_gt_i64_e32 vcc, s[12:13], v[0:1]
                                        ; implicit-def: $vgpr50
	s_and_saveexec_b64 s[10:11], vcc
	s_cbranch_execz .LBB60_113
; %bb.104:                              ;   in Loop: Header=BB60_7 Depth=1
	v_mov_b32_e32 v9, v1
	s_mov_b64 s[28:29], 0
	v_mov_b32_e32 v2, v43
	v_mov_b32_e32 v8, v0
                                        ; implicit-def: $sgpr36_sgpr37
	s_branch .LBB60_108
.LBB60_105:                             ;   in Loop: Header=BB60_108 Depth=2
	s_or_b64 exec, exec, s[40:41]
	s_waitcnt lgkmcnt(0)
	s_barrier
	ds_read_b32 v10, v3 offset:3072
	s_waitcnt lgkmcnt(0)
	s_barrier
	v_cmp_neq_f16_e32 vcc, 0, v10
	s_cbranch_vccnz .LBB60_111
; %bb.106:                              ;   in Loop: Header=BB60_108 Depth=2
	v_add_co_u32_e32 v8, vcc, s33, v8
	v_addc_co_u32_e32 v9, vcc, 0, v9, vcc
	v_cmp_le_i64_e32 vcc, s[12:13], v[8:9]
	v_add_u32_e32 v2, s0, v2
	s_mov_b64 s[40:41], 0
	s_orn2_b64 s[56:57], vcc, exec
.LBB60_107:                             ;   in Loop: Header=BB60_108 Depth=2
	s_and_b64 s[56:57], exec, s[56:57]
	s_or_b64 s[28:29], s[56:57], s[28:29]
	s_andn2_b64 s[36:37], s[36:37], exec
	s_and_b64 s[40:41], s[40:41], exec
	s_or_b64 s[36:37], s[36:37], s[40:41]
	s_andn2_b64 exec, exec, s[28:29]
	s_cbranch_execz .LBB60_112
.LBB60_108:                             ;   Parent Loop BB60_7 Depth=1
                                        ; =>  This Inner Loop Header: Depth=2
	v_cmp_gt_u64_e32 vcc, s[22:23], v[8:9]
	s_and_saveexec_b64 s[40:41], vcc
	s_cbranch_execz .LBB60_105
; %bb.109:                              ;   in Loop: Header=BB60_108 Depth=2
	ds_read_u16 v10, v2
	s_waitcnt lgkmcnt(0)
	v_cmp_lt_i16_e32 vcc, -1, v10
	v_cndmask_b32_e32 v11, v45, v46, vcc
	v_xor_b32_sdwa v11, v11, v10 dst_sel:DWORD dst_unused:UNUSED_PAD src0_sel:DWORD src1_sel:WORD_0
	v_cmp_o_f16_e32 vcc, v10, v10
	v_cndmask_b32_e32 v11, v45, v11, vcc
	v_and_b32_e32 v11, v11, v49
	v_cmp_eq_u32_e32 vcc, v11, v42
	s_and_b64 exec, exec, vcc
	s_cbranch_execz .LBB60_105
; %bb.110:                              ;   in Loop: Header=BB60_108 Depth=2
	v_perm_b32 v10, v10, s1, v48
	ds_write_b32 v3, v10 offset:3072
	s_branch .LBB60_105
.LBB60_111:                             ;   in Loop: Header=BB60_108 Depth=2
	s_mov_b64 s[56:57], -1
                                        ; implicit-def: $vgpr8_vgpr9
                                        ; implicit-def: $vgpr2
	s_mov_b64 s[40:41], -1
	s_branch .LBB60_107
.LBB60_112:                             ;   in Loop: Header=BB60_7 Depth=1
	s_or_b64 exec, exec, s[28:29]
	s_andn2_b64 s[12:13], s[38:39], exec
	s_and_b64 s[22:23], s[36:37], exec
	v_lshrrev_b32_e32 v50, 16, v10
	s_or_b64 s[38:39], s[12:13], s[22:23]
.LBB60_113:                             ;   in Loop: Header=BB60_7 Depth=1
	s_or_b64 exec, exec, s[10:11]
	s_mov_b64 s[28:29], 0
	s_mov_b64 s[36:37], -1
.LBB60_114:                             ;   in Loop: Header=BB60_7 Depth=1
	s_orn2_b64 s[10:11], s[38:39], exec
.LBB60_115:                             ;   in Loop: Header=BB60_7 Depth=1
	s_or_b64 exec, exec, s[18:19]
	s_andn2_b64 s[12:13], s[76:77], exec
	s_and_b64 s[18:19], s[36:37], exec
	s_or_b64 s[76:77], s[12:13], s[18:19]
	s_andn2_b64 s[12:13], s[74:75], exec
	s_and_b64 s[18:19], s[28:29], exec
	s_andn2_b64 s[72:73], s[72:73], exec
	s_or_b64 s[74:75], s[12:13], s[18:19]
                                        ; implicit-def: $vgpr8_vgpr9
	s_and_saveexec_b64 s[18:19], s[10:11]
	s_cbranch_execz .LBB60_6
; %bb.116:                              ;   in Loop: Header=BB60_7 Depth=1
	v_mov_b32_e32 v8, 1
	s_xor_b64 s[10:11], s[20:21], -1
	v_mov_b32_e32 v2, 1
	v_mov_b32_e32 v9, 0
	s_mov_b64 s[12:13], 0
	s_and_saveexec_b64 s[6:7], s[10:11]
	s_cbranch_execz .LBB60_125
; %bb.117:                              ;   in Loop: Header=BB60_7 Depth=1
	v_cmp_le_i64_e32 vcc, v[24:25], v[4:5]
	s_and_saveexec_b64 s[10:11], vcc
	s_xor_b64 s[10:11], exec, s[10:11]
	s_cbranch_execz .LBB60_122
; %bb.118:                              ;   in Loop: Header=BB60_7 Depth=1
	ds_read_b64 v[8:9], v3 offset:5120
	v_and_b32_e32 v42, s51, v42
	v_or_b32_e32 v49, s50, v49
	s_waitcnt lgkmcnt(0)
	v_cmp_ne_u64_e32 vcc, 0, v[8:9]
	s_cbranch_vccnz .LBB60_122
; %bb.119:                              ;   in Loop: Header=BB60_7 Depth=1
	s_mov_b64 s[12:13], exec
	v_readlane_b32 s20, v59, 6
	v_readlane_b32 s21, v59, 7
	s_and_b64 s[20:21], s[12:13], s[20:21]
	s_mov_b64 exec, s[20:21]
; %bb.120:                              ;   in Loop: Header=BB60_7 Depth=1
	ds_write_b64 v3, v[4:5] offset:5128
; %bb.121:                              ;   in Loop: Header=BB60_7 Depth=1
	s_or_b64 exec, exec, s[12:13]
	s_waitcnt lgkmcnt(0)
	s_barrier
.LBB60_122:                             ;   in Loop: Header=BB60_7 Depth=1
	s_or_saveexec_b64 s[10:11], s[10:11]
	s_mov_b64 s[12:13], 0
	v_mov_b32_e32 v2, 8
	s_xor_b64 exec, exec, s[10:11]
; %bb.123:                              ;   in Loop: Header=BB60_7 Depth=1
	v_sub_co_u32_e32 v24, vcc, v24, v4
	s_mov_b64 s[12:13], exec
	v_subb_co_u32_e32 v25, vcc, v25, v5, vcc
	v_mov_b32_e32 v2, 0
; %bb.124:                              ;   in Loop: Header=BB60_7 Depth=1
	s_or_b64 exec, exec, s[10:11]
	v_mov_b32_e32 v8, v24
	s_and_b64 s[12:13], s[12:13], exec
	v_mov_b32_e32 v9, v25
.LBB60_125:                             ;   in Loop: Header=BB60_7 Depth=1
	s_or_b64 exec, exec, s[6:7]
	s_mov_b64 s[20:21], -1
	s_mov_b64 s[10:11], -1
                                        ; implicit-def: $sgpr6_sgpr7
                                        ; implicit-def: $sgpr78_sgpr79
	s_and_saveexec_b64 s[22:23], s[12:13]
	s_xor_b64 s[22:23], exec, s[22:23]
	s_cbranch_execz .LBB60_273
; %bb.126:                              ;   in Loop: Header=BB60_7 Depth=1
	v_cmp_eq_u64_e32 vcc, 1, v[6:7]
	v_cmp_eq_u64_e64 s[6:7], 1, v[8:9]
                                        ; implicit-def: $sgpr78_sgpr79
	s_and_b64 s[82:83], vcc, s[6:7]
                                        ; implicit-def: $sgpr6_sgpr7
	s_and_saveexec_b64 s[80:81], s[82:83]
	s_cbranch_execz .LBB60_162
; %bb.127:                              ;   in Loop: Header=BB60_7 Depth=1
	ds_read_b64 v[4:5], v3 offset:5120
	s_waitcnt lgkmcnt(0)
	s_barrier
	v_readfirstlane_b32 s84, v4
	v_readfirstlane_b32 s85, v5
	s_and_saveexec_b64 s[6:7], s[16:17]
; %bb.128:                              ;   in Loop: Header=BB60_7 Depth=1
	ds_write_b16 v44, v3
; %bb.129:                              ;   in Loop: Header=BB60_7 Depth=1
	s_or_b64 exec, exec, s[6:7]
	v_cmp_gt_i64_e64 s[10:11], s[84:85], 0
	v_and_b32_e32 v4, s51, v42
	v_lshl_or_b32 v42, 1, s8, v4
	v_or_b32_e32 v49, s50, v49
	s_mov_b64 s[6:7], -1
	s_mov_b64 s[78:79], 0
	s_and_b64 vcc, exec, s[10:11]
	s_mov_b64 s[28:29], 0
	s_mov_b64 s[36:37], -1
	s_waitcnt lgkmcnt(0)
	s_barrier
                                        ; implicit-def: $vgpr50
	s_cbranch_vccnz .LBB60_146
; %bb.130:                              ;   in Loop: Header=BB60_7 Depth=1
	s_mov_b32 s52, s47
	s_cmp_lg_u64 s[52:53], 0
	s_cbranch_scc0 .LBB60_190
; %bb.131:                              ;   in Loop: Header=BB60_7 Depth=1
	s_add_u32 s10, s33, 0
	s_addc_u32 s11, 0, 0
	s_xor_b64 s[28:29], s[10:11], 0
	v_cvt_f32_u32_e32 v4, s28
	v_cvt_f32_u32_e32 v5, s29
	s_sub_u32 s12, 0, s28
	s_subb_u32 s13, 0, s29
	v_mac_f32_e32 v4, 0x4f800000, v5
	v_rcp_f32_e32 v4, v4
	v_mul_f32_e32 v4, 0x5f7ffffc, v4
	v_mul_f32_e32 v5, 0x2f800000, v4
	v_trunc_f32_e32 v5, v5
	v_mac_f32_e32 v4, 0xcf800000, v5
	v_cvt_u32_f32_e32 v5, v5
	v_cvt_u32_f32_e32 v4, v4
	v_readfirstlane_b32 s36, v5
	v_readfirstlane_b32 s10, v4
	s_mul_i32 s11, s12, s36
	s_mul_hi_u32 s38, s12, s10
	s_mul_i32 s37, s13, s10
	s_add_i32 s11, s38, s11
	s_mul_i32 s39, s12, s10
	s_add_i32 s11, s11, s37
	s_mul_i32 s38, s10, s11
	s_mul_hi_u32 s40, s10, s39
	s_mul_hi_u32 s37, s10, s11
	s_add_u32 s38, s40, s38
	s_addc_u32 s37, 0, s37
	s_mul_hi_u32 s41, s36, s39
	s_mul_i32 s39, s36, s39
	s_add_u32 s38, s38, s39
	s_mul_hi_u32 s40, s36, s11
	s_addc_u32 s37, s37, s41
	s_addc_u32 s38, s40, 0
	s_mul_i32 s11, s36, s11
	s_add_u32 s11, s37, s11
	s_addc_u32 s37, 0, s38
	s_add_u32 s38, s10, s11
	s_cselect_b64 s[10:11], -1, 0
	s_cmp_lg_u64 s[10:11], 0
	s_addc_u32 s36, s36, s37
	s_mul_i32 s10, s12, s36
	s_mul_hi_u32 s11, s12, s38
	s_add_i32 s10, s11, s10
	s_mul_i32 s13, s13, s38
	s_add_i32 s10, s10, s13
	s_mul_i32 s12, s12, s38
	s_mul_hi_u32 s13, s36, s12
	s_mul_i32 s37, s36, s12
	s_mul_i32 s40, s38, s10
	s_mul_hi_u32 s12, s38, s12
	s_mul_hi_u32 s39, s38, s10
	s_add_u32 s12, s12, s40
	s_addc_u32 s39, 0, s39
	s_add_u32 s12, s12, s37
	s_mul_hi_u32 s11, s36, s10
	s_addc_u32 s12, s39, s13
	s_addc_u32 s11, s11, 0
	s_mul_i32 s10, s36, s10
	s_add_u32 s10, s12, s10
	s_addc_u32 s12, 0, s11
	s_add_u32 s37, s38, s10
	s_cselect_b64 s[10:11], -1, 0
	s_cmp_lg_u64 s[10:11], 0
	s_addc_u32 s36, s36, s12
	s_ashr_i32 s12, s53, 31
	s_add_u32 s10, s3, s12
	s_mov_b32 s13, s12
	s_addc_u32 s11, s53, s12
	s_xor_b64 s[10:11], s[10:11], s[12:13]
	s_mul_i32 s39, s10, s36
	s_mul_hi_u32 s40, s10, s37
	s_mul_hi_u32 s38, s10, s36
	s_add_u32 s39, s40, s39
	s_addc_u32 s38, 0, s38
	s_mul_hi_u32 s41, s11, s37
	s_mul_i32 s37, s11, s37
	s_add_u32 s37, s39, s37
	s_mul_hi_u32 s40, s11, s36
	s_addc_u32 s37, s38, s41
	s_addc_u32 s38, s40, 0
	s_mul_i32 s36, s11, s36
	s_add_u32 s36, s37, s36
	s_addc_u32 s37, 0, s38
	s_mul_i32 s37, s28, s37
	s_mul_hi_u32 s38, s28, s36
	s_add_i32 s37, s38, s37
	s_mul_i32 s38, s29, s36
	s_add_i32 s40, s37, s38
	s_sub_i32 s38, s11, s40
	s_mul_i32 s36, s28, s36
	s_sub_u32 s10, s10, s36
	s_cselect_b64 s[36:37], -1, 0
	s_cmp_lg_u64 s[36:37], 0
	s_subb_u32 s41, s38, s29
	s_sub_u32 s46, s10, s28
	s_cselect_b64 s[38:39], -1, 0
	s_cmp_lg_u64 s[38:39], 0
	s_subb_u32 s52, s41, 0
	s_cmp_ge_u32 s52, s29
	s_cselect_b32 s56, -1, 0
	s_cmp_ge_u32 s46, s28
	s_cselect_b32 s57, -1, 0
	s_cmp_eq_u32 s52, s29
	s_cselect_b32 s56, s57, s56
	s_cmp_lg_u64 s[38:39], 0
	s_subb_u32 s41, s41, s29
	s_sub_u32 s57, s46, s28
	s_cselect_b64 s[38:39], -1, 0
	s_cmp_lg_u64 s[38:39], 0
	s_subb_u32 s38, s41, 0
	s_cmp_lg_u32 s56, 0
	s_cselect_b32 s39, s57, s46
	s_cselect_b32 s38, s38, s52
	s_cmp_lg_u64 s[36:37], 0
	s_subb_u32 s11, s11, s40
	s_cmp_ge_u32 s11, s29
	s_cselect_b32 s36, -1, 0
	s_cmp_ge_u32 s10, s28
	s_cselect_b32 s28, -1, 0
	s_cmp_eq_u32 s11, s29
	s_cselect_b32 s28, s28, s36
	s_cmp_lg_u32 s28, 0
	s_cselect_b32 s11, s38, s11
	s_cselect_b32 s10, s39, s10
	s_xor_b64 s[10:11], s[10:11], s[12:13]
	s_sub_u32 s10, s10, s12
	s_subb_u32 s11, s11, s12
	s_cbranch_execnz .LBB60_133
.LBB60_132:                             ;   in Loop: Header=BB60_7 Depth=1
	v_cvt_f32_u32_e32 v4, s33
	s_sub_i32 s10, 0, s33
	v_rcp_iflag_f32_e32 v4, v4
	v_mul_f32_e32 v4, 0x4f7ffffe, v4
	v_cvt_u32_f32_e32 v4, v4
	v_readfirstlane_b32 s11, v4
	s_mul_i32 s10, s10, s11
	s_mul_hi_u32 s10, s11, s10
	s_add_i32 s11, s11, s10
	s_mul_hi_u32 s10, s3, s11
	s_mul_i32 s10, s10, s33
	s_sub_i32 s10, s3, s10
	s_sub_i32 s11, s10, s33
	s_cmp_ge_u32 s10, s33
	s_cselect_b32 s10, s11, s10
	s_sub_i32 s11, s10, s33
	s_cmp_ge_u32 s10, s33
	s_cselect_b32 s46, s11, s10
	s_mov_b64 s[10:11], s[46:47]
.LBB60_133:                             ;   in Loop: Header=BB60_7 Depth=1
	s_sub_u32 s12, s3, s10
	s_subb_u32 s13, s53, s11
	v_cmp_gt_i64_e32 vcc, s[12:13], v[0:1]
	s_mov_b64 s[36:37], 0
	s_mov_b64 s[28:29], 0
                                        ; implicit-def: $vgpr50
	s_and_saveexec_b64 s[38:39], vcc
	s_cbranch_execz .LBB60_145
; %bb.134:                              ;   in Loop: Header=BB60_7 Depth=1
	v_mov_b32_e32 v4, v12
	v_mov_b32_e32 v11, v1
	s_mov_b64 s[10:11], 0
	v_mov_b32_e32 v5, v13
	v_mov_b32_e32 v10, v0
                                        ; implicit-def: $sgpr28_sgpr29
	s_branch .LBB60_138
.LBB60_135:                             ;   in Loop: Header=BB60_138 Depth=2
	s_or_b64 exec, exec, s[40:41]
	s_waitcnt lgkmcnt(0)
	s_barrier
	ds_read_b32 v24, v3 offset:3072
	s_waitcnt lgkmcnt(0)
	s_barrier
	v_cmp_neq_f16_e32 vcc, 0, v24
	s_cbranch_vccnz .LBB60_141
; %bb.136:                              ;   in Loop: Header=BB60_138 Depth=2
	v_add_co_u32_e32 v10, vcc, s33, v10
	v_addc_co_u32_e32 v11, vcc, 0, v11, vcc
	v_mov_b32_e32 v25, s45
	v_add_co_u32_e32 v4, vcc, s44, v4
	v_addc_co_u32_e32 v5, vcc, v5, v25, vcc
	v_cmp_le_i64_e32 vcc, s[12:13], v[10:11]
	s_mov_b64 s[40:41], 0
	s_orn2_b64 s[56:57], vcc, exec
.LBB60_137:                             ;   in Loop: Header=BB60_138 Depth=2
	s_and_b64 s[56:57], exec, s[56:57]
	s_or_b64 s[10:11], s[56:57], s[10:11]
	s_andn2_b64 s[28:29], s[28:29], exec
	s_and_b64 s[40:41], s[40:41], exec
	s_or_b64 s[28:29], s[28:29], s[40:41]
	s_andn2_b64 exec, exec, s[10:11]
	s_cbranch_execz .LBB60_144
.LBB60_138:                             ;   Parent Loop BB60_7 Depth=1
                                        ; =>  This Inner Loop Header: Depth=2
	v_cmp_gt_i64_e32 vcc, s[24:25], v[10:11]
	s_and_saveexec_b64 s[40:41], vcc
	s_cbranch_execz .LBB60_135
; %bb.139:                              ;   in Loop: Header=BB60_138 Depth=2
	global_load_ushort v24, v[4:5], off
	s_waitcnt vmcnt(0)
	v_cmp_lt_i16_e32 vcc, -1, v24
	v_cndmask_b32_e32 v25, v45, v46, vcc
	v_xor_b32_sdwa v25, v25, v24 dst_sel:DWORD dst_unused:UNUSED_PAD src0_sel:DWORD src1_sel:WORD_0
	v_cmp_o_f16_e32 vcc, v24, v24
	v_cndmask_b32_e32 v25, v45, v25, vcc
	v_and_b32_e32 v25, v25, v49
	v_cmp_eq_u32_e32 vcc, v25, v42
	s_and_b64 exec, exec, vcc
	s_cbranch_execz .LBB60_135
; %bb.140:                              ;   in Loop: Header=BB60_138 Depth=2
	v_perm_b32 v24, v24, s1, v48
	ds_write_b32 v3, v24 offset:3072
	s_branch .LBB60_135
.LBB60_141:                             ;   in Loop: Header=BB60_138 Depth=2
	s_mov_b64 s[56:57], -1
                                        ; implicit-def: $vgpr10_vgpr11
                                        ; implicit-def: $vgpr4_vgpr5
	s_mov_b64 s[40:41], -1
	s_branch .LBB60_137
.LBB60_142:                             ;   in Loop: Header=BB60_7 Depth=1
                                        ; implicit-def: $sgpr10_sgpr11
	s_branch .LBB60_87
.LBB60_143:                             ;   in Loop: Header=BB60_7 Depth=1
                                        ; implicit-def: $sgpr10_sgpr11
	s_branch .LBB60_102
.LBB60_144:                             ;   in Loop: Header=BB60_7 Depth=1
	s_or_b64 exec, exec, s[10:11]
	v_lshrrev_b32_e32 v50, 16, v24
	s_and_b64 s[28:29], s[28:29], exec
.LBB60_145:                             ;   in Loop: Header=BB60_7 Depth=1
	s_or_b64 exec, exec, s[38:39]
.LBB60_146:                             ;   in Loop: Header=BB60_7 Depth=1
	s_and_b64 vcc, exec, s[36:37]
	s_cbranch_vccz .LBB60_161
; %bb.147:                              ;   in Loop: Header=BB60_7 Depth=1
	v_readlane_b32 s6, v59, 20
	s_add_u32 s38, s84, s6
	v_readlane_b32 s6, v59, 21
	s_addc_u32 s7, s85, s6
	s_mov_b32 s6, s47
	s_cmp_lg_u64 s[6:7], 0
	s_cbranch_scc0 .LBB60_191
; %bb.148:                              ;   in Loop: Header=BB60_7 Depth=1
	s_add_u32 s10, s33, 0
	s_addc_u32 s11, 0, 0
	s_xor_b64 s[36:37], s[10:11], 0
	v_cvt_f32_u32_e32 v4, s36
	v_cvt_f32_u32_e32 v5, s37
	s_sub_u32 s6, 0, s36
	s_subb_u32 s12, 0, s37
	v_mac_f32_e32 v4, 0x4f800000, v5
	v_rcp_f32_e32 v4, v4
	v_mul_f32_e32 v4, 0x5f7ffffc, v4
	v_mul_f32_e32 v5, 0x2f800000, v4
	v_trunc_f32_e32 v5, v5
	v_mac_f32_e32 v4, 0xcf800000, v5
	v_cvt_u32_f32_e32 v5, v5
	v_cvt_u32_f32_e32 v4, v4
	v_readfirstlane_b32 s13, v5
	v_readfirstlane_b32 s10, v4
	s_mul_i32 s11, s6, s13
	s_mul_hi_u32 s40, s6, s10
	s_mul_i32 s39, s12, s10
	s_add_i32 s11, s40, s11
	s_mul_i32 s41, s6, s10
	s_add_i32 s11, s11, s39
	s_mul_i32 s40, s10, s11
	s_mul_hi_u32 s46, s10, s41
	s_mul_hi_u32 s39, s10, s11
	s_add_u32 s40, s46, s40
	s_addc_u32 s39, 0, s39
	s_mul_hi_u32 s52, s13, s41
	s_mul_i32 s41, s13, s41
	s_add_u32 s40, s40, s41
	s_mul_hi_u32 s46, s13, s11
	s_addc_u32 s39, s39, s52
	s_addc_u32 s40, s46, 0
	s_mul_i32 s11, s13, s11
	s_add_u32 s11, s39, s11
	s_addc_u32 s39, 0, s40
	s_add_u32 s40, s10, s11
	s_cselect_b64 s[10:11], -1, 0
	s_cmp_lg_u64 s[10:11], 0
	s_addc_u32 s13, s13, s39
	s_mul_i32 s10, s6, s13
	s_mul_hi_u32 s11, s6, s40
	s_add_i32 s10, s11, s10
	s_mul_i32 s12, s12, s40
	s_add_i32 s10, s10, s12
	s_mul_i32 s6, s6, s40
	s_mul_hi_u32 s12, s13, s6
	s_mul_i32 s39, s13, s6
	s_mul_i32 s46, s40, s10
	s_mul_hi_u32 s6, s40, s6
	s_mul_hi_u32 s41, s40, s10
	s_add_u32 s6, s6, s46
	s_addc_u32 s41, 0, s41
	s_add_u32 s6, s6, s39
	s_mul_hi_u32 s11, s13, s10
	s_addc_u32 s6, s41, s12
	s_addc_u32 s11, s11, 0
	s_mul_i32 s10, s13, s10
	s_add_u32 s6, s6, s10
	s_addc_u32 s12, 0, s11
	s_add_u32 s6, s40, s6
	s_cselect_b64 s[10:11], -1, 0
	s_cmp_lg_u64 s[10:11], 0
	s_addc_u32 s39, s13, s12
	s_ashr_i32 s12, s7, 31
	s_add_u32 s10, s38, s12
	s_mov_b32 s13, s12
	s_addc_u32 s11, s7, s12
	s_xor_b64 s[10:11], s[10:11], s[12:13]
	s_mul_i32 s41, s10, s39
	s_mul_hi_u32 s46, s10, s6
	s_mul_hi_u32 s40, s10, s39
	s_add_u32 s41, s46, s41
	s_addc_u32 s40, 0, s40
	s_mul_hi_u32 s52, s11, s6
	s_mul_i32 s6, s11, s6
	s_add_u32 s6, s41, s6
	s_mul_hi_u32 s46, s11, s39
	s_addc_u32 s6, s40, s52
	s_addc_u32 s40, s46, 0
	s_mul_i32 s39, s11, s39
	s_add_u32 s6, s6, s39
	s_addc_u32 s39, 0, s40
	s_mul_i32 s39, s36, s39
	s_mul_hi_u32 s40, s36, s6
	s_add_i32 s39, s40, s39
	s_mul_i32 s40, s37, s6
	s_add_i32 s39, s39, s40
	s_sub_i32 s46, s11, s39
	s_mul_i32 s6, s36, s6
	s_sub_u32 s6, s10, s6
	s_cselect_b64 s[40:41], -1, 0
	s_cmp_lg_u64 s[40:41], 0
	s_subb_u32 s10, s46, s37
	s_sub_u32 s46, s6, s36
	s_cselect_b64 s[56:57], -1, 0
	s_cmp_lg_u64 s[56:57], 0
	s_subb_u32 s52, s10, 0
	s_cmp_ge_u32 s52, s37
	s_cselect_b32 s58, -1, 0
	s_cmp_ge_u32 s46, s36
	s_cselect_b32 s59, -1, 0
	s_cmp_eq_u32 s52, s37
	s_cselect_b32 s58, s59, s58
	s_cmp_lg_u64 s[56:57], 0
	s_subb_u32 s10, s10, s37
	s_sub_u32 s59, s46, s36
	s_cselect_b64 s[56:57], -1, 0
	s_cmp_lg_u64 s[56:57], 0
	s_subb_u32 s10, s10, 0
	s_cmp_lg_u32 s58, 0
	s_cselect_b32 s46, s59, s46
	s_cselect_b32 s10, s10, s52
	s_cmp_lg_u64 s[40:41], 0
	s_subb_u32 s11, s11, s39
	s_cmp_ge_u32 s11, s37
	s_cselect_b32 s39, -1, 0
	s_cmp_ge_u32 s6, s36
	s_cselect_b32 s36, -1, 0
	s_cmp_eq_u32 s11, s37
	s_cselect_b32 s36, s36, s39
	s_cmp_lg_u32 s36, 0
	s_cselect_b32 s11, s10, s11
	s_cselect_b32 s10, s46, s6
	s_xor_b64 s[10:11], s[10:11], s[12:13]
	s_sub_u32 s10, s10, s12
	s_subb_u32 s11, s11, s12
	s_cbranch_execnz .LBB60_150
.LBB60_149:                             ;   in Loop: Header=BB60_7 Depth=1
	v_cvt_f32_u32_e32 v4, s33
	s_sub_i32 s6, 0, s33
	v_rcp_iflag_f32_e32 v4, v4
	v_mul_f32_e32 v4, 0x4f7ffffe, v4
	v_cvt_u32_f32_e32 v4, v4
	v_readfirstlane_b32 s10, v4
	s_mul_i32 s6, s6, s10
	s_mul_hi_u32 s6, s10, s6
	s_add_i32 s10, s10, s6
	s_mul_hi_u32 s6, s38, s10
	s_mul_i32 s6, s6, s33
	s_sub_i32 s6, s38, s6
	s_sub_i32 s10, s6, s33
	s_cmp_ge_u32 s6, s33
	s_cselect_b32 s6, s10, s6
	s_sub_i32 s10, s6, s33
	s_cmp_ge_u32 s6, s33
	s_cselect_b32 s46, s10, s6
	s_mov_b64 s[10:11], s[46:47]
.LBB60_150:                             ;   in Loop: Header=BB60_7 Depth=1
	s_sub_u32 s10, s38, s10
	s_subb_u32 s11, s7, s11
	v_cmp_gt_i64_e32 vcc, s[10:11], v[0:1]
                                        ; implicit-def: $vgpr50
	s_and_saveexec_b64 s[6:7], vcc
	s_cbranch_execz .LBB60_160
; %bb.151:                              ;   in Loop: Header=BB60_7 Depth=1
	v_mov_b32_e32 v5, v1
	s_mov_b64 s[12:13], 0
	v_mov_b32_e32 v10, v43
	v_mov_b32_e32 v4, v0
                                        ; implicit-def: $sgpr36_sgpr37
	s_branch .LBB60_155
.LBB60_152:                             ;   in Loop: Header=BB60_155 Depth=2
	s_or_b64 exec, exec, s[38:39]
	s_waitcnt lgkmcnt(0)
	s_barrier
	ds_read_b32 v11, v3 offset:3072
	s_waitcnt lgkmcnt(0)
	s_barrier
	v_cmp_eq_f16_e32 vcc, 0, v11
	s_cbranch_vccz .LBB60_158
; %bb.153:                              ;   in Loop: Header=BB60_155 Depth=2
	v_add_co_u32_e32 v4, vcc, s33, v4
	v_addc_co_u32_e32 v5, vcc, 0, v5, vcc
	v_cmp_le_i64_e32 vcc, s[10:11], v[4:5]
	v_add_u32_e32 v10, s0, v10
	s_mov_b64 s[38:39], 0
	s_orn2_b64 s[40:41], vcc, exec
.LBB60_154:                             ;   in Loop: Header=BB60_155 Depth=2
	s_and_b64 s[40:41], exec, s[40:41]
	s_or_b64 s[12:13], s[40:41], s[12:13]
	s_andn2_b64 s[36:37], s[36:37], exec
	s_and_b64 s[38:39], s[38:39], exec
	s_or_b64 s[36:37], s[36:37], s[38:39]
	s_andn2_b64 exec, exec, s[12:13]
	s_cbranch_execz .LBB60_159
.LBB60_155:                             ;   Parent Loop BB60_7 Depth=1
                                        ; =>  This Inner Loop Header: Depth=2
	v_cmp_gt_u64_e32 vcc, s[84:85], v[4:5]
	s_and_saveexec_b64 s[38:39], vcc
	s_cbranch_execz .LBB60_152
; %bb.156:                              ;   in Loop: Header=BB60_155 Depth=2
	ds_read_u16 v11, v10
	s_waitcnt lgkmcnt(0)
	v_cmp_lt_i16_e32 vcc, -1, v11
	v_cndmask_b32_e32 v24, v45, v46, vcc
	v_xor_b32_sdwa v24, v24, v11 dst_sel:DWORD dst_unused:UNUSED_PAD src0_sel:DWORD src1_sel:WORD_0
	v_cmp_o_f16_e32 vcc, v11, v11
	v_cndmask_b32_e32 v24, v45, v24, vcc
	v_and_b32_e32 v24, v24, v49
	v_cmp_eq_u32_e32 vcc, v24, v42
	s_and_b64 exec, exec, vcc
	s_cbranch_execz .LBB60_152
; %bb.157:                              ;   in Loop: Header=BB60_155 Depth=2
	v_perm_b32 v11, v11, s1, v48
	ds_write_b32 v3, v11 offset:3072
	s_branch .LBB60_152
.LBB60_158:                             ;   in Loop: Header=BB60_155 Depth=2
	s_mov_b64 s[40:41], -1
                                        ; implicit-def: $vgpr4_vgpr5
                                        ; implicit-def: $vgpr10
	s_mov_b64 s[38:39], -1
	s_branch .LBB60_154
.LBB60_159:                             ;   in Loop: Header=BB60_7 Depth=1
	s_or_b64 exec, exec, s[12:13]
	s_andn2_b64 s[10:11], s[28:29], exec
	s_and_b64 s[12:13], s[36:37], exec
	v_lshrrev_b32_e32 v50, 16, v11
	s_or_b64 s[28:29], s[10:11], s[12:13]
.LBB60_160:                             ;   in Loop: Header=BB60_7 Depth=1
	s_or_b64 exec, exec, s[6:7]
	s_mov_b64 s[6:7], 0
	s_mov_b64 s[78:79], -1
.LBB60_161:                             ;   in Loop: Header=BB60_7 Depth=1
	s_orn2_b64 s[10:11], s[28:29], exec
.LBB60_162:                             ;   in Loop: Header=BB60_7 Depth=1
	s_or_b64 exec, exec, s[80:81]
	s_mov_b64 s[12:13], 0
	s_and_saveexec_b64 s[80:81], s[10:11]
	s_cbranch_execz .LBB60_272
; %bb.163:                              ;   in Loop: Header=BB60_7 Depth=1
	v_mov_b32_e32 v4, 1
	s_xor_b64 s[10:11], s[82:83], -1
	v_mov_b32_e32 v2, 1
	v_mov_b32_e32 v5, 0
	s_and_saveexec_b64 s[28:29], s[10:11]
	s_cbranch_execz .LBB60_173
; %bb.164:                              ;   in Loop: Header=BB60_7 Depth=1
	v_cmp_le_i64_e32 vcc, v[8:9], v[6:7]
	s_and_saveexec_b64 s[10:11], vcc
	s_xor_b64 s[10:11], exec, s[10:11]
	s_cbranch_execz .LBB60_170
; %bb.165:                              ;   in Loop: Header=BB60_7 Depth=1
	ds_read_b64 v[4:5], v3 offset:5120
	v_and_b32_e32 v2, s51, v42
	v_lshl_or_b32 v42, 1, s8, v2
	v_or_b32_e32 v49, s50, v49
	s_waitcnt lgkmcnt(0)
	v_cmp_ne_u64_e32 vcc, 0, v[4:5]
	s_cbranch_vccnz .LBB60_169
; %bb.166:                              ;   in Loop: Header=BB60_7 Depth=1
	s_mov_b64 s[12:13], exec
	v_readlane_b32 s36, v59, 6
	v_readlane_b32 s37, v59, 7
	s_and_b64 s[36:37], s[12:13], s[36:37]
	s_mov_b64 exec, s[36:37]
; %bb.167:                              ;   in Loop: Header=BB60_7 Depth=1
	ds_write_b64 v3, v[6:7] offset:5128
; %bb.168:                              ;   in Loop: Header=BB60_7 Depth=1
	s_or_b64 exec, exec, s[12:13]
	s_waitcnt lgkmcnt(0)
	s_barrier
.LBB60_169:                             ;   in Loop: Header=BB60_7 Depth=1
                                        ; implicit-def: $vgpr4_vgpr5_vgpr6_vgpr7
.LBB60_170:                             ;   in Loop: Header=BB60_7 Depth=1
	s_or_saveexec_b64 s[10:11], s[10:11]
	s_mov_b64 s[12:13], 0
	v_mov_b32_e32 v2, 8
	s_xor_b64 exec, exec, s[10:11]
; %bb.171:                              ;   in Loop: Header=BB60_7 Depth=1
	v_sub_co_u32_e32 v8, vcc, v8, v6
	v_subb_co_u32_e32 v9, vcc, v9, v7, vcc
	v_mov_b32_e32 v2, 0
	s_mov_b64 s[12:13], exec
; %bb.172:                              ;   in Loop: Header=BB60_7 Depth=1
	s_or_b64 exec, exec, s[10:11]
	v_mov_b32_e32 v4, v8
	s_and_b64 s[12:13], s[12:13], exec
	v_mov_b32_e32 v5, v9
.LBB60_173:                             ;   in Loop: Header=BB60_7 Depth=1
	s_or_b64 exec, exec, s[28:29]
	s_mov_b64 s[10:11], -1
                                        ; implicit-def: $sgpr84_sgpr85
                                        ; implicit-def: $sgpr86_sgpr87
	s_and_saveexec_b64 s[82:83], s[12:13]
	s_cbranch_execz .LBB60_271
; %bb.174:                              ;   in Loop: Header=BB60_7 Depth=1
	s_cmp_eq_u64 s[26:27], 1
	v_cmp_eq_u64_e32 vcc, 1, v[4:5]
	s_cselect_b64 s[10:11], -1, 0
	s_and_b64 s[90:91], s[10:11], vcc
	s_mov_b64 s[10:11], -1
                                        ; implicit-def: $sgpr86_sgpr87
                                        ; implicit-def: $sgpr84_sgpr85
	s_and_saveexec_b64 s[88:89], s[90:91]
	s_cbranch_execz .LBB60_210
; %bb.175:                              ;   in Loop: Header=BB60_7 Depth=1
	ds_read_b64 v[6:7], v3 offset:5120
	s_waitcnt lgkmcnt(0)
	s_barrier
	v_readfirstlane_b32 s92, v6
	v_readfirstlane_b32 s93, v7
	s_and_saveexec_b64 s[10:11], s[16:17]
; %bb.176:                              ;   in Loop: Header=BB60_7 Depth=1
	ds_write_b16 v44, v3
; %bb.177:                              ;   in Loop: Header=BB60_7 Depth=1
	s_or_b64 exec, exec, s[10:11]
	v_cmp_gt_i64_e64 s[10:11], s[92:93], 0
	v_and_b32_e32 v6, s51, v42
	v_lshl_or_b32 v42, 2, s8, v6
	v_or_b32_e32 v49, s50, v49
	s_mov_b64 s[84:85], -1
	s_mov_b64 s[86:87], 0
	s_and_b64 vcc, exec, s[10:11]
	s_mov_b64 s[28:29], 0
	s_mov_b64 s[36:37], -1
	s_waitcnt lgkmcnt(0)
	s_barrier
                                        ; implicit-def: $vgpr50
	s_cbranch_vccnz .LBB60_194
; %bb.178:                              ;   in Loop: Header=BB60_7 Depth=1
	s_mov_b32 s52, s47
	s_cmp_lg_u64 s[52:53], 0
	s_cbranch_scc0 .LBB60_237
; %bb.179:                              ;   in Loop: Header=BB60_7 Depth=1
	s_add_u32 s10, s33, 0
	s_addc_u32 s11, 0, 0
	s_xor_b64 s[28:29], s[10:11], 0
	v_cvt_f32_u32_e32 v6, s28
	v_cvt_f32_u32_e32 v7, s29
	s_sub_u32 s12, 0, s28
	s_subb_u32 s13, 0, s29
	v_mac_f32_e32 v6, 0x4f800000, v7
	v_rcp_f32_e32 v6, v6
	v_mul_f32_e32 v6, 0x5f7ffffc, v6
	v_mul_f32_e32 v7, 0x2f800000, v6
	v_trunc_f32_e32 v7, v7
	v_mac_f32_e32 v6, 0xcf800000, v7
	v_cvt_u32_f32_e32 v7, v7
	v_cvt_u32_f32_e32 v6, v6
	v_readfirstlane_b32 s36, v7
	v_readfirstlane_b32 s10, v6
	s_mul_i32 s11, s12, s36
	s_mul_hi_u32 s38, s12, s10
	s_mul_i32 s37, s13, s10
	s_add_i32 s11, s38, s11
	s_mul_i32 s39, s12, s10
	s_add_i32 s11, s11, s37
	s_mul_i32 s38, s10, s11
	s_mul_hi_u32 s40, s10, s39
	s_mul_hi_u32 s37, s10, s11
	s_add_u32 s38, s40, s38
	s_addc_u32 s37, 0, s37
	s_mul_hi_u32 s41, s36, s39
	s_mul_i32 s39, s36, s39
	s_add_u32 s38, s38, s39
	s_mul_hi_u32 s40, s36, s11
	s_addc_u32 s37, s37, s41
	s_addc_u32 s38, s40, 0
	s_mul_i32 s11, s36, s11
	s_add_u32 s11, s37, s11
	s_addc_u32 s37, 0, s38
	s_add_u32 s38, s10, s11
	s_cselect_b64 s[10:11], -1, 0
	s_cmp_lg_u64 s[10:11], 0
	s_addc_u32 s36, s36, s37
	s_mul_i32 s10, s12, s36
	s_mul_hi_u32 s11, s12, s38
	s_add_i32 s10, s11, s10
	s_mul_i32 s13, s13, s38
	s_add_i32 s10, s10, s13
	s_mul_i32 s12, s12, s38
	s_mul_hi_u32 s13, s36, s12
	s_mul_i32 s37, s36, s12
	s_mul_i32 s40, s38, s10
	s_mul_hi_u32 s12, s38, s12
	s_mul_hi_u32 s39, s38, s10
	s_add_u32 s12, s12, s40
	s_addc_u32 s39, 0, s39
	s_add_u32 s12, s12, s37
	s_mul_hi_u32 s11, s36, s10
	s_addc_u32 s12, s39, s13
	s_addc_u32 s11, s11, 0
	s_mul_i32 s10, s36, s10
	s_add_u32 s10, s12, s10
	s_addc_u32 s12, 0, s11
	s_add_u32 s37, s38, s10
	s_cselect_b64 s[10:11], -1, 0
	s_cmp_lg_u64 s[10:11], 0
	s_addc_u32 s36, s36, s12
	s_ashr_i32 s12, s53, 31
	s_add_u32 s10, s3, s12
	s_mov_b32 s13, s12
	s_addc_u32 s11, s53, s12
	s_xor_b64 s[10:11], s[10:11], s[12:13]
	s_mul_i32 s39, s10, s36
	s_mul_hi_u32 s40, s10, s37
	s_mul_hi_u32 s38, s10, s36
	s_add_u32 s39, s40, s39
	s_addc_u32 s38, 0, s38
	s_mul_hi_u32 s41, s11, s37
	s_mul_i32 s37, s11, s37
	s_add_u32 s37, s39, s37
	s_mul_hi_u32 s40, s11, s36
	s_addc_u32 s37, s38, s41
	s_addc_u32 s38, s40, 0
	s_mul_i32 s36, s11, s36
	s_add_u32 s36, s37, s36
	s_addc_u32 s37, 0, s38
	s_mul_i32 s37, s28, s37
	s_mul_hi_u32 s38, s28, s36
	s_add_i32 s37, s38, s37
	s_mul_i32 s38, s29, s36
	s_add_i32 s40, s37, s38
	s_sub_i32 s38, s11, s40
	s_mul_i32 s36, s28, s36
	s_sub_u32 s10, s10, s36
	s_cselect_b64 s[36:37], -1, 0
	s_cmp_lg_u64 s[36:37], 0
	s_subb_u32 s41, s38, s29
	s_sub_u32 s46, s10, s28
	s_cselect_b64 s[38:39], -1, 0
	s_cmp_lg_u64 s[38:39], 0
	s_subb_u32 s52, s41, 0
	s_cmp_ge_u32 s52, s29
	s_cselect_b32 s56, -1, 0
	s_cmp_ge_u32 s46, s28
	s_cselect_b32 s57, -1, 0
	s_cmp_eq_u32 s52, s29
	s_cselect_b32 s56, s57, s56
	s_cmp_lg_u64 s[38:39], 0
	s_subb_u32 s41, s41, s29
	s_sub_u32 s57, s46, s28
	s_cselect_b64 s[38:39], -1, 0
	s_cmp_lg_u64 s[38:39], 0
	s_subb_u32 s38, s41, 0
	s_cmp_lg_u32 s56, 0
	s_cselect_b32 s39, s57, s46
	s_cselect_b32 s38, s38, s52
	s_cmp_lg_u64 s[36:37], 0
	s_subb_u32 s11, s11, s40
	s_cmp_ge_u32 s11, s29
	s_cselect_b32 s36, -1, 0
	s_cmp_ge_u32 s10, s28
	s_cselect_b32 s28, -1, 0
	s_cmp_eq_u32 s11, s29
	s_cselect_b32 s28, s28, s36
	s_cmp_lg_u32 s28, 0
	s_cselect_b32 s11, s38, s11
	s_cselect_b32 s10, s39, s10
	s_xor_b64 s[10:11], s[10:11], s[12:13]
	s_sub_u32 s10, s10, s12
	s_subb_u32 s11, s11, s12
	s_cbranch_execnz .LBB60_181
.LBB60_180:                             ;   in Loop: Header=BB60_7 Depth=1
	v_cvt_f32_u32_e32 v6, s33
	s_sub_i32 s10, 0, s33
	v_rcp_iflag_f32_e32 v6, v6
	v_mul_f32_e32 v6, 0x4f7ffffe, v6
	v_cvt_u32_f32_e32 v6, v6
	v_readfirstlane_b32 s11, v6
	s_mul_i32 s10, s10, s11
	s_mul_hi_u32 s10, s11, s10
	s_add_i32 s11, s11, s10
	s_mul_hi_u32 s10, s3, s11
	s_mul_i32 s10, s10, s33
	s_sub_i32 s10, s3, s10
	s_sub_i32 s11, s10, s33
	s_cmp_ge_u32 s10, s33
	s_cselect_b32 s10, s11, s10
	s_sub_i32 s11, s10, s33
	s_cmp_ge_u32 s10, s33
	s_cselect_b32 s46, s11, s10
	s_mov_b64 s[10:11], s[46:47]
.LBB60_181:                             ;   in Loop: Header=BB60_7 Depth=1
	s_sub_u32 s12, s3, s10
	s_subb_u32 s13, s53, s11
	v_cmp_gt_i64_e32 vcc, s[12:13], v[0:1]
	s_mov_b64 s[36:37], 0
	s_mov_b64 s[28:29], 0
                                        ; implicit-def: $vgpr50
	s_and_saveexec_b64 s[38:39], vcc
	s_cbranch_execz .LBB60_193
; %bb.182:                              ;   in Loop: Header=BB60_7 Depth=1
	v_mov_b32_e32 v6, v12
	v_mov_b32_e32 v9, v1
	s_mov_b64 s[10:11], 0
	v_mov_b32_e32 v7, v13
	v_mov_b32_e32 v8, v0
                                        ; implicit-def: $sgpr28_sgpr29
	s_branch .LBB60_186
.LBB60_183:                             ;   in Loop: Header=BB60_186 Depth=2
	s_or_b64 exec, exec, s[40:41]
	s_waitcnt lgkmcnt(0)
	s_barrier
	ds_read_b32 v10, v3 offset:3072
	s_waitcnt lgkmcnt(0)
	s_barrier
	v_cmp_neq_f16_e32 vcc, 0, v10
	s_cbranch_vccnz .LBB60_189
; %bb.184:                              ;   in Loop: Header=BB60_186 Depth=2
	v_add_co_u32_e32 v8, vcc, s33, v8
	v_addc_co_u32_e32 v9, vcc, 0, v9, vcc
	v_mov_b32_e32 v11, s45
	v_add_co_u32_e32 v6, vcc, s44, v6
	v_addc_co_u32_e32 v7, vcc, v7, v11, vcc
	v_cmp_le_i64_e32 vcc, s[12:13], v[8:9]
	s_mov_b64 s[40:41], 0
	s_orn2_b64 s[56:57], vcc, exec
.LBB60_185:                             ;   in Loop: Header=BB60_186 Depth=2
	s_and_b64 s[56:57], exec, s[56:57]
	s_or_b64 s[10:11], s[56:57], s[10:11]
	s_andn2_b64 s[28:29], s[28:29], exec
	s_and_b64 s[40:41], s[40:41], exec
	s_or_b64 s[28:29], s[28:29], s[40:41]
	s_andn2_b64 exec, exec, s[10:11]
	s_cbranch_execz .LBB60_192
.LBB60_186:                             ;   Parent Loop BB60_7 Depth=1
                                        ; =>  This Inner Loop Header: Depth=2
	v_cmp_gt_i64_e32 vcc, s[24:25], v[8:9]
	s_and_saveexec_b64 s[40:41], vcc
	s_cbranch_execz .LBB60_183
; %bb.187:                              ;   in Loop: Header=BB60_186 Depth=2
	global_load_ushort v10, v[6:7], off
	s_waitcnt vmcnt(0)
	v_cmp_lt_i16_e32 vcc, -1, v10
	v_cndmask_b32_e32 v11, v45, v46, vcc
	v_xor_b32_sdwa v11, v11, v10 dst_sel:DWORD dst_unused:UNUSED_PAD src0_sel:DWORD src1_sel:WORD_0
	v_cmp_o_f16_e32 vcc, v10, v10
	v_cndmask_b32_e32 v11, v45, v11, vcc
	v_and_b32_e32 v11, v11, v49
	v_cmp_eq_u32_e32 vcc, v11, v42
	s_and_b64 exec, exec, vcc
	s_cbranch_execz .LBB60_183
; %bb.188:                              ;   in Loop: Header=BB60_186 Depth=2
	v_perm_b32 v10, v10, s1, v48
	ds_write_b32 v3, v10 offset:3072
	s_branch .LBB60_183
.LBB60_189:                             ;   in Loop: Header=BB60_186 Depth=2
	s_mov_b64 s[56:57], -1
                                        ; implicit-def: $vgpr8_vgpr9
                                        ; implicit-def: $vgpr6_vgpr7
	s_mov_b64 s[40:41], -1
	s_branch .LBB60_185
.LBB60_190:                             ;   in Loop: Header=BB60_7 Depth=1
                                        ; implicit-def: $sgpr10_sgpr11
	s_branch .LBB60_132
.LBB60_191:                             ;   in Loop: Header=BB60_7 Depth=1
                                        ; implicit-def: $sgpr10_sgpr11
	s_branch .LBB60_149
.LBB60_192:                             ;   in Loop: Header=BB60_7 Depth=1
	s_or_b64 exec, exec, s[10:11]
	v_lshrrev_b32_e32 v50, 16, v10
	s_and_b64 s[28:29], s[28:29], exec
.LBB60_193:                             ;   in Loop: Header=BB60_7 Depth=1
	s_or_b64 exec, exec, s[38:39]
.LBB60_194:                             ;   in Loop: Header=BB60_7 Depth=1
	s_and_b64 vcc, exec, s[36:37]
	s_cbranch_vccz .LBB60_209
; %bb.195:                              ;   in Loop: Header=BB60_7 Depth=1
	v_readlane_b32 s10, v59, 20
	s_add_u32 s40, s92, s10
	v_readlane_b32 s10, v59, 21
	s_addc_u32 s37, s93, s10
	s_mov_b32 s36, s47
	s_cmp_lg_u64 s[36:37], 0
	s_cbranch_scc0 .LBB60_238
; %bb.196:                              ;   in Loop: Header=BB60_7 Depth=1
	s_add_u32 s10, s33, 0
	s_addc_u32 s11, 0, 0
	s_xor_b64 s[38:39], s[10:11], 0
	v_cvt_f32_u32_e32 v6, s38
	v_cvt_f32_u32_e32 v7, s39
	s_sub_u32 s12, 0, s38
	s_subb_u32 s13, 0, s39
	v_mac_f32_e32 v6, 0x4f800000, v7
	v_rcp_f32_e32 v6, v6
	v_mul_f32_e32 v6, 0x5f7ffffc, v6
	v_mul_f32_e32 v7, 0x2f800000, v6
	v_trunc_f32_e32 v7, v7
	v_mac_f32_e32 v6, 0xcf800000, v7
	v_cvt_u32_f32_e32 v7, v7
	v_cvt_u32_f32_e32 v6, v6
	v_readfirstlane_b32 s36, v7
	v_readfirstlane_b32 s10, v6
	s_mul_i32 s11, s12, s36
	s_mul_hi_u32 s46, s12, s10
	s_mul_i32 s41, s13, s10
	s_add_i32 s11, s46, s11
	s_mul_i32 s52, s12, s10
	s_add_i32 s11, s11, s41
	s_mul_i32 s46, s10, s11
	s_mul_hi_u32 s56, s10, s52
	s_mul_hi_u32 s41, s10, s11
	s_add_u32 s46, s56, s46
	s_addc_u32 s41, 0, s41
	s_mul_hi_u32 s57, s36, s52
	s_mul_i32 s52, s36, s52
	s_add_u32 s46, s46, s52
	s_mul_hi_u32 s56, s36, s11
	s_addc_u32 s41, s41, s57
	s_addc_u32 s46, s56, 0
	s_mul_i32 s11, s36, s11
	s_add_u32 s11, s41, s11
	s_addc_u32 s41, 0, s46
	s_add_u32 s46, s10, s11
	s_cselect_b64 s[10:11], -1, 0
	s_cmp_lg_u64 s[10:11], 0
	s_addc_u32 s36, s36, s41
	s_mul_i32 s10, s12, s36
	s_mul_hi_u32 s11, s12, s46
	s_add_i32 s10, s11, s10
	s_mul_i32 s13, s13, s46
	s_add_i32 s10, s10, s13
	s_mul_i32 s12, s12, s46
	s_mul_hi_u32 s13, s36, s12
	s_mul_i32 s41, s36, s12
	s_mul_i32 s56, s46, s10
	s_mul_hi_u32 s12, s46, s12
	s_mul_hi_u32 s52, s46, s10
	s_add_u32 s12, s12, s56
	s_addc_u32 s52, 0, s52
	s_add_u32 s12, s12, s41
	s_mul_hi_u32 s11, s36, s10
	s_addc_u32 s12, s52, s13
	s_addc_u32 s11, s11, 0
	s_mul_i32 s10, s36, s10
	s_add_u32 s10, s12, s10
	s_addc_u32 s12, 0, s11
	s_add_u32 s41, s46, s10
	s_cselect_b64 s[10:11], -1, 0
	s_cmp_lg_u64 s[10:11], 0
	s_addc_u32 s36, s36, s12
	s_ashr_i32 s12, s37, 31
	s_add_u32 s10, s40, s12
	s_mov_b32 s13, s12
	s_addc_u32 s11, s37, s12
	s_xor_b64 s[10:11], s[10:11], s[12:13]
	s_mul_i32 s52, s10, s36
	s_mul_hi_u32 s56, s10, s41
	s_mul_hi_u32 s46, s10, s36
	s_add_u32 s52, s56, s52
	s_addc_u32 s46, 0, s46
	s_mul_hi_u32 s57, s11, s41
	s_mul_i32 s41, s11, s41
	s_add_u32 s41, s52, s41
	s_mul_hi_u32 s56, s11, s36
	s_addc_u32 s41, s46, s57
	s_addc_u32 s46, s56, 0
	s_mul_i32 s36, s11, s36
	s_add_u32 s36, s41, s36
	s_addc_u32 s41, 0, s46
	s_mul_i32 s41, s38, s41
	s_mul_hi_u32 s46, s38, s36
	s_add_i32 s41, s46, s41
	s_mul_i32 s46, s39, s36
	s_add_i32 s41, s41, s46
	s_sub_i32 s46, s11, s41
	s_mul_i32 s36, s38, s36
	s_sub_u32 s10, s10, s36
	s_cselect_b64 s[56:57], -1, 0
	s_cmp_lg_u64 s[56:57], 0
	s_subb_u32 s36, s46, s39
	s_sub_u32 s46, s10, s38
	s_cselect_b64 s[58:59], -1, 0
	s_cmp_lg_u64 s[58:59], 0
	s_subb_u32 s52, s36, 0
	s_cmp_ge_u32 s52, s39
	s_cselect_b32 s84, -1, 0
	s_cmp_ge_u32 s46, s38
	s_cselect_b32 s85, -1, 0
	s_cmp_eq_u32 s52, s39
	s_cselect_b32 s84, s85, s84
	s_cmp_lg_u64 s[58:59], 0
	s_subb_u32 s36, s36, s39
	s_sub_u32 s85, s46, s38
	s_cselect_b64 s[58:59], -1, 0
	s_cmp_lg_u64 s[58:59], 0
	s_subb_u32 s36, s36, 0
	s_cmp_lg_u32 s84, 0
	s_cselect_b32 s46, s85, s46
	s_cselect_b32 s36, s36, s52
	s_cmp_lg_u64 s[56:57], 0
	s_subb_u32 s11, s11, s41
	s_cmp_ge_u32 s11, s39
	s_cselect_b32 s41, -1, 0
	s_cmp_ge_u32 s10, s38
	s_cselect_b32 s38, -1, 0
	s_cmp_eq_u32 s11, s39
	s_cselect_b32 s38, s38, s41
	s_cmp_lg_u32 s38, 0
	s_cselect_b32 s11, s36, s11
	s_cselect_b32 s10, s46, s10
	s_xor_b64 s[10:11], s[10:11], s[12:13]
	s_sub_u32 s10, s10, s12
	s_subb_u32 s11, s11, s12
	s_cbranch_execnz .LBB60_198
.LBB60_197:                             ;   in Loop: Header=BB60_7 Depth=1
	v_cvt_f32_u32_e32 v6, s33
	s_sub_i32 s10, 0, s33
	v_rcp_iflag_f32_e32 v6, v6
	v_mul_f32_e32 v6, 0x4f7ffffe, v6
	v_cvt_u32_f32_e32 v6, v6
	v_readfirstlane_b32 s11, v6
	s_mul_i32 s10, s10, s11
	s_mul_hi_u32 s10, s11, s10
	s_add_i32 s11, s11, s10
	s_mul_hi_u32 s10, s40, s11
	s_mul_i32 s10, s10, s33
	s_sub_i32 s10, s40, s10
	s_sub_i32 s11, s10, s33
	s_cmp_ge_u32 s10, s33
	s_cselect_b32 s10, s11, s10
	s_sub_i32 s11, s10, s33
	s_cmp_ge_u32 s10, s33
	s_cselect_b32 s46, s11, s10
	s_mov_b64 s[10:11], s[46:47]
.LBB60_198:                             ;   in Loop: Header=BB60_7 Depth=1
	s_sub_u32 s12, s40, s10
	s_subb_u32 s13, s37, s11
	v_cmp_gt_i64_e32 vcc, s[12:13], v[0:1]
                                        ; implicit-def: $vgpr50
	s_and_saveexec_b64 s[10:11], vcc
	s_cbranch_execz .LBB60_208
; %bb.199:                              ;   in Loop: Header=BB60_7 Depth=1
	v_mov_b32_e32 v7, v1
	s_mov_b64 s[36:37], 0
	v_mov_b32_e32 v8, v43
	v_mov_b32_e32 v6, v0
                                        ; implicit-def: $sgpr38_sgpr39
	s_branch .LBB60_203
.LBB60_200:                             ;   in Loop: Header=BB60_203 Depth=2
	s_or_b64 exec, exec, s[40:41]
	s_waitcnt lgkmcnt(0)
	s_barrier
	ds_read_b32 v9, v3 offset:3072
	s_waitcnt lgkmcnt(0)
	s_barrier
	v_cmp_eq_f16_e32 vcc, 0, v9
	s_cbranch_vccz .LBB60_206
; %bb.201:                              ;   in Loop: Header=BB60_203 Depth=2
	v_add_co_u32_e32 v6, vcc, s33, v6
	v_addc_co_u32_e32 v7, vcc, 0, v7, vcc
	v_cmp_le_i64_e32 vcc, s[12:13], v[6:7]
	v_add_u32_e32 v8, s0, v8
	s_mov_b64 s[40:41], 0
	s_orn2_b64 s[56:57], vcc, exec
.LBB60_202:                             ;   in Loop: Header=BB60_203 Depth=2
	s_and_b64 s[56:57], exec, s[56:57]
	s_or_b64 s[36:37], s[56:57], s[36:37]
	s_andn2_b64 s[38:39], s[38:39], exec
	s_and_b64 s[40:41], s[40:41], exec
	s_or_b64 s[38:39], s[38:39], s[40:41]
	s_andn2_b64 exec, exec, s[36:37]
	s_cbranch_execz .LBB60_207
.LBB60_203:                             ;   Parent Loop BB60_7 Depth=1
                                        ; =>  This Inner Loop Header: Depth=2
	v_cmp_gt_u64_e32 vcc, s[92:93], v[6:7]
	s_and_saveexec_b64 s[40:41], vcc
	s_cbranch_execz .LBB60_200
; %bb.204:                              ;   in Loop: Header=BB60_203 Depth=2
	ds_read_u16 v9, v8
	s_waitcnt lgkmcnt(0)
	v_cmp_lt_i16_e32 vcc, -1, v9
	v_cndmask_b32_e32 v10, v45, v46, vcc
	v_xor_b32_sdwa v10, v10, v9 dst_sel:DWORD dst_unused:UNUSED_PAD src0_sel:DWORD src1_sel:WORD_0
	v_cmp_o_f16_e32 vcc, v9, v9
	v_cndmask_b32_e32 v10, v45, v10, vcc
	v_and_b32_e32 v10, v10, v49
	v_cmp_eq_u32_e32 vcc, v10, v42
	s_and_b64 exec, exec, vcc
	s_cbranch_execz .LBB60_200
; %bb.205:                              ;   in Loop: Header=BB60_203 Depth=2
	v_perm_b32 v9, v9, s1, v48
	ds_write_b32 v3, v9 offset:3072
	s_branch .LBB60_200
.LBB60_206:                             ;   in Loop: Header=BB60_203 Depth=2
	s_mov_b64 s[56:57], -1
                                        ; implicit-def: $vgpr6_vgpr7
                                        ; implicit-def: $vgpr8
	s_mov_b64 s[40:41], -1
	s_branch .LBB60_202
.LBB60_207:                             ;   in Loop: Header=BB60_7 Depth=1
	s_or_b64 exec, exec, s[36:37]
	s_andn2_b64 s[12:13], s[28:29], exec
	s_and_b64 s[28:29], s[38:39], exec
	v_lshrrev_b32_e32 v50, 16, v9
	s_or_b64 s[28:29], s[12:13], s[28:29]
.LBB60_208:                             ;   in Loop: Header=BB60_7 Depth=1
	s_or_b64 exec, exec, s[10:11]
	s_mov_b64 s[84:85], 0
	s_mov_b64 s[86:87], -1
.LBB60_209:                             ;   in Loop: Header=BB60_7 Depth=1
	s_orn2_b64 s[10:11], s[28:29], exec
.LBB60_210:                             ;   in Loop: Header=BB60_7 Depth=1
	s_or_b64 exec, exec, s[88:89]
	s_mov_b64 s[12:13], 0
	s_and_saveexec_b64 s[88:89], s[10:11]
	s_cbranch_execz .LBB60_270
; %bb.211:                              ;   in Loop: Header=BB60_7 Depth=1
	v_mov_b32_e32 v6, 1
	s_xor_b64 s[10:11], s[90:91], -1
	v_mov_b32_e32 v2, 1
	v_mov_b32_e32 v7, 0
	s_and_saveexec_b64 s[28:29], s[10:11]
	s_cbranch_execz .LBB60_220
; %bb.212:                              ;   in Loop: Header=BB60_7 Depth=1
	v_cmp_ge_i64_e32 vcc, s[26:27], v[4:5]
	s_and_saveexec_b64 s[10:11], vcc
	s_xor_b64 s[10:11], exec, s[10:11]
	s_cbranch_execz .LBB60_217
; %bb.213:                              ;   in Loop: Header=BB60_7 Depth=1
	ds_read_b64 v[6:7], v3 offset:5120
	v_and_b32_e32 v2, s51, v42
	v_lshl_or_b32 v42, 2, s8, v2
	v_or_b32_e32 v49, s50, v49
	s_waitcnt lgkmcnt(0)
	v_cmp_ne_u64_e32 vcc, 0, v[6:7]
	s_cbranch_vccnz .LBB60_217
; %bb.214:                              ;   in Loop: Header=BB60_7 Depth=1
	s_mov_b64 s[12:13], exec
	v_readlane_b32 s36, v59, 6
	v_readlane_b32 s37, v59, 7
	s_and_b64 s[36:37], s[12:13], s[36:37]
	s_mov_b64 exec, s[36:37]
; %bb.215:                              ;   in Loop: Header=BB60_7 Depth=1
	v_mov_b32_e32 v6, s26
	v_mov_b32_e32 v7, s27
	ds_write_b64 v3, v[6:7] offset:5128
; %bb.216:                              ;   in Loop: Header=BB60_7 Depth=1
	s_or_b64 exec, exec, s[12:13]
	s_waitcnt lgkmcnt(0)
	s_barrier
.LBB60_217:                             ;   in Loop: Header=BB60_7 Depth=1
	s_or_saveexec_b64 s[10:11], s[10:11]
	s_mov_b64 s[12:13], 0
	v_mov_b32_e32 v2, 8
	s_xor_b64 exec, exec, s[10:11]
; %bb.218:                              ;   in Loop: Header=BB60_7 Depth=1
	v_subrev_co_u32_e32 v4, vcc, s26, v4
	v_mov_b32_e32 v2, s27
	v_subb_co_u32_e32 v5, vcc, v5, v2, vcc
	v_mov_b32_e32 v2, 0
	s_mov_b64 s[12:13], exec
; %bb.219:                              ;   in Loop: Header=BB60_7 Depth=1
	s_or_b64 exec, exec, s[10:11]
	v_mov_b32_e32 v7, v5
	s_and_b64 s[12:13], s[12:13], exec
	v_mov_b32_e32 v6, v4
.LBB60_220:                             ;   in Loop: Header=BB60_7 Depth=1
	s_or_b64 exec, exec, s[28:29]
	s_mov_b64 s[10:11], -1
                                        ; implicit-def: $sgpr36_sgpr37
                                        ; implicit-def: $sgpr28_sgpr29
	s_and_saveexec_b64 s[26:27], s[12:13]
	s_cbranch_execz .LBB60_269
; %bb.221:                              ;   in Loop: Header=BB60_7 Depth=1
	s_cmp_eq_u64 s[14:15], 1
	v_cmp_eq_u64_e32 vcc, 1, v[6:7]
	s_cselect_b64 s[10:11], -1, 0
	s_and_b64 s[90:91], s[10:11], vcc
	s_mov_b64 s[10:11], -1
                                        ; implicit-def: $sgpr36_sgpr37
                                        ; implicit-def: $sgpr28_sgpr29
	s_and_saveexec_b64 s[92:93], s[90:91]
	s_cbranch_execz .LBB60_257
; %bb.222:                              ;   in Loop: Header=BB60_7 Depth=1
	ds_read_b64 v[4:5], v3 offset:5120
	v_writelane_b32 v59, s94, 27
	v_writelane_b32 v59, s95, 28
	s_waitcnt lgkmcnt(0)
	s_barrier
	v_readfirstlane_b32 s94, v4
	v_readfirstlane_b32 s95, v5
	s_and_saveexec_b64 s[10:11], s[16:17]
; %bb.223:                              ;   in Loop: Header=BB60_7 Depth=1
	ds_write_b16 v44, v3
; %bb.224:                              ;   in Loop: Header=BB60_7 Depth=1
	s_or_b64 exec, exec, s[10:11]
	v_cmp_gt_i64_e64 s[10:11], s[94:95], 0
	v_or_b32_e32 v42, s50, v42
	v_or_b32_e32 v49, s50, v49
	s_mov_b64 s[28:29], -1
	s_mov_b64 s[36:37], 0
	s_and_b64 vcc, exec, s[10:11]
	s_mov_b64 s[38:39], 0
	s_mov_b64 s[40:41], -1
	s_waitcnt lgkmcnt(0)
	s_barrier
                                        ; implicit-def: $vgpr50
	s_cbranch_vccnz .LBB60_241
; %bb.225:                              ;   in Loop: Header=BB60_7 Depth=1
	s_mov_b32 s52, s47
	s_cmp_lg_u64 s[52:53], 0
	s_cbranch_scc0 .LBB60_276
; %bb.226:                              ;   in Loop: Header=BB60_7 Depth=1
	s_add_u32 s10, s33, 0
	s_addc_u32 s11, 0, 0
	s_xor_b64 s[38:39], s[10:11], 0
	v_cvt_f32_u32_e32 v4, s38
	v_cvt_f32_u32_e32 v5, s39
	s_sub_u32 s12, 0, s38
	s_subb_u32 s13, 0, s39
	v_mac_f32_e32 v4, 0x4f800000, v5
	v_rcp_f32_e32 v4, v4
	v_mul_f32_e32 v4, 0x5f7ffffc, v4
	v_mul_f32_e32 v5, 0x2f800000, v4
	v_trunc_f32_e32 v5, v5
	v_mac_f32_e32 v4, 0xcf800000, v5
	v_cvt_u32_f32_e32 v5, v5
	v_cvt_u32_f32_e32 v4, v4
	v_readfirstlane_b32 s40, v5
	v_readfirstlane_b32 s10, v4
	s_mul_i32 s11, s12, s40
	s_mul_hi_u32 s46, s12, s10
	s_mul_i32 s41, s13, s10
	s_add_i32 s11, s46, s11
	s_mul_i32 s51, s12, s10
	s_add_i32 s11, s11, s41
	s_mul_i32 s46, s10, s11
	s_mul_hi_u32 s52, s10, s51
	s_mul_hi_u32 s41, s10, s11
	s_add_u32 s46, s52, s46
	s_addc_u32 s41, 0, s41
	s_mul_hi_u32 s56, s40, s51
	s_mul_i32 s51, s40, s51
	s_add_u32 s46, s46, s51
	s_mul_hi_u32 s52, s40, s11
	s_addc_u32 s41, s41, s56
	s_addc_u32 s46, s52, 0
	s_mul_i32 s11, s40, s11
	s_add_u32 s11, s41, s11
	s_addc_u32 s41, 0, s46
	s_add_u32 s46, s10, s11
	s_cselect_b64 s[10:11], -1, 0
	s_cmp_lg_u64 s[10:11], 0
	s_addc_u32 s40, s40, s41
	s_mul_i32 s10, s12, s40
	s_mul_hi_u32 s11, s12, s46
	s_add_i32 s10, s11, s10
	s_mul_i32 s13, s13, s46
	s_add_i32 s10, s10, s13
	s_mul_i32 s12, s12, s46
	s_mul_hi_u32 s13, s40, s12
	s_mul_i32 s41, s40, s12
	s_mul_i32 s52, s46, s10
	s_mul_hi_u32 s12, s46, s12
	s_mul_hi_u32 s51, s46, s10
	s_add_u32 s12, s12, s52
	s_addc_u32 s51, 0, s51
	s_add_u32 s12, s12, s41
	s_mul_hi_u32 s11, s40, s10
	s_addc_u32 s12, s51, s13
	s_addc_u32 s11, s11, 0
	s_mul_i32 s10, s40, s10
	s_add_u32 s10, s12, s10
	s_addc_u32 s12, 0, s11
	s_add_u32 s41, s46, s10
	s_cselect_b64 s[10:11], -1, 0
	s_cmp_lg_u64 s[10:11], 0
	s_addc_u32 s40, s40, s12
	s_ashr_i32 s12, s53, 31
	s_add_u32 s10, s3, s12
	s_mov_b32 s13, s12
	s_addc_u32 s11, s53, s12
	s_xor_b64 s[10:11], s[10:11], s[12:13]
	s_mul_i32 s51, s10, s40
	s_mul_hi_u32 s52, s10, s41
	s_mul_hi_u32 s46, s10, s40
	s_add_u32 s51, s52, s51
	s_addc_u32 s46, 0, s46
	s_mul_hi_u32 s56, s11, s41
	s_mul_i32 s41, s11, s41
	s_add_u32 s41, s51, s41
	s_mul_hi_u32 s52, s11, s40
	s_addc_u32 s41, s46, s56
	s_addc_u32 s46, s52, 0
	s_mul_i32 s40, s11, s40
	s_add_u32 s40, s41, s40
	s_addc_u32 s41, 0, s46
	s_mul_i32 s41, s38, s41
	s_mul_hi_u32 s46, s38, s40
	s_add_i32 s41, s46, s41
	s_mul_i32 s46, s39, s40
	s_add_i32 s46, s41, s46
	s_sub_i32 s51, s11, s46
	s_mul_i32 s40, s38, s40
	s_sub_u32 s10, s10, s40
	s_cselect_b64 s[40:41], -1, 0
	s_cmp_lg_u64 s[40:41], 0
	s_subb_u32 s51, s51, s39
	s_sub_u32 s52, s10, s38
	s_cselect_b64 s[56:57], -1, 0
	s_cmp_lg_u64 s[56:57], 0
	s_subb_u32 s58, s51, 0
	s_cmp_ge_u32 s58, s39
	s_cselect_b32 s59, -1, 0
	s_cmp_ge_u32 s52, s38
	s_cselect_b32 vcc_lo, -1, 0
	s_cmp_eq_u32 s58, s39
	s_cselect_b32 s59, vcc_lo, s59
	s_cmp_lg_u64 s[56:57], 0
	s_subb_u32 s51, s51, s39
	s_sub_u32 vcc_lo, s52, s38
	s_cselect_b64 s[56:57], -1, 0
	s_cmp_lg_u64 s[56:57], 0
	s_subb_u32 s51, s51, 0
	s_cmp_lg_u32 s59, 0
	s_cselect_b32 s52, vcc_lo, s52
	s_cselect_b32 s51, s51, s58
	s_cmp_lg_u64 s[40:41], 0
	s_subb_u32 s11, s11, s46
	s_cmp_ge_u32 s11, s39
	s_cselect_b32 s40, -1, 0
	s_cmp_ge_u32 s10, s38
	s_cselect_b32 s38, -1, 0
	s_cmp_eq_u32 s11, s39
	s_cselect_b32 s38, s38, s40
	s_cmp_lg_u32 s38, 0
	s_cselect_b32 s11, s51, s11
	s_cselect_b32 s10, s52, s10
	s_xor_b64 s[10:11], s[10:11], s[12:13]
	s_sub_u32 s10, s10, s12
	s_subb_u32 s11, s11, s12
	s_cbranch_execnz .LBB60_228
.LBB60_227:                             ;   in Loop: Header=BB60_7 Depth=1
	v_cvt_f32_u32_e32 v4, s33
	s_sub_i32 s10, 0, s33
	v_rcp_iflag_f32_e32 v4, v4
	v_mul_f32_e32 v4, 0x4f7ffffe, v4
	v_cvt_u32_f32_e32 v4, v4
	v_readfirstlane_b32 s11, v4
	s_mul_i32 s10, s10, s11
	s_mul_hi_u32 s10, s11, s10
	s_add_i32 s11, s11, s10
	s_mul_hi_u32 s10, s3, s11
	s_mul_i32 s10, s10, s33
	s_sub_i32 s10, s3, s10
	s_sub_i32 s11, s10, s33
	s_cmp_ge_u32 s10, s33
	s_cselect_b32 s10, s11, s10
	s_sub_i32 s11, s10, s33
	s_cmp_ge_u32 s10, s33
	s_cselect_b32 s46, s11, s10
	s_mov_b64 s[10:11], s[46:47]
.LBB60_228:                             ;   in Loop: Header=BB60_7 Depth=1
	s_sub_u32 s10, s3, s10
	s_subb_u32 s11, s53, s11
	v_cmp_gt_i64_e32 vcc, s[10:11], v[0:1]
	s_mov_b64 s[40:41], 0
	s_mov_b64 s[38:39], 0
                                        ; implicit-def: $vgpr50
	s_and_saveexec_b64 s[12:13], vcc
	s_cbranch_execz .LBB60_240
; %bb.229:                              ;   in Loop: Header=BB60_7 Depth=1
	v_mov_b32_e32 v4, v12
	v_mov_b32_e32 v9, v1
	;; [unrolled: 1-line block ×4, first 2 shown]
                                        ; implicit-def: $sgpr56_sgpr57
	s_branch .LBB60_233
.LBB60_230:                             ;   in Loop: Header=BB60_233 Depth=2
	s_or_b64 exec, exec, s[58:59]
	s_waitcnt lgkmcnt(0)
	s_barrier
	ds_read_b32 v10, v3 offset:3072
	s_waitcnt lgkmcnt(0)
	s_barrier
	v_cmp_neq_f16_e32 vcc, 0, v10
	s_cbranch_vccnz .LBB60_236
; %bb.231:                              ;   in Loop: Header=BB60_233 Depth=2
	v_add_co_u32_e32 v8, vcc, s33, v8
	v_addc_co_u32_e32 v9, vcc, 0, v9, vcc
	v_mov_b32_e32 v11, s45
	v_add_co_u32_e32 v4, vcc, s44, v4
	v_addc_co_u32_e32 v5, vcc, v5, v11, vcc
	v_cmp_le_i64_e32 vcc, s[10:11], v[8:9]
	s_mov_b64 s[58:59], 0
	s_orn2_b64 vcc, vcc, exec
.LBB60_232:                             ;   in Loop: Header=BB60_233 Depth=2
	s_and_b64 vcc, exec, vcc
	s_or_b64 s[38:39], vcc, s[38:39]
	s_andn2_b64 s[56:57], s[56:57], exec
	s_and_b64 s[58:59], s[58:59], exec
	s_or_b64 s[56:57], s[56:57], s[58:59]
	s_andn2_b64 exec, exec, s[38:39]
	s_cbranch_execz .LBB60_239
.LBB60_233:                             ;   Parent Loop BB60_7 Depth=1
                                        ; =>  This Inner Loop Header: Depth=2
	v_cmp_gt_i64_e32 vcc, s[24:25], v[8:9]
	s_and_saveexec_b64 s[58:59], vcc
	s_cbranch_execz .LBB60_230
; %bb.234:                              ;   in Loop: Header=BB60_233 Depth=2
	global_load_ushort v10, v[4:5], off
	s_waitcnt vmcnt(0)
	v_cmp_lt_i16_e32 vcc, -1, v10
	v_cndmask_b32_e32 v11, v45, v46, vcc
	v_xor_b32_sdwa v11, v11, v10 dst_sel:DWORD dst_unused:UNUSED_PAD src0_sel:DWORD src1_sel:WORD_0
	v_cmp_o_f16_e32 vcc, v10, v10
	v_cndmask_b32_e32 v11, v45, v11, vcc
	v_and_b32_e32 v11, v11, v49
	v_cmp_eq_u32_e32 vcc, v11, v42
	s_and_b64 exec, exec, vcc
	s_cbranch_execz .LBB60_230
; %bb.235:                              ;   in Loop: Header=BB60_233 Depth=2
	v_perm_b32 v10, v10, s1, v48
	ds_write_b32 v3, v10 offset:3072
	s_branch .LBB60_230
.LBB60_236:                             ;   in Loop: Header=BB60_233 Depth=2
	s_mov_b64 vcc, -1
                                        ; implicit-def: $vgpr8_vgpr9
                                        ; implicit-def: $vgpr4_vgpr5
	s_mov_b64 s[58:59], -1
	s_branch .LBB60_232
.LBB60_237:                             ;   in Loop: Header=BB60_7 Depth=1
                                        ; implicit-def: $sgpr10_sgpr11
	s_branch .LBB60_180
.LBB60_238:                             ;   in Loop: Header=BB60_7 Depth=1
                                        ; implicit-def: $sgpr10_sgpr11
	s_branch .LBB60_197
.LBB60_239:                             ;   in Loop: Header=BB60_7 Depth=1
	s_or_b64 exec, exec, s[38:39]
	v_lshrrev_b32_e32 v50, 16, v10
	s_and_b64 s[38:39], s[56:57], exec
.LBB60_240:                             ;   in Loop: Header=BB60_7 Depth=1
	s_or_b64 exec, exec, s[12:13]
.LBB60_241:                             ;   in Loop: Header=BB60_7 Depth=1
	s_and_b64 vcc, exec, s[40:41]
	s_cbranch_vccz .LBB60_256
; %bb.242:                              ;   in Loop: Header=BB60_7 Depth=1
	v_readlane_b32 s10, v59, 20
	s_add_u32 s40, s94, s10
	v_readlane_b32 s10, v59, 21
	s_addc_u32 s29, s95, s10
	s_mov_b32 s28, s47
	s_cmp_lg_u64 s[28:29], 0
	s_cbranch_scc0 .LBB60_277
; %bb.243:                              ;   in Loop: Header=BB60_7 Depth=1
	s_add_u32 s10, s33, 0
	s_addc_u32 s11, 0, 0
	s_xor_b64 s[36:37], s[10:11], 0
	v_cvt_f32_u32_e32 v4, s36
	v_cvt_f32_u32_e32 v5, s37
	s_sub_u32 s12, 0, s36
	s_subb_u32 s13, 0, s37
	v_mac_f32_e32 v4, 0x4f800000, v5
	v_rcp_f32_e32 v4, v4
	v_mul_f32_e32 v4, 0x5f7ffffc, v4
	v_mul_f32_e32 v5, 0x2f800000, v4
	v_trunc_f32_e32 v5, v5
	v_mac_f32_e32 v4, 0xcf800000, v5
	v_cvt_u32_f32_e32 v5, v5
	v_cvt_u32_f32_e32 v4, v4
	v_readfirstlane_b32 s28, v5
	v_readfirstlane_b32 s10, v4
	s_mul_i32 s11, s12, s28
	s_mul_hi_u32 s46, s12, s10
	s_mul_i32 s41, s13, s10
	s_add_i32 s11, s46, s11
	s_mul_i32 s51, s12, s10
	s_add_i32 s11, s11, s41
	s_mul_i32 s46, s10, s11
	s_mul_hi_u32 s52, s10, s51
	s_mul_hi_u32 s41, s10, s11
	s_add_u32 s46, s52, s46
	s_addc_u32 s41, 0, s41
	s_mul_hi_u32 s56, s28, s51
	s_mul_i32 s51, s28, s51
	s_add_u32 s46, s46, s51
	s_mul_hi_u32 s52, s28, s11
	s_addc_u32 s41, s41, s56
	s_addc_u32 s46, s52, 0
	s_mul_i32 s11, s28, s11
	s_add_u32 s11, s41, s11
	s_addc_u32 s41, 0, s46
	s_add_u32 s46, s10, s11
	s_cselect_b64 s[10:11], -1, 0
	s_cmp_lg_u64 s[10:11], 0
	s_addc_u32 s28, s28, s41
	s_mul_i32 s10, s12, s28
	s_mul_hi_u32 s11, s12, s46
	s_add_i32 s10, s11, s10
	s_mul_i32 s13, s13, s46
	s_add_i32 s10, s10, s13
	s_mul_i32 s12, s12, s46
	s_mul_hi_u32 s13, s28, s12
	s_mul_i32 s41, s28, s12
	s_mul_i32 s52, s46, s10
	s_mul_hi_u32 s12, s46, s12
	s_mul_hi_u32 s51, s46, s10
	s_add_u32 s12, s12, s52
	s_addc_u32 s51, 0, s51
	s_add_u32 s12, s12, s41
	s_mul_hi_u32 s11, s28, s10
	s_addc_u32 s12, s51, s13
	s_addc_u32 s11, s11, 0
	s_mul_i32 s10, s28, s10
	s_add_u32 s10, s12, s10
	s_addc_u32 s12, 0, s11
	s_add_u32 s41, s46, s10
	s_cselect_b64 s[10:11], -1, 0
	s_cmp_lg_u64 s[10:11], 0
	s_addc_u32 s28, s28, s12
	s_ashr_i32 s12, s29, 31
	s_add_u32 s10, s40, s12
	s_mov_b32 s13, s12
	s_addc_u32 s11, s29, s12
	s_xor_b64 s[10:11], s[10:11], s[12:13]
	s_mul_i32 s51, s10, s28
	s_mul_hi_u32 s52, s10, s41
	s_mul_hi_u32 s46, s10, s28
	s_add_u32 s51, s52, s51
	s_addc_u32 s46, 0, s46
	s_mul_hi_u32 s56, s11, s41
	s_mul_i32 s41, s11, s41
	s_add_u32 s41, s51, s41
	s_mul_hi_u32 s52, s11, s28
	s_addc_u32 s41, s46, s56
	s_addc_u32 s46, s52, 0
	s_mul_i32 s28, s11, s28
	s_add_u32 s28, s41, s28
	s_addc_u32 s41, 0, s46
	s_mul_i32 s41, s36, s41
	s_mul_hi_u32 s46, s36, s28
	s_add_i32 s41, s46, s41
	s_mul_i32 s46, s37, s28
	s_add_i32 s41, s41, s46
	s_sub_i32 s46, s11, s41
	s_mul_i32 s28, s36, s28
	s_sub_u32 s10, s10, s28
	s_cselect_b64 s[56:57], -1, 0
	s_cmp_lg_u64 s[56:57], 0
	s_subb_u32 s28, s46, s37
	s_sub_u32 s46, s10, s36
	s_cselect_b64 s[58:59], -1, 0
	s_cmp_lg_u64 s[58:59], 0
	s_subb_u32 s51, s28, 0
	s_cmp_ge_u32 s51, s37
	s_cselect_b32 s52, -1, 0
	s_cmp_ge_u32 s46, s36
	s_cselect_b32 vcc_lo, -1, 0
	s_cmp_eq_u32 s51, s37
	s_cselect_b32 s52, vcc_lo, s52
	s_cmp_lg_u64 s[58:59], 0
	s_subb_u32 s28, s28, s37
	s_sub_u32 vcc_lo, s46, s36
	s_cselect_b64 s[58:59], -1, 0
	s_cmp_lg_u64 s[58:59], 0
	s_subb_u32 s28, s28, 0
	s_cmp_lg_u32 s52, 0
	s_cselect_b32 s46, vcc_lo, s46
	s_cselect_b32 s28, s28, s51
	s_cmp_lg_u64 s[56:57], 0
	s_subb_u32 s11, s11, s41
	s_cmp_ge_u32 s11, s37
	s_cselect_b32 s41, -1, 0
	s_cmp_ge_u32 s10, s36
	s_cselect_b32 s36, -1, 0
	s_cmp_eq_u32 s11, s37
	s_cselect_b32 s36, s36, s41
	s_cmp_lg_u32 s36, 0
	s_cselect_b32 s11, s28, s11
	s_cselect_b32 s10, s46, s10
	s_xor_b64 s[10:11], s[10:11], s[12:13]
	s_sub_u32 s10, s10, s12
	s_subb_u32 s11, s11, s12
	s_cbranch_execnz .LBB60_245
.LBB60_244:                             ;   in Loop: Header=BB60_7 Depth=1
	v_cvt_f32_u32_e32 v4, s33
	s_sub_i32 s10, 0, s33
	v_rcp_iflag_f32_e32 v4, v4
	v_mul_f32_e32 v4, 0x4f7ffffe, v4
	v_cvt_u32_f32_e32 v4, v4
	v_readfirstlane_b32 s11, v4
	s_mul_i32 s10, s10, s11
	s_mul_hi_u32 s10, s11, s10
	s_add_i32 s11, s11, s10
	s_mul_hi_u32 s10, s40, s11
	s_mul_i32 s10, s10, s33
	s_sub_i32 s10, s40, s10
	s_sub_i32 s11, s10, s33
	s_cmp_ge_u32 s10, s33
	s_cselect_b32 s10, s11, s10
	s_sub_i32 s11, s10, s33
	s_cmp_ge_u32 s10, s33
	s_cselect_b32 s46, s11, s10
	s_mov_b64 s[10:11], s[46:47]
.LBB60_245:                             ;   in Loop: Header=BB60_7 Depth=1
	s_sub_u32 s12, s40, s10
	s_subb_u32 s13, s29, s11
	v_cmp_gt_i64_e32 vcc, s[12:13], v[0:1]
                                        ; implicit-def: $vgpr50
	s_and_saveexec_b64 s[10:11], vcc
	s_cbranch_execz .LBB60_255
; %bb.246:                              ;   in Loop: Header=BB60_7 Depth=1
	v_mov_b32_e32 v5, v1
	s_mov_b64 s[28:29], 0
	v_mov_b32_e32 v8, v43
	v_mov_b32_e32 v4, v0
                                        ; implicit-def: $sgpr36_sgpr37
	s_branch .LBB60_250
.LBB60_247:                             ;   in Loop: Header=BB60_250 Depth=2
	s_or_b64 exec, exec, s[40:41]
	s_waitcnt lgkmcnt(0)
	s_barrier
	ds_read_b32 v9, v3 offset:3072
	s_waitcnt lgkmcnt(0)
	s_barrier
	v_cmp_eq_f16_e32 vcc, 0, v9
	s_cbranch_vccz .LBB60_253
; %bb.248:                              ;   in Loop: Header=BB60_250 Depth=2
	v_add_co_u32_e32 v4, vcc, s33, v4
	v_addc_co_u32_e32 v5, vcc, 0, v5, vcc
	v_cmp_le_i64_e32 vcc, s[12:13], v[4:5]
	v_add_u32_e32 v8, s0, v8
	s_mov_b64 s[40:41], 0
	s_orn2_b64 s[56:57], vcc, exec
.LBB60_249:                             ;   in Loop: Header=BB60_250 Depth=2
	s_and_b64 s[56:57], exec, s[56:57]
	s_or_b64 s[28:29], s[56:57], s[28:29]
	s_andn2_b64 s[36:37], s[36:37], exec
	s_and_b64 s[40:41], s[40:41], exec
	s_or_b64 s[36:37], s[36:37], s[40:41]
	s_andn2_b64 exec, exec, s[28:29]
	s_cbranch_execz .LBB60_254
.LBB60_250:                             ;   Parent Loop BB60_7 Depth=1
                                        ; =>  This Inner Loop Header: Depth=2
	v_cmp_gt_u64_e32 vcc, s[94:95], v[4:5]
	s_and_saveexec_b64 s[40:41], vcc
	s_cbranch_execz .LBB60_247
; %bb.251:                              ;   in Loop: Header=BB60_250 Depth=2
	ds_read_u16 v9, v8
	s_waitcnt lgkmcnt(0)
	v_cmp_lt_i16_e32 vcc, -1, v9
	v_cndmask_b32_e32 v10, v45, v46, vcc
	v_xor_b32_sdwa v10, v10, v9 dst_sel:DWORD dst_unused:UNUSED_PAD src0_sel:DWORD src1_sel:WORD_0
	v_cmp_o_f16_e32 vcc, v9, v9
	v_cndmask_b32_e32 v10, v45, v10, vcc
	v_and_b32_e32 v10, v10, v49
	v_cmp_eq_u32_e32 vcc, v10, v42
	s_and_b64 exec, exec, vcc
	s_cbranch_execz .LBB60_247
; %bb.252:                              ;   in Loop: Header=BB60_250 Depth=2
	v_perm_b32 v9, v9, s1, v48
	ds_write_b32 v3, v9 offset:3072
	s_branch .LBB60_247
.LBB60_253:                             ;   in Loop: Header=BB60_250 Depth=2
	s_mov_b64 s[56:57], -1
                                        ; implicit-def: $vgpr4_vgpr5
                                        ; implicit-def: $vgpr8
	s_mov_b64 s[40:41], -1
	s_branch .LBB60_249
.LBB60_254:                             ;   in Loop: Header=BB60_7 Depth=1
	s_or_b64 exec, exec, s[28:29]
	s_andn2_b64 s[12:13], s[38:39], exec
	s_and_b64 s[28:29], s[36:37], exec
	v_lshrrev_b32_e32 v50, 16, v9
	s_or_b64 s[38:39], s[12:13], s[28:29]
.LBB60_255:                             ;   in Loop: Header=BB60_7 Depth=1
	s_or_b64 exec, exec, s[10:11]
	s_mov_b64 s[28:29], 0
	s_mov_b64 s[36:37], -1
.LBB60_256:                             ;   in Loop: Header=BB60_7 Depth=1
	v_readlane_b32 s94, v59, 27
	s_orn2_b64 s[10:11], s[38:39], exec
	v_readlane_b32 s95, v59, 28
.LBB60_257:                             ;   in Loop: Header=BB60_7 Depth=1
	s_or_b64 exec, exec, s[92:93]
	s_mov_b64 s[12:13], 0
	s_and_saveexec_b64 s[38:39], s[10:11]
	s_cbranch_execz .LBB60_268
; %bb.258:                              ;   in Loop: Header=BB60_7 Depth=1
	v_mov_b32_e32 v4, 1
	s_xor_b64 s[12:13], s[90:91], -1
	v_mov_b32_e32 v5, 0
	v_mov_b32_e32 v2, 1
	s_and_saveexec_b64 s[10:11], s[12:13]
	s_cbranch_execz .LBB60_267
; %bb.259:                              ;   in Loop: Header=BB60_7 Depth=1
	v_cmp_ge_i64_e32 vcc, s[14:15], v[6:7]
	s_and_saveexec_b64 s[12:13], vcc
	s_xor_b64 s[12:13], exec, s[12:13]
	s_cbranch_execz .LBB60_264
; %bb.260:                              ;   in Loop: Header=BB60_7 Depth=1
	ds_read_b64 v[4:5], v3 offset:5120
	v_or_b32_e32 v42, s50, v42
	v_or_b32_e32 v49, s50, v49
	s_waitcnt lgkmcnt(0)
	v_cmp_ne_u64_e32 vcc, 0, v[4:5]
	s_cbranch_vccnz .LBB60_264
; %bb.261:                              ;   in Loop: Header=BB60_7 Depth=1
	s_mov_b64 s[40:41], exec
	v_readlane_b32 s50, v59, 6
	v_readlane_b32 s51, v59, 7
	s_and_b64 s[50:51], s[40:41], s[50:51]
	s_mov_b64 exec, s[50:51]
; %bb.262:                              ;   in Loop: Header=BB60_7 Depth=1
	v_mov_b32_e32 v4, s14
	v_mov_b32_e32 v5, s15
	ds_write_b64 v3, v[4:5] offset:5128
; %bb.263:                              ;   in Loop: Header=BB60_7 Depth=1
	s_or_b64 exec, exec, s[40:41]
	s_waitcnt lgkmcnt(0)
	s_barrier
.LBB60_264:                             ;   in Loop: Header=BB60_7 Depth=1
	s_andn2_saveexec_b64 s[12:13], s[12:13]
; %bb.265:                              ;   in Loop: Header=BB60_7 Depth=1
	v_mov_b32_e32 v2, s15
	v_subrev_co_u32_e32 v6, vcc, s14, v6
	v_subb_co_u32_e32 v7, vcc, v7, v2, vcc
; %bb.266:                              ;   in Loop: Header=BB60_7 Depth=1
	s_or_b64 exec, exec, s[12:13]
	v_mov_b32_e32 v4, v6
	v_mov_b32_e32 v2, 8
	;; [unrolled: 1-line block ×3, first 2 shown]
.LBB60_267:                             ;   in Loop: Header=BB60_7 Depth=1
	s_or_b64 exec, exec, s[10:11]
	v_mov_b32_e32 v7, v5
	s_mov_b64 s[12:13], exec
	v_mov_b32_e32 v6, v4
.LBB60_268:                             ;   in Loop: Header=BB60_7 Depth=1
	s_or_b64 exec, exec, s[38:39]
	s_orn2_b64 s[10:11], s[12:13], exec
.LBB60_269:                             ;   in Loop: Header=BB60_7 Depth=1
	s_or_b64 exec, exec, s[26:27]
	s_andn2_b64 s[12:13], s[86:87], exec
	s_and_b64 s[14:15], s[36:37], exec
	s_or_b64 s[86:87], s[12:13], s[14:15]
	s_andn2_b64 s[12:13], s[84:85], exec
	s_and_b64 s[14:15], s[28:29], exec
	v_mov_b32_e32 v4, v6
	s_or_b64 s[84:85], s[12:13], s[14:15]
	s_and_b64 s[12:13], s[10:11], exec
	v_mov_b32_e32 v5, v7
.LBB60_270:                             ;   in Loop: Header=BB60_7 Depth=1
	s_or_b64 exec, exec, s[88:89]
	s_orn2_b64 s[10:11], s[12:13], exec
.LBB60_271:                             ;   in Loop: Header=BB60_7 Depth=1
	s_or_b64 exec, exec, s[82:83]
	s_andn2_b64 s[12:13], s[78:79], exec
	s_and_b64 s[14:15], s[86:87], exec
	s_or_b64 s[78:79], s[12:13], s[14:15]
	s_andn2_b64 s[6:7], s[6:7], exec
	s_and_b64 s[12:13], s[84:85], exec
	v_mov_b32_e32 v9, v5
	s_or_b64 s[6:7], s[6:7], s[12:13]
	s_and_b64 s[12:13], s[10:11], exec
	v_mov_b32_e32 v8, v4
.LBB60_272:                             ;   in Loop: Header=BB60_7 Depth=1
	s_or_b64 exec, exec, s[80:81]
	s_orn2_b64 s[10:11], s[12:13], exec
.LBB60_273:                             ;   in Loop: Header=BB60_7 Depth=1
	s_or_b64 exec, exec, s[22:23]
	s_mov_b64 s[12:13], 0
	s_and_saveexec_b64 s[14:15], s[10:11]
	s_xor_b64 s[10:11], exec, s[14:15]
	s_cbranch_execz .LBB60_5
; %bb.274:                              ;   in Loop: Header=BB60_7 Depth=1
	v_and_b32_e32 v2, 7, v2
	v_cmp_eq_u32_e32 vcc, 0, v2
	s_mov_b64 s[14:15], -1
	s_mov_b64 s[12:13], -1
	s_and_saveexec_b64 s[20:21], vcc
	s_cbranch_execz .LBB60_4
; %bb.275:                              ;   in Loop: Header=BB60_7 Depth=1
	s_xor_b32 s9, s9, 1
	s_add_i32 s22, s8, -2
	s_cmp_eq_u32 s8, 0
	s_cselect_b64 s[14:15], -1, 0
	s_xor_b64 s[12:13], exec, -1
	s_orn2_b64 s[14:15], s[14:15], exec
	s_mov_b32 s8, s22
	s_branch .LBB60_4
.LBB60_276:                             ;   in Loop: Header=BB60_7 Depth=1
                                        ; implicit-def: $sgpr10_sgpr11
	s_branch .LBB60_227
.LBB60_277:                             ;   in Loop: Header=BB60_7 Depth=1
                                        ; implicit-def: $sgpr10_sgpr11
	s_branch .LBB60_244
.LBB60_278:
	s_or_b64 exec, exec, s[64:65]
	s_xor_b64 s[10:11], s[70:71], -1
	s_xor_b64 s[0:1], s[66:67], -1
	;; [unrolled: 1-line block ×3, first 2 shown]
	s_mov_b64 s[6:7], 0
	s_and_saveexec_b64 s[2:3], s[0:1]
	s_xor_b64 s[4:5], exec, s[2:3]
	s_cbranch_execnz .LBB60_283
; %bb.279:
	s_andn2_saveexec_b64 s[0:1], s[4:5]
	s_cbranch_execnz .LBB60_305
.LBB60_280:
	s_or_b64 exec, exec, s[0:1]
	s_and_saveexec_b64 s[0:1], s[6:7]
.LBB60_281:
	; divergent unreachable
.LBB60_282:
	s_endpgm
.LBB60_283:
	s_and_saveexec_b64 s[0:1], s[10:11]
	s_xor_b64 s[6:7], exec, s[0:1]
	s_cbranch_execz .LBB60_303
; %bb.284:
	s_and_saveexec_b64 s[0:1], s[8:9]
	s_xor_b64 s[8:9], exec, s[0:1]
; %bb.285:
	v_and_b32_e32 v2, 0x8000, v42
	v_mov_b32_e32 v3, 0x8000
	v_mov_b32_e32 v4, 0xffff
	v_cmp_eq_u32_e32 vcc, 0, v2
	v_cndmask_b32_e32 v2, v3, v4, vcc
	v_xor_b32_e32 v50, v2, v42
; %bb.286:
	s_or_b64 exec, exec, s[8:9]
	s_mov_b64 s[8:9], exec
	v_readlane_b32 s0, v59, 6
	v_readlane_b32 s1, v59, 7
	s_and_b64 s[0:1], s[8:9], s[0:1]
	v_readlane_b32 s30, v59, 8
	v_readlane_b32 s31, v59, 9
	s_mov_b64 exec, s[0:1]
; %bb.287:
	v_mov_b32_e32 v2, 0
	v_mov_b32_e32 v3, s24
	ds_write_b32 v2, v3 offset:5140
; %bb.288:
	s_or_b64 exec, exec, s[8:9]
	s_waitcnt lgkmcnt(0)
	s_barrier
	s_mov_b64 s[8:9], exec
	v_readlane_b32 s0, v59, 12
	v_readlane_b32 s1, v59, 13
	s_and_b64 s[0:1], s[8:9], s[0:1]
	s_mov_b64 exec, s[0:1]
	s_cbranch_execz .LBB60_300
; %bb.289:
	v_mov_b32_e32 v2, 0
	ds_read_b32 v4, v2 offset:5140
	v_cmp_u_f16_e32 vcc, v50, v50
	s_mov_b64 s[10:11], 0
	s_xor_b64 s[12:13], vcc, -1
                                        ; implicit-def: $sgpr14_sgpr15
                                        ; implicit-def: $sgpr16_sgpr17
                                        ; implicit-def: $sgpr18_sgpr19
	s_waitcnt lgkmcnt(0)
	v_ashrrev_i32_e32 v5, 31, v4
	s_branch .LBB60_292
.LBB60_290:                             ;   in Loop: Header=BB60_292 Depth=1
	s_or_b64 exec, exec, s[28:29]
	s_andn2_b64 s[0:1], s[18:19], exec
	s_and_b64 s[2:3], s[22:23], exec
	s_or_b64 s[18:19], s[0:1], s[2:3]
	s_andn2_b64 s[0:1], s[16:17], exec
	s_and_b64 s[2:3], s[26:27], exec
	s_or_b64 s[16:17], s[0:1], s[2:3]
.LBB60_291:                             ;   in Loop: Header=BB60_292 Depth=1
	s_or_b64 exec, exec, s[20:21]
	s_and_b64 s[0:1], exec, s[16:17]
	s_or_b64 s[10:11], s[0:1], s[10:11]
	s_andn2_b64 s[0:1], s[14:15], exec
	s_and_b64 s[2:3], s[18:19], exec
	s_or_b64 s[14:15], s[0:1], s[2:3]
	s_andn2_b64 exec, exec, s[10:11]
	s_cbranch_execz .LBB60_295
.LBB60_292:                             ; =>This Inner Loop Header: Depth=1
	v_mov_b32_e32 v3, v1
	v_mov_b32_e32 v2, v0
	v_cmp_lt_i64_e32 vcc, v[2:3], v[4:5]
	s_or_b64 s[18:19], s[18:19], exec
	s_or_b64 s[16:17], s[16:17], exec
                                        ; implicit-def: $vgpr0_vgpr1
	s_and_saveexec_b64 s[20:21], vcc
	s_cbranch_execz .LBB60_291
; %bb.293:                              ;   in Loop: Header=BB60_292 Depth=1
	global_load_ushort v0, v[12:13], off
	s_mov_b64 s[26:27], -1
	s_mov_b64 s[22:23], 0
	s_waitcnt vmcnt(0)
	v_cmp_o_f16_e64 s[2:3], v0, v0
	v_cmp_neq_f16_e32 vcc, v0, v50
	s_or_b64 s[0:1], s[12:13], s[2:3]
	s_and_b64 s[0:1], vcc, s[0:1]
                                        ; implicit-def: $vgpr0_vgpr1
	s_and_saveexec_b64 s[28:29], s[0:1]
	s_cbranch_execz .LBB60_290
; %bb.294:                              ;   in Loop: Header=BB60_292 Depth=1
	v_add_co_u32_e32 v0, vcc, s33, v2
	v_addc_co_u32_e32 v1, vcc, 0, v3, vcc
	v_cmp_le_i64_e32 vcc, s[24:25], v[0:1]
	v_mov_b32_e32 v3, s45
	v_add_co_u32_e64 v12, s[2:3], s44, v12
	s_mov_b64 s[22:23], exec
	v_addc_co_u32_e64 v13, s[2:3], v13, v3, s[2:3]
	s_orn2_b64 s[26:27], vcc, exec
	s_branch .LBB60_290
.LBB60_295:
	s_or_b64 exec, exec, s[10:11]
	s_xor_b64 s[0:1], s[14:15], -1
	s_and_saveexec_b64 s[2:3], s[0:1]
	s_xor_b64 s[2:3], exec, s[2:3]
	s_cbranch_execz .LBB60_300
; %bb.296:
	s_mov_b64 s[2:3], exec
	s_brev_b32 s0, -2
.LBB60_297:                             ; =>This Inner Loop Header: Depth=1
	s_ff1_i32_b64 s1, s[2:3]
	v_readlane_b32 s12, v2, s1
	s_lshl_b64 s[10:11], 1, s1
	s_min_i32 s0, s0, s12
	s_andn2_b64 s[2:3], s[2:3], s[10:11]
	s_cmp_lg_u64 s[2:3], 0
	s_cbranch_scc1 .LBB60_297
; %bb.298:
	v_mbcnt_lo_u32_b32 v0, exec_lo, 0
	v_mbcnt_hi_u32_b32 v0, exec_hi, v0
	v_cmp_eq_u32_e32 vcc, 0, v0
	s_and_saveexec_b64 s[2:3], vcc
	s_xor_b64 s[2:3], exec, s[2:3]
; %bb.299:
	v_mov_b32_e32 v0, 0
	v_mov_b32_e32 v1, s0
	ds_min_i32 v0, v1 offset:5140
.LBB60_300:
	s_or_b64 exec, exec, s[8:9]
	s_waitcnt lgkmcnt(0)
	s_barrier
	s_mov_b64 s[2:3], exec
	v_readlane_b32 s0, v59, 6
	v_readlane_b32 s1, v59, 7
	s_and_b64 s[0:1], s[2:3], s[0:1]
	s_mov_b64 exec, s[0:1]
	s_cbranch_execz .LBB60_302
; %bb.301:
	v_readlane_b32 s8, v59, 2
	v_readlane_b32 s9, v59, 3
	;; [unrolled: 1-line block ×3, first 2 shown]
	s_mul_i32 s0, s9, s30
	s_mul_hi_u32 s1, s8, s30
	v_readlane_b32 s11, v59, 1
	v_mov_b32_e32 v2, 0
	s_add_i32 s1, s1, s0
	s_mul_i32 s0, s8, s30
	s_mul_i32 s8, s11, s30
	s_mul_hi_u32 s9, s10, s30
	ds_read_b32 v0, v2 offset:5140
	s_add_i32 s9, s9, s8
	s_mul_i32 s8, s10, s30
	s_lshl_b64 s[0:1], s[0:1], 1
	v_readlane_b32 s10, v59, 4
	v_readlane_b32 s11, v59, 5
	s_add_u32 s0, s10, s0
	s_addc_u32 s1, s11, s1
	s_lshl_b64 s[8:9], s[8:9], 3
	s_add_u32 s8, s94, s8
	s_addc_u32 s9, s95, s9
	s_waitcnt lgkmcnt(0)
	v_ashrrev_i32_e32 v1, 31, v0
	global_store_dwordx2 v2, v[0:1], s[8:9]
	global_store_short v2, v50, s[0:1]
.LBB60_302:
	s_or_b64 exec, exec, s[2:3]
.LBB60_303:
	s_or_saveexec_b64 s[0:1], s[6:7]
	s_mov_b64 s[2:3], 0
	s_xor_b64 exec, exec, s[0:1]
	s_cbranch_execnz .LBB60_306
.LBB60_304:
	s_or_b64 exec, exec, s[0:1]
	s_and_b64 s[6:7], s[2:3], exec
	s_andn2_saveexec_b64 s[0:1], s[4:5]
	s_cbranch_execz .LBB60_280
.LBB60_305:
	s_or_b64 s[6:7], s[6:7], exec
	s_trap 2
	s_or_b64 exec, exec, s[0:1]
	s_and_saveexec_b64 s[0:1], s[6:7]
	s_cbranch_execnz .LBB60_281
	s_branch .LBB60_282
.LBB60_306:
	s_mov_b64 s[2:3], exec
	s_trap 2
	s_branch .LBB60_304
	.section	.rodata,"a",@progbits
	.p2align	6, 0x0
	.amdhsa_kernel _ZN2at6native12_GLOBAL__N_114gatherKthValueIN3c104HalfElLi1EEEvNS_4cuda6detail10TensorInfoIKT_T0_EESA_SA_SA_SA_NS7_IS8_SA_EENS7_IlSA_EE
		.amdhsa_group_segment_fixed_size 5144
		.amdhsa_private_segment_fixed_size 0
		.amdhsa_kernarg_size 1536
		.amdhsa_user_sgpr_count 6
		.amdhsa_user_sgpr_private_segment_buffer 1
		.amdhsa_user_sgpr_dispatch_ptr 0
		.amdhsa_user_sgpr_queue_ptr 0
		.amdhsa_user_sgpr_kernarg_segment_ptr 1
		.amdhsa_user_sgpr_dispatch_id 0
		.amdhsa_user_sgpr_flat_scratch_init 0
		.amdhsa_user_sgpr_private_segment_size 0
		.amdhsa_uses_dynamic_stack 0
		.amdhsa_system_sgpr_private_segment_wavefront_offset 0
		.amdhsa_system_sgpr_workgroup_id_x 1
		.amdhsa_system_sgpr_workgroup_id_y 1
		.amdhsa_system_sgpr_workgroup_id_z 1
		.amdhsa_system_sgpr_workgroup_info 0
		.amdhsa_system_vgpr_workitem_id 0
		.amdhsa_next_free_vgpr 60
		.amdhsa_next_free_sgpr 96
		.amdhsa_reserve_vcc 1
		.amdhsa_reserve_flat_scratch 0
		.amdhsa_float_round_mode_32 0
		.amdhsa_float_round_mode_16_64 0
		.amdhsa_float_denorm_mode_32 3
		.amdhsa_float_denorm_mode_16_64 3
		.amdhsa_dx10_clamp 1
		.amdhsa_ieee_mode 1
		.amdhsa_fp16_overflow 0
		.amdhsa_exception_fp_ieee_invalid_op 0
		.amdhsa_exception_fp_denorm_src 0
		.amdhsa_exception_fp_ieee_div_zero 0
		.amdhsa_exception_fp_ieee_overflow 0
		.amdhsa_exception_fp_ieee_underflow 0
		.amdhsa_exception_fp_ieee_inexact 0
		.amdhsa_exception_int_div_zero 0
	.end_amdhsa_kernel
	.section	.text._ZN2at6native12_GLOBAL__N_114gatherKthValueIN3c104HalfElLi1EEEvNS_4cuda6detail10TensorInfoIKT_T0_EESA_SA_SA_SA_NS7_IS8_SA_EENS7_IlSA_EE,"axG",@progbits,_ZN2at6native12_GLOBAL__N_114gatherKthValueIN3c104HalfElLi1EEEvNS_4cuda6detail10TensorInfoIKT_T0_EESA_SA_SA_SA_NS7_IS8_SA_EENS7_IlSA_EE,comdat
.Lfunc_end60:
	.size	_ZN2at6native12_GLOBAL__N_114gatherKthValueIN3c104HalfElLi1EEEvNS_4cuda6detail10TensorInfoIKT_T0_EESA_SA_SA_SA_NS7_IS8_SA_EENS7_IlSA_EE, .Lfunc_end60-_ZN2at6native12_GLOBAL__N_114gatherKthValueIN3c104HalfElLi1EEEvNS_4cuda6detail10TensorInfoIKT_T0_EESA_SA_SA_SA_NS7_IS8_SA_EENS7_IlSA_EE
                                        ; -- End function
	.set _ZN2at6native12_GLOBAL__N_114gatherKthValueIN3c104HalfElLi1EEEvNS_4cuda6detail10TensorInfoIKT_T0_EESA_SA_SA_SA_NS7_IS8_SA_EENS7_IlSA_EE.num_vgpr, 60
	.set _ZN2at6native12_GLOBAL__N_114gatherKthValueIN3c104HalfElLi1EEEvNS_4cuda6detail10TensorInfoIKT_T0_EESA_SA_SA_SA_NS7_IS8_SA_EENS7_IlSA_EE.num_agpr, 0
	.set _ZN2at6native12_GLOBAL__N_114gatherKthValueIN3c104HalfElLi1EEEvNS_4cuda6detail10TensorInfoIKT_T0_EESA_SA_SA_SA_NS7_IS8_SA_EENS7_IlSA_EE.numbered_sgpr, 96
	.set _ZN2at6native12_GLOBAL__N_114gatherKthValueIN3c104HalfElLi1EEEvNS_4cuda6detail10TensorInfoIKT_T0_EESA_SA_SA_SA_NS7_IS8_SA_EENS7_IlSA_EE.num_named_barrier, 0
	.set _ZN2at6native12_GLOBAL__N_114gatherKthValueIN3c104HalfElLi1EEEvNS_4cuda6detail10TensorInfoIKT_T0_EESA_SA_SA_SA_NS7_IS8_SA_EENS7_IlSA_EE.private_seg_size, 0
	.set _ZN2at6native12_GLOBAL__N_114gatherKthValueIN3c104HalfElLi1EEEvNS_4cuda6detail10TensorInfoIKT_T0_EESA_SA_SA_SA_NS7_IS8_SA_EENS7_IlSA_EE.uses_vcc, 1
	.set _ZN2at6native12_GLOBAL__N_114gatherKthValueIN3c104HalfElLi1EEEvNS_4cuda6detail10TensorInfoIKT_T0_EESA_SA_SA_SA_NS7_IS8_SA_EENS7_IlSA_EE.uses_flat_scratch, 0
	.set _ZN2at6native12_GLOBAL__N_114gatherKthValueIN3c104HalfElLi1EEEvNS_4cuda6detail10TensorInfoIKT_T0_EESA_SA_SA_SA_NS7_IS8_SA_EENS7_IlSA_EE.has_dyn_sized_stack, 0
	.set _ZN2at6native12_GLOBAL__N_114gatherKthValueIN3c104HalfElLi1EEEvNS_4cuda6detail10TensorInfoIKT_T0_EESA_SA_SA_SA_NS7_IS8_SA_EENS7_IlSA_EE.has_recursion, 0
	.set _ZN2at6native12_GLOBAL__N_114gatherKthValueIN3c104HalfElLi1EEEvNS_4cuda6detail10TensorInfoIKT_T0_EESA_SA_SA_SA_NS7_IS8_SA_EENS7_IlSA_EE.has_indirect_call, 0
	.section	.AMDGPU.csdata,"",@progbits
; Kernel info:
; codeLenInByte = 16196
; TotalNumSgprs: 100
; NumVgprs: 60
; ScratchSize: 0
; MemoryBound: 0
; FloatMode: 240
; IeeeMode: 1
; LDSByteSize: 5144 bytes/workgroup (compile time only)
; SGPRBlocks: 12
; VGPRBlocks: 14
; NumSGPRsForWavesPerEU: 100
; NumVGPRsForWavesPerEU: 60
; Occupancy: 4
; WaveLimiterHint : 1
; COMPUTE_PGM_RSRC2:SCRATCH_EN: 0
; COMPUTE_PGM_RSRC2:USER_SGPR: 6
; COMPUTE_PGM_RSRC2:TRAP_HANDLER: 0
; COMPUTE_PGM_RSRC2:TGID_X_EN: 1
; COMPUTE_PGM_RSRC2:TGID_Y_EN: 1
; COMPUTE_PGM_RSRC2:TGID_Z_EN: 1
; COMPUTE_PGM_RSRC2:TIDIG_COMP_CNT: 0
	.section	.text._ZN2at6native12_GLOBAL__N_114gatherKthValueIN3c104HalfElLi2EEEvNS_4cuda6detail10TensorInfoIKT_T0_EESA_SA_SA_SA_NS7_IS8_SA_EENS7_IlSA_EE,"axG",@progbits,_ZN2at6native12_GLOBAL__N_114gatherKthValueIN3c104HalfElLi2EEEvNS_4cuda6detail10TensorInfoIKT_T0_EESA_SA_SA_SA_NS7_IS8_SA_EENS7_IlSA_EE,comdat
	.globl	_ZN2at6native12_GLOBAL__N_114gatherKthValueIN3c104HalfElLi2EEEvNS_4cuda6detail10TensorInfoIKT_T0_EESA_SA_SA_SA_NS7_IS8_SA_EENS7_IlSA_EE ; -- Begin function _ZN2at6native12_GLOBAL__N_114gatherKthValueIN3c104HalfElLi2EEEvNS_4cuda6detail10TensorInfoIKT_T0_EESA_SA_SA_SA_NS7_IS8_SA_EENS7_IlSA_EE
	.p2align	8
	.type	_ZN2at6native12_GLOBAL__N_114gatherKthValueIN3c104HalfElLi2EEEvNS_4cuda6detail10TensorInfoIKT_T0_EESA_SA_SA_SA_NS7_IS8_SA_EENS7_IlSA_EE,@function
_ZN2at6native12_GLOBAL__N_114gatherKthValueIN3c104HalfElLi2EEEvNS_4cuda6detail10TensorInfoIKT_T0_EESA_SA_SA_SA_NS7_IS8_SA_EENS7_IlSA_EE: ; @_ZN2at6native12_GLOBAL__N_114gatherKthValueIN3c104HalfElLi2EEEvNS_4cuda6detail10TensorInfoIKT_T0_EESA_SA_SA_SA_NS7_IS8_SA_EENS7_IlSA_EE
; %bb.0:
	s_load_dwordx2 s[14:15], s[4:5], 0x500
	s_load_dwordx8 s[24:31], s[4:5], 0x1a0
	s_add_u32 s12, s4, 0x500
	s_addc_u32 s13, s5, 0
	s_mov_b32 s37, 0
	s_waitcnt lgkmcnt(0)
	s_mul_i32 s0, s15, s8
	s_add_i32 s0, s0, s7
	s_mul_i32 s0, s0, s14
	s_add_i32 s36, s0, s6
	v_mov_b32_e32 v1, s36
	v_mov_b32_e32 v2, s37
	v_cmp_le_i64_e32 vcc, s[28:29], v[1:2]
	s_cbranch_vccnz .LBB61_291
; %bb.1:
	s_load_dwordx2 s[2:3], s[4:5], 0x10
	s_load_dwordx2 s[22:23], s[4:5], 0x1d0
	s_mov_b32 s0, s37
                                        ; implicit-def: $vgpr61 : SGPR spill to VGPR lane
	s_waitcnt lgkmcnt(0)
	s_mov_b32 s1, s3
	s_cmp_lg_u64 s[0:1], 0
	v_writelane_b32 v61, s22, 0
	v_writelane_b32 v61, s23, 1
	s_cbranch_scc0 .LBB61_304
; %bb.2:
	s_ashr_i32 s0, s3, 31
	s_add_u32 s8, s2, s0
	s_mov_b32 s1, s0
	s_addc_u32 s9, s3, s0
	s_xor_b64 s[10:11], s[8:9], s[0:1]
	v_cvt_f32_u32_e32 v1, s10
	v_cvt_f32_u32_e32 v2, s11
	s_sub_u32 s7, 0, s10
	s_subb_u32 s15, 0, s11
	v_madmk_f32 v1, v2, 0x4f800000, v1
	v_rcp_f32_e32 v1, v1
	v_mul_f32_e32 v1, 0x5f7ffffc, v1
	v_mul_f32_e32 v2, 0x2f800000, v1
	v_trunc_f32_e32 v2, v2
	v_madmk_f32 v1, v2, 0xcf800000, v1
	v_cvt_u32_f32_e32 v2, v2
	v_cvt_u32_f32_e32 v1, v1
	v_readfirstlane_b32 s18, v2
	v_readfirstlane_b32 s16, v1
	s_mul_i32 s17, s7, s18
	s_mul_hi_u32 s20, s7, s16
	s_mul_i32 s19, s15, s16
	s_add_i32 s17, s20, s17
	s_add_i32 s17, s17, s19
	s_mul_i32 s21, s7, s16
	s_mul_i32 s20, s16, s17
	s_mul_hi_u32 s22, s16, s21
	s_mul_hi_u32 s19, s16, s17
	s_add_u32 s20, s22, s20
	s_addc_u32 s19, 0, s19
	s_mul_hi_u32 s23, s18, s21
	s_mul_i32 s21, s18, s21
	s_add_u32 s20, s20, s21
	s_mul_hi_u32 s22, s18, s17
	s_addc_u32 s19, s19, s23
	s_addc_u32 s20, s22, 0
	s_mul_i32 s17, s18, s17
	s_add_u32 s17, s19, s17
	s_addc_u32 s19, 0, s20
	s_add_u32 s20, s16, s17
	s_cselect_b64 s[16:17], -1, 0
	s_cmp_lg_u64 s[16:17], 0
	s_addc_u32 s18, s18, s19
	s_mul_i32 s16, s7, s18
	s_mul_hi_u32 s17, s7, s20
	s_add_i32 s16, s17, s16
	s_mul_i32 s15, s15, s20
	s_add_i32 s16, s16, s15
	s_mul_i32 s7, s7, s20
	s_mul_hi_u32 s17, s18, s7
	s_mul_i32 s19, s18, s7
	s_mul_i32 s22, s20, s16
	s_mul_hi_u32 s7, s20, s7
	s_mul_hi_u32 s21, s20, s16
	s_add_u32 s7, s7, s22
	s_addc_u32 s21, 0, s21
	s_add_u32 s7, s7, s19
	s_mul_hi_u32 s15, s18, s16
	s_addc_u32 s7, s21, s17
	s_addc_u32 s15, s15, 0
	s_mul_i32 s16, s18, s16
	s_add_u32 s7, s7, s16
	s_addc_u32 s15, 0, s15
	s_add_u32 s7, s20, s7
	s_cselect_b64 s[16:17], -1, 0
	s_cmp_lg_u64 s[16:17], 0
	s_addc_u32 s15, s18, s15
	s_add_u32 s16, s36, 0
	s_addc_u32 s17, 0, 0
	s_xor_b64 s[16:17], s[16:17], 0
	s_mul_i32 s19, s16, s15
	s_mul_hi_u32 s20, s16, s7
	s_mul_hi_u32 s18, s16, s15
	s_add_u32 s19, s20, s19
	s_addc_u32 s18, 0, s18
	s_mul_hi_u32 s21, s17, s7
	s_mul_i32 s7, s17, s7
	s_add_u32 s7, s19, s7
	s_mul_hi_u32 s20, s17, s15
	s_addc_u32 s7, s18, s21
	s_addc_u32 s18, s20, 0
	s_mul_i32 s15, s17, s15
	s_add_u32 s7, s7, s15
	s_addc_u32 s15, 0, s18
	s_mul_i32 s18, s10, s15
	s_mul_hi_u32 s19, s10, s7
	s_add_i32 s18, s19, s18
	s_mul_i32 s19, s11, s7
	s_add_i32 s22, s18, s19
	s_sub_i32 s20, s17, s22
	s_mul_i32 s18, s10, s7
	s_sub_u32 s16, s16, s18
	s_cselect_b64 s[18:19], -1, 0
	s_cmp_lg_u64 s[18:19], 0
	s_subb_u32 s23, s20, s11
	s_sub_u32 s28, s16, s10
	s_cselect_b64 s[20:21], -1, 0
	s_cmp_lg_u64 s[20:21], 0
	s_subb_u32 s20, s23, 0
	s_cmp_ge_u32 s20, s11
	s_cselect_b32 s21, -1, 0
	s_cmp_ge_u32 s28, s10
	s_cselect_b32 s23, -1, 0
	s_cmp_eq_u32 s20, s11
	s_cselect_b32 s20, s23, s21
	s_add_u32 s21, s7, 1
	s_addc_u32 s23, s15, 0
	s_add_u32 s28, s7, 2
	s_addc_u32 s29, s15, 0
	s_cmp_lg_u32 s20, 0
	s_cselect_b32 s20, s28, s21
	s_cselect_b32 s21, s29, s23
	s_cmp_lg_u64 s[18:19], 0
	s_subb_u32 s17, s17, s22
	s_cmp_ge_u32 s17, s11
	s_cselect_b32 s18, -1, 0
	s_cmp_ge_u32 s16, s10
	s_cselect_b32 s10, -1, 0
	s_cmp_eq_u32 s17, s11
	s_cselect_b32 s10, s10, s18
	s_load_dwordx2 s[22:23], s[4:5], 0x1d0
	s_cmp_lg_u32 s10, 0
	s_cselect_b32 s11, s21, s15
	s_cselect_b32 s10, s20, s7
	s_xor_b64 s[0:1], 0, s[0:1]
	s_xor_b64 s[10:11], s[10:11], s[0:1]
	s_sub_u32 s16, s10, s0
	s_subb_u32 s17, s11, s1
	s_cbranch_execnz .LBB61_4
.LBB61_3:
	v_cvt_f32_u32_e32 v1, s2
	s_sub_i32 s0, 0, s2
	s_mov_b32 s17, 0
	v_rcp_iflag_f32_e32 v1, v1
	v_mul_f32_e32 v1, 0x4f7ffffe, v1
	v_cvt_u32_f32_e32 v1, v1
	v_readfirstlane_b32 s1, v1
	s_mul_i32 s0, s0, s1
	s_mul_hi_u32 s0, s1, s0
	s_add_i32 s1, s1, s0
	s_mul_hi_u32 s0, s36, s1
	s_mul_i32 s7, s0, s2
	s_sub_i32 s7, s36, s7
	s_add_i32 s1, s0, 1
	s_sub_i32 s8, s7, s2
	s_cmp_ge_u32 s7, s2
	s_cselect_b32 s0, s1, s0
	s_cselect_b32 s7, s8, s7
	s_add_i32 s1, s0, 1
	s_cmp_ge_u32 s7, s2
	s_cselect_b32 s16, s1, s0
.LBB61_4:
	s_load_dwordx2 s[0:1], s[4:5], 0x370
	s_waitcnt lgkmcnt(0)
	v_writelane_b32 v61, s0, 2
	v_writelane_b32 v61, s1, 3
	s_mov_b32 s0, 0
	s_mov_b32 s1, s23
	s_cmp_lg_u64 s[0:1], 0
	s_cbranch_scc0 .LBB61_305
; %bb.5:
	s_ashr_i32 s0, s23, 31
	s_add_u32 s8, s22, s0
	s_mov_b32 s1, s0
	s_addc_u32 s9, s23, s0
	s_xor_b64 s[10:11], s[8:9], s[0:1]
	v_cvt_f32_u32_e32 v1, s10
	v_cvt_f32_u32_e32 v2, s11
	s_sub_u32 s7, 0, s10
	s_subb_u32 s15, 0, s11
	v_madmk_f32 v1, v2, 0x4f800000, v1
	v_rcp_f32_e32 v1, v1
	v_mul_f32_e32 v1, 0x5f7ffffc, v1
	v_mul_f32_e32 v2, 0x2f800000, v1
	v_trunc_f32_e32 v2, v2
	v_madmk_f32 v1, v2, 0xcf800000, v1
	v_cvt_u32_f32_e32 v2, v2
	v_cvt_u32_f32_e32 v1, v1
	v_readfirstlane_b32 s20, v2
	v_readfirstlane_b32 s18, v1
	s_mul_i32 s19, s7, s20
	s_mul_hi_u32 s22, s7, s18
	s_mul_i32 s21, s15, s18
	s_add_i32 s19, s22, s19
	s_add_i32 s19, s19, s21
	s_mul_i32 s23, s7, s18
	s_mul_i32 s22, s18, s19
	s_mul_hi_u32 s28, s18, s23
	s_mul_hi_u32 s21, s18, s19
	s_add_u32 s22, s28, s22
	s_addc_u32 s21, 0, s21
	s_mul_hi_u32 s29, s20, s23
	s_mul_i32 s23, s20, s23
	s_add_u32 s22, s22, s23
	s_mul_hi_u32 s28, s20, s19
	s_addc_u32 s21, s21, s29
	s_addc_u32 s22, s28, 0
	s_mul_i32 s19, s20, s19
	s_add_u32 s19, s21, s19
	s_addc_u32 s21, 0, s22
	s_add_u32 s22, s18, s19
	s_cselect_b64 s[18:19], -1, 0
	s_cmp_lg_u64 s[18:19], 0
	s_addc_u32 s20, s20, s21
	s_mul_i32 s18, s7, s20
	s_mul_hi_u32 s19, s7, s22
	s_add_i32 s18, s19, s18
	s_mul_i32 s15, s15, s22
	s_add_i32 s18, s18, s15
	s_mul_i32 s7, s7, s22
	s_mul_hi_u32 s19, s20, s7
	s_mul_i32 s21, s20, s7
	s_mul_i32 s28, s22, s18
	s_mul_hi_u32 s7, s22, s7
	s_mul_hi_u32 s23, s22, s18
	s_add_u32 s7, s7, s28
	s_addc_u32 s23, 0, s23
	s_add_u32 s7, s7, s21
	s_mul_hi_u32 s15, s20, s18
	s_addc_u32 s7, s23, s19
	s_addc_u32 s15, s15, 0
	s_mul_i32 s18, s20, s18
	s_add_u32 s7, s7, s18
	s_addc_u32 s15, 0, s15
	s_add_u32 s7, s22, s7
	s_cselect_b64 s[18:19], -1, 0
	s_cmp_lg_u64 s[18:19], 0
	s_addc_u32 s15, s20, s15
	s_add_u32 s18, s36, 0
	s_addc_u32 s19, 0, 0
	s_xor_b64 s[18:19], s[18:19], 0
	s_mul_i32 s21, s18, s15
	s_mul_hi_u32 s22, s18, s7
	s_mul_hi_u32 s20, s18, s15
	s_add_u32 s21, s22, s21
	s_addc_u32 s20, 0, s20
	s_mul_hi_u32 s23, s19, s7
	s_mul_i32 s7, s19, s7
	s_add_u32 s7, s21, s7
	s_mul_hi_u32 s22, s19, s15
	s_addc_u32 s7, s20, s23
	s_addc_u32 s20, s22, 0
	s_mul_i32 s15, s19, s15
	s_add_u32 s7, s7, s15
	s_addc_u32 s15, 0, s20
	s_mul_i32 s20, s10, s15
	s_mul_hi_u32 s21, s10, s7
	s_add_i32 s20, s21, s20
	s_mul_i32 s21, s11, s7
	s_add_i32 s28, s20, s21
	s_sub_i32 s22, s19, s28
	s_mul_i32 s20, s10, s7
	s_sub_u32 s18, s18, s20
	s_cselect_b64 s[20:21], -1, 0
	s_cmp_lg_u64 s[20:21], 0
	s_subb_u32 s29, s22, s11
	s_sub_u32 s33, s18, s10
	s_cselect_b64 s[22:23], -1, 0
	s_cmp_lg_u64 s[22:23], 0
	s_subb_u32 s22, s29, 0
	s_cmp_ge_u32 s22, s11
	s_cselect_b32 s23, -1, 0
	s_cmp_ge_u32 s33, s10
	s_cselect_b32 s29, -1, 0
	s_cmp_eq_u32 s22, s11
	s_cselect_b32 s22, s29, s23
	s_add_u32 s23, s7, 1
	s_addc_u32 s29, s15, 0
	s_add_u32 s33, s7, 2
	s_addc_u32 s34, s15, 0
	s_cmp_lg_u32 s22, 0
	s_cselect_b32 s22, s33, s23
	s_cselect_b32 s23, s34, s29
	s_cmp_lg_u64 s[20:21], 0
	s_subb_u32 s19, s19, s28
	s_cmp_ge_u32 s19, s11
	s_cselect_b32 s20, -1, 0
	s_cmp_ge_u32 s18, s10
	s_cselect_b32 s10, -1, 0
	s_cmp_eq_u32 s19, s11
	s_cselect_b32 s10, s10, s20
	s_cmp_lg_u32 s10, 0
	s_cselect_b32 s11, s23, s15
	s_cselect_b32 s10, s22, s7
	s_xor_b64 s[0:1], 0, s[0:1]
	s_load_dwordx2 s[22:23], s[4:5], 0x1d0
	s_xor_b64 s[10:11], s[10:11], s[0:1]
	s_sub_u32 s0, s10, s0
	s_subb_u32 s1, s11, s1
	v_writelane_b32 v61, s0, 4
	v_writelane_b32 v61, s1, 5
	s_cbranch_execnz .LBB61_7
.LBB61_6:
	s_waitcnt lgkmcnt(0)
	v_cvt_f32_u32_e32 v1, s22
	s_sub_i32 s0, 0, s22
	s_mov_b32 s9, 0
	v_rcp_iflag_f32_e32 v1, v1
	v_mul_f32_e32 v1, 0x4f7ffffe, v1
	v_cvt_u32_f32_e32 v1, v1
	v_readfirstlane_b32 s1, v1
	s_mul_i32 s0, s0, s1
	s_mul_hi_u32 s0, s1, s0
	s_add_i32 s1, s1, s0
	s_mul_hi_u32 s0, s36, s1
	s_mul_i32 s7, s0, s22
	s_sub_i32 s7, s36, s7
	s_add_i32 s1, s0, 1
	s_sub_i32 s8, s7, s22
	s_cmp_ge_u32 s7, s22
	s_cselect_b32 s0, s1, s0
	s_cselect_b32 s7, s8, s7
	s_add_i32 s1, s0, 1
	s_cmp_ge_u32 s7, s22
	s_cselect_b32 s8, s1, s0
	v_writelane_b32 v61, s8, 4
	v_writelane_b32 v61, s9, 5
.LBB61_7:
	s_load_dwordx2 s[8:9], s[4:5], 0x370
	s_mov_b32 s0, 0
	s_waitcnt lgkmcnt(0)
	s_mov_b32 s1, s9
	s_cmp_lg_u64 s[0:1], 0
	s_cbranch_scc0 .LBB61_306
; %bb.8:
	s_load_dwordx2 s[0:1], s[4:5], 0x370
	s_load_dwordx2 s[10:11], s[4:5], 0x370
	s_waitcnt lgkmcnt(0)
	s_ashr_i32 s8, s1, 31
	s_load_dwordx2 s[0:1], s[4:5], 0x370
	s_mov_b32 s9, s8
	s_waitcnt lgkmcnt(0)
	s_add_u32 s0, s0, s8
	s_addc_u32 s1, s11, s8
	s_xor_b64 s[10:11], s[0:1], s[8:9]
	v_cvt_f32_u32_e32 v1, s10
	v_cvt_f32_u32_e32 v2, s11
	s_sub_u32 s7, 0, s10
	s_subb_u32 s15, 0, s11
	v_madmk_f32 v1, v2, 0x4f800000, v1
	v_rcp_f32_e32 v1, v1
	v_mul_f32_e32 v1, 0x5f7ffffc, v1
	v_mul_f32_e32 v2, 0x2f800000, v1
	v_trunc_f32_e32 v2, v2
	v_madmk_f32 v1, v2, 0xcf800000, v1
	v_cvt_u32_f32_e32 v2, v2
	v_cvt_u32_f32_e32 v1, v1
	v_readfirstlane_b32 s20, v2
	v_readfirstlane_b32 s18, v1
	s_mul_i32 s19, s7, s20
	s_mul_hi_u32 s22, s7, s18
	s_mul_i32 s21, s15, s18
	s_add_i32 s19, s22, s19
	s_add_i32 s19, s19, s21
	s_mul_i32 s23, s7, s18
	s_mul_i32 s22, s18, s19
	s_mul_hi_u32 s28, s18, s23
	s_mul_hi_u32 s21, s18, s19
	s_add_u32 s22, s28, s22
	s_addc_u32 s21, 0, s21
	s_mul_hi_u32 s29, s20, s23
	s_mul_i32 s23, s20, s23
	s_add_u32 s22, s22, s23
	s_mul_hi_u32 s28, s20, s19
	s_addc_u32 s21, s21, s29
	s_addc_u32 s22, s28, 0
	s_mul_i32 s19, s20, s19
	s_add_u32 s19, s21, s19
	s_addc_u32 s21, 0, s22
	s_add_u32 s22, s18, s19
	s_cselect_b64 s[18:19], -1, 0
	s_cmp_lg_u64 s[18:19], 0
	s_addc_u32 s20, s20, s21
	s_mul_i32 s18, s7, s20
	s_mul_hi_u32 s19, s7, s22
	s_add_i32 s18, s19, s18
	s_mul_i32 s15, s15, s22
	s_add_i32 s18, s18, s15
	s_mul_i32 s7, s7, s22
	s_mul_hi_u32 s19, s20, s7
	s_mul_i32 s21, s20, s7
	s_mul_i32 s28, s22, s18
	s_mul_hi_u32 s7, s22, s7
	s_mul_hi_u32 s23, s22, s18
	s_add_u32 s7, s7, s28
	s_addc_u32 s23, 0, s23
	s_add_u32 s7, s7, s21
	s_mul_hi_u32 s15, s20, s18
	s_addc_u32 s7, s23, s19
	s_addc_u32 s15, s15, 0
	s_mul_i32 s18, s20, s18
	s_add_u32 s7, s7, s18
	s_addc_u32 s15, 0, s15
	s_add_u32 s7, s22, s7
	s_cselect_b64 s[18:19], -1, 0
	s_cmp_lg_u64 s[18:19], 0
	s_addc_u32 s15, s20, s15
	s_add_u32 s18, s36, 0
	s_addc_u32 s19, 0, 0
	s_xor_b64 s[18:19], s[18:19], 0
	s_mul_i32 s21, s18, s15
	s_mul_hi_u32 s22, s18, s7
	s_mul_hi_u32 s20, s18, s15
	s_add_u32 s21, s22, s21
	s_addc_u32 s20, 0, s20
	s_mul_hi_u32 s23, s19, s7
	s_mul_i32 s7, s19, s7
	s_add_u32 s7, s21, s7
	s_mul_hi_u32 s22, s19, s15
	s_addc_u32 s7, s20, s23
	s_addc_u32 s20, s22, 0
	s_mul_i32 s15, s19, s15
	s_add_u32 s7, s7, s15
	s_addc_u32 s15, 0, s20
	s_mul_i32 s20, s10, s15
	s_mul_hi_u32 s21, s10, s7
	s_add_i32 s20, s21, s20
	s_mul_i32 s21, s11, s7
	s_add_i32 s28, s20, s21
	s_sub_i32 s22, s19, s28
	s_mul_i32 s20, s10, s7
	s_sub_u32 s18, s18, s20
	s_cselect_b64 s[20:21], -1, 0
	s_cmp_lg_u64 s[20:21], 0
	s_subb_u32 s29, s22, s11
	s_sub_u32 s33, s18, s10
	s_cselect_b64 s[22:23], -1, 0
	s_cmp_lg_u64 s[22:23], 0
	s_subb_u32 s22, s29, 0
	s_cmp_ge_u32 s22, s11
	s_cselect_b32 s23, -1, 0
	s_cmp_ge_u32 s33, s10
	s_cselect_b32 s29, -1, 0
	s_cmp_eq_u32 s22, s11
	s_cselect_b32 s22, s29, s23
	s_add_u32 s23, s7, 1
	s_addc_u32 s29, s15, 0
	s_add_u32 s33, s7, 2
	s_addc_u32 s34, s15, 0
	s_cmp_lg_u32 s22, 0
	s_cselect_b32 s22, s33, s23
	s_cselect_b32 s23, s34, s29
	s_cmp_lg_u64 s[20:21], 0
	s_subb_u32 s19, s19, s28
	s_cmp_ge_u32 s19, s11
	s_cselect_b32 s20, -1, 0
	s_cmp_ge_u32 s18, s10
	s_cselect_b32 s10, -1, 0
	s_cmp_eq_u32 s19, s11
	s_cselect_b32 s10, s10, s20
	s_cmp_lg_u32 s10, 0
	s_cselect_b32 s11, s23, s15
	s_cselect_b32 s10, s22, s7
	s_xor_b64 s[8:9], 0, s[8:9]
	s_xor_b64 s[10:11], s[10:11], s[8:9]
	s_sub_u32 s8, s10, s8
	s_subb_u32 s9, s11, s9
	v_writelane_b32 v61, s8, 6
	v_writelane_b32 v61, s9, 7
	s_load_dwordx2 s[8:9], s[4:5], 0x370
	s_load_dwordx2 s[18:19], s[4:5], 0x0
	s_cbranch_execnz .LBB61_10
.LBB61_9:
	s_waitcnt lgkmcnt(0)
	v_cvt_f32_u32_e32 v1, s8
	s_sub_i32 s0, 0, s8
	s_mov_b32 s21, 0
	s_load_dwordx2 s[10:11], s[4:5], 0x370
	v_rcp_iflag_f32_e32 v1, v1
	v_mul_f32_e32 v1, 0x4f7ffffe, v1
	v_cvt_u32_f32_e32 v1, v1
	v_readfirstlane_b32 s1, v1
	s_mul_i32 s0, s0, s1
	s_mul_hi_u32 s0, s1, s0
	s_add_i32 s1, s1, s0
	s_mul_hi_u32 s0, s36, s1
	s_mul_i32 s7, s0, s8
	s_load_dwordx2 s[8:9], s[4:5], 0x370
	s_sub_i32 s7, s36, s7
	s_add_i32 s1, s0, 1
	s_waitcnt lgkmcnt(0)
	s_sub_i32 s8, s7, s8
	s_cmp_ge_u32 s7, s10
	s_cselect_b32 s7, s8, s7
	s_load_dwordx2 s[8:9], s[4:5], 0x370
	s_cselect_b32 s0, s1, s0
	s_add_i32 s1, s0, 1
	s_waitcnt lgkmcnt(0)
	s_cmp_ge_u32 s7, s8
	s_cselect_b32 s20, s1, s0
	v_writelane_b32 v61, s20, 6
	v_writelane_b32 v61, s21, 7
.LBB61_10:
	s_load_dwordx2 s[0:1], s[4:5], 0x360
	s_mov_b32 s53, 0
	s_waitcnt lgkmcnt(0)
	s_load_dwordx4 s[8:11], s[4:5], 0xd0
	v_writelane_b32 v61, s0, 8
	v_writelane_b32 v61, s1, 9
	s_load_dwordx2 s[0:1], s[4:5], 0x1c0
	s_waitcnt lgkmcnt(0)
	v_writelane_b32 v61, s0, 10
	v_writelane_b32 v61, s1, 11
	v_cmp_eq_u32_e64 s[0:1], 0, v0
	s_mov_b64 s[20:21], exec
	v_writelane_b32 v61, s0, 12
	v_writelane_b32 v61, s1, 13
	s_and_b64 s[0:1], s[20:21], s[0:1]
	s_mov_b64 exec, s[0:1]
	s_cbranch_execz .LBB61_12
; %bb.11:
	v_mov_b32_e32 v1, 0
	v_mov_b32_e32 v3, s24
	;; [unrolled: 1-line block ×4, first 2 shown]
	ds_write_b32 v1, v1 offset:5136
	ds_write_b128 v1, v[1:4] offset:5120
.LBB61_12:
	s_or_b64 exec, exec, s[20:21]
	s_mul_i32 s0, s16, s3
	s_mul_hi_u32 s1, s16, s2
	s_add_i32 s0, s1, s0
	s_mul_i32 s1, s17, s2
	s_add_i32 s0, s0, s1
	s_mul_i32 s1, s16, s2
	s_mov_b32 s2, s36
	v_writelane_b32 v61, s2, 14
	v_writelane_b32 v61, s3, 15
	s_sub_u32 s2, s36, s1
	s_subb_u32 s0, 0, s0
	s_mul_i32 s1, s2, s11
	s_mul_hi_u32 s3, s2, s10
	s_add_i32 s1, s3, s1
	s_mul_i32 s0, s0, s10
	s_add_i32 s1, s1, s0
	s_mul_i32 s0, s2, s10
	s_mul_i32 s2, s16, s9
	s_mul_hi_u32 s3, s16, s8
	s_add_i32 s2, s3, s2
	s_mul_i32 s3, s17, s8
	s_add_i32 s3, s2, s3
	s_mul_i32 s2, s16, s8
	s_lshl_b64 s[8:9], s[2:3], 1
	s_add_u32 s2, s18, s8
	s_addc_u32 s3, s19, s9
	s_lshl_b64 s[10:11], s[0:1], 1
	v_mad_u64_u32 v[4:5], s[0:1], s30, v0, 0
	v_mbcnt_lo_u32_b32 v1, -1, 0
	v_mbcnt_hi_u32_b32 v32, -1, v1
	v_mov_b32_e32 v1, v5
	v_mad_u64_u32 v[1:2], s[0:1], s31, v0, v[1:2]
	v_mov_b32_e32 v5, 0x600
	v_mov_b32_e32 v6, 0
	v_cmp_gt_i64_e64 s[0:1], s[24:25], v[5:6]
	v_mov_b32_e32 v5, v1
	s_add_u32 s54, s2, s10
	v_writelane_b32 v61, s0, 16
	v_lshlrev_b64 v[6:7], 1, v[4:5]
	s_addc_u32 s55, s3, s11
	s_waitcnt lgkmcnt(0)
	s_barrier
	v_cmp_gt_u32_e32 vcc, 64, v0
	v_cmp_gt_i32_e64 s[2:3], 4, v32
	v_writelane_b32 v61, s1, 17
	v_lshlrev_b64 v[1:2], v32, -1
	s_load_dword s0, s[12:13], 0xc
	s_and_b64 s[58:59], vcc, s[2:3]
	v_mov_b32_e32 v8, s55
	v_add_co_u32_e32 v14, vcc, s54, v6
	v_mov_b32_e32 v3, 0
	v_addc_co_u32_e32 v15, vcc, v8, v7, vcc
	v_not_b32_e32 v33, v2
	v_add_u32_e32 v2, 2, v0
	v_cmp_gt_i64_e32 vcc, s[24:25], v[2:3]
	v_not_b32_e32 v34, v1
	v_mov_b32_e32 v1, s25
	s_waitcnt lgkmcnt(0)
	s_and_b32 s23, s0, 0xffff
	s_bfe_u32 s0, s0, 0xa0006
	v_cndmask_b32_e32 v8, 0, v1, vcc
	v_mov_b32_e32 v1, s24
	s_cmp_gt_u32 s23, 63
	v_cndmask_b32_e32 v1, v2, v1, vcc
	v_not_b32_e32 v2, v0
	s_cselect_b64 s[2:3], -1, 0
	s_add_u32 s67, s23, -1
	v_add_co_u32_e32 v1, vcc, v1, v2
	v_writelane_b32 v61, s2, 18
	s_addc_u32 s71, 0, -1
	v_addc_co_u32_e32 v2, vcc, -1, v8, vcc
	v_writelane_b32 v61, s3, 19
	s_add_u32 s33, s67, s24
	v_cmp_lt_u64_e64 s[2:3], 1, v[1:2]
	s_addc_u32 s63, s71, s25
	s_cmp_lt_u32 s6, s14
	v_writelane_b32 v61, s2, 20
	v_and_b32_e32 v16, -2, v1
	v_mov_b32_e32 v17, v2
	s_cselect_b32 s1, 12, 18
	v_writelane_b32 v61, s3, 21
	v_cmp_ne_u64_e64 s[2:3], v[1:2], v[16:17]
	s_add_u32 s64, s12, s1
	s_addc_u32 s65, s13, 0
	v_writelane_b32 v61, s2, 22
	s_add_i32 s1, s0, -1
	v_writelane_b32 v61, s3, 23
	s_bfe_u32 s2, s23, 0x30006
	s_and_b32 s1, s1, 0xffff
	v_lshlrev_b32_e32 v35, 3, v0
	s_cmp_gt_u32 s1, 6
	v_or_b32_e32 v2, 6, v35
	s_cselect_b64 s[6:7], -1, 0
	s_and_b32 s22, s0, 0x3f8
	v_mad_u64_u32 v[18:19], s[0:1], s30, v2, 0
	v_writelane_b32 v61, s6, 24
	v_writelane_b32 v61, s7, 25
	s_cmp_lg_u32 s2, 0
	v_writelane_b32 v61, s2, 26
	s_cselect_b64 s[0:1], -1, 0
	v_writelane_b32 v61, s0, 27
	v_mov_b32_e32 v1, v19
	v_writelane_b32 v61, s1, 28
	v_mad_u64_u32 v[1:2], s[0:1], s31, v2, v[1:2]
	v_or_b32_e32 v2, 4, v35
	v_mad_u64_u32 v[19:20], s[0:1], s30, v2, 0
	v_mov_b32_e32 v36, v1
	v_or_b32_e32 v8, 2, v35
	v_mov_b32_e32 v1, v20
	s_add_u32 s2, s8, s10
	v_mad_u64_u32 v[1:2], s[0:1], s31, v2, v[1:2]
	v_mad_u64_u32 v[20:21], s[0:1], s30, v8, 0
	s_addc_u32 s3, s9, s11
	s_add_u32 s2, s18, s2
	s_addc_u32 s3, s19, s3
	v_mov_b32_e32 v2, s3
	v_writelane_b32 v61, s2, 29
	v_add_co_u32_e32 v12, vcc, s2, v6
	v_mov_b32_e32 v37, v1
	v_mov_b32_e32 v1, v21
	v_addc_co_u32_e32 v13, vcc, v2, v7, vcc
	v_mad_u64_u32 v[6:7], s[0:1], s31, v8, v[1:2]
	v_writelane_b32 v61, s3, 30
	s_load_dwordx4 s[0:3], s[4:5], 0x430
	v_lshlrev_b32_e32 v2, 2, v32
	v_mov_b32_e32 v1, v3
	v_and_b32_e32 v39, 0x100, v2
	v_lshrrev_b32_e32 v2, 1, v0
	s_waitcnt lgkmcnt(0)
	v_writelane_b32 v61, s0, 31
	v_writelane_b32 v61, s1, 32
	;; [unrolled: 1-line block ×4, first 2 shown]
	s_load_dwordx4 s[0:3], s[4:5], 0x290
	v_and_b32_e32 v2, 0x1e0, v2
	v_or_b32_e32 v40, 0xc00, v2
	v_mov_b32_e32 v2, s25
	v_add_co_u32_e32 v41, vcc, s24, v0
	s_waitcnt lgkmcnt(0)
	v_writelane_b32 v61, s0, 35
	v_writelane_b32 v61, s1, 36
	;; [unrolled: 1-line block ×4, first 2 shown]
	v_cmp_gt_i64_e64 s[0:1], s[24:25], v[0:1]
	s_mul_i32 s2, s31, s23
	s_mul_hi_u32 s3, s30, s23
	v_writelane_b32 v61, s0, 39
	v_lshlrev_b64 v[23:24], 3, v[4:5]
	v_addc_co_u32_e32 v42, vcc, 0, v2, vcc
	v_mov_b32_e32 v2, 0xc00
	s_add_i32 s3, s3, s2
	s_mul_i32 s2, s30, s23
	v_lshlrev_b32_e32 v45, 1, v0
	v_mov_b32_e32 v26, s26
	v_cmp_eq_u32_e64 s[10:11], 0, v32
	v_cmp_gt_u32_e64 s[12:13], 2, v0
	v_writelane_b32 v61, s1, 40
	v_mov_b32_e32 v38, v6
	v_lshlrev_b32_e32 v21, 2, v0
	v_mov_b32_e32 v22, v3
	s_mov_b32 s0, s30
	s_mov_b32 s1, s31
	s_lshl_b64 s[72:73], s[30:31], 1
	s_lshl_b64 s[74:75], s[30:31], 3
	v_lshl_or_b32 v43, v32, 3, v2
	s_lshl_b64 s[56:57], s[2:3], 1
	s_lshl_b32 s2, s23, 1
	s_mov_b32 s60, 14
	s_mov_b64 s[76:77], 0
	s_movk_i32 s3, 0x3c00
	s_mov_b32 s61, 0
	v_add_u32_e32 v46, 0xc00, v45
	v_mov_b32_e32 v47, 0xffff
	v_mov_b32_e32 v48, 0x8000
	v_mov_b32_e32 v49, -1
	v_mov_b32_e32 v50, 0x5040100
	v_mov_b32_e32 v52, 0
	;; [unrolled: 1-line block ×4, first 2 shown]
	v_add_co_u32_e32 v25, vcc, v16, v0
	v_mov_b32_e32 v27, s27
                                        ; implicit-def: $sgpr78_sgpr79
                                        ; implicit-def: $sgpr82_sgpr83
                                        ; implicit-def: $sgpr80_sgpr81
                                        ; implicit-def: $sgpr86_sgpr87
                                        ; implicit-def: $sgpr88_sgpr89
                                        ; implicit-def: $sgpr84_sgpr85
	s_branch .LBB61_16
.LBB61_13:                              ;   in Loop: Header=BB61_16 Depth=1
	s_or_b64 exec, exec, s[14:15]
	s_and_b64 s[14:15], s[8:9], exec
	s_andn2_b64 s[92:93], s[92:93], exec
	s_andn2_b64 s[4:5], s[4:5], exec
	s_orn2_b64 s[20:21], s[16:17], exec
.LBB61_14:                              ;   in Loop: Header=BB61_16 Depth=1
	s_or_b64 exec, exec, s[6:7]
	s_andn2_b64 s[6:7], s[84:85], exec
	s_and_b64 s[8:9], s[14:15], exec
	s_or_b64 s[84:85], s[6:7], s[8:9]
	s_andn2_b64 s[6:7], s[88:89], exec
	s_and_b64 s[8:9], s[92:93], exec
	s_or_b64 s[88:89], s[6:7], s[8:9]
	;; [unrolled: 3-line block ×3, first 2 shown]
	s_orn2_b64 s[4:5], s[20:21], exec
.LBB61_15:                              ;   in Loop: Header=BB61_16 Depth=1
	s_or_b64 exec, exec, s[18:19]
	s_and_b64 s[4:5], exec, s[4:5]
	s_or_b64 s[76:77], s[4:5], s[76:77]
	s_andn2_b64 s[4:5], s[80:81], exec
	s_and_b64 s[6:7], s[84:85], exec
	s_or_b64 s[80:81], s[4:5], s[6:7]
	s_andn2_b64 s[4:5], s[82:83], exec
	s_and_b64 s[6:7], s[88:89], exec
	;; [unrolled: 3-line block ×3, first 2 shown]
	v_mov_b32_e32 v27, v9
	s_or_b64 s[78:79], s[4:5], s[6:7]
	v_mov_b32_e32 v26, v8
	s_andn2_b64 exec, exec, s[76:77]
	s_cbranch_execz .LBB61_287
.LBB61_16:                              ; =>This Loop Header: Depth=1
                                        ;     Child Loop BB61_21 Depth 2
                                        ;     Child Loop BB61_35 Depth 2
	;; [unrolled: 1-line block ×17, first 2 shown]
	ds_read_b128 v[4:7], v3 offset:5120
	s_waitcnt lgkmcnt(0)
	v_readfirstlane_b32 s27, v5
	v_readfirstlane_b32 s26, v4
	v_cmp_gt_i64_e64 s[4:5], s[26:27], 0
	s_and_b64 vcc, exec, s[4:5]
	s_cbranch_vccnz .LBB61_48
; %bb.17:                               ;   in Loop: Header=BB61_16 Depth=1
	v_readlane_b32 s4, v61, 16
	v_readlane_b32 s5, v61, 17
	s_and_b64 vcc, exec, s[4:5]
	s_cbranch_vccz .LBB61_29
; %bb.18:                               ;   in Loop: Header=BB61_16 Depth=1
	s_mov_b64 s[4:5], 0x601
	v_cmp_gt_i64_e32 vcc, s[4:5], v[6:7]
	s_mov_b64 s[6:7], 0
	s_mov_b64 s[4:5], 0
	s_cbranch_vccz .LBB61_30
; %bb.19:                               ;   in Loop: Header=BB61_16 Depth=1
	global_load_ushort v6, v3, s[64:65]
	global_load_ushort v2, v[14:15], off
	v_readlane_b32 s4, v61, 29
	v_readlane_b32 s5, v61, 30
	v_mov_b32_e32 v4, s4
	v_mov_b32_e32 v5, s5
	s_mov_b64 s[14:15], 0
	s_waitcnt vmcnt(1)
	v_and_b32_e32 v8, 0xffff, v6
	v_readfirstlane_b32 s8, v6
	v_add_co_u32_e32 v6, vcc, v0, v8
	v_addc_co_u32_e64 v7, s[4:5], 0, 0, vcc
	v_mul_lo_u32 v7, s72, v7
	v_mul_lo_u32 v9, s73, v6
	v_mad_u64_u32 v[4:5], s[4:5], s72, v6, v[4:5]
	s_and_b32 s8, 0xffff, s8
	s_mul_i32 s4, s73, s8
	s_mul_hi_u32 s5, s72, s8
	v_add3_u32 v5, v9, v5, v7
	v_mov_b32_e32 v7, v1
	s_mul_i32 s27, s72, s8
	s_add_i32 s28, s5, s4
	v_mov_b32_e32 v6, v0
	s_branch .LBB61_21
.LBB61_20:                              ;   in Loop: Header=BB61_21 Depth=2
	s_or_b64 exec, exec, s[8:9]
	v_mov_b32_e32 v2, s28
	v_add_co_u32_e32 v4, vcc, s27, v4
	v_addc_co_u32_e32 v5, vcc, v5, v2, vcc
	v_mov_b32_e32 v2, v9
	s_andn2_b64 exec, exec, s[14:15]
	s_cbranch_execz .LBB61_82
.LBB61_21:                              ;   Parent Loop BB61_16 Depth=1
                                        ; =>  This Inner Loop Header: Depth=2
	v_add_co_u32_e32 v6, vcc, v6, v8
	v_addc_co_u32_e32 v7, vcc, 0, v7, vcc
	v_cmp_gt_i64_e64 s[4:5], s[24:25], v[6:7]
	v_cmp_le_i64_e32 vcc, s[24:25], v[6:7]
	s_waitcnt lgkmcnt(0)
	v_mov_b32_e32 v10, 0
	v_mov_b32_e32 v9, 0
	s_and_saveexec_b64 s[8:9], s[4:5]
	s_cbranch_execz .LBB61_23
; %bb.22:                               ;   in Loop: Header=BB61_21 Depth=2
	global_load_ushort v9, v[4:5], off
.LBB61_23:                              ;   in Loop: Header=BB61_21 Depth=2
	s_or_b64 exec, exec, s[8:9]
	s_waitcnt vmcnt(0)
	v_cmp_lt_i16_e64 s[4:5], -1, v2
	v_cndmask_b32_e64 v11, v47, v48, s[4:5]
	v_xor_b32_sdwa v11, v11, v2 dst_sel:DWORD dst_unused:UNUSED_PAD src0_sel:DWORD src1_sel:WORD_0
	v_cmp_o_f16_e64 s[4:5], v2, v2
	v_cndmask_b32_e64 v11, v47, v11, s[4:5]
	v_and_b32_e32 v11, v11, v51
	v_cmp_eq_u32_e64 s[4:5], v11, v44
	s_cmp_lg_u64 s[4:5], 0
	s_cselect_b64 s[8:9], -1, 0
	s_and_b64 s[8:9], s[10:11], s[8:9]
	s_and_saveexec_b64 s[18:19], s[8:9]
	s_cbranch_execz .LBB61_27
; %bb.24:                               ;   in Loop: Header=BB61_21 Depth=2
	s_mov_b64 s[20:21], exec
	v_mbcnt_lo_u32_b32 v10, s20, 0
	v_mbcnt_hi_u32_b32 v10, s21, v10
	s_bcnt1_i32_b64 s29, s[4:5]
	v_cmp_eq_u32_e64 s[16:17], 0, v10
                                        ; implicit-def: $vgpr11
	s_and_saveexec_b64 s[8:9], s[16:17]
; %bb.25:                               ;   in Loop: Header=BB61_21 Depth=2
	s_bcnt1_i32_b64 s16, s[20:21]
	s_mul_i32 s16, s29, s16
	v_mov_b32_e32 v11, s16
	ds_add_rtn_u32 v11, v3, v11 offset:5136
; %bb.26:                               ;   in Loop: Header=BB61_21 Depth=2
	s_or_b64 exec, exec, s[8:9]
	s_waitcnt lgkmcnt(0)
	v_readfirstlane_b32 s8, v11
	v_mov_b32_e32 v11, s8
	v_mad_u32_u24 v10, s29, v10, v11
.LBB61_27:                              ;   in Loop: Header=BB61_21 Depth=2
	s_or_b64 exec, exec, s[18:19]
	ds_bpermute_b32 v10, v39, v10
	s_and_b64 s[8:9], exec, vcc
	s_or_b64 s[14:15], s[8:9], s[14:15]
	s_and_saveexec_b64 s[8:9], s[4:5]
	s_cbranch_execz .LBB61_20
; %bb.28:                               ;   in Loop: Header=BB61_21 Depth=2
	v_and_b32_e32 v28, s4, v34
	v_and_b32_e32 v11, s5, v33
	v_bcnt_u32_b32 v28, v28, 0
	v_bcnt_u32_b32 v11, v11, v28
	v_lshlrev_b32_e32 v11, 1, v11
	s_waitcnt lgkmcnt(0)
	v_lshl_add_u32 v10, v10, 1, v11
	ds_write_b16 v10, v2
	s_branch .LBB61_20
.LBB61_29:                              ;   in Loop: Header=BB61_16 Depth=1
	s_mov_b64 s[6:7], -1
	s_mov_b64 s[4:5], 0
.LBB61_30:                              ;   in Loop: Header=BB61_16 Depth=1
	s_and_b64 vcc, exec, s[6:7]
	s_cbranch_vccz .LBB61_46
.LBB61_31:                              ;   in Loop: Header=BB61_16 Depth=1
	s_mov_b64 s[6:7], exec
	v_readlane_b32 s4, v61, 39
	v_readlane_b32 s5, v61, 40
	s_and_b64 s[4:5], s[6:7], s[4:5]
	s_mov_b64 exec, s[4:5]
	s_cbranch_execz .LBB61_43
; %bb.32:                               ;   in Loop: Header=BB61_16 Depth=1
	global_load_ushort v2, v3, s[64:65]
	global_load_ushort v11, v[14:15], off
	v_mov_b32_e32 v6, v0
	s_waitcnt vmcnt(1)
	v_readfirstlane_b32 s4, v2
	v_add_u32_sdwa v2, v2, v0 dst_sel:DWORD dst_unused:UNUSED_PAD src0_sel:WORD_0 src1_sel:DWORD
	v_cmp_gt_i64_e32 vcc, s[24:25], v[2:3]
	s_and_saveexec_b64 s[14:15], vcc
	s_cbranch_execz .LBB61_42
; %bb.33:                               ;   in Loop: Header=BB61_16 Depth=1
	s_and_b32 s8, s4, 0xffff
	s_cmp_eq_u32 s8, 1
	v_readlane_b32 s16, v61, 20
                                        ; implicit-def: $vgpr6_vgpr7
	s_cselect_b64 s[4:5], -1, 0
	v_readlane_b32 s17, v61, 21
	v_mov_b32_e32 v8, v1
	v_mov_b32_e32 v5, v3
	s_and_b64 s[16:17], s[16:17], s[4:5]
	s_mov_b64 s[18:19], -1
	v_mov_b32_e32 v7, v0
	v_mov_b32_e32 v4, v2
	s_and_saveexec_b64 s[4:5], s[16:17]
	s_cbranch_execz .LBB61_37
; %bb.34:                               ;   in Loop: Header=BB61_16 Depth=1
	v_add_co_u32_e32 v4, vcc, 1, v2
	v_addc_co_u32_e64 v5, s[16:17], 0, 0, vcc
	v_mov_b32_e32 v8, v16
	v_mov_b32_e32 v7, v5
	s_waitcnt vmcnt(0)
	v_lshlrev_b32_e32 v28, 16, v11
	s_mov_b64 s[16:17], 0
	v_mov_b32_e32 v9, v17
	v_mov_b32_e32 v10, v45
	;; [unrolled: 1-line block ×5, first 2 shown]
.LBB61_35:                              ;   Parent Loop BB61_16 Depth=1
                                        ; =>  This Inner Loop Header: Depth=2
	v_mul_lo_u32 v11, v7, s30
	v_mul_lo_u32 v31, v6, s31
	v_mad_u64_u32 v[29:30], s[18:19], v6, s30, 0
	v_mad_u64_u32 v[53:54], s[18:19], v4, s0, 0
	v_add3_u32 v30, v30, v31, v11
	v_mul_lo_u32 v11, v5, s0
	v_mul_lo_u32 v31, v4, s1
	v_lshlrev_b64 v[29:30], 1, v[29:30]
	s_mov_b32 s9, 0x5040100
	v_add3_u32 v54, v54, v31, v11
	v_lshlrev_b64 v[53:54], 1, v[53:54]
	v_mov_b32_e32 v11, s55
	v_add_co_u32_e32 v53, vcc, s54, v53
	v_addc_co_u32_e32 v54, vcc, v11, v54, vcc
	v_add_co_u32_e32 v29, vcc, s54, v29
	v_addc_co_u32_e32 v30, vcc, v11, v30, vcc
	global_load_ushort v31, v[53:54], off
	global_load_ushort v11, v[29:30], off
	v_add_co_u32_e32 v6, vcc, 2, v6
	v_addc_co_u32_e32 v7, vcc, 0, v7, vcc
	v_add_co_u32_e32 v4, vcc, 2, v4
	v_addc_co_u32_e32 v5, vcc, 0, v5, vcc
	v_add_co_u32_e32 v8, vcc, -2, v8
	v_addc_co_u32_e32 v9, vcc, -1, v9, vcc
	v_cmp_eq_u64_e32 vcc, 0, v[8:9]
	s_or_b64 s[16:17], vcc, s[16:17]
	s_waitcnt vmcnt(1)
	v_alignbit_b32 v28, v31, v28, 16
	s_waitcnt vmcnt(0)
	v_perm_b32 v29, v11, v31, s9
	ds_write_b32 v10, v28
	v_add_u32_e32 v10, 4, v10
	v_mov_b32_e32 v28, v29
	s_andn2_b64 exec, exec, s[16:17]
	s_cbranch_execnz .LBB61_35
; %bb.36:                               ;   in Loop: Header=BB61_16 Depth=1
	s_or_b64 exec, exec, s[16:17]
	v_readlane_b32 s16, v61, 22
	v_add_co_u32_e32 v4, vcc, v2, v16
	v_readlane_b32 s17, v61, 23
	v_addc_co_u32_e32 v5, vcc, 0, v17, vcc
	v_add_co_u32_e32 v6, vcc, -1, v4
	s_orn2_b64 s[18:19], s[16:17], exec
	v_mov_b32_e32 v7, v25
	v_mov_b32_e32 v8, v26
.LBB61_37:                              ;   in Loop: Header=BB61_16 Depth=1
	s_or_b64 exec, exec, s[4:5]
	s_and_saveexec_b64 s[16:17], s[18:19]
	s_cbranch_execz .LBB61_41
; %bb.38:                               ;   in Loop: Header=BB61_16 Depth=1
	v_readlane_b32 s4, v61, 29
	v_readlane_b32 s5, v61, 30
	v_mov_b32_e32 v9, s5
	v_mov_b32_e32 v8, s4
	v_mad_u64_u32 v[9:10], s[4:5], s72, v4, v[8:9]
	v_mul_lo_u32 v2, s72, v5
	v_mul_lo_u32 v6, s73, v4
	s_mul_i32 s4, s73, s8
	s_mul_hi_u32 s5, s72, s8
	s_mov_b64 s[18:19], 0
	s_sub_u32 s9, 0, s8
	v_add3_u32 v10, v6, v10, v2
	s_add_i32 s20, s5, s4
.LBB61_39:                              ;   Parent Loop BB61_16 Depth=1
                                        ; =>  This Inner Loop Header: Depth=2
	s_waitcnt vmcnt(0)
	v_mov_b32_e32 v2, v11
	global_load_ushort v11, v[9:10], off
	v_mov_b32_e32 v29, v5
	v_mov_b32_e32 v28, v4
	v_lshlrev_b32_e32 v4, 1, v7
	ds_write_b16 v4, v2
	v_add_co_u32_e32 v4, vcc, s8, v28
	v_addc_co_u32_e32 v5, vcc, 0, v29, vcc
	s_mul_i32 s4, s72, s8
	v_mov_b32_e32 v2, s20
	v_add_co_u32_e32 v9, vcc, s4, v9
	v_addc_co_u32_e32 v10, vcc, v10, v2, vcc
	v_cmp_le_i64_e32 vcc, s[24:25], v[4:5]
	v_add_co_u32_e64 v6, s[4:5], s9, v4
	s_or_b64 s[18:19], vcc, s[18:19]
	v_mov_b32_e32 v7, v28
	v_mov_b32_e32 v8, v29
	s_andn2_b64 exec, exec, s[18:19]
	s_cbranch_execnz .LBB61_39
; %bb.40:                               ;   in Loop: Header=BB61_16 Depth=1
	s_or_b64 exec, exec, s[18:19]
.LBB61_41:                              ;   in Loop: Header=BB61_16 Depth=1
	s_or_b64 exec, exec, s[16:17]
.LBB61_42:                              ;   in Loop: Header=BB61_16 Depth=1
	s_or_b64 exec, exec, s[14:15]
	v_lshlrev_b32_e32 v2, 1, v6
	s_waitcnt vmcnt(0)
	ds_write_b16 v2, v11
.LBB61_43:                              ;   in Loop: Header=BB61_16 Depth=1
	s_or_b64 exec, exec, s[6:7]
	s_waitcnt lgkmcnt(0)
	s_barrier
	s_mov_b64 s[4:5], exec
	v_readlane_b32 s6, v61, 12
	v_readlane_b32 s7, v61, 13
	s_and_b64 s[6:7], s[4:5], s[6:7]
	s_mov_b64 exec, s[6:7]
; %bb.44:                               ;   in Loop: Header=BB61_16 Depth=1
	v_mov_b32_e32 v4, s24
	v_mov_b32_e32 v5, s25
	ds_write_b64 v3, v[4:5] offset:5120
; %bb.45:                               ;   in Loop: Header=BB61_16 Depth=1
	s_or_b64 exec, exec, s[4:5]
	s_mov_b64 s[4:5], -1
	s_waitcnt lgkmcnt(0)
	s_barrier
.LBB61_46:                              ;   in Loop: Header=BB61_16 Depth=1
	s_and_b64 vcc, exec, s[4:5]
	s_cbranch_vccz .LBB61_48
; %bb.47:                               ;   in Loop: Header=BB61_16 Depth=1
	ds_read_b64 v[4:5], v3 offset:5120
	s_waitcnt lgkmcnt(0)
	v_readfirstlane_b32 s26, v4
.LBB61_48:                              ;   in Loop: Header=BB61_16 Depth=1
	s_cmp_lt_i32 s26, 1
	s_mov_b64 s[4:5], -1
                                        ; implicit-def: $vgpr4_vgpr5
                                        ; implicit-def: $vgpr8_vgpr9
	s_cbranch_scc1 .LBB61_58
; %bb.49:                               ;   in Loop: Header=BB61_16 Depth=1
	s_and_b64 vcc, exec, s[4:5]
	s_cbranch_vccnz .LBB61_72
.LBB61_50:                              ;   in Loop: Header=BB61_16 Depth=1
	s_lshl_b32 s6, s61, 6
	s_and_saveexec_b64 s[4:5], s[10:11]
	s_cbranch_execz .LBB61_52
.LBB61_51:                              ;   in Loop: Header=BB61_16 Depth=1
	v_lshl_add_u32 v2, s6, 3, v40
	ds_write_b128 v2, v[4:7]
	ds_write_b128 v2, v[8:11] offset:16
.LBB61_52:                              ;   in Loop: Header=BB61_16 Depth=1
	s_or_b64 exec, exec, s[4:5]
	s_waitcnt lgkmcnt(0)
	s_barrier
	s_and_saveexec_b64 s[4:5], s[58:59]
	s_cbranch_execz .LBB61_90
; %bb.53:                               ;   in Loop: Header=BB61_16 Depth=1
	v_readlane_b32 s8, v61, 18
	v_mov_b32_e32 v4, 0
	v_readlane_b32 s9, v61, 19
	v_mov_b32_e32 v5, 0
	s_andn2_b64 vcc, exec, s[8:9]
	s_cbranch_vccnz .LBB61_89
; %bb.54:                               ;   in Loop: Header=BB61_16 Depth=1
	v_readlane_b32 s8, v61, 24
	v_readlane_b32 s9, v61, 25
	s_andn2_b64 vcc, exec, s[8:9]
	s_cbranch_vccnz .LBB61_85
; %bb.55:                               ;   in Loop: Header=BB61_16 Depth=1
	v_mov_b32_e32 v4, 0
	v_lshl_add_u32 v2, s61, 9, v43
	v_mov_b32_e32 v5, 0
	s_mov_b32 s7, 0
.LBB61_56:                              ;   Parent Loop BB61_16 Depth=1
                                        ; =>  This Inner Loop Header: Depth=2
	ds_read2_b64 v[6:9], v2 offset1:4
	ds_read2_b64 v[28:31], v2 offset0:8 offset1:12
	ds_read2_b64 v[53:56], v2 offset0:16 offset1:20
	;; [unrolled: 1-line block ×3, first 2 shown]
	s_add_i32 s7, s7, 8
	s_waitcnt lgkmcnt(3)
	v_add_co_u32_e32 v4, vcc, v6, v4
	v_addc_co_u32_e32 v5, vcc, v7, v5, vcc
	v_add_co_u32_e32 v4, vcc, v8, v4
	v_addc_co_u32_e32 v5, vcc, v9, v5, vcc
	s_waitcnt lgkmcnt(2)
	v_add_co_u32_e32 v4, vcc, v28, v4
	v_addc_co_u32_e32 v5, vcc, v29, v5, vcc
	v_add_co_u32_e32 v4, vcc, v30, v4
	v_addc_co_u32_e32 v5, vcc, v31, v5, vcc
	s_waitcnt lgkmcnt(1)
	v_add_co_u32_e32 v4, vcc, v53, v4
	v_addc_co_u32_e32 v5, vcc, v54, v5, vcc
	v_add_co_u32_e32 v4, vcc, v55, v4
	v_addc_co_u32_e32 v5, vcc, v56, v5, vcc
	s_waitcnt lgkmcnt(0)
	v_add_co_u32_e32 v4, vcc, v57, v4
	v_addc_co_u32_e32 v5, vcc, v58, v5, vcc
	v_add_co_u32_e32 v4, vcc, v59, v4
	v_add_u32_e32 v2, 0x100, v2
	s_cmp_eq_u32 s22, s7
	v_addc_co_u32_e32 v5, vcc, v60, v5, vcc
	s_cbranch_scc0 .LBB61_56
; %bb.57:                               ;   in Loop: Header=BB61_16 Depth=1
	s_mov_b32 s7, s22
	s_branch .LBB61_86
.LBB61_58:                              ;   in Loop: Header=BB61_16 Depth=1
	global_load_ushort v2, v3, s[64:65]
	s_mov_b32 s4, s53
	s_waitcnt vmcnt(0)
	v_readfirstlane_b32 s5, v2
	s_and_b32 s27, s5, 0xffff
	s_lshl_b32 s6, s27, 2
	s_mov_b32 s5, s25
	s_cmp_lg_u64 s[4:5], 0
	s_cbranch_scc0 .LBB61_81
; %bb.59:                               ;   in Loop: Header=BB61_16 Depth=1
	s_add_u32 s4, s6, 0
	s_addc_u32 s5, 0, 0
	s_xor_b64 s[4:5], s[4:5], 0
	v_cvt_f32_u32_e32 v2, s4
	v_cvt_f32_u32_e32 v4, s5
	s_sub_u32 s7, 0, s4
	s_subb_u32 s14, 0, s5
	v_mac_f32_e32 v2, 0x4f800000, v4
	v_rcp_f32_e32 v2, v2
	v_mul_f32_e32 v2, 0x5f7ffffc, v2
	v_mul_f32_e32 v4, 0x2f800000, v2
	v_trunc_f32_e32 v4, v4
	v_mac_f32_e32 v2, 0xcf800000, v4
	v_cvt_u32_f32_e32 v4, v4
	v_cvt_u32_f32_e32 v2, v2
	v_readfirstlane_b32 s15, v4
	v_readfirstlane_b32 s8, v2
	s_mul_i32 s9, s7, s15
	s_mul_hi_u32 s17, s7, s8
	s_mul_i32 s16, s14, s8
	s_add_i32 s9, s17, s9
	s_mul_i32 s18, s7, s8
	s_add_i32 s9, s9, s16
	s_mul_i32 s17, s8, s9
	s_mul_hi_u32 s19, s8, s18
	s_mul_hi_u32 s16, s8, s9
	s_add_u32 s17, s19, s17
	s_addc_u32 s16, 0, s16
	s_mul_hi_u32 s20, s15, s18
	s_mul_i32 s18, s15, s18
	s_add_u32 s17, s17, s18
	s_mul_hi_u32 s19, s15, s9
	s_addc_u32 s16, s16, s20
	s_addc_u32 s17, s19, 0
	s_mul_i32 s9, s15, s9
	s_add_u32 s9, s16, s9
	s_addc_u32 s16, 0, s17
	s_add_u32 s17, s8, s9
	s_cselect_b64 s[8:9], -1, 0
	s_cmp_lg_u64 s[8:9], 0
	s_addc_u32 s15, s15, s16
	s_mul_i32 s8, s7, s15
	s_mul_hi_u32 s9, s7, s17
	s_add_i32 s8, s9, s8
	s_mul_i32 s14, s14, s17
	s_add_i32 s8, s8, s14
	s_mul_i32 s7, s7, s17
	s_mul_hi_u32 s14, s15, s7
	s_mul_i32 s16, s15, s7
	s_mul_i32 s19, s17, s8
	s_mul_hi_u32 s7, s17, s7
	s_mul_hi_u32 s18, s17, s8
	s_add_u32 s7, s7, s19
	s_addc_u32 s18, 0, s18
	s_add_u32 s7, s7, s16
	s_mul_hi_u32 s9, s15, s8
	s_addc_u32 s7, s18, s14
	s_addc_u32 s9, s9, 0
	s_mul_i32 s8, s15, s8
	s_add_u32 s7, s7, s8
	s_addc_u32 s14, 0, s9
	s_add_u32 s7, s17, s7
	s_cselect_b64 s[8:9], -1, 0
	s_cmp_lg_u64 s[8:9], 0
	s_addc_u32 s16, s15, s14
	s_ashr_i32 s8, s25, 31
	s_add_u32 s14, s24, s8
	s_mov_b32 s9, s8
	s_addc_u32 s15, s25, s8
	s_xor_b64 s[14:15], s[14:15], s[8:9]
	s_mul_i32 s18, s14, s16
	s_mul_hi_u32 s19, s14, s7
	s_mul_hi_u32 s17, s14, s16
	s_add_u32 s18, s19, s18
	s_addc_u32 s17, 0, s17
	s_mul_hi_u32 s20, s15, s7
	s_mul_i32 s7, s15, s7
	s_add_u32 s7, s18, s7
	s_mul_hi_u32 s19, s15, s16
	s_addc_u32 s7, s17, s20
	s_addc_u32 s17, s19, 0
	s_mul_i32 s16, s15, s16
	s_add_u32 s7, s7, s16
	s_addc_u32 s16, 0, s17
	s_mul_i32 s16, s4, s16
	s_mul_hi_u32 s17, s4, s7
	s_add_i32 s16, s17, s16
	s_mul_i32 s17, s5, s7
	s_add_i32 s20, s16, s17
	s_sub_i32 s18, s15, s20
	s_mul_i32 s7, s4, s7
	s_sub_u32 s7, s14, s7
	s_cselect_b64 s[16:17], -1, 0
	s_cmp_lg_u64 s[16:17], 0
	s_subb_u32 s14, s18, s5
	s_sub_u32 s21, s7, s4
	s_cselect_b64 s[18:19], -1, 0
	s_cmp_lg_u64 s[18:19], 0
	s_subb_u32 s28, s14, 0
	s_cmp_ge_u32 s28, s5
	s_cselect_b32 s29, -1, 0
	s_cmp_ge_u32 s21, s4
	s_cselect_b32 s34, -1, 0
	s_cmp_eq_u32 s28, s5
	s_cselect_b32 s29, s34, s29
	s_cmp_lg_u64 s[18:19], 0
	s_subb_u32 s14, s14, s5
	s_sub_u32 s34, s21, s4
	s_cselect_b64 s[18:19], -1, 0
	s_cmp_lg_u64 s[18:19], 0
	s_subb_u32 s14, s14, 0
	s_cmp_lg_u32 s29, 0
	s_cselect_b32 s18, s34, s21
	s_cselect_b32 s14, s14, s28
	s_cmp_lg_u64 s[16:17], 0
	s_subb_u32 s15, s15, s20
	s_cmp_ge_u32 s15, s5
	s_cselect_b32 s16, -1, 0
	s_cmp_ge_u32 s7, s4
	s_cselect_b32 s4, -1, 0
	s_cmp_eq_u32 s15, s5
	s_cselect_b32 s4, s4, s16
	s_cmp_lg_u32 s4, 0
	s_cselect_b32 s5, s14, s15
	s_cselect_b32 s4, s18, s7
	s_xor_b64 s[4:5], s[4:5], s[8:9]
	s_sub_u32 s48, s4, s8
	s_subb_u32 s49, s5, s8
	s_cbranch_execnz .LBB61_61
.LBB61_60:                              ;   in Loop: Header=BB61_16 Depth=1
	v_cvt_f32_u32_e32 v2, s6
	s_sub_i32 s4, 0, s6
	v_rcp_iflag_f32_e32 v2, v2
	v_mul_f32_e32 v2, 0x4f7ffffe, v2
	v_cvt_u32_f32_e32 v2, v2
	v_readfirstlane_b32 s5, v2
	s_mul_i32 s4, s4, s5
	s_mul_hi_u32 s4, s5, s4
	s_add_i32 s5, s5, s4
	s_mul_hi_u32 s4, s24, s5
	s_mul_i32 s4, s4, s6
	s_sub_i32 s4, s24, s4
	s_sub_i32 s5, s4, s6
	s_cmp_ge_u32 s4, s6
	s_cselect_b32 s4, s5, s4
	s_sub_i32 s5, s4, s6
	s_cmp_ge_u32 s4, s6
	s_cselect_b32 s52, s5, s4
	s_mov_b64 s[48:49], s[52:53]
.LBB61_61:                              ;   in Loop: Header=BB61_16 Depth=1
	s_sub_u32 s36, s24, s48
	s_subb_u32 s37, s25, s49
	v_cmp_gt_i64_e32 vcc, s[36:37], v[21:22]
	v_mov_b32_e32 v4, 0
	v_mov_b32_e32 v6, 0
	;; [unrolled: 1-line block ×8, first 2 shown]
	s_and_saveexec_b64 s[38:39], vcc
	s_cbranch_execz .LBB61_65
; %bb.62:                               ;   in Loop: Header=BB61_16 Depth=1
	s_mul_i32 s4, s75, s27
	s_mul_hi_u32 s5, s74, s27
	v_mov_b32_e32 v29, v22
	s_add_i32 s7, s5, s4
	s_mov_b64 s[50:51], 0
	s_mov_b64 s[90:91], s[54:55]
	;; [unrolled: 1-line block ×6, first 2 shown]
	v_mov_b32_e32 v28, v21
.LBB61_63:                              ;   Parent Loop BB61_16 Depth=1
                                        ; =>  This Inner Loop Header: Depth=2
	v_add_co_u32_e32 v4, vcc, s90, v23
	v_mov_b32_e32 v2, s91
	v_addc_co_u32_e32 v5, vcc, v2, v24, vcc
	global_load_ushort v6, v[4:5], off
	v_add_co_u32_e32 v4, vcc, s90, v20
	v_addc_co_u32_e32 v5, vcc, v2, v38, vcc
	global_load_ushort v7, v[4:5], off
	v_add_co_u32_e32 v4, vcc, s90, v19
	;; [unrolled: 3-line block ×3, first 2 shown]
	v_addc_co_u32_e32 v5, vcc, v2, v36, vcc
	global_load_ushort v2, v[4:5], off
	s_waitcnt vmcnt(3)
	v_cmp_lt_i16_e32 vcc, -1, v6
	v_cndmask_b32_e32 v4, v47, v48, vcc
	v_cmp_o_f16_e32 vcc, v6, v6
	v_xor_b32_sdwa v4, v4, v6 dst_sel:DWORD dst_unused:UNUSED_PAD src0_sel:DWORD src1_sel:WORD_0
	v_cndmask_b32_e32 v4, v47, v4, vcc
	s_waitcnt vmcnt(2)
	v_cmp_lt_i16_e32 vcc, -1, v7
	v_cndmask_b32_e32 v5, v47, v48, vcc
	v_cmp_o_f16_e32 vcc, v7, v7
	v_xor_b32_sdwa v5, v5, v7 dst_sel:DWORD dst_unused:UNUSED_PAD src0_sel:DWORD src1_sel:WORD_0
	v_cndmask_b32_e32 v5, v47, v5, vcc
	s_waitcnt vmcnt(1)
	v_cmp_lt_i16_e32 vcc, -1, v8
	v_cndmask_b32_e32 v6, v47, v48, vcc
	v_cmp_o_f16_e32 vcc, v8, v8
	v_xor_b32_sdwa v6, v6, v8 dst_sel:DWORD dst_unused:UNUSED_PAD src0_sel:DWORD src1_sel:WORD_0
	v_cndmask_b32_e32 v6, v47, v6, vcc
	s_waitcnt vmcnt(0)
	v_cmp_lt_i16_e32 vcc, -1, v2
	v_cndmask_b32_e32 v7, v47, v48, vcc
	v_cmp_o_f16_e32 vcc, v2, v2
	v_xor_b32_sdwa v2, v7, v2 dst_sel:DWORD dst_unused:UNUSED_PAD src0_sel:DWORD src1_sel:WORD_0
	v_and_b32_e32 v7, v4, v51
	v_bfe_u32 v4, v4, s60, 2
	v_cndmask_b32_e32 v2, v47, v2, vcc
	v_cmp_eq_u32_e32 vcc, v7, v44
	v_and_b32_e32 v7, v5, v51
	v_bfe_u32 v5, v5, s60, 2
	v_cmp_eq_u32_e64 s[20:21], 0, v4
	v_cmp_eq_u32_e64 s[4:5], v7, v44
	v_and_b32_e32 v7, v6, v51
	v_bfe_u32 v6, v6, s60, 2
	s_and_b64 s[8:9], vcc, s[20:21]
	v_cmp_eq_u32_e64 s[20:21], 0, v5
	v_cmp_eq_u32_e64 s[16:17], v7, v44
	v_and_b32_e32 v7, v2, v51
	v_bfe_u32 v2, v2, s60, 2
	s_and_b64 s[14:15], s[4:5], s[20:21]
	v_cmp_eq_u32_e64 s[20:21], 0, v6
	v_cmp_eq_u32_e64 s[18:19], v7, v44
	s_and_b64 s[28:29], s[16:17], s[20:21]
	v_cmp_eq_u32_e64 s[20:21], 0, v2
	v_cndmask_b32_e64 v7, 0, 1, s[8:9]
	s_and_b64 s[34:35], s[18:19], s[20:21]
	v_cmp_ne_u32_e64 s[20:21], 0, v7
	v_cndmask_b32_e64 v7, 0, 1, s[14:15]
	s_bcnt1_i32_b64 s8, s[20:21]
	v_cmp_ne_u32_e64 s[20:21], 0, v7
	v_cndmask_b32_e64 v7, 0, 1, s[28:29]
	s_bcnt1_i32_b64 s9, s[20:21]
	;; [unrolled: 3-line block ×3, first 2 shown]
	v_cmp_ne_u32_e64 s[20:21], 0, v7
	s_bcnt1_i32_b64 s15, s[20:21]
	s_add_u32 s8, s8, s42
	s_addc_u32 s20, 0, s43
	s_add_u32 s8, s8, s9
	s_addc_u32 s9, s20, 0
	;; [unrolled: 2-line block ×3, first 2 shown]
	s_add_u32 s42, s8, s15
	v_cmp_eq_u32_e64 s[20:21], 1, v4
	s_addc_u32 s43, s9, 0
	s_and_b64 s[8:9], vcc, s[20:21]
	v_cmp_eq_u32_e64 s[20:21], 1, v5
	s_and_b64 s[14:15], s[4:5], s[20:21]
	v_cmp_eq_u32_e64 s[20:21], 1, v6
	s_and_b64 s[28:29], s[16:17], s[20:21]
	v_cmp_eq_u32_e64 s[20:21], 1, v2
	v_cndmask_b32_e64 v7, 0, 1, s[8:9]
	s_and_b64 s[34:35], s[18:19], s[20:21]
	v_cmp_ne_u32_e64 s[20:21], 0, v7
	v_cndmask_b32_e64 v7, 0, 1, s[14:15]
	s_bcnt1_i32_b64 s8, s[20:21]
	v_cmp_ne_u32_e64 s[20:21], 0, v7
	v_cndmask_b32_e64 v7, 0, 1, s[28:29]
	s_bcnt1_i32_b64 s9, s[20:21]
	;; [unrolled: 3-line block ×3, first 2 shown]
	v_cmp_ne_u32_e64 s[20:21], 0, v7
	s_bcnt1_i32_b64 s15, s[20:21]
	s_add_u32 s8, s8, s40
	s_addc_u32 s20, 0, s41
	s_add_u32 s8, s8, s9
	s_addc_u32 s9, s20, 0
	;; [unrolled: 2-line block ×3, first 2 shown]
	s_add_u32 s40, s8, s15
	v_cmp_eq_u32_e64 s[20:21], 2, v4
	s_addc_u32 s41, s9, 0
	s_and_b64 s[8:9], vcc, s[20:21]
	v_cmp_eq_u32_e64 s[20:21], 2, v5
	s_and_b64 s[14:15], s[4:5], s[20:21]
	v_cmp_eq_u32_e64 s[20:21], 2, v6
	s_and_b64 s[28:29], s[16:17], s[20:21]
	v_cmp_eq_u32_e64 s[20:21], 2, v2
	v_cndmask_b32_e64 v7, 0, 1, s[8:9]
	s_and_b64 s[34:35], s[18:19], s[20:21]
	v_cmp_ne_u32_e64 s[20:21], 0, v7
	v_cndmask_b32_e64 v7, 0, 1, s[14:15]
	s_bcnt1_i32_b64 s8, s[20:21]
	v_cmp_ne_u32_e64 s[20:21], 0, v7
	v_cndmask_b32_e64 v7, 0, 1, s[28:29]
	s_bcnt1_i32_b64 s9, s[20:21]
	;; [unrolled: 3-line block ×3, first 2 shown]
	v_cmp_ne_u32_e64 s[20:21], 0, v7
	s_bcnt1_i32_b64 s15, s[20:21]
	s_add_u32 s8, s8, s94
	s_addc_u32 s20, 0, s95
	s_add_u32 s8, s8, s9
	s_addc_u32 s9, s20, 0
	;; [unrolled: 2-line block ×3, first 2 shown]
	s_add_u32 s94, s8, s15
	v_cmp_eq_u32_e64 s[20:21], 3, v4
	s_addc_u32 s95, s9, 0
	s_and_b64 s[8:9], vcc, s[20:21]
	v_cmp_eq_u32_e32 vcc, 3, v5
	s_and_b64 s[4:5], s[4:5], vcc
	v_cmp_eq_u32_e32 vcc, 3, v6
	s_and_b64 s[14:15], s[16:17], vcc
	v_cmp_eq_u32_e32 vcc, 3, v2
	v_cndmask_b32_e64 v2, 0, 1, s[8:9]
	s_and_b64 s[16:17], s[18:19], vcc
	v_cmp_ne_u32_e32 vcc, 0, v2
	v_cndmask_b32_e64 v2, 0, 1, s[4:5]
	s_bcnt1_i32_b64 s8, vcc
	v_cmp_ne_u32_e32 vcc, 0, v2
	v_cndmask_b32_e64 v2, 0, 1, s[14:15]
	s_bcnt1_i32_b64 s4, vcc
	;; [unrolled: 3-line block ×3, first 2 shown]
	v_cmp_ne_u32_e32 vcc, 0, v2
	s_bcnt1_i32_b64 s9, vcc
	s_add_u32 s8, s8, s92
	s_addc_u32 s14, 0, s93
	s_add_u32 s4, s8, s4
	s_addc_u32 s8, s14, 0
	;; [unrolled: 2-line block ×3, first 2 shown]
	s_add_u32 s92, s4, s9
	v_add_co_u32_e32 v28, vcc, s6, v28
	s_addc_u32 s93, s5, 0
	v_addc_co_u32_e32 v29, vcc, 0, v29, vcc
	s_mul_i32 s4, s74, s27
	s_add_u32 s90, s90, s4
	v_cmp_le_i64_e32 vcc, s[36:37], v[28:29]
	s_addc_u32 s91, s91, s7
	v_mov_b32_e32 v4, s42
	v_mov_b32_e32 v6, s40
	;; [unrolled: 1-line block ×4, first 2 shown]
	s_or_b64 s[50:51], vcc, s[50:51]
	v_mov_b32_e32 v5, s43
	v_mov_b32_e32 v7, s41
	;; [unrolled: 1-line block ×4, first 2 shown]
	s_andn2_b64 exec, exec, s[50:51]
	s_cbranch_execnz .LBB61_63
; %bb.64:                               ;   in Loop: Header=BB61_16 Depth=1
	s_or_b64 exec, exec, s[50:51]
.LBB61_65:                              ;   in Loop: Header=BB61_16 Depth=1
	s_or_b64 exec, exec, s[38:39]
	v_mov_b32_e32 v2, s37
	v_add_co_u32_e32 v28, vcc, s36, v0
	v_addc_co_u32_e32 v29, vcc, 0, v2, vcc
	v_cmp_gt_i64_e32 vcc, s[24:25], v[28:29]
	s_and_saveexec_b64 s[6:7], vcc
	s_cbranch_execz .LBB61_71
; %bb.66:                               ;   in Loop: Header=BB61_16 Depth=1
	v_mul_lo_u32 v2, v29, s30
	v_mul_lo_u32 v53, v28, s31
	v_mad_u64_u32 v[30:31], s[4:5], v28, s30, 0
	v_readlane_b32 s4, v61, 29
	v_readlane_b32 s5, v61, 30
	v_add3_u32 v31, v31, v53, v2
	v_lshlrev_b64 v[30:31], 1, v[30:31]
	v_mov_b32_e32 v2, s55
	v_add_co_u32_e32 v30, vcc, s54, v30
	v_addc_co_u32_e32 v31, vcc, v2, v31, vcc
	global_load_ushort v2, v[30:31], off
	v_add_co_u32_e32 v30, vcc, s27, v41
	v_addc_co_u32_e32 v31, vcc, 0, v42, vcc
	v_mov_b32_e32 v53, s49
	v_subrev_co_u32_e32 v54, vcc, s48, v30
	v_subb_co_u32_e32 v30, vcc, v31, v53, vcc
	v_mul_lo_u32 v53, s72, v30
	v_mov_b32_e32 v31, s5
	v_mov_b32_e32 v30, s4
	v_mul_lo_u32 v55, s73, v54
	v_mad_u64_u32 v[30:31], s[4:5], s72, v54, v[30:31]
	s_mul_i32 s4, s73, s27
	s_mul_hi_u32 s5, s72, s27
	v_add3_u32 v31, v55, v31, v53
	s_add_i32 s16, s5, s4
	s_mov_b64 s[14:15], 0
	s_branch .LBB61_68
.LBB61_67:                              ;   in Loop: Header=BB61_68 Depth=2
	s_or_b64 exec, exec, s[8:9]
	s_and_b64 s[4:5], exec, vcc
	s_waitcnt vmcnt(0)
	v_cmp_lt_i16_e32 vcc, -1, v2
	v_cndmask_b32_e32 v54, v47, v48, vcc
	v_xor_b32_sdwa v54, v54, v2 dst_sel:DWORD dst_unused:UNUSED_PAD src0_sel:DWORD src1_sel:WORD_0
	v_cmp_o_f16_e32 vcc, v2, v2
	v_cndmask_b32_e32 v2, v47, v54, vcc
	v_and_b32_e32 v54, v2, v51
	v_bfe_u32 v2, v2, s60, 2
	s_or_b64 s[14:15], s[4:5], s[14:15]
	v_cmp_eq_u32_e32 vcc, v54, v44
	v_cmp_eq_u32_e64 s[4:5], 0, v2
	s_and_b64 s[4:5], vcc, s[4:5]
	v_cndmask_b32_e64 v54, 0, 1, s[4:5]
	v_cmp_ne_u32_e64 s[4:5], 0, v54
	s_bcnt1_i32_b64 s4, s[4:5]
	v_add_co_u32_e64 v4, s[4:5], s4, v4
	v_addc_co_u32_e64 v5, s[4:5], 0, v5, s[4:5]
	v_cmp_eq_u32_e64 s[4:5], 1, v2
	s_and_b64 s[4:5], vcc, s[4:5]
	v_cndmask_b32_e64 v54, 0, 1, s[4:5]
	v_cmp_ne_u32_e64 s[4:5], 0, v54
	s_bcnt1_i32_b64 s4, s[4:5]
	v_add_co_u32_e64 v6, s[4:5], s4, v6
	v_addc_co_u32_e64 v7, s[4:5], 0, v7, s[4:5]
	;; [unrolled: 7-line block ×3, first 2 shown]
	v_cmp_eq_u32_e64 s[4:5], 3, v2
	s_and_b64 s[4:5], vcc, s[4:5]
	v_cndmask_b32_e64 v2, 0, 1, s[4:5]
	v_cmp_ne_u32_e32 vcc, 0, v2
	s_bcnt1_i32_b64 s4, vcc
	v_add_co_u32_e32 v10, vcc, s4, v10
	v_addc_co_u32_e32 v11, vcc, 0, v11, vcc
	s_mul_i32 s4, s72, s27
	v_mov_b32_e32 v2, s16
	v_add_co_u32_e32 v30, vcc, s4, v30
	v_addc_co_u32_e32 v31, vcc, v31, v2, vcc
	v_mov_b32_e32 v2, v53
	s_andn2_b64 exec, exec, s[14:15]
	s_cbranch_execz .LBB61_70
.LBB61_68:                              ;   Parent Loop BB61_16 Depth=1
                                        ; =>  This Inner Loop Header: Depth=2
	v_add_co_u32_e32 v28, vcc, s27, v28
	v_addc_co_u32_e32 v29, vcc, 0, v29, vcc
	v_cmp_gt_i64_e64 s[4:5], s[24:25], v[28:29]
	v_cmp_le_i64_e32 vcc, s[24:25], v[28:29]
	v_mov_b32_e32 v53, 0
	s_and_saveexec_b64 s[8:9], s[4:5]
	s_cbranch_execz .LBB61_67
; %bb.69:                               ;   in Loop: Header=BB61_68 Depth=2
	global_load_ushort v53, v[30:31], off
	s_branch .LBB61_67
.LBB61_70:                              ;   in Loop: Header=BB61_16 Depth=1
	s_or_b64 exec, exec, s[14:15]
.LBB61_71:                              ;   in Loop: Header=BB61_16 Depth=1
	s_or_b64 exec, exec, s[6:7]
	s_branch .LBB61_50
.LBB61_72:                              ;   in Loop: Header=BB61_16 Depth=1
	global_load_ushort v2, v3, s[64:65]
	v_mov_b32_e32 v8, 0
	v_mov_b32_e32 v9, 0
	s_waitcnt vmcnt(0)
	v_readfirstlane_b32 s4, v2
	s_and_b32 s8, 0xffff, s4
	s_lshl_b32 s6, s8, 2
	v_cvt_f32_u32_e32 v4, s6
	s_sub_i32 s4, 0, s6
	v_rcp_iflag_f32_e32 v6, v4
	v_mov_b32_e32 v4, 0
	v_mov_b32_e32 v5, 0
	v_mul_f32_e32 v6, 0x4f7ffffe, v6
	v_cvt_u32_f32_e32 v10, v6
	v_mov_b32_e32 v6, 0
	v_mov_b32_e32 v7, 0
	v_readfirstlane_b32 s5, v10
	s_mul_i32 s4, s4, s5
	s_mul_hi_u32 s4, s5, s4
	s_add_i32 s5, s5, s4
	s_mul_hi_u32 s4, s26, s5
	s_mul_i32 s5, s4, s6
	s_sub_i32 s5, s26, s5
	s_add_i32 s7, s4, 1
	s_sub_i32 s9, s5, s6
	s_cmp_ge_u32 s5, s6
	s_cselect_b32 s4, s7, s4
	s_cselect_b32 s5, s9, s5
	s_add_i32 s7, s4, 1
	s_cmp_ge_u32 s5, s6
	s_cselect_b32 s4, s7, s4
	s_mul_hi_u32 s37, s8, s4
	s_mul_i32 s36, s8, s4
	s_lshl_b64 s[38:39], s[36:37], 2
	v_cmp_gt_u64_e32 vcc, s[38:39], v[21:22]
	v_mov_b32_e32 v10, 0
	v_mov_b32_e32 v11, 0
	s_and_saveexec_b64 s[40:41], vcc
	s_cbranch_execz .LBB61_76
; %bb.73:                               ;   in Loop: Header=BB61_16 Depth=1
	v_mov_b32_e32 v29, v22
	s_lshl_b32 s7, s8, 3
	s_mov_b64 s[42:43], 0
	v_mov_b32_e32 v30, v35
	s_mov_b64 s[48:49], 0
	s_mov_b64 s[50:51], 0
	;; [unrolled: 1-line block ×4, first 2 shown]
	v_mov_b32_e32 v28, v21
.LBB61_74:                              ;   Parent Loop BB61_16 Depth=1
                                        ; =>  This Inner Loop Header: Depth=2
	ds_read_b64 v[4:5], v30
	v_add_u32_e32 v30, s7, v30
	s_waitcnt lgkmcnt(0)
	v_cmp_lt_i16_e32 vcc, -1, v4
	v_cndmask_b32_e32 v6, v47, v48, vcc
	v_cmp_o_f16_e32 vcc, v4, v4
	v_xor_b32_sdwa v6, v6, v4 dst_sel:DWORD dst_unused:UNUSED_PAD src0_sel:DWORD src1_sel:WORD_0
	v_cndmask_b32_e32 v6, v47, v6, vcc
	v_cmp_gt_i16_sdwa vcc, v4, v49 src0_sel:WORD_1 src1_sel:DWORD
	v_cndmask_b32_e32 v7, v47, v48, vcc
	v_cmp_o_f16_sdwa vcc, v4, v4 src0_sel:WORD_1 src1_sel:WORD_1
	v_xor_b32_sdwa v4, v7, v4 dst_sel:DWORD dst_unused:UNUSED_PAD src0_sel:DWORD src1_sel:WORD_1
	v_cndmask_b32_e32 v4, v47, v4, vcc
	v_cmp_lt_i16_e32 vcc, -1, v5
	v_cndmask_b32_e32 v7, v47, v48, vcc
	v_cmp_o_f16_e32 vcc, v5, v5
	v_xor_b32_sdwa v7, v7, v5 dst_sel:DWORD dst_unused:UNUSED_PAD src0_sel:DWORD src1_sel:WORD_0
	v_cndmask_b32_e32 v7, v47, v7, vcc
	v_cmp_gt_i16_sdwa vcc, v5, v49 src0_sel:WORD_1 src1_sel:DWORD
	v_cndmask_b32_e32 v8, v47, v48, vcc
	v_cmp_o_f16_sdwa vcc, v5, v5 src0_sel:WORD_1 src1_sel:WORD_1
	v_xor_b32_sdwa v5, v8, v5 dst_sel:DWORD dst_unused:UNUSED_PAD src0_sel:DWORD src1_sel:WORD_1
	v_and_b32_e32 v8, v6, v51
	v_bfe_u32 v6, v6, s60, 2
	v_cndmask_b32_e32 v5, v47, v5, vcc
	v_cmp_eq_u32_e32 vcc, v8, v44
	v_and_b32_e32 v8, v4, v51
	v_bfe_u32 v4, v4, s60, 2
	v_cmp_eq_u32_e64 s[20:21], 0, v6
	v_cmp_eq_u32_e64 s[4:5], v8, v44
	v_and_b32_e32 v8, v7, v51
	v_bfe_u32 v7, v7, s60, 2
	s_and_b64 s[14:15], vcc, s[20:21]
	v_cmp_eq_u32_e64 s[20:21], 0, v4
	v_cmp_eq_u32_e64 s[16:17], v8, v44
	v_and_b32_e32 v8, v5, v51
	v_bfe_u32 v5, v5, s60, 2
	s_and_b64 s[28:29], s[4:5], s[20:21]
	v_cmp_eq_u32_e64 s[20:21], 0, v7
	v_cmp_eq_u32_e64 s[18:19], v8, v44
	s_and_b64 s[34:35], s[16:17], s[20:21]
	v_cmp_eq_u32_e64 s[20:21], 0, v5
	v_cndmask_b32_e64 v8, 0, 1, s[14:15]
	s_and_b64 s[44:45], s[18:19], s[20:21]
	v_cmp_ne_u32_e64 s[20:21], 0, v8
	v_cndmask_b32_e64 v8, 0, 1, s[28:29]
	s_bcnt1_i32_b64 s9, s[20:21]
	v_cmp_ne_u32_e64 s[20:21], 0, v8
	v_cndmask_b32_e64 v8, 0, 1, s[34:35]
	s_bcnt1_i32_b64 s14, s[20:21]
	;; [unrolled: 3-line block ×3, first 2 shown]
	v_cmp_ne_u32_e64 s[20:21], 0, v8
	s_bcnt1_i32_b64 s20, s[20:21]
	s_add_u32 s9, s9, s92
	s_addc_u32 s21, 0, s93
	s_add_u32 s9, s9, s14
	s_addc_u32 s14, s21, 0
	;; [unrolled: 2-line block ×3, first 2 shown]
	s_add_u32 s92, s9, s20
	v_cmp_eq_u32_e64 s[20:21], 1, v6
	s_addc_u32 s93, s14, 0
	s_and_b64 s[14:15], vcc, s[20:21]
	v_cmp_eq_u32_e64 s[20:21], 1, v4
	s_and_b64 s[28:29], s[4:5], s[20:21]
	v_cmp_eq_u32_e64 s[20:21], 1, v7
	s_and_b64 s[34:35], s[16:17], s[20:21]
	v_cmp_eq_u32_e64 s[20:21], 1, v5
	v_cndmask_b32_e64 v8, 0, 1, s[14:15]
	s_and_b64 s[44:45], s[18:19], s[20:21]
	v_cmp_ne_u32_e64 s[20:21], 0, v8
	v_cndmask_b32_e64 v8, 0, 1, s[28:29]
	s_bcnt1_i32_b64 s9, s[20:21]
	v_cmp_ne_u32_e64 s[20:21], 0, v8
	v_cndmask_b32_e64 v8, 0, 1, s[34:35]
	s_bcnt1_i32_b64 s14, s[20:21]
	;; [unrolled: 3-line block ×3, first 2 shown]
	v_cmp_ne_u32_e64 s[20:21], 0, v8
	s_bcnt1_i32_b64 s20, s[20:21]
	s_add_u32 s9, s9, s90
	s_addc_u32 s21, 0, s91
	s_add_u32 s9, s9, s14
	s_addc_u32 s14, s21, 0
	;; [unrolled: 2-line block ×3, first 2 shown]
	s_add_u32 s90, s9, s20
	v_cmp_eq_u32_e64 s[20:21], 2, v6
	s_addc_u32 s91, s14, 0
	s_and_b64 s[14:15], vcc, s[20:21]
	v_cmp_eq_u32_e64 s[20:21], 2, v4
	s_and_b64 s[28:29], s[4:5], s[20:21]
	v_cmp_eq_u32_e64 s[20:21], 2, v7
	s_and_b64 s[34:35], s[16:17], s[20:21]
	v_cmp_eq_u32_e64 s[20:21], 2, v5
	v_cndmask_b32_e64 v8, 0, 1, s[14:15]
	s_and_b64 s[44:45], s[18:19], s[20:21]
	v_cmp_ne_u32_e64 s[20:21], 0, v8
	v_cndmask_b32_e64 v8, 0, 1, s[28:29]
	s_bcnt1_i32_b64 s9, s[20:21]
	v_cmp_ne_u32_e64 s[20:21], 0, v8
	v_cndmask_b32_e64 v8, 0, 1, s[34:35]
	s_bcnt1_i32_b64 s14, s[20:21]
	;; [unrolled: 3-line block ×3, first 2 shown]
	v_cmp_ne_u32_e64 s[20:21], 0, v8
	s_bcnt1_i32_b64 s20, s[20:21]
	s_add_u32 s9, s9, s50
	s_addc_u32 s21, 0, s51
	s_add_u32 s9, s9, s14
	s_addc_u32 s14, s21, 0
	;; [unrolled: 2-line block ×3, first 2 shown]
	s_add_u32 s50, s9, s20
	v_cmp_eq_u32_e64 s[20:21], 3, v6
	s_addc_u32 s51, s14, 0
	s_and_b64 s[14:15], vcc, s[20:21]
	v_cmp_eq_u32_e32 vcc, 3, v4
	s_and_b64 s[4:5], s[4:5], vcc
	v_cmp_eq_u32_e32 vcc, 3, v7
	s_and_b64 s[16:17], s[16:17], vcc
	v_cmp_eq_u32_e32 vcc, 3, v5
	v_cndmask_b32_e64 v4, 0, 1, s[14:15]
	s_and_b64 s[18:19], s[18:19], vcc
	v_cmp_ne_u32_e32 vcc, 0, v4
	v_cndmask_b32_e64 v4, 0, 1, s[4:5]
	s_bcnt1_i32_b64 s9, vcc
	v_cmp_ne_u32_e32 vcc, 0, v4
	v_cndmask_b32_e64 v4, 0, 1, s[16:17]
	s_bcnt1_i32_b64 s4, vcc
	;; [unrolled: 3-line block ×3, first 2 shown]
	v_cmp_ne_u32_e32 vcc, 0, v4
	s_bcnt1_i32_b64 s14, vcc
	s_add_u32 s9, s9, s48
	s_addc_u32 s15, 0, s49
	s_add_u32 s4, s9, s4
	s_addc_u32 s9, s15, 0
	s_add_u32 s4, s4, s5
	v_add_co_u32_e32 v28, vcc, s6, v28
	s_addc_u32 s5, s9, 0
	v_addc_co_u32_e32 v29, vcc, 0, v29, vcc
	s_add_u32 s48, s4, s14
	v_cmp_le_u64_e32 vcc, s[38:39], v[28:29]
	s_addc_u32 s49, s5, 0
	v_mov_b32_e32 v4, s92
	v_mov_b32_e32 v6, s90
	;; [unrolled: 1-line block ×4, first 2 shown]
	s_or_b64 s[42:43], vcc, s[42:43]
	v_mov_b32_e32 v5, s93
	v_mov_b32_e32 v7, s91
	;; [unrolled: 1-line block ×4, first 2 shown]
	s_andn2_b64 exec, exec, s[42:43]
	s_cbranch_execnz .LBB61_74
; %bb.75:                               ;   in Loop: Header=BB61_16 Depth=1
	s_or_b64 exec, exec, s[42:43]
.LBB61_76:                              ;   in Loop: Header=BB61_16 Depth=1
	s_or_b64 exec, exec, s[40:41]
	v_mov_b32_e32 v29, s39
	v_add_co_u32_e32 v28, vcc, s38, v0
	s_and_b32 s52, s26, 0x7fffffff
	v_addc_co_u32_e32 v29, vcc, 0, v29, vcc
	v_cmp_gt_u64_e32 vcc, s[52:53], v[28:29]
	s_and_saveexec_b64 s[6:7], vcc
	s_cbranch_execz .LBB61_80
; %bb.77:                               ;   in Loop: Header=BB61_16 Depth=1
	v_lshl_add_u32 v30, s36, 3, v45
	s_lshl_b32 s8, s8, 1
	s_mov_b64 s[14:15], 0
.LBB61_78:                              ;   Parent Loop BB61_16 Depth=1
                                        ; =>  This Inner Loop Header: Depth=2
	ds_read_u16 v31, v30
	v_add_u32_e32 v30, s8, v30
	s_waitcnt lgkmcnt(0)
	v_cmp_lt_i16_e32 vcc, -1, v31
	v_cndmask_b32_e32 v53, v47, v48, vcc
	v_cmp_o_f16_e32 vcc, v31, v31
	v_xor_b32_sdwa v31, v53, v31 dst_sel:DWORD dst_unused:UNUSED_PAD src0_sel:DWORD src1_sel:WORD_0
	v_cndmask_b32_e32 v31, v47, v31, vcc
	v_and_b32_e32 v53, v31, v51
	v_bfe_u32 v31, v31, s60, 2
	v_cmp_eq_u32_e32 vcc, v53, v44
	v_cmp_eq_u32_e64 s[4:5], 0, v31
	s_and_b64 s[4:5], vcc, s[4:5]
	v_cndmask_b32_e64 v53, 0, 1, s[4:5]
	v_cmp_ne_u32_e64 s[4:5], 0, v53
	s_bcnt1_i32_b64 s4, s[4:5]
	v_add_co_u32_e64 v4, s[4:5], s4, v4
	v_addc_co_u32_e64 v5, s[4:5], 0, v5, s[4:5]
	v_cmp_eq_u32_e64 s[4:5], 1, v31
	s_and_b64 s[4:5], vcc, s[4:5]
	v_cndmask_b32_e64 v53, 0, 1, s[4:5]
	v_cmp_ne_u32_e64 s[4:5], 0, v53
	s_bcnt1_i32_b64 s4, s[4:5]
	v_add_co_u32_e64 v6, s[4:5], s4, v6
	v_addc_co_u32_e64 v7, s[4:5], 0, v7, s[4:5]
	v_cmp_eq_u32_e64 s[4:5], 2, v31
	s_and_b64 s[4:5], vcc, s[4:5]
	v_cndmask_b32_e64 v53, 0, 1, s[4:5]
	v_cmp_ne_u32_e64 s[4:5], 0, v53
	s_bcnt1_i32_b64 s4, s[4:5]
	v_add_co_u32_e64 v8, s[4:5], s4, v8
	v_addc_co_u32_e64 v9, s[4:5], 0, v9, s[4:5]
	v_cmp_eq_u32_e64 s[4:5], 3, v31
	s_and_b64 s[4:5], vcc, s[4:5]
	v_cndmask_b32_e64 v31, 0, 1, s[4:5]
	v_cmp_ne_u32_e32 vcc, 0, v31
	s_bcnt1_i32_b64 s4, vcc
	v_add_co_u32_e32 v10, vcc, s4, v10
	v_addc_co_u32_e32 v11, vcc, 0, v11, vcc
	v_add_co_u32_sdwa v28, vcc, v28, v2 dst_sel:DWORD dst_unused:UNUSED_PAD src0_sel:DWORD src1_sel:WORD_0
	v_addc_co_u32_e32 v29, vcc, 0, v29, vcc
	v_cmp_le_u64_e32 vcc, s[52:53], v[28:29]
	s_or_b64 s[14:15], vcc, s[14:15]
	s_andn2_b64 exec, exec, s[14:15]
	s_cbranch_execnz .LBB61_78
; %bb.79:                               ;   in Loop: Header=BB61_16 Depth=1
	s_or_b64 exec, exec, s[14:15]
.LBB61_80:                              ;   in Loop: Header=BB61_16 Depth=1
	s_or_b64 exec, exec, s[6:7]
	s_lshl_b32 s6, s61, 6
	s_and_saveexec_b64 s[4:5], s[10:11]
	s_cbranch_execnz .LBB61_51
	s_branch .LBB61_52
.LBB61_81:                              ;   in Loop: Header=BB61_16 Depth=1
                                        ; implicit-def: $sgpr48_sgpr49
	s_branch .LBB61_60
.LBB61_82:                              ;   in Loop: Header=BB61_16 Depth=1
	s_or_b64 exec, exec, s[14:15]
	s_waitcnt lgkmcnt(0)
	s_barrier
	s_mov_b64 s[4:5], exec
	v_readlane_b32 s8, v61, 12
	v_readlane_b32 s9, v61, 13
	s_and_b64 s[8:9], s[4:5], s[8:9]
	s_mov_b64 exec, s[8:9]
	s_cbranch_execz .LBB61_84
; %bb.83:                               ;   in Loop: Header=BB61_16 Depth=1
	ds_read_b32 v4, v3 offset:5136
	s_waitcnt lgkmcnt(0)
	v_ashrrev_i32_e32 v5, 31, v4
	ds_write_b64 v3, v[4:5] offset:5120
.LBB61_84:                              ;   in Loop: Header=BB61_16 Depth=1
	s_or_b64 exec, exec, s[4:5]
	s_waitcnt lgkmcnt(0)
	s_barrier
	s_mov_b64 s[4:5], -1
	s_and_b64 vcc, exec, s[6:7]
	s_cbranch_vccnz .LBB61_31
	s_branch .LBB61_46
.LBB61_85:                              ;   in Loop: Header=BB61_16 Depth=1
	v_mov_b32_e32 v4, 0
	v_mov_b32_e32 v5, 0
	s_mov_b32 s7, 0
.LBB61_86:                              ;   in Loop: Header=BB61_16 Depth=1
	v_readlane_b32 s8, v61, 27
	v_readlane_b32 s9, v61, 28
	s_andn2_b64 vcc, exec, s[8:9]
	s_cbranch_vccnz .LBB61_89
; %bb.87:                               ;   in Loop: Header=BB61_16 Depth=1
	s_lshl_b32 s8, s61, 9
	s_lshl_b32 s7, s7, 5
	s_add_i32 s8, s8, s7
	v_add_u32_e32 v2, s8, v43
	v_readlane_b32 s7, v61, 26
.LBB61_88:                              ;   Parent Loop BB61_16 Depth=1
                                        ; =>  This Inner Loop Header: Depth=2
	ds_read_b64 v[6:7], v2
	s_add_i32 s7, s7, -1
	v_add_u32_e32 v2, 32, v2
	s_cmp_lg_u32 s7, 0
	s_waitcnt lgkmcnt(0)
	v_add_co_u32_e32 v4, vcc, v6, v4
	v_addc_co_u32_e32 v5, vcc, v7, v5, vcc
	s_cbranch_scc1 .LBB61_88
.LBB61_89:                              ;   in Loop: Header=BB61_16 Depth=1
	v_add_lshl_u32 v2, s6, v32, 3
	ds_write_b64 v2, v[4:5] offset:3072
.LBB61_90:                              ;   in Loop: Header=BB61_16 Depth=1
	s_or_b64 exec, exec, s[4:5]
	s_lshl_b32 s4, s6, 3
	v_mov_b32_e32 v2, s4
	s_waitcnt lgkmcnt(0)
	s_barrier
	ds_read_b128 v[8:11], v2 offset:3088
	ds_read_b128 v[4:7], v2 offset:3072
	v_cmp_eq_u64_e64 s[4:5], 1, v[26:27]
	s_lshl_b32 s70, 3, s60
	s_not_b32 s66, s70
	s_waitcnt lgkmcnt(1)
	v_readfirstlane_b32 s90, v8
	s_waitcnt lgkmcnt(0)
	v_cmp_eq_u64_e32 vcc, 1, v[4:5]
	v_readfirstlane_b32 s91, v9
	v_readfirstlane_b32 s16, v10
	;; [unrolled: 1-line block ×3, first 2 shown]
	s_and_b64 s[20:21], vcc, s[4:5]
	s_mov_b64 s[4:5], -1
	s_mov_b64 s[6:7], -1
                                        ; implicit-def: $sgpr26_sgpr27
                                        ; implicit-def: $sgpr14_sgpr15
	s_and_saveexec_b64 s[18:19], s[20:21]
	s_cbranch_execz .LBB61_124
; %bb.91:                               ;   in Loop: Header=BB61_16 Depth=1
	ds_read_b64 v[8:9], v3 offset:5120
	s_waitcnt lgkmcnt(0)
	s_barrier
	v_readfirstlane_b32 s6, v8
	v_readfirstlane_b32 s7, v9
	s_and_saveexec_b64 s[8:9], s[12:13]
; %bb.92:                               ;   in Loop: Header=BB61_16 Depth=1
	ds_write_b16 v46, v3
; %bb.93:                               ;   in Loop: Header=BB61_16 Depth=1
	s_or_b64 exec, exec, s[8:9]
	v_cmp_lt_i64_e64 s[8:9], s[6:7], 1
	v_and_b32_e32 v44, s66, v44
	v_or_b32_e32 v51, s70, v51
	s_mov_b64 s[14:15], -1
	s_mov_b64 s[26:27], 0
	s_and_b64 vcc, exec, s[8:9]
	s_mov_b64 s[36:37], 0
	s_mov_b64 s[28:29], -1
	s_waitcnt lgkmcnt(0)
	s_barrier
                                        ; implicit-def: $vgpr52
	s_cbranch_vccz .LBB61_108
; %bb.94:                               ;   in Loop: Header=BB61_16 Depth=1
	s_mov_b32 s62, s53
	s_cmp_lg_u64 s[62:63], 0
	s_cbranch_scc0 .LBB61_151
; %bb.95:                               ;   in Loop: Header=BB61_16 Depth=1
	s_add_u32 s8, s23, 0
	s_addc_u32 s9, 0, 0
	s_xor_b64 s[36:37], s[8:9], 0
	v_cvt_f32_u32_e32 v2, s36
	v_cvt_f32_u32_e32 v8, s37
	s_sub_u32 s28, 0, s36
	s_subb_u32 s29, 0, s37
	v_mac_f32_e32 v2, 0x4f800000, v8
	v_rcp_f32_e32 v2, v2
	v_mul_f32_e32 v2, 0x5f7ffffc, v2
	v_mul_f32_e32 v8, 0x2f800000, v2
	v_trunc_f32_e32 v8, v8
	v_mac_f32_e32 v2, 0xcf800000, v8
	v_cvt_u32_f32_e32 v8, v8
	v_cvt_u32_f32_e32 v2, v2
	v_readfirstlane_b32 s34, v8
	v_readfirstlane_b32 s8, v2
	s_mul_i32 s9, s28, s34
	s_mul_hi_u32 s38, s28, s8
	s_mul_i32 s35, s29, s8
	s_add_i32 s9, s38, s9
	s_mul_i32 s39, s28, s8
	s_add_i32 s9, s9, s35
	s_mul_i32 s38, s8, s9
	s_mul_hi_u32 s40, s8, s39
	s_mul_hi_u32 s35, s8, s9
	s_add_u32 s38, s40, s38
	s_addc_u32 s35, 0, s35
	s_mul_hi_u32 s41, s34, s39
	s_mul_i32 s39, s34, s39
	s_add_u32 s38, s38, s39
	s_mul_hi_u32 s40, s34, s9
	s_addc_u32 s35, s35, s41
	s_addc_u32 s38, s40, 0
	s_mul_i32 s9, s34, s9
	s_add_u32 s9, s35, s9
	s_addc_u32 s35, 0, s38
	s_add_u32 s38, s8, s9
	s_cselect_b64 s[8:9], -1, 0
	s_cmp_lg_u64 s[8:9], 0
	s_addc_u32 s34, s34, s35
	s_mul_i32 s8, s28, s34
	s_mul_hi_u32 s9, s28, s38
	s_add_i32 s8, s9, s8
	s_mul_i32 s29, s29, s38
	s_add_i32 s8, s8, s29
	s_mul_i32 s28, s28, s38
	s_mul_hi_u32 s29, s34, s28
	s_mul_i32 s35, s34, s28
	s_mul_i32 s40, s38, s8
	s_mul_hi_u32 s28, s38, s28
	s_mul_hi_u32 s39, s38, s8
	s_add_u32 s28, s28, s40
	s_addc_u32 s39, 0, s39
	s_add_u32 s28, s28, s35
	s_mul_hi_u32 s9, s34, s8
	s_addc_u32 s28, s39, s29
	s_addc_u32 s9, s9, 0
	s_mul_i32 s8, s34, s8
	s_add_u32 s8, s28, s8
	s_addc_u32 s28, 0, s9
	s_add_u32 s35, s38, s8
	s_cselect_b64 s[8:9], -1, 0
	s_cmp_lg_u64 s[8:9], 0
	s_addc_u32 s34, s34, s28
	s_ashr_i32 s28, s63, 31
	s_add_u32 s8, s33, s28
	s_mov_b32 s29, s28
	s_addc_u32 s9, s63, s28
	s_xor_b64 s[8:9], s[8:9], s[28:29]
	s_mul_i32 s39, s8, s34
	s_mul_hi_u32 s40, s8, s35
	s_mul_hi_u32 s38, s8, s34
	s_add_u32 s39, s40, s39
	s_addc_u32 s38, 0, s38
	s_mul_hi_u32 s41, s9, s35
	s_mul_i32 s35, s9, s35
	s_add_u32 s35, s39, s35
	s_mul_hi_u32 s40, s9, s34
	s_addc_u32 s35, s38, s41
	s_addc_u32 s38, s40, 0
	s_mul_i32 s34, s9, s34
	s_add_u32 s34, s35, s34
	s_addc_u32 s35, 0, s38
	s_mul_i32 s35, s36, s35
	s_mul_hi_u32 s38, s36, s34
	s_add_i32 s35, s38, s35
	s_mul_i32 s38, s37, s34
	s_add_i32 s40, s35, s38
	s_sub_i32 s38, s9, s40
	s_mul_i32 s34, s36, s34
	s_sub_u32 s8, s8, s34
	s_cselect_b64 s[34:35], -1, 0
	s_cmp_lg_u64 s[34:35], 0
	s_subb_u32 s41, s38, s37
	s_sub_u32 s42, s8, s36
	s_cselect_b64 s[38:39], -1, 0
	s_cmp_lg_u64 s[38:39], 0
	s_subb_u32 s43, s41, 0
	s_cmp_ge_u32 s43, s37
	s_cselect_b32 s44, -1, 0
	s_cmp_ge_u32 s42, s36
	s_cselect_b32 s45, -1, 0
	s_cmp_eq_u32 s43, s37
	s_cselect_b32 s44, s45, s44
	s_cmp_lg_u64 s[38:39], 0
	s_subb_u32 s41, s41, s37
	s_sub_u32 s45, s42, s36
	s_cselect_b64 s[38:39], -1, 0
	s_cmp_lg_u64 s[38:39], 0
	s_subb_u32 s38, s41, 0
	s_cmp_lg_u32 s44, 0
	s_cselect_b32 s39, s45, s42
	s_cselect_b32 s38, s38, s43
	s_cmp_lg_u64 s[34:35], 0
	s_subb_u32 s9, s9, s40
	s_cmp_ge_u32 s9, s37
	s_cselect_b32 s34, -1, 0
	s_cmp_ge_u32 s8, s36
	s_cselect_b32 s35, -1, 0
	s_cmp_eq_u32 s9, s37
	s_cselect_b32 s34, s35, s34
	s_cmp_lg_u32 s34, 0
	s_cselect_b32 s9, s38, s9
	s_cselect_b32 s8, s39, s8
	s_xor_b64 s[8:9], s[8:9], s[28:29]
	s_sub_u32 s8, s8, s28
	s_subb_u32 s9, s9, s28
	s_cbranch_execnz .LBB61_97
.LBB61_96:                              ;   in Loop: Header=BB61_16 Depth=1
	v_cvt_f32_u32_e32 v2, s23
	s_sub_i32 s8, 0, s23
	v_rcp_iflag_f32_e32 v2, v2
	v_mul_f32_e32 v2, 0x4f7ffffe, v2
	v_cvt_u32_f32_e32 v2, v2
	v_readfirstlane_b32 s9, v2
	s_mul_i32 s8, s8, s9
	s_mul_hi_u32 s8, s9, s8
	s_add_i32 s9, s9, s8
	s_mul_hi_u32 s8, s33, s9
	s_mul_i32 s8, s8, s23
	s_sub_i32 s8, s33, s8
	s_sub_i32 s9, s8, s23
	s_cmp_ge_u32 s8, s23
	s_cselect_b32 s8, s9, s8
	s_sub_i32 s9, s8, s23
	s_cmp_ge_u32 s8, s23
	s_cselect_b32 s52, s9, s8
	s_mov_b64 s[8:9], s[52:53]
.LBB61_97:                              ;   in Loop: Header=BB61_16 Depth=1
	s_sub_u32 s38, s33, s8
	s_subb_u32 s39, s63, s9
	v_cmp_gt_i64_e32 vcc, s[38:39], v[0:1]
	s_mov_b64 s[28:29], 0
	s_mov_b64 s[36:37], 0
                                        ; implicit-def: $vgpr52
	s_and_saveexec_b64 s[34:35], vcc
	s_cbranch_execz .LBB61_107
; %bb.98:                               ;   in Loop: Header=BB61_16 Depth=1
	v_mov_b32_e32 v8, v12
	v_mov_b32_e32 v11, v1
	;; [unrolled: 1-line block ×4, first 2 shown]
                                        ; implicit-def: $sgpr40_sgpr41
	s_branch .LBB61_102
.LBB61_99:                              ;   in Loop: Header=BB61_102 Depth=2
	s_or_b64 exec, exec, s[8:9]
	s_waitcnt lgkmcnt(0)
	s_barrier
	ds_read_b32 v2, v3 offset:3072
	s_waitcnt lgkmcnt(0)
	s_barrier
	v_cmp_neq_f16_e32 vcc, 0, v2
	s_cbranch_vccnz .LBB61_105
; %bb.100:                              ;   in Loop: Header=BB61_102 Depth=2
	v_add_co_u32_e32 v10, vcc, s23, v10
	v_addc_co_u32_e32 v11, vcc, 0, v11, vcc
	v_mov_b32_e32 v28, s57
	v_add_co_u32_e32 v8, vcc, s56, v8
	v_addc_co_u32_e32 v9, vcc, v9, v28, vcc
	v_cmp_le_i64_e32 vcc, s[38:39], v[10:11]
	s_mov_b64 s[8:9], 0
	s_orn2_b64 s[42:43], vcc, exec
.LBB61_101:                             ;   in Loop: Header=BB61_102 Depth=2
	s_and_b64 s[42:43], exec, s[42:43]
	s_or_b64 s[36:37], s[42:43], s[36:37]
	s_andn2_b64 s[40:41], s[40:41], exec
	s_and_b64 s[8:9], s[8:9], exec
	s_or_b64 s[40:41], s[40:41], s[8:9]
	s_andn2_b64 exec, exec, s[36:37]
	s_cbranch_execz .LBB61_106
.LBB61_102:                             ;   Parent Loop BB61_16 Depth=1
                                        ; =>  This Inner Loop Header: Depth=2
	v_cmp_gt_i64_e32 vcc, s[24:25], v[10:11]
	s_and_saveexec_b64 s[8:9], vcc
	s_cbranch_execz .LBB61_99
; %bb.103:                              ;   in Loop: Header=BB61_102 Depth=2
	global_load_ushort v2, v[8:9], off
	s_waitcnt vmcnt(0)
	v_cmp_lt_i16_e32 vcc, -1, v2
	v_cndmask_b32_e32 v28, v47, v48, vcc
	v_xor_b32_sdwa v28, v28, v2 dst_sel:DWORD dst_unused:UNUSED_PAD src0_sel:DWORD src1_sel:WORD_0
	v_cmp_o_f16_e32 vcc, v2, v2
	v_cndmask_b32_e32 v28, v47, v28, vcc
	v_and_b32_e32 v28, v28, v51
	v_cmp_eq_u32_e32 vcc, v28, v44
	s_and_b64 exec, exec, vcc
	s_cbranch_execz .LBB61_99
; %bb.104:                              ;   in Loop: Header=BB61_102 Depth=2
	v_perm_b32 v2, v2, s3, v50
	ds_write_b32 v3, v2 offset:3072
	s_branch .LBB61_99
.LBB61_105:                             ;   in Loop: Header=BB61_102 Depth=2
	s_mov_b64 s[42:43], -1
                                        ; implicit-def: $vgpr10_vgpr11
                                        ; implicit-def: $vgpr8_vgpr9
	s_mov_b64 s[8:9], -1
	s_branch .LBB61_101
.LBB61_106:                             ;   in Loop: Header=BB61_16 Depth=1
	s_or_b64 exec, exec, s[36:37]
	v_lshrrev_b32_e32 v52, 16, v2
	s_and_b64 s[36:37], s[40:41], exec
.LBB61_107:                             ;   in Loop: Header=BB61_16 Depth=1
	s_or_b64 exec, exec, s[34:35]
.LBB61_108:                             ;   in Loop: Header=BB61_16 Depth=1
	s_and_b64 vcc, exec, s[28:29]
	s_cbranch_vccz .LBB61_123
; %bb.109:                              ;   in Loop: Header=BB61_16 Depth=1
	s_add_u32 s28, s6, s67
	s_addc_u32 s15, s7, s71
	s_mov_b32 s14, s53
	s_cmp_lg_u64 s[14:15], 0
	s_cbranch_scc0 .LBB61_152
; %bb.110:                              ;   in Loop: Header=BB61_16 Depth=1
	s_add_u32 s8, s23, 0
	s_addc_u32 s9, 0, 0
	s_xor_b64 s[26:27], s[8:9], 0
	v_cvt_f32_u32_e32 v2, s26
	v_cvt_f32_u32_e32 v8, s27
	s_sub_u32 s14, 0, s26
	s_subb_u32 s29, 0, s27
	v_mac_f32_e32 v2, 0x4f800000, v8
	v_rcp_f32_e32 v2, v2
	v_mul_f32_e32 v2, 0x5f7ffffc, v2
	v_mul_f32_e32 v8, 0x2f800000, v2
	v_trunc_f32_e32 v8, v8
	v_mac_f32_e32 v2, 0xcf800000, v8
	v_cvt_u32_f32_e32 v8, v8
	v_cvt_u32_f32_e32 v2, v2
	v_readfirstlane_b32 s34, v8
	v_readfirstlane_b32 s8, v2
	s_mul_i32 s9, s14, s34
	s_mul_hi_u32 s38, s14, s8
	s_mul_i32 s35, s29, s8
	s_add_i32 s9, s38, s9
	s_mul_i32 s39, s14, s8
	s_add_i32 s9, s9, s35
	s_mul_i32 s38, s8, s9
	s_mul_hi_u32 s40, s8, s39
	s_mul_hi_u32 s35, s8, s9
	s_add_u32 s38, s40, s38
	s_addc_u32 s35, 0, s35
	s_mul_hi_u32 s41, s34, s39
	s_mul_i32 s39, s34, s39
	s_add_u32 s38, s38, s39
	s_mul_hi_u32 s40, s34, s9
	s_addc_u32 s35, s35, s41
	s_addc_u32 s38, s40, 0
	s_mul_i32 s9, s34, s9
	s_add_u32 s9, s35, s9
	s_addc_u32 s35, 0, s38
	s_add_u32 s38, s8, s9
	s_cselect_b64 s[8:9], -1, 0
	s_cmp_lg_u64 s[8:9], 0
	s_addc_u32 s34, s34, s35
	s_mul_i32 s8, s14, s34
	s_mul_hi_u32 s9, s14, s38
	s_add_i32 s8, s9, s8
	s_mul_i32 s29, s29, s38
	s_add_i32 s8, s8, s29
	s_mul_i32 s14, s14, s38
	s_mul_hi_u32 s29, s34, s14
	s_mul_i32 s35, s34, s14
	s_mul_i32 s40, s38, s8
	s_mul_hi_u32 s14, s38, s14
	s_mul_hi_u32 s39, s38, s8
	s_add_u32 s14, s14, s40
	s_addc_u32 s39, 0, s39
	s_add_u32 s14, s14, s35
	s_mul_hi_u32 s9, s34, s8
	s_addc_u32 s14, s39, s29
	s_addc_u32 s9, s9, 0
	s_mul_i32 s8, s34, s8
	s_add_u32 s8, s14, s8
	s_addc_u32 s14, 0, s9
	s_add_u32 s29, s38, s8
	s_cselect_b64 s[8:9], -1, 0
	s_cmp_lg_u64 s[8:9], 0
	s_addc_u32 s14, s34, s14
	s_ashr_i32 s34, s15, 31
	s_add_u32 s8, s28, s34
	s_mov_b32 s35, s34
	s_addc_u32 s9, s15, s34
	s_xor_b64 s[8:9], s[8:9], s[34:35]
	s_mul_i32 s39, s8, s14
	s_mul_hi_u32 s40, s8, s29
	s_mul_hi_u32 s38, s8, s14
	s_add_u32 s39, s40, s39
	s_addc_u32 s38, 0, s38
	s_mul_hi_u32 s41, s9, s29
	s_mul_i32 s29, s9, s29
	s_add_u32 s29, s39, s29
	s_mul_hi_u32 s40, s9, s14
	s_addc_u32 s29, s38, s41
	s_addc_u32 s38, s40, 0
	s_mul_i32 s14, s9, s14
	s_add_u32 s14, s29, s14
	s_addc_u32 s29, 0, s38
	s_mul_i32 s29, s26, s29
	s_mul_hi_u32 s38, s26, s14
	s_add_i32 s29, s38, s29
	s_mul_i32 s38, s27, s14
	s_add_i32 s29, s29, s38
	s_sub_i32 s40, s9, s29
	s_mul_i32 s14, s26, s14
	s_sub_u32 s8, s8, s14
	s_cselect_b64 s[38:39], -1, 0
	s_cmp_lg_u64 s[38:39], 0
	s_subb_u32 s14, s40, s27
	s_sub_u32 s42, s8, s26
	s_cselect_b64 s[40:41], -1, 0
	s_cmp_lg_u64 s[40:41], 0
	s_subb_u32 s43, s14, 0
	s_cmp_ge_u32 s43, s27
	s_cselect_b32 s44, -1, 0
	s_cmp_ge_u32 s42, s26
	s_cselect_b32 s45, -1, 0
	s_cmp_eq_u32 s43, s27
	s_cselect_b32 s44, s45, s44
	s_cmp_lg_u64 s[40:41], 0
	s_subb_u32 s14, s14, s27
	s_sub_u32 s45, s42, s26
	s_cselect_b64 s[40:41], -1, 0
	s_cmp_lg_u64 s[40:41], 0
	s_subb_u32 s14, s14, 0
	s_cmp_lg_u32 s44, 0
	s_cselect_b32 s40, s45, s42
	s_cselect_b32 s14, s14, s43
	s_cmp_lg_u64 s[38:39], 0
	s_subb_u32 s9, s9, s29
	s_cmp_ge_u32 s9, s27
	s_cselect_b32 s29, -1, 0
	s_cmp_ge_u32 s8, s26
	s_cselect_b32 s26, -1, 0
	s_cmp_eq_u32 s9, s27
	s_cselect_b32 s26, s26, s29
	s_cmp_lg_u32 s26, 0
	s_cselect_b32 s9, s14, s9
	s_cselect_b32 s8, s40, s8
	s_xor_b64 s[8:9], s[8:9], s[34:35]
	s_sub_u32 s8, s8, s34
	s_subb_u32 s9, s9, s34
	s_cbranch_execnz .LBB61_112
.LBB61_111:                             ;   in Loop: Header=BB61_16 Depth=1
	v_cvt_f32_u32_e32 v2, s23
	s_sub_i32 s8, 0, s23
	v_rcp_iflag_f32_e32 v2, v2
	v_mul_f32_e32 v2, 0x4f7ffffe, v2
	v_cvt_u32_f32_e32 v2, v2
	v_readfirstlane_b32 s9, v2
	s_mul_i32 s8, s8, s9
	s_mul_hi_u32 s8, s9, s8
	s_add_i32 s9, s9, s8
	s_mul_hi_u32 s8, s28, s9
	s_mul_i32 s8, s8, s23
	s_sub_i32 s8, s28, s8
	s_sub_i32 s9, s8, s23
	s_cmp_ge_u32 s8, s23
	s_cselect_b32 s8, s9, s8
	s_sub_i32 s9, s8, s23
	s_cmp_ge_u32 s8, s23
	s_cselect_b32 s52, s9, s8
	s_mov_b64 s[8:9], s[52:53]
.LBB61_112:                             ;   in Loop: Header=BB61_16 Depth=1
	s_sub_u32 s26, s28, s8
	s_subb_u32 s27, s15, s9
	v_cmp_gt_i64_e32 vcc, s[26:27], v[0:1]
                                        ; implicit-def: $vgpr52
	s_and_saveexec_b64 s[14:15], vcc
	s_cbranch_execz .LBB61_122
; %bb.113:                              ;   in Loop: Header=BB61_16 Depth=1
	v_mov_b32_e32 v9, v1
	s_mov_b64 s[28:29], 0
	v_mov_b32_e32 v2, v45
	v_mov_b32_e32 v8, v0
                                        ; implicit-def: $sgpr34_sgpr35
	s_branch .LBB61_117
.LBB61_114:                             ;   in Loop: Header=BB61_117 Depth=2
	s_or_b64 exec, exec, s[8:9]
	s_waitcnt lgkmcnt(0)
	s_barrier
	ds_read_b32 v10, v3 offset:3072
	s_waitcnt lgkmcnt(0)
	s_barrier
	v_cmp_neq_f16_e32 vcc, 0, v10
	s_cbranch_vccnz .LBB61_120
; %bb.115:                              ;   in Loop: Header=BB61_117 Depth=2
	v_add_co_u32_e32 v8, vcc, s23, v8
	v_addc_co_u32_e32 v9, vcc, 0, v9, vcc
	v_cmp_le_i64_e32 vcc, s[26:27], v[8:9]
	v_add_u32_e32 v2, s2, v2
	s_mov_b64 s[8:9], 0
	s_orn2_b64 s[38:39], vcc, exec
.LBB61_116:                             ;   in Loop: Header=BB61_117 Depth=2
	s_and_b64 s[38:39], exec, s[38:39]
	s_or_b64 s[28:29], s[38:39], s[28:29]
	s_andn2_b64 s[34:35], s[34:35], exec
	s_and_b64 s[8:9], s[8:9], exec
	s_or_b64 s[34:35], s[34:35], s[8:9]
	s_andn2_b64 exec, exec, s[28:29]
	s_cbranch_execz .LBB61_121
.LBB61_117:                             ;   Parent Loop BB61_16 Depth=1
                                        ; =>  This Inner Loop Header: Depth=2
	v_cmp_gt_u64_e32 vcc, s[6:7], v[8:9]
	s_and_saveexec_b64 s[8:9], vcc
	s_cbranch_execz .LBB61_114
; %bb.118:                              ;   in Loop: Header=BB61_117 Depth=2
	ds_read_u16 v10, v2
	s_waitcnt lgkmcnt(0)
	v_cmp_lt_i16_e32 vcc, -1, v10
	v_cndmask_b32_e32 v11, v47, v48, vcc
	v_xor_b32_sdwa v11, v11, v10 dst_sel:DWORD dst_unused:UNUSED_PAD src0_sel:DWORD src1_sel:WORD_0
	v_cmp_o_f16_e32 vcc, v10, v10
	v_cndmask_b32_e32 v11, v47, v11, vcc
	v_and_b32_e32 v11, v11, v51
	v_cmp_eq_u32_e32 vcc, v11, v44
	s_and_b64 exec, exec, vcc
	s_cbranch_execz .LBB61_114
; %bb.119:                              ;   in Loop: Header=BB61_117 Depth=2
	v_perm_b32 v10, v10, s3, v50
	ds_write_b32 v3, v10 offset:3072
	s_branch .LBB61_114
.LBB61_120:                             ;   in Loop: Header=BB61_117 Depth=2
	s_mov_b64 s[38:39], -1
                                        ; implicit-def: $vgpr8_vgpr9
                                        ; implicit-def: $vgpr2
	s_mov_b64 s[8:9], -1
	s_branch .LBB61_116
.LBB61_121:                             ;   in Loop: Header=BB61_16 Depth=1
	s_or_b64 exec, exec, s[28:29]
	s_andn2_b64 s[6:7], s[36:37], exec
	s_and_b64 s[8:9], s[34:35], exec
	v_lshrrev_b32_e32 v52, 16, v10
	s_or_b64 s[36:37], s[6:7], s[8:9]
.LBB61_122:                             ;   in Loop: Header=BB61_16 Depth=1
	s_or_b64 exec, exec, s[14:15]
	s_mov_b64 s[14:15], 0
	s_mov_b64 s[26:27], -1
.LBB61_123:                             ;   in Loop: Header=BB61_16 Depth=1
	s_orn2_b64 s[6:7], s[36:37], exec
.LBB61_124:                             ;   in Loop: Header=BB61_16 Depth=1
	s_or_b64 exec, exec, s[18:19]
	s_andn2_b64 s[8:9], s[88:89], exec
	s_and_b64 s[18:19], s[26:27], exec
	s_or_b64 s[88:89], s[8:9], s[18:19]
	s_andn2_b64 s[8:9], s[86:87], exec
	s_and_b64 s[14:15], s[14:15], exec
	s_andn2_b64 s[84:85], s[84:85], exec
	s_or_b64 s[86:87], s[8:9], s[14:15]
                                        ; implicit-def: $vgpr8_vgpr9
	s_and_saveexec_b64 s[18:19], s[6:7]
	s_cbranch_execz .LBB61_15
; %bb.125:                              ;   in Loop: Header=BB61_16 Depth=1
	v_mov_b32_e32 v8, 1
	s_xor_b64 s[6:7], s[20:21], -1
	v_mov_b32_e32 v2, 1
	v_mov_b32_e32 v9, 0
	s_mov_b64 s[14:15], 0
	s_and_saveexec_b64 s[4:5], s[6:7]
	s_cbranch_execz .LBB61_134
; %bb.126:                              ;   in Loop: Header=BB61_16 Depth=1
	v_cmp_le_i64_e32 vcc, v[26:27], v[4:5]
	s_and_saveexec_b64 s[6:7], vcc
	s_xor_b64 s[6:7], exec, s[6:7]
	s_cbranch_execz .LBB61_131
; %bb.127:                              ;   in Loop: Header=BB61_16 Depth=1
	ds_read_b64 v[8:9], v3 offset:5120
	v_and_b32_e32 v44, s66, v44
	v_or_b32_e32 v51, s70, v51
	s_waitcnt lgkmcnt(0)
	v_cmp_ne_u64_e32 vcc, 0, v[8:9]
	s_cbranch_vccnz .LBB61_131
; %bb.128:                              ;   in Loop: Header=BB61_16 Depth=1
	s_mov_b64 s[8:9], exec
	v_readlane_b32 s14, v61, 12
	v_readlane_b32 s15, v61, 13
	s_and_b64 s[14:15], s[8:9], s[14:15]
	s_mov_b64 exec, s[14:15]
; %bb.129:                              ;   in Loop: Header=BB61_16 Depth=1
	ds_write_b64 v3, v[4:5] offset:5128
; %bb.130:                              ;   in Loop: Header=BB61_16 Depth=1
	s_or_b64 exec, exec, s[8:9]
	s_waitcnt lgkmcnt(0)
	s_barrier
.LBB61_131:                             ;   in Loop: Header=BB61_16 Depth=1
	s_or_saveexec_b64 s[6:7], s[6:7]
	s_mov_b64 s[14:15], 0
	v_mov_b32_e32 v2, 8
	s_xor_b64 exec, exec, s[6:7]
; %bb.132:                              ;   in Loop: Header=BB61_16 Depth=1
	v_sub_co_u32_e32 v26, vcc, v26, v4
	v_subb_co_u32_e32 v27, vcc, v27, v5, vcc
	v_mov_b32_e32 v2, 0
	s_mov_b64 s[14:15], exec
; %bb.133:                              ;   in Loop: Header=BB61_16 Depth=1
	s_or_b64 exec, exec, s[6:7]
	v_mov_b32_e32 v8, v26
	s_and_b64 s[14:15], s[14:15], exec
	v_mov_b32_e32 v9, v27
.LBB61_134:                             ;   in Loop: Header=BB61_16 Depth=1
	s_or_b64 exec, exec, s[4:5]
	s_mov_b64 s[20:21], -1
	s_mov_b64 s[6:7], -1
                                        ; implicit-def: $sgpr4_sgpr5
                                        ; implicit-def: $sgpr92_sgpr93
	s_and_saveexec_b64 s[8:9], s[14:15]
	s_xor_b64 s[26:27], exec, s[8:9]
	s_cbranch_execz .LBB61_282
; %bb.135:                              ;   in Loop: Header=BB61_16 Depth=1
	v_cmp_eq_u64_e32 vcc, 1, v[6:7]
	v_cmp_eq_u64_e64 s[4:5], 1, v[8:9]
                                        ; implicit-def: $sgpr92_sgpr93
	s_and_b64 s[36:37], vcc, s[4:5]
                                        ; implicit-def: $sgpr4_sgpr5
	s_and_saveexec_b64 s[38:39], s[36:37]
	s_cbranch_execz .LBB61_171
; %bb.136:                              ;   in Loop: Header=BB61_16 Depth=1
	ds_read_b64 v[4:5], v3 offset:5120
	s_waitcnt lgkmcnt(0)
	s_barrier
	v_readfirstlane_b32 s40, v4
	v_readfirstlane_b32 s41, v5
	s_and_saveexec_b64 s[4:5], s[12:13]
; %bb.137:                              ;   in Loop: Header=BB61_16 Depth=1
	ds_write_b16 v46, v3
; %bb.138:                              ;   in Loop: Header=BB61_16 Depth=1
	s_or_b64 exec, exec, s[4:5]
	v_cmp_gt_i64_e64 s[6:7], s[40:41], 0
	v_and_b32_e32 v4, s66, v44
	v_lshl_or_b32 v44, 1, s60, v4
	v_or_b32_e32 v51, s70, v51
	s_mov_b64 s[4:5], -1
	s_mov_b64 s[92:93], 0
	s_and_b64 vcc, exec, s[6:7]
	s_mov_b64 s[6:7], 0
	s_mov_b64 s[14:15], -1
	s_waitcnt lgkmcnt(0)
	s_barrier
                                        ; implicit-def: $vgpr52
	s_cbranch_vccnz .LBB61_155
; %bb.139:                              ;   in Loop: Header=BB61_16 Depth=1
	s_mov_b32 s62, s53
	s_cmp_lg_u64 s[62:63], 0
	s_cbranch_scc0 .LBB61_199
; %bb.140:                              ;   in Loop: Header=BB61_16 Depth=1
	s_add_u32 s6, s23, 0
	s_addc_u32 s7, 0, 0
	s_xor_b64 s[6:7], s[6:7], 0
	v_cvt_f32_u32_e32 v4, s6
	v_cvt_f32_u32_e32 v5, s7
	s_sub_u32 s14, 0, s6
	s_subb_u32 s15, 0, s7
	v_mac_f32_e32 v4, 0x4f800000, v5
	v_rcp_f32_e32 v4, v4
	v_mul_f32_e32 v4, 0x5f7ffffc, v4
	v_mul_f32_e32 v5, 0x2f800000, v4
	v_trunc_f32_e32 v5, v5
	v_mac_f32_e32 v4, 0xcf800000, v5
	v_cvt_u32_f32_e32 v5, v5
	v_cvt_u32_f32_e32 v4, v4
	v_readfirstlane_b32 s28, v5
	v_readfirstlane_b32 s8, v4
	s_mul_i32 s9, s14, s28
	s_mul_hi_u32 s34, s14, s8
	s_mul_i32 s29, s15, s8
	s_add_i32 s9, s34, s9
	s_mul_i32 s35, s14, s8
	s_add_i32 s9, s9, s29
	s_mul_i32 s34, s8, s9
	s_mul_hi_u32 s42, s8, s35
	s_mul_hi_u32 s29, s8, s9
	s_add_u32 s34, s42, s34
	s_addc_u32 s29, 0, s29
	s_mul_hi_u32 s43, s28, s35
	s_mul_i32 s35, s28, s35
	s_add_u32 s34, s34, s35
	s_mul_hi_u32 s42, s28, s9
	s_addc_u32 s29, s29, s43
	s_addc_u32 s34, s42, 0
	s_mul_i32 s9, s28, s9
	s_add_u32 s9, s29, s9
	s_addc_u32 s29, 0, s34
	s_add_u32 s34, s8, s9
	s_cselect_b64 s[8:9], -1, 0
	s_cmp_lg_u64 s[8:9], 0
	s_addc_u32 s28, s28, s29
	s_mul_i32 s8, s14, s28
	s_mul_hi_u32 s9, s14, s34
	s_add_i32 s8, s9, s8
	s_mul_i32 s15, s15, s34
	s_add_i32 s8, s8, s15
	s_mul_i32 s14, s14, s34
	s_mul_hi_u32 s15, s28, s14
	s_mul_i32 s29, s28, s14
	s_mul_i32 s42, s34, s8
	s_mul_hi_u32 s14, s34, s14
	s_mul_hi_u32 s35, s34, s8
	s_add_u32 s14, s14, s42
	s_addc_u32 s35, 0, s35
	s_add_u32 s14, s14, s29
	s_mul_hi_u32 s9, s28, s8
	s_addc_u32 s14, s35, s15
	s_addc_u32 s9, s9, 0
	s_mul_i32 s8, s28, s8
	s_add_u32 s8, s14, s8
	s_addc_u32 s14, 0, s9
	s_add_u32 s29, s34, s8
	s_cselect_b64 s[8:9], -1, 0
	s_cmp_lg_u64 s[8:9], 0
	s_addc_u32 s28, s28, s14
	s_ashr_i32 s8, s63, 31
	s_add_u32 s14, s33, s8
	s_mov_b32 s9, s8
	s_addc_u32 s15, s63, s8
	s_xor_b64 s[14:15], s[14:15], s[8:9]
	s_mul_i32 s35, s14, s28
	s_mul_hi_u32 s42, s14, s29
	s_mul_hi_u32 s34, s14, s28
	s_add_u32 s35, s42, s35
	s_addc_u32 s34, 0, s34
	s_mul_hi_u32 s43, s15, s29
	s_mul_i32 s29, s15, s29
	s_add_u32 s29, s35, s29
	s_mul_hi_u32 s42, s15, s28
	s_addc_u32 s29, s34, s43
	s_addc_u32 s34, s42, 0
	s_mul_i32 s28, s15, s28
	s_add_u32 s28, s29, s28
	s_addc_u32 s29, 0, s34
	s_mul_i32 s29, s6, s29
	s_mul_hi_u32 s34, s6, s28
	s_add_i32 s29, s34, s29
	s_mul_i32 s34, s7, s28
	s_add_i32 s42, s29, s34
	s_sub_i32 s34, s15, s42
	s_mul_i32 s28, s6, s28
	s_sub_u32 s14, s14, s28
	s_cselect_b64 s[28:29], -1, 0
	s_cmp_lg_u64 s[28:29], 0
	s_subb_u32 s43, s34, s7
	s_sub_u32 s44, s14, s6
	s_cselect_b64 s[34:35], -1, 0
	s_cmp_lg_u64 s[34:35], 0
	s_subb_u32 s45, s43, 0
	s_cmp_ge_u32 s45, s7
	s_cselect_b32 s46, -1, 0
	s_cmp_ge_u32 s44, s6
	s_cselect_b32 s47, -1, 0
	s_cmp_eq_u32 s45, s7
	s_cselect_b32 s46, s47, s46
	s_cmp_lg_u64 s[34:35], 0
	s_subb_u32 s43, s43, s7
	s_sub_u32 s47, s44, s6
	s_cselect_b64 s[34:35], -1, 0
	s_cmp_lg_u64 s[34:35], 0
	s_subb_u32 s34, s43, 0
	s_cmp_lg_u32 s46, 0
	s_cselect_b32 s35, s47, s44
	s_cselect_b32 s34, s34, s45
	s_cmp_lg_u64 s[28:29], 0
	s_subb_u32 s15, s15, s42
	s_cmp_ge_u32 s15, s7
	s_cselect_b32 s28, -1, 0
	s_cmp_ge_u32 s14, s6
	s_cselect_b32 s6, -1, 0
	s_cmp_eq_u32 s15, s7
	s_cselect_b32 s6, s6, s28
	s_cmp_lg_u32 s6, 0
	s_cselect_b32 s7, s34, s15
	s_cselect_b32 s6, s35, s14
	s_xor_b64 s[6:7], s[6:7], s[8:9]
	s_sub_u32 s6, s6, s8
	s_subb_u32 s7, s7, s8
	s_cbranch_execnz .LBB61_142
.LBB61_141:                             ;   in Loop: Header=BB61_16 Depth=1
	v_cvt_f32_u32_e32 v4, s23
	s_sub_i32 s6, 0, s23
	v_rcp_iflag_f32_e32 v4, v4
	v_mul_f32_e32 v4, 0x4f7ffffe, v4
	v_cvt_u32_f32_e32 v4, v4
	v_readfirstlane_b32 s7, v4
	s_mul_i32 s6, s6, s7
	s_mul_hi_u32 s6, s7, s6
	s_add_i32 s7, s7, s6
	s_mul_hi_u32 s6, s33, s7
	s_mul_i32 s6, s6, s23
	s_sub_i32 s6, s33, s6
	s_sub_i32 s7, s6, s23
	s_cmp_ge_u32 s6, s23
	s_cselect_b32 s6, s7, s6
	s_sub_i32 s7, s6, s23
	s_cmp_ge_u32 s6, s23
	s_cselect_b32 s52, s7, s6
	s_mov_b64 s[6:7], s[52:53]
.LBB61_142:                             ;   in Loop: Header=BB61_16 Depth=1
	s_sub_u32 s34, s33, s6
	s_subb_u32 s35, s63, s7
	v_cmp_gt_i64_e32 vcc, s[34:35], v[0:1]
	s_mov_b64 s[14:15], 0
	s_mov_b64 s[6:7], 0
                                        ; implicit-def: $vgpr52
	s_and_saveexec_b64 s[28:29], vcc
	s_cbranch_execz .LBB61_154
; %bb.143:                              ;   in Loop: Header=BB61_16 Depth=1
	v_mov_b32_e32 v4, v12
	v_mov_b32_e32 v11, v1
	v_mov_b32_e32 v5, v13
	v_mov_b32_e32 v10, v0
                                        ; implicit-def: $sgpr42_sgpr43
	s_branch .LBB61_147
.LBB61_144:                             ;   in Loop: Header=BB61_147 Depth=2
	s_or_b64 exec, exec, s[44:45]
	s_waitcnt lgkmcnt(0)
	s_barrier
	ds_read_b32 v26, v3 offset:3072
	s_waitcnt lgkmcnt(0)
	s_barrier
	v_cmp_neq_f16_e32 vcc, 0, v26
	s_cbranch_vccnz .LBB61_150
; %bb.145:                              ;   in Loop: Header=BB61_147 Depth=2
	v_add_co_u32_e32 v10, vcc, s23, v10
	v_addc_co_u32_e32 v11, vcc, 0, v11, vcc
	v_mov_b32_e32 v27, s57
	v_add_co_u32_e32 v4, vcc, s56, v4
	v_addc_co_u32_e32 v5, vcc, v5, v27, vcc
	v_cmp_le_i64_e32 vcc, s[34:35], v[10:11]
	s_mov_b64 s[8:9], 0
	s_orn2_b64 s[44:45], vcc, exec
.LBB61_146:                             ;   in Loop: Header=BB61_147 Depth=2
	s_and_b64 s[44:45], exec, s[44:45]
	s_or_b64 s[6:7], s[44:45], s[6:7]
	s_andn2_b64 s[42:43], s[42:43], exec
	s_and_b64 s[8:9], s[8:9], exec
	s_or_b64 s[42:43], s[42:43], s[8:9]
	s_andn2_b64 exec, exec, s[6:7]
	s_cbranch_execz .LBB61_153
.LBB61_147:                             ;   Parent Loop BB61_16 Depth=1
                                        ; =>  This Inner Loop Header: Depth=2
	v_cmp_gt_i64_e32 vcc, s[24:25], v[10:11]
	s_and_saveexec_b64 s[44:45], vcc
	s_cbranch_execz .LBB61_144
; %bb.148:                              ;   in Loop: Header=BB61_147 Depth=2
	global_load_ushort v26, v[4:5], off
	s_waitcnt vmcnt(0)
	v_cmp_lt_i16_e32 vcc, -1, v26
	v_cndmask_b32_e32 v27, v47, v48, vcc
	v_xor_b32_sdwa v27, v27, v26 dst_sel:DWORD dst_unused:UNUSED_PAD src0_sel:DWORD src1_sel:WORD_0
	v_cmp_o_f16_e32 vcc, v26, v26
	v_cndmask_b32_e32 v27, v47, v27, vcc
	v_and_b32_e32 v27, v27, v51
	v_cmp_eq_u32_e32 vcc, v27, v44
	s_and_b64 exec, exec, vcc
	s_cbranch_execz .LBB61_144
; %bb.149:                              ;   in Loop: Header=BB61_147 Depth=2
	v_perm_b32 v26, v26, s3, v50
	ds_write_b32 v3, v26 offset:3072
	s_branch .LBB61_144
.LBB61_150:                             ;   in Loop: Header=BB61_147 Depth=2
	s_mov_b64 s[44:45], -1
                                        ; implicit-def: $vgpr10_vgpr11
                                        ; implicit-def: $vgpr4_vgpr5
	s_mov_b64 s[8:9], -1
	s_branch .LBB61_146
.LBB61_151:                             ;   in Loop: Header=BB61_16 Depth=1
                                        ; implicit-def: $sgpr8_sgpr9
	s_andn2_b64 vcc, exec, s[28:29]
	s_cbranch_vccz .LBB61_96
	s_branch .LBB61_97
.LBB61_152:                             ;   in Loop: Header=BB61_16 Depth=1
                                        ; implicit-def: $sgpr8_sgpr9
	s_branch .LBB61_111
.LBB61_153:                             ;   in Loop: Header=BB61_16 Depth=1
	s_or_b64 exec, exec, s[6:7]
	v_lshrrev_b32_e32 v52, 16, v26
	s_and_b64 s[6:7], s[42:43], exec
.LBB61_154:                             ;   in Loop: Header=BB61_16 Depth=1
	s_or_b64 exec, exec, s[28:29]
.LBB61_155:                             ;   in Loop: Header=BB61_16 Depth=1
	s_and_b64 vcc, exec, s[14:15]
	s_cbranch_vccz .LBB61_170
; %bb.156:                              ;   in Loop: Header=BB61_16 Depth=1
	s_add_u32 s28, s40, s67
	s_addc_u32 s5, s41, s71
	s_mov_b32 s4, s53
	s_cmp_lg_u64 s[4:5], 0
	s_cbranch_scc0 .LBB61_200
; %bb.157:                              ;   in Loop: Header=BB61_16 Depth=1
	s_add_u32 s8, s23, 0
	s_addc_u32 s9, 0, 0
	s_xor_b64 s[14:15], s[8:9], 0
	v_cvt_f32_u32_e32 v4, s14
	v_cvt_f32_u32_e32 v5, s15
	s_sub_u32 s4, 0, s14
	s_subb_u32 s29, 0, s15
	v_mac_f32_e32 v4, 0x4f800000, v5
	v_rcp_f32_e32 v4, v4
	v_mul_f32_e32 v4, 0x5f7ffffc, v4
	v_mul_f32_e32 v5, 0x2f800000, v4
	v_trunc_f32_e32 v5, v5
	v_mac_f32_e32 v4, 0xcf800000, v5
	v_cvt_u32_f32_e32 v5, v5
	v_cvt_u32_f32_e32 v4, v4
	v_readfirstlane_b32 s34, v5
	v_readfirstlane_b32 s8, v4
	s_mul_i32 s9, s4, s34
	s_mul_hi_u32 s42, s4, s8
	s_mul_i32 s35, s29, s8
	s_add_i32 s9, s42, s9
	s_mul_i32 s43, s4, s8
	s_add_i32 s9, s9, s35
	s_mul_i32 s42, s8, s9
	s_mul_hi_u32 s44, s8, s43
	s_mul_hi_u32 s35, s8, s9
	s_add_u32 s42, s44, s42
	s_addc_u32 s35, 0, s35
	s_mul_hi_u32 s45, s34, s43
	s_mul_i32 s43, s34, s43
	s_add_u32 s42, s42, s43
	s_mul_hi_u32 s44, s34, s9
	s_addc_u32 s35, s35, s45
	s_addc_u32 s42, s44, 0
	s_mul_i32 s9, s34, s9
	s_add_u32 s9, s35, s9
	s_addc_u32 s35, 0, s42
	s_add_u32 s42, s8, s9
	s_cselect_b64 s[8:9], -1, 0
	s_cmp_lg_u64 s[8:9], 0
	s_addc_u32 s34, s34, s35
	s_mul_i32 s8, s4, s34
	s_mul_hi_u32 s9, s4, s42
	s_add_i32 s8, s9, s8
	s_mul_i32 s29, s29, s42
	s_add_i32 s8, s8, s29
	s_mul_i32 s4, s4, s42
	s_mul_hi_u32 s29, s34, s4
	s_mul_i32 s35, s34, s4
	s_mul_i32 s44, s42, s8
	s_mul_hi_u32 s4, s42, s4
	s_mul_hi_u32 s43, s42, s8
	s_add_u32 s4, s4, s44
	s_addc_u32 s43, 0, s43
	s_add_u32 s4, s4, s35
	s_mul_hi_u32 s9, s34, s8
	s_addc_u32 s4, s43, s29
	s_addc_u32 s9, s9, 0
	s_mul_i32 s8, s34, s8
	s_add_u32 s4, s4, s8
	s_addc_u32 s29, 0, s9
	s_add_u32 s4, s42, s4
	s_cselect_b64 s[8:9], -1, 0
	s_cmp_lg_u64 s[8:9], 0
	s_addc_u32 s29, s34, s29
	s_ashr_i32 s34, s5, 31
	s_add_u32 s8, s28, s34
	s_mov_b32 s35, s34
	s_addc_u32 s9, s5, s34
	s_xor_b64 s[8:9], s[8:9], s[34:35]
	s_mul_i32 s43, s8, s29
	s_mul_hi_u32 s44, s8, s4
	s_mul_hi_u32 s42, s8, s29
	s_add_u32 s43, s44, s43
	s_addc_u32 s42, 0, s42
	s_mul_hi_u32 s45, s9, s4
	s_mul_i32 s4, s9, s4
	s_add_u32 s4, s43, s4
	s_mul_hi_u32 s44, s9, s29
	s_addc_u32 s4, s42, s45
	s_addc_u32 s42, s44, 0
	s_mul_i32 s29, s9, s29
	s_add_u32 s4, s4, s29
	s_addc_u32 s29, 0, s42
	s_mul_i32 s29, s14, s29
	s_mul_hi_u32 s42, s14, s4
	s_add_i32 s29, s42, s29
	s_mul_i32 s42, s15, s4
	s_add_i32 s29, s29, s42
	s_sub_i32 s44, s9, s29
	s_mul_i32 s4, s14, s4
	s_sub_u32 s4, s8, s4
	s_cselect_b64 s[42:43], -1, 0
	s_cmp_lg_u64 s[42:43], 0
	s_subb_u32 s8, s44, s15
	s_sub_u32 s46, s4, s14
	s_cselect_b64 s[44:45], -1, 0
	s_cmp_lg_u64 s[44:45], 0
	s_subb_u32 s47, s8, 0
	s_cmp_ge_u32 s47, s15
	s_cselect_b32 s48, -1, 0
	s_cmp_ge_u32 s46, s14
	s_cselect_b32 s49, -1, 0
	s_cmp_eq_u32 s47, s15
	s_cselect_b32 s48, s49, s48
	s_cmp_lg_u64 s[44:45], 0
	s_subb_u32 s8, s8, s15
	s_sub_u32 s49, s46, s14
	s_cselect_b64 s[44:45], -1, 0
	s_cmp_lg_u64 s[44:45], 0
	s_subb_u32 s8, s8, 0
	s_cmp_lg_u32 s48, 0
	s_cselect_b32 s44, s49, s46
	s_cselect_b32 s8, s8, s47
	s_cmp_lg_u64 s[42:43], 0
	s_subb_u32 s9, s9, s29
	s_cmp_ge_u32 s9, s15
	s_cselect_b32 s29, -1, 0
	s_cmp_ge_u32 s4, s14
	s_cselect_b32 s14, -1, 0
	s_cmp_eq_u32 s9, s15
	s_cselect_b32 s14, s14, s29
	s_cmp_lg_u32 s14, 0
	s_cselect_b32 s9, s8, s9
	s_cselect_b32 s8, s44, s4
	s_xor_b64 s[8:9], s[8:9], s[34:35]
	s_sub_u32 s8, s8, s34
	s_subb_u32 s9, s9, s34
	s_cbranch_execnz .LBB61_159
.LBB61_158:                             ;   in Loop: Header=BB61_16 Depth=1
	v_cvt_f32_u32_e32 v4, s23
	s_sub_i32 s4, 0, s23
	v_rcp_iflag_f32_e32 v4, v4
	v_mul_f32_e32 v4, 0x4f7ffffe, v4
	v_cvt_u32_f32_e32 v4, v4
	v_readfirstlane_b32 s8, v4
	s_mul_i32 s4, s4, s8
	s_mul_hi_u32 s4, s8, s4
	s_add_i32 s8, s8, s4
	s_mul_hi_u32 s4, s28, s8
	s_mul_i32 s4, s4, s23
	s_sub_i32 s4, s28, s4
	s_sub_i32 s8, s4, s23
	s_cmp_ge_u32 s4, s23
	s_cselect_b32 s4, s8, s4
	s_sub_i32 s8, s4, s23
	s_cmp_ge_u32 s4, s23
	s_cselect_b32 s52, s8, s4
	s_mov_b64 s[8:9], s[52:53]
.LBB61_159:                             ;   in Loop: Header=BB61_16 Depth=1
	s_sub_u32 s14, s28, s8
	s_subb_u32 s15, s5, s9
	v_cmp_gt_i64_e32 vcc, s[14:15], v[0:1]
                                        ; implicit-def: $vgpr52
	s_and_saveexec_b64 s[4:5], vcc
	s_cbranch_execz .LBB61_169
; %bb.160:                              ;   in Loop: Header=BB61_16 Depth=1
	v_mov_b32_e32 v5, v1
	s_mov_b64 s[28:29], 0
	v_mov_b32_e32 v10, v45
	v_mov_b32_e32 v4, v0
                                        ; implicit-def: $sgpr34_sgpr35
	s_branch .LBB61_164
.LBB61_161:                             ;   in Loop: Header=BB61_164 Depth=2
	s_or_b64 exec, exec, s[42:43]
	s_waitcnt lgkmcnt(0)
	s_barrier
	ds_read_b32 v11, v3 offset:3072
	s_waitcnt lgkmcnt(0)
	s_barrier
	v_cmp_eq_f16_e32 vcc, 0, v11
	s_cbranch_vccz .LBB61_167
; %bb.162:                              ;   in Loop: Header=BB61_164 Depth=2
	v_add_co_u32_e32 v4, vcc, s23, v4
	v_addc_co_u32_e32 v5, vcc, 0, v5, vcc
	v_cmp_le_i64_e32 vcc, s[14:15], v[4:5]
	v_add_u32_e32 v10, s2, v10
	s_mov_b64 s[8:9], 0
	s_orn2_b64 s[42:43], vcc, exec
.LBB61_163:                             ;   in Loop: Header=BB61_164 Depth=2
	s_and_b64 s[42:43], exec, s[42:43]
	s_or_b64 s[28:29], s[42:43], s[28:29]
	s_andn2_b64 s[34:35], s[34:35], exec
	s_and_b64 s[8:9], s[8:9], exec
	s_or_b64 s[34:35], s[34:35], s[8:9]
	s_andn2_b64 exec, exec, s[28:29]
	s_cbranch_execz .LBB61_168
.LBB61_164:                             ;   Parent Loop BB61_16 Depth=1
                                        ; =>  This Inner Loop Header: Depth=2
	v_cmp_gt_u64_e32 vcc, s[40:41], v[4:5]
	s_and_saveexec_b64 s[42:43], vcc
	s_cbranch_execz .LBB61_161
; %bb.165:                              ;   in Loop: Header=BB61_164 Depth=2
	ds_read_u16 v11, v10
	s_waitcnt lgkmcnt(0)
	v_cmp_lt_i16_e32 vcc, -1, v11
	v_cndmask_b32_e32 v26, v47, v48, vcc
	v_xor_b32_sdwa v26, v26, v11 dst_sel:DWORD dst_unused:UNUSED_PAD src0_sel:DWORD src1_sel:WORD_0
	v_cmp_o_f16_e32 vcc, v11, v11
	v_cndmask_b32_e32 v26, v47, v26, vcc
	v_and_b32_e32 v26, v26, v51
	v_cmp_eq_u32_e32 vcc, v26, v44
	s_and_b64 exec, exec, vcc
	s_cbranch_execz .LBB61_161
; %bb.166:                              ;   in Loop: Header=BB61_164 Depth=2
	v_perm_b32 v11, v11, s3, v50
	ds_write_b32 v3, v11 offset:3072
	s_branch .LBB61_161
.LBB61_167:                             ;   in Loop: Header=BB61_164 Depth=2
	s_mov_b64 s[42:43], -1
                                        ; implicit-def: $vgpr4_vgpr5
                                        ; implicit-def: $vgpr10
	s_mov_b64 s[8:9], -1
	s_branch .LBB61_163
.LBB61_168:                             ;   in Loop: Header=BB61_16 Depth=1
	s_or_b64 exec, exec, s[28:29]
	s_andn2_b64 s[6:7], s[6:7], exec
	s_and_b64 s[8:9], s[34:35], exec
	v_lshrrev_b32_e32 v52, 16, v11
	s_or_b64 s[6:7], s[6:7], s[8:9]
.LBB61_169:                             ;   in Loop: Header=BB61_16 Depth=1
	s_or_b64 exec, exec, s[4:5]
	s_mov_b64 s[4:5], 0
	s_mov_b64 s[92:93], -1
.LBB61_170:                             ;   in Loop: Header=BB61_16 Depth=1
	s_orn2_b64 s[6:7], s[6:7], exec
.LBB61_171:                             ;   in Loop: Header=BB61_16 Depth=1
	s_or_b64 exec, exec, s[38:39]
	s_mov_b64 s[14:15], 0
	s_and_saveexec_b64 s[94:95], s[6:7]
	s_cbranch_execz .LBB61_281
; %bb.172:                              ;   in Loop: Header=BB61_16 Depth=1
	v_mov_b32_e32 v4, 1
	s_xor_b64 s[8:9], s[36:37], -1
	v_mov_b32_e32 v2, 1
	v_mov_b32_e32 v5, 0
	s_and_saveexec_b64 s[6:7], s[8:9]
	s_cbranch_execz .LBB61_182
; %bb.173:                              ;   in Loop: Header=BB61_16 Depth=1
	v_cmp_le_i64_e32 vcc, v[8:9], v[6:7]
	s_and_saveexec_b64 s[8:9], vcc
	s_xor_b64 s[14:15], exec, s[8:9]
	s_cbranch_execz .LBB61_179
; %bb.174:                              ;   in Loop: Header=BB61_16 Depth=1
	ds_read_b64 v[4:5], v3 offset:5120
	v_and_b32_e32 v2, s66, v44
	v_lshl_or_b32 v44, 1, s60, v2
	v_or_b32_e32 v51, s70, v51
	s_waitcnt lgkmcnt(0)
	v_cmp_ne_u64_e32 vcc, 0, v[4:5]
	s_cbranch_vccnz .LBB61_178
; %bb.175:                              ;   in Loop: Header=BB61_16 Depth=1
	s_mov_b64 s[8:9], exec
	v_readlane_b32 s28, v61, 12
	v_readlane_b32 s29, v61, 13
	s_and_b64 s[28:29], s[8:9], s[28:29]
	s_mov_b64 exec, s[28:29]
; %bb.176:                              ;   in Loop: Header=BB61_16 Depth=1
	ds_write_b64 v3, v[6:7] offset:5128
; %bb.177:                              ;   in Loop: Header=BB61_16 Depth=1
	s_or_b64 exec, exec, s[8:9]
	s_waitcnt lgkmcnt(0)
	s_barrier
.LBB61_178:                             ;   in Loop: Header=BB61_16 Depth=1
                                        ; implicit-def: $vgpr4_vgpr5_vgpr6_vgpr7
.LBB61_179:                             ;   in Loop: Header=BB61_16 Depth=1
	s_or_saveexec_b64 s[14:15], s[14:15]
	s_mov_b64 s[28:29], 0
	v_mov_b32_e32 v2, 8
	s_xor_b64 exec, exec, s[14:15]
; %bb.180:                              ;   in Loop: Header=BB61_16 Depth=1
	v_sub_co_u32_e32 v8, vcc, v8, v6
	v_subb_co_u32_e32 v9, vcc, v9, v7, vcc
	v_mov_b32_e32 v2, 0
	s_mov_b64 s[28:29], exec
; %bb.181:                              ;   in Loop: Header=BB61_16 Depth=1
	s_or_b64 exec, exec, s[14:15]
	v_mov_b32_e32 v4, v8
	s_and_b64 s[14:15], s[28:29], exec
	v_mov_b32_e32 v5, v9
.LBB61_182:                             ;   in Loop: Header=BB61_16 Depth=1
	s_or_b64 exec, exec, s[6:7]
	s_mov_b64 s[6:7], -1
                                        ; implicit-def: $sgpr50_sgpr51
                                        ; implicit-def: $sgpr36_sgpr37
	s_and_saveexec_b64 s[48:49], s[14:15]
	s_cbranch_execz .LBB61_280
; %bb.183:                              ;   in Loop: Header=BB61_16 Depth=1
	s_cmp_eq_u64 s[90:91], 1
	v_cmp_eq_u64_e32 vcc, 1, v[4:5]
	s_cselect_b64 s[6:7], -1, 0
	s_and_b64 s[40:41], s[6:7], vcc
	s_mov_b64 s[6:7], -1
                                        ; implicit-def: $sgpr36_sgpr37
                                        ; implicit-def: $sgpr50_sgpr51
	s_and_saveexec_b64 s[38:39], s[40:41]
	s_cbranch_execz .LBB61_219
; %bb.184:                              ;   in Loop: Header=BB61_16 Depth=1
	ds_read_b64 v[6:7], v3 offset:5120
	s_waitcnt lgkmcnt(0)
	s_barrier
	v_readfirstlane_b32 s42, v6
	v_readfirstlane_b32 s43, v7
	s_and_saveexec_b64 s[6:7], s[12:13]
; %bb.185:                              ;   in Loop: Header=BB61_16 Depth=1
	ds_write_b16 v46, v3
; %bb.186:                              ;   in Loop: Header=BB61_16 Depth=1
	s_or_b64 exec, exec, s[6:7]
	v_cmp_gt_i64_e64 s[6:7], s[42:43], 0
	v_and_b32_e32 v6, s66, v44
	v_lshl_or_b32 v44, 2, s60, v6
	v_or_b32_e32 v51, s70, v51
	s_mov_b64 s[50:51], -1
	s_mov_b64 s[36:37], 0
	s_and_b64 vcc, exec, s[6:7]
	s_mov_b64 s[6:7], 0
	s_mov_b64 s[14:15], -1
	s_waitcnt lgkmcnt(0)
	s_barrier
                                        ; implicit-def: $vgpr52
	s_cbranch_vccnz .LBB61_203
; %bb.187:                              ;   in Loop: Header=BB61_16 Depth=1
	s_mov_b32 s62, s53
	s_cmp_lg_u64 s[62:63], 0
	s_cbranch_scc0 .LBB61_246
; %bb.188:                              ;   in Loop: Header=BB61_16 Depth=1
	s_add_u32 s6, s23, 0
	s_addc_u32 s7, 0, 0
	s_xor_b64 s[6:7], s[6:7], 0
	v_cvt_f32_u32_e32 v6, s6
	v_cvt_f32_u32_e32 v7, s7
	s_sub_u32 s14, 0, s6
	s_subb_u32 s15, 0, s7
	v_mac_f32_e32 v6, 0x4f800000, v7
	v_rcp_f32_e32 v6, v6
	v_mul_f32_e32 v6, 0x5f7ffffc, v6
	v_mul_f32_e32 v7, 0x2f800000, v6
	v_trunc_f32_e32 v7, v7
	v_mac_f32_e32 v6, 0xcf800000, v7
	v_cvt_u32_f32_e32 v7, v7
	v_cvt_u32_f32_e32 v6, v6
	v_readfirstlane_b32 s28, v7
	v_readfirstlane_b32 s8, v6
	s_mul_i32 s9, s14, s28
	s_mul_hi_u32 s34, s14, s8
	s_mul_i32 s29, s15, s8
	s_add_i32 s9, s34, s9
	s_mul_i32 s35, s14, s8
	s_add_i32 s9, s9, s29
	s_mul_i32 s34, s8, s9
	s_mul_hi_u32 s44, s8, s35
	s_mul_hi_u32 s29, s8, s9
	s_add_u32 s34, s44, s34
	s_addc_u32 s29, 0, s29
	s_mul_hi_u32 s45, s28, s35
	s_mul_i32 s35, s28, s35
	s_add_u32 s34, s34, s35
	s_mul_hi_u32 s44, s28, s9
	s_addc_u32 s29, s29, s45
	s_addc_u32 s34, s44, 0
	s_mul_i32 s9, s28, s9
	s_add_u32 s9, s29, s9
	s_addc_u32 s29, 0, s34
	s_add_u32 s34, s8, s9
	s_cselect_b64 s[8:9], -1, 0
	s_cmp_lg_u64 s[8:9], 0
	s_addc_u32 s28, s28, s29
	s_mul_i32 s8, s14, s28
	s_mul_hi_u32 s9, s14, s34
	s_add_i32 s8, s9, s8
	s_mul_i32 s15, s15, s34
	s_add_i32 s8, s8, s15
	s_mul_i32 s14, s14, s34
	s_mul_hi_u32 s15, s28, s14
	s_mul_i32 s29, s28, s14
	s_mul_i32 s44, s34, s8
	s_mul_hi_u32 s14, s34, s14
	s_mul_hi_u32 s35, s34, s8
	s_add_u32 s14, s14, s44
	s_addc_u32 s35, 0, s35
	s_add_u32 s14, s14, s29
	s_mul_hi_u32 s9, s28, s8
	s_addc_u32 s14, s35, s15
	s_addc_u32 s9, s9, 0
	s_mul_i32 s8, s28, s8
	s_add_u32 s8, s14, s8
	s_addc_u32 s14, 0, s9
	s_add_u32 s29, s34, s8
	s_cselect_b64 s[8:9], -1, 0
	s_cmp_lg_u64 s[8:9], 0
	s_addc_u32 s28, s28, s14
	s_ashr_i32 s8, s63, 31
	s_add_u32 s14, s33, s8
	s_mov_b32 s9, s8
	s_addc_u32 s15, s63, s8
	s_xor_b64 s[14:15], s[14:15], s[8:9]
	s_mul_i32 s35, s14, s28
	s_mul_hi_u32 s44, s14, s29
	s_mul_hi_u32 s34, s14, s28
	s_add_u32 s35, s44, s35
	s_addc_u32 s34, 0, s34
	s_mul_hi_u32 s45, s15, s29
	s_mul_i32 s29, s15, s29
	s_add_u32 s29, s35, s29
	s_mul_hi_u32 s44, s15, s28
	s_addc_u32 s29, s34, s45
	s_addc_u32 s34, s44, 0
	s_mul_i32 s28, s15, s28
	s_add_u32 s28, s29, s28
	s_addc_u32 s29, 0, s34
	s_mul_i32 s29, s6, s29
	s_mul_hi_u32 s34, s6, s28
	s_add_i32 s29, s34, s29
	s_mul_i32 s34, s7, s28
	s_add_i32 s44, s29, s34
	s_sub_i32 s34, s15, s44
	s_mul_i32 s28, s6, s28
	s_sub_u32 s14, s14, s28
	s_cselect_b64 s[28:29], -1, 0
	s_cmp_lg_u64 s[28:29], 0
	s_subb_u32 s45, s34, s7
	s_sub_u32 s46, s14, s6
	s_cselect_b64 s[34:35], -1, 0
	s_cmp_lg_u64 s[34:35], 0
	s_subb_u32 s47, s45, 0
	s_cmp_ge_u32 s47, s7
	s_cselect_b32 s52, -1, 0
	s_cmp_ge_u32 s46, s6
	s_cselect_b32 s62, -1, 0
	s_cmp_eq_u32 s47, s7
	s_cselect_b32 s52, s62, s52
	s_cmp_lg_u64 s[34:35], 0
	s_subb_u32 s45, s45, s7
	s_sub_u32 s62, s46, s6
	s_cselect_b64 s[34:35], -1, 0
	s_cmp_lg_u64 s[34:35], 0
	s_subb_u32 s34, s45, 0
	s_cmp_lg_u32 s52, 0
	s_cselect_b32 s35, s62, s46
	s_cselect_b32 s34, s34, s47
	s_cmp_lg_u64 s[28:29], 0
	s_subb_u32 s15, s15, s44
	s_cmp_ge_u32 s15, s7
	s_cselect_b32 s28, -1, 0
	s_cmp_ge_u32 s14, s6
	s_cselect_b32 s6, -1, 0
	s_cmp_eq_u32 s15, s7
	s_cselect_b32 s6, s6, s28
	s_cmp_lg_u32 s6, 0
	s_cselect_b32 s7, s34, s15
	s_cselect_b32 s6, s35, s14
	s_xor_b64 s[6:7], s[6:7], s[8:9]
	s_sub_u32 s6, s6, s8
	s_subb_u32 s7, s7, s8
	s_cbranch_execnz .LBB61_190
.LBB61_189:                             ;   in Loop: Header=BB61_16 Depth=1
	v_cvt_f32_u32_e32 v6, s23
	s_sub_i32 s6, 0, s23
	v_rcp_iflag_f32_e32 v6, v6
	v_mul_f32_e32 v6, 0x4f7ffffe, v6
	v_cvt_u32_f32_e32 v6, v6
	v_readfirstlane_b32 s7, v6
	s_mul_i32 s6, s6, s7
	s_mul_hi_u32 s6, s7, s6
	s_add_i32 s7, s7, s6
	s_mul_hi_u32 s6, s33, s7
	s_mul_i32 s6, s6, s23
	s_sub_i32 s6, s33, s6
	s_sub_i32 s7, s6, s23
	s_cmp_ge_u32 s6, s23
	s_cselect_b32 s6, s7, s6
	s_sub_i32 s7, s6, s23
	s_cmp_ge_u32 s6, s23
	s_cselect_b32 s52, s7, s6
	s_mov_b64 s[6:7], s[52:53]
.LBB61_190:                             ;   in Loop: Header=BB61_16 Depth=1
	s_sub_u32 s34, s33, s6
	s_subb_u32 s35, s63, s7
	v_cmp_gt_i64_e32 vcc, s[34:35], v[0:1]
	s_mov_b64 s[14:15], 0
	s_mov_b64 s[6:7], 0
                                        ; implicit-def: $vgpr52
	s_and_saveexec_b64 s[28:29], vcc
	s_cbranch_execz .LBB61_202
; %bb.191:                              ;   in Loop: Header=BB61_16 Depth=1
	v_mov_b32_e32 v6, v12
	v_mov_b32_e32 v9, v1
	;; [unrolled: 1-line block ×4, first 2 shown]
                                        ; implicit-def: $sgpr44_sgpr45
	s_branch .LBB61_195
.LBB61_192:                             ;   in Loop: Header=BB61_195 Depth=2
	s_or_b64 exec, exec, s[46:47]
	s_waitcnt lgkmcnt(0)
	s_barrier
	ds_read_b32 v10, v3 offset:3072
	s_waitcnt lgkmcnt(0)
	s_barrier
	v_cmp_neq_f16_e32 vcc, 0, v10
	s_cbranch_vccnz .LBB61_198
; %bb.193:                              ;   in Loop: Header=BB61_195 Depth=2
	v_add_co_u32_e32 v8, vcc, s23, v8
	v_addc_co_u32_e32 v9, vcc, 0, v9, vcc
	v_mov_b32_e32 v11, s57
	v_add_co_u32_e32 v6, vcc, s56, v6
	v_addc_co_u32_e32 v7, vcc, v7, v11, vcc
	v_cmp_le_i64_e32 vcc, s[34:35], v[8:9]
	s_mov_b64 s[8:9], 0
	s_orn2_b64 s[46:47], vcc, exec
.LBB61_194:                             ;   in Loop: Header=BB61_195 Depth=2
	s_and_b64 s[46:47], exec, s[46:47]
	s_or_b64 s[6:7], s[46:47], s[6:7]
	s_andn2_b64 s[44:45], s[44:45], exec
	s_and_b64 s[8:9], s[8:9], exec
	s_or_b64 s[44:45], s[44:45], s[8:9]
	s_andn2_b64 exec, exec, s[6:7]
	s_cbranch_execz .LBB61_201
.LBB61_195:                             ;   Parent Loop BB61_16 Depth=1
                                        ; =>  This Inner Loop Header: Depth=2
	v_cmp_gt_i64_e32 vcc, s[24:25], v[8:9]
	s_and_saveexec_b64 s[46:47], vcc
	s_cbranch_execz .LBB61_192
; %bb.196:                              ;   in Loop: Header=BB61_195 Depth=2
	global_load_ushort v10, v[6:7], off
	s_waitcnt vmcnt(0)
	v_cmp_lt_i16_e32 vcc, -1, v10
	v_cndmask_b32_e32 v11, v47, v48, vcc
	v_xor_b32_sdwa v11, v11, v10 dst_sel:DWORD dst_unused:UNUSED_PAD src0_sel:DWORD src1_sel:WORD_0
	v_cmp_o_f16_e32 vcc, v10, v10
	v_cndmask_b32_e32 v11, v47, v11, vcc
	v_and_b32_e32 v11, v11, v51
	v_cmp_eq_u32_e32 vcc, v11, v44
	s_and_b64 exec, exec, vcc
	s_cbranch_execz .LBB61_192
; %bb.197:                              ;   in Loop: Header=BB61_195 Depth=2
	v_perm_b32 v10, v10, s3, v50
	ds_write_b32 v3, v10 offset:3072
	s_branch .LBB61_192
.LBB61_198:                             ;   in Loop: Header=BB61_195 Depth=2
	s_mov_b64 s[46:47], -1
                                        ; implicit-def: $vgpr8_vgpr9
                                        ; implicit-def: $vgpr6_vgpr7
	s_mov_b64 s[8:9], -1
	s_branch .LBB61_194
.LBB61_199:                             ;   in Loop: Header=BB61_16 Depth=1
                                        ; implicit-def: $sgpr6_sgpr7
	s_branch .LBB61_141
.LBB61_200:                             ;   in Loop: Header=BB61_16 Depth=1
                                        ; implicit-def: $sgpr8_sgpr9
	s_branch .LBB61_158
.LBB61_201:                             ;   in Loop: Header=BB61_16 Depth=1
	s_or_b64 exec, exec, s[6:7]
	v_lshrrev_b32_e32 v52, 16, v10
	s_and_b64 s[6:7], s[44:45], exec
.LBB61_202:                             ;   in Loop: Header=BB61_16 Depth=1
	s_or_b64 exec, exec, s[28:29]
.LBB61_203:                             ;   in Loop: Header=BB61_16 Depth=1
	s_and_b64 vcc, exec, s[14:15]
	s_cbranch_vccz .LBB61_218
; %bb.204:                              ;   in Loop: Header=BB61_16 Depth=1
	s_add_u32 s34, s42, s67
	s_addc_u32 s15, s43, s71
	s_mov_b32 s14, s53
	s_cmp_lg_u64 s[14:15], 0
	s_cbranch_scc0 .LBB61_247
; %bb.205:                              ;   in Loop: Header=BB61_16 Depth=1
	s_add_u32 s8, s23, 0
	s_addc_u32 s9, 0, 0
	s_xor_b64 s[36:37], s[8:9], 0
	v_cvt_f32_u32_e32 v6, s36
	v_cvt_f32_u32_e32 v7, s37
	s_sub_u32 s14, 0, s36
	s_subb_u32 s28, 0, s37
	v_mac_f32_e32 v6, 0x4f800000, v7
	v_rcp_f32_e32 v6, v6
	v_mul_f32_e32 v6, 0x5f7ffffc, v6
	v_mul_f32_e32 v7, 0x2f800000, v6
	v_trunc_f32_e32 v7, v7
	v_mac_f32_e32 v6, 0xcf800000, v7
	v_cvt_u32_f32_e32 v7, v7
	v_cvt_u32_f32_e32 v6, v6
	v_readfirstlane_b32 s29, v7
	v_readfirstlane_b32 s8, v6
	s_mul_i32 s9, s14, s29
	s_mul_hi_u32 s44, s14, s8
	s_mul_i32 s35, s28, s8
	s_add_i32 s9, s44, s9
	s_mul_i32 s45, s14, s8
	s_add_i32 s9, s9, s35
	s_mul_i32 s44, s8, s9
	s_mul_hi_u32 s46, s8, s45
	s_mul_hi_u32 s35, s8, s9
	s_add_u32 s44, s46, s44
	s_addc_u32 s35, 0, s35
	s_mul_hi_u32 s47, s29, s45
	s_mul_i32 s45, s29, s45
	s_add_u32 s44, s44, s45
	s_mul_hi_u32 s46, s29, s9
	s_addc_u32 s35, s35, s47
	s_addc_u32 s44, s46, 0
	s_mul_i32 s9, s29, s9
	s_add_u32 s9, s35, s9
	s_addc_u32 s35, 0, s44
	s_add_u32 s44, s8, s9
	s_cselect_b64 s[8:9], -1, 0
	s_cmp_lg_u64 s[8:9], 0
	s_addc_u32 s29, s29, s35
	s_mul_i32 s8, s14, s29
	s_mul_hi_u32 s9, s14, s44
	s_add_i32 s8, s9, s8
	s_mul_i32 s28, s28, s44
	s_add_i32 s8, s8, s28
	s_mul_i32 s14, s14, s44
	s_mul_hi_u32 s28, s29, s14
	s_mul_i32 s35, s29, s14
	s_mul_i32 s46, s44, s8
	s_mul_hi_u32 s14, s44, s14
	s_mul_hi_u32 s45, s44, s8
	s_add_u32 s14, s14, s46
	s_addc_u32 s45, 0, s45
	s_add_u32 s14, s14, s35
	s_mul_hi_u32 s9, s29, s8
	s_addc_u32 s14, s45, s28
	s_addc_u32 s9, s9, 0
	s_mul_i32 s8, s29, s8
	s_add_u32 s8, s14, s8
	s_addc_u32 s14, 0, s9
	s_add_u32 s35, s44, s8
	s_cselect_b64 s[8:9], -1, 0
	s_cmp_lg_u64 s[8:9], 0
	s_addc_u32 s14, s29, s14
	s_ashr_i32 s28, s15, 31
	s_add_u32 s8, s34, s28
	s_mov_b32 s29, s28
	s_addc_u32 s9, s15, s28
	s_xor_b64 s[8:9], s[8:9], s[28:29]
	s_mul_i32 s45, s8, s14
	s_mul_hi_u32 s46, s8, s35
	s_mul_hi_u32 s44, s8, s14
	s_add_u32 s45, s46, s45
	s_addc_u32 s44, 0, s44
	s_mul_hi_u32 s47, s9, s35
	s_mul_i32 s35, s9, s35
	s_add_u32 s35, s45, s35
	s_mul_hi_u32 s46, s9, s14
	s_addc_u32 s35, s44, s47
	s_addc_u32 s44, s46, 0
	s_mul_i32 s14, s9, s14
	s_add_u32 s14, s35, s14
	s_addc_u32 s35, 0, s44
	s_mul_i32 s35, s36, s35
	s_mul_hi_u32 s44, s36, s14
	s_add_i32 s35, s44, s35
	s_mul_i32 s44, s37, s14
	s_add_i32 s35, s35, s44
	s_sub_i32 s46, s9, s35
	s_mul_i32 s14, s36, s14
	s_sub_u32 s8, s8, s14
	s_cselect_b64 s[44:45], -1, 0
	s_cmp_lg_u64 s[44:45], 0
	s_subb_u32 s14, s46, s37
	s_sub_u32 s50, s8, s36
	s_cselect_b64 s[46:47], -1, 0
	s_cmp_lg_u64 s[46:47], 0
	s_subb_u32 s51, s14, 0
	s_cmp_ge_u32 s51, s37
	s_cselect_b32 s52, -1, 0
	s_cmp_ge_u32 s50, s36
	s_cselect_b32 s62, -1, 0
	s_cmp_eq_u32 s51, s37
	s_cselect_b32 s52, s62, s52
	s_cmp_lg_u64 s[46:47], 0
	s_subb_u32 s14, s14, s37
	s_sub_u32 s62, s50, s36
	s_cselect_b64 s[46:47], -1, 0
	s_cmp_lg_u64 s[46:47], 0
	s_subb_u32 s14, s14, 0
	s_cmp_lg_u32 s52, 0
	s_cselect_b32 s46, s62, s50
	s_cselect_b32 s14, s14, s51
	s_cmp_lg_u64 s[44:45], 0
	s_subb_u32 s9, s9, s35
	s_cmp_ge_u32 s9, s37
	s_cselect_b32 s35, -1, 0
	s_cmp_ge_u32 s8, s36
	s_cselect_b32 s36, -1, 0
	s_cmp_eq_u32 s9, s37
	s_cselect_b32 s35, s36, s35
	s_cmp_lg_u32 s35, 0
	s_cselect_b32 s9, s14, s9
	s_cselect_b32 s8, s46, s8
	s_xor_b64 s[8:9], s[8:9], s[28:29]
	s_sub_u32 s8, s8, s28
	s_subb_u32 s9, s9, s28
	s_cbranch_execnz .LBB61_207
.LBB61_206:                             ;   in Loop: Header=BB61_16 Depth=1
	v_cvt_f32_u32_e32 v6, s23
	s_sub_i32 s8, 0, s23
	v_rcp_iflag_f32_e32 v6, v6
	v_mul_f32_e32 v6, 0x4f7ffffe, v6
	v_cvt_u32_f32_e32 v6, v6
	v_readfirstlane_b32 s9, v6
	s_mul_i32 s8, s8, s9
	s_mul_hi_u32 s8, s9, s8
	s_add_i32 s9, s9, s8
	s_mul_hi_u32 s8, s34, s9
	s_mul_i32 s8, s8, s23
	s_sub_i32 s8, s34, s8
	s_sub_i32 s9, s8, s23
	s_cmp_ge_u32 s8, s23
	s_cselect_b32 s8, s9, s8
	s_sub_i32 s9, s8, s23
	s_cmp_ge_u32 s8, s23
	s_cselect_b32 s52, s9, s8
	s_mov_b64 s[8:9], s[52:53]
.LBB61_207:                             ;   in Loop: Header=BB61_16 Depth=1
	s_sub_u32 s28, s34, s8
	s_subb_u32 s29, s15, s9
	v_cmp_gt_i64_e32 vcc, s[28:29], v[0:1]
                                        ; implicit-def: $vgpr52
	s_and_saveexec_b64 s[14:15], vcc
	s_cbranch_execz .LBB61_217
; %bb.208:                              ;   in Loop: Header=BB61_16 Depth=1
	v_mov_b32_e32 v7, v1
	s_mov_b64 s[34:35], 0
	v_mov_b32_e32 v8, v45
	v_mov_b32_e32 v6, v0
                                        ; implicit-def: $sgpr36_sgpr37
	s_branch .LBB61_212
.LBB61_209:                             ;   in Loop: Header=BB61_212 Depth=2
	s_or_b64 exec, exec, s[44:45]
	s_waitcnt lgkmcnt(0)
	s_barrier
	ds_read_b32 v9, v3 offset:3072
	s_waitcnt lgkmcnt(0)
	s_barrier
	v_cmp_eq_f16_e32 vcc, 0, v9
	s_cbranch_vccz .LBB61_215
; %bb.210:                              ;   in Loop: Header=BB61_212 Depth=2
	v_add_co_u32_e32 v6, vcc, s23, v6
	v_addc_co_u32_e32 v7, vcc, 0, v7, vcc
	v_cmp_le_i64_e32 vcc, s[28:29], v[6:7]
	v_add_u32_e32 v8, s2, v8
	s_mov_b64 s[8:9], 0
	s_orn2_b64 s[44:45], vcc, exec
.LBB61_211:                             ;   in Loop: Header=BB61_212 Depth=2
	s_and_b64 s[44:45], exec, s[44:45]
	s_or_b64 s[34:35], s[44:45], s[34:35]
	s_andn2_b64 s[36:37], s[36:37], exec
	s_and_b64 s[8:9], s[8:9], exec
	s_or_b64 s[36:37], s[36:37], s[8:9]
	s_andn2_b64 exec, exec, s[34:35]
	s_cbranch_execz .LBB61_216
.LBB61_212:                             ;   Parent Loop BB61_16 Depth=1
                                        ; =>  This Inner Loop Header: Depth=2
	v_cmp_gt_u64_e32 vcc, s[42:43], v[6:7]
	s_and_saveexec_b64 s[44:45], vcc
	s_cbranch_execz .LBB61_209
; %bb.213:                              ;   in Loop: Header=BB61_212 Depth=2
	ds_read_u16 v9, v8
	s_waitcnt lgkmcnt(0)
	v_cmp_lt_i16_e32 vcc, -1, v9
	v_cndmask_b32_e32 v10, v47, v48, vcc
	v_xor_b32_sdwa v10, v10, v9 dst_sel:DWORD dst_unused:UNUSED_PAD src0_sel:DWORD src1_sel:WORD_0
	v_cmp_o_f16_e32 vcc, v9, v9
	v_cndmask_b32_e32 v10, v47, v10, vcc
	v_and_b32_e32 v10, v10, v51
	v_cmp_eq_u32_e32 vcc, v10, v44
	s_and_b64 exec, exec, vcc
	s_cbranch_execz .LBB61_209
; %bb.214:                              ;   in Loop: Header=BB61_212 Depth=2
	v_perm_b32 v9, v9, s3, v50
	ds_write_b32 v3, v9 offset:3072
	s_branch .LBB61_209
.LBB61_215:                             ;   in Loop: Header=BB61_212 Depth=2
	s_mov_b64 s[44:45], -1
                                        ; implicit-def: $vgpr6_vgpr7
                                        ; implicit-def: $vgpr8
	s_mov_b64 s[8:9], -1
	s_branch .LBB61_211
.LBB61_216:                             ;   in Loop: Header=BB61_16 Depth=1
	s_or_b64 exec, exec, s[34:35]
	s_andn2_b64 s[6:7], s[6:7], exec
	s_and_b64 s[8:9], s[36:37], exec
	v_lshrrev_b32_e32 v52, 16, v9
	s_or_b64 s[6:7], s[6:7], s[8:9]
.LBB61_217:                             ;   in Loop: Header=BB61_16 Depth=1
	s_or_b64 exec, exec, s[14:15]
	s_mov_b64 s[50:51], 0
	s_mov_b64 s[36:37], -1
.LBB61_218:                             ;   in Loop: Header=BB61_16 Depth=1
	s_orn2_b64 s[6:7], s[6:7], exec
.LBB61_219:                             ;   in Loop: Header=BB61_16 Depth=1
	s_or_b64 exec, exec, s[38:39]
	s_mov_b64 s[14:15], 0
	s_and_saveexec_b64 s[38:39], s[6:7]
	s_cbranch_execz .LBB61_279
; %bb.220:                              ;   in Loop: Header=BB61_16 Depth=1
	v_mov_b32_e32 v6, 1
	s_xor_b64 s[8:9], s[40:41], -1
	v_mov_b32_e32 v2, 1
	v_mov_b32_e32 v7, 0
	s_mov_b64 s[28:29], 0
	s_and_saveexec_b64 s[6:7], s[8:9]
	s_cbranch_execz .LBB61_229
; %bb.221:                              ;   in Loop: Header=BB61_16 Depth=1
	v_cmp_ge_i64_e32 vcc, s[90:91], v[4:5]
	s_and_saveexec_b64 s[8:9], vcc
	s_xor_b64 s[14:15], exec, s[8:9]
	s_cbranch_execz .LBB61_226
; %bb.222:                              ;   in Loop: Header=BB61_16 Depth=1
	ds_read_b64 v[6:7], v3 offset:5120
	v_and_b32_e32 v2, s66, v44
	v_lshl_or_b32 v44, 2, s60, v2
	v_or_b32_e32 v51, s70, v51
	s_waitcnt lgkmcnt(0)
	v_cmp_ne_u64_e32 vcc, 0, v[6:7]
	s_cbranch_vccnz .LBB61_226
; %bb.223:                              ;   in Loop: Header=BB61_16 Depth=1
	s_mov_b64 s[8:9], exec
	v_readlane_b32 s28, v61, 12
	v_readlane_b32 s29, v61, 13
	s_and_b64 s[28:29], s[8:9], s[28:29]
	s_mov_b64 exec, s[28:29]
; %bb.224:                              ;   in Loop: Header=BB61_16 Depth=1
	v_mov_b32_e32 v6, s90
	v_mov_b32_e32 v7, s91
	ds_write_b64 v3, v[6:7] offset:5128
; %bb.225:                              ;   in Loop: Header=BB61_16 Depth=1
	s_or_b64 exec, exec, s[8:9]
	s_waitcnt lgkmcnt(0)
	s_barrier
.LBB61_226:                             ;   in Loop: Header=BB61_16 Depth=1
	s_or_saveexec_b64 s[14:15], s[14:15]
	s_mov_b64 s[28:29], 0
	v_mov_b32_e32 v2, 8
	s_xor_b64 exec, exec, s[14:15]
; %bb.227:                              ;   in Loop: Header=BB61_16 Depth=1
	v_subrev_co_u32_e32 v4, vcc, s90, v4
	v_mov_b32_e32 v2, s91
	v_subb_co_u32_e32 v5, vcc, v5, v2, vcc
	v_mov_b32_e32 v2, 0
	s_mov_b64 s[28:29], exec
; %bb.228:                              ;   in Loop: Header=BB61_16 Depth=1
	s_or_b64 exec, exec, s[14:15]
	v_mov_b32_e32 v7, v5
	s_and_b64 s[28:29], s[28:29], exec
	v_mov_b32_e32 v6, v4
.LBB61_229:                             ;   in Loop: Header=BB61_16 Depth=1
	s_or_b64 exec, exec, s[6:7]
	s_mov_b64 s[6:7], -1
                                        ; implicit-def: $sgpr44_sgpr45
                                        ; implicit-def: $sgpr14_sgpr15
	s_and_saveexec_b64 s[40:41], s[28:29]
	s_cbranch_execz .LBB61_278
; %bb.230:                              ;   in Loop: Header=BB61_16 Depth=1
	s_cmp_eq_u64 s[16:17], 1
	v_cmp_eq_u64_e32 vcc, 1, v[6:7]
	s_cselect_b64 s[6:7], -1, 0
	s_and_b64 s[42:43], s[6:7], vcc
	s_mov_b64 s[28:29], -1
                                        ; implicit-def: $sgpr44_sgpr45
                                        ; implicit-def: $sgpr14_sgpr15
	s_and_saveexec_b64 s[90:91], s[42:43]
	s_cbranch_execz .LBB61_266
; %bb.231:                              ;   in Loop: Header=BB61_16 Depth=1
	ds_read_b64 v[4:5], v3 offset:5120
	s_waitcnt lgkmcnt(0)
	s_barrier
	v_readfirstlane_b32 s6, v4
	v_readfirstlane_b32 s7, v5
	s_and_saveexec_b64 s[8:9], s[12:13]
; %bb.232:                              ;   in Loop: Header=BB61_16 Depth=1
	ds_write_b16 v46, v3
; %bb.233:                              ;   in Loop: Header=BB61_16 Depth=1
	s_or_b64 exec, exec, s[8:9]
	v_cmp_gt_i64_e64 s[8:9], s[6:7], 0
	v_or_b32_e32 v44, s70, v44
	v_or_b32_e32 v51, s70, v51
	s_mov_b64 s[14:15], -1
	s_mov_b64 s[44:45], 0
	s_and_b64 vcc, exec, s[8:9]
	s_mov_b64 s[46:47], 0
	v_writelane_b32 v61, s67, 41
	s_waitcnt lgkmcnt(0)
	s_barrier
                                        ; implicit-def: $vgpr52
	v_writelane_b32 v61, s71, 42
	s_cbranch_vccnz .LBB61_250
; %bb.234:                              ;   in Loop: Header=BB61_16 Depth=1
	s_mov_b32 s62, s53
	s_cmp_lg_u64 s[62:63], 0
	s_cbranch_scc0 .LBB61_285
; %bb.235:                              ;   in Loop: Header=BB61_16 Depth=1
	s_add_u32 s8, s23, 0
	s_addc_u32 s9, 0, 0
	s_xor_b64 s[46:47], s[8:9], 0
	v_cvt_f32_u32_e32 v4, s46
	v_cvt_f32_u32_e32 v5, s47
	s_sub_u32 s28, 0, s46
	s_subb_u32 s29, 0, s47
	v_mac_f32_e32 v4, 0x4f800000, v5
	v_rcp_f32_e32 v4, v4
	v_mul_f32_e32 v4, 0x5f7ffffc, v4
	v_mul_f32_e32 v5, 0x2f800000, v4
	v_trunc_f32_e32 v5, v5
	v_mac_f32_e32 v4, 0xcf800000, v5
	v_cvt_u32_f32_e32 v5, v5
	v_cvt_u32_f32_e32 v4, v4
	v_readfirstlane_b32 s34, v5
	v_readfirstlane_b32 s8, v4
	s_mul_i32 s9, s28, s34
	s_mul_hi_u32 s52, s28, s8
	s_mul_i32 s35, s29, s8
	s_add_i32 s9, s52, s9
	s_mul_i32 s62, s28, s8
	s_add_i32 s9, s9, s35
	s_mul_i32 s52, s8, s9
	s_mul_hi_u32 s66, s8, s62
	s_mul_hi_u32 s35, s8, s9
	s_add_u32 s52, s66, s52
	s_addc_u32 s35, 0, s35
	s_mul_hi_u32 s67, s34, s62
	s_mul_i32 s62, s34, s62
	s_add_u32 s52, s52, s62
	s_mul_hi_u32 s66, s34, s9
	s_addc_u32 s35, s35, s67
	s_addc_u32 s52, s66, 0
	s_mul_i32 s9, s34, s9
	s_add_u32 s9, s35, s9
	s_addc_u32 s35, 0, s52
	s_add_u32 s52, s8, s9
	s_cselect_b64 s[8:9], -1, 0
	s_cmp_lg_u64 s[8:9], 0
	s_addc_u32 s34, s34, s35
	s_mul_i32 s8, s28, s34
	s_mul_hi_u32 s9, s28, s52
	s_add_i32 s8, s9, s8
	s_mul_i32 s29, s29, s52
	s_add_i32 s8, s8, s29
	s_mul_i32 s28, s28, s52
	s_mul_hi_u32 s29, s34, s28
	s_mul_i32 s35, s34, s28
	s_mul_i32 s66, s52, s8
	s_mul_hi_u32 s28, s52, s28
	s_mul_hi_u32 s62, s52, s8
	s_add_u32 s28, s28, s66
	s_addc_u32 s62, 0, s62
	s_add_u32 s28, s28, s35
	s_mul_hi_u32 s9, s34, s8
	s_addc_u32 s28, s62, s29
	s_addc_u32 s9, s9, 0
	s_mul_i32 s8, s34, s8
	s_add_u32 s8, s28, s8
	s_addc_u32 s28, 0, s9
	s_add_u32 s35, s52, s8
	s_cselect_b64 s[8:9], -1, 0
	s_cmp_lg_u64 s[8:9], 0
	s_addc_u32 s34, s34, s28
	s_ashr_i32 s28, s63, 31
	s_add_u32 s8, s33, s28
	s_mov_b32 s29, s28
	s_addc_u32 s9, s63, s28
	s_xor_b64 s[8:9], s[8:9], s[28:29]
	s_mul_i32 s62, s8, s34
	s_mul_hi_u32 s66, s8, s35
	s_mul_hi_u32 s52, s8, s34
	s_add_u32 s62, s66, s62
	s_addc_u32 s52, 0, s52
	s_mul_hi_u32 s67, s9, s35
	s_mul_i32 s35, s9, s35
	s_add_u32 s35, s62, s35
	s_mul_hi_u32 s66, s9, s34
	s_addc_u32 s35, s52, s67
	s_addc_u32 s52, s66, 0
	s_mul_i32 s34, s9, s34
	s_add_u32 s34, s35, s34
	s_addc_u32 s35, 0, s52
	s_mul_i32 s35, s46, s35
	s_mul_hi_u32 s52, s46, s34
	s_add_i32 s35, s52, s35
	s_mul_i32 s52, s47, s34
	s_add_i32 s52, s35, s52
	s_sub_i32 s62, s9, s52
	s_mul_i32 s34, s46, s34
	s_sub_u32 s8, s8, s34
	s_cselect_b64 s[34:35], -1, 0
	s_cmp_lg_u64 s[34:35], 0
	s_subb_u32 s62, s62, s47
	s_sub_u32 s68, s8, s46
	s_cselect_b64 s[66:67], -1, 0
	s_cmp_lg_u64 s[66:67], 0
	s_subb_u32 s69, s62, 0
	s_cmp_ge_u32 s69, s47
	s_cselect_b32 s71, -1, 0
	s_cmp_ge_u32 s68, s46
	s_cselect_b32 vcc_lo, -1, 0
	s_cmp_eq_u32 s69, s47
	s_cselect_b32 s71, vcc_lo, s71
	s_cmp_lg_u64 s[66:67], 0
	s_subb_u32 s62, s62, s47
	s_sub_u32 vcc_lo, s68, s46
	s_cselect_b64 s[66:67], -1, 0
	s_cmp_lg_u64 s[66:67], 0
	s_subb_u32 s62, s62, 0
	s_cmp_lg_u32 s71, 0
	s_cselect_b32 s66, vcc_lo, s68
	s_cselect_b32 s62, s62, s69
	s_cmp_lg_u64 s[34:35], 0
	s_subb_u32 s9, s9, s52
	s_cmp_ge_u32 s9, s47
	s_cselect_b32 s34, -1, 0
	s_cmp_ge_u32 s8, s46
	s_cselect_b32 s35, -1, 0
	s_cmp_eq_u32 s9, s47
	s_cselect_b32 s34, s35, s34
	s_cmp_lg_u32 s34, 0
	s_cselect_b32 s9, s62, s9
	s_cselect_b32 s8, s66, s8
	s_xor_b64 s[8:9], s[8:9], s[28:29]
	s_sub_u32 s8, s8, s28
	s_subb_u32 s9, s9, s28
	s_cbranch_execnz .LBB61_237
.LBB61_236:                             ;   in Loop: Header=BB61_16 Depth=1
	v_cvt_f32_u32_e32 v4, s23
	s_sub_i32 s8, 0, s23
	v_rcp_iflag_f32_e32 v4, v4
	v_mul_f32_e32 v4, 0x4f7ffffe, v4
	v_cvt_u32_f32_e32 v4, v4
	v_readfirstlane_b32 s9, v4
	s_mul_i32 s8, s8, s9
	s_mul_hi_u32 s8, s9, s8
	s_add_i32 s9, s9, s8
	s_mul_hi_u32 s8, s33, s9
	s_mul_i32 s8, s8, s23
	s_sub_i32 s8, s33, s8
	s_sub_i32 s9, s8, s23
	s_cmp_ge_u32 s8, s23
	s_cselect_b32 s8, s9, s8
	s_sub_i32 s9, s8, s23
	s_cmp_ge_u32 s8, s23
	s_cselect_b32 s52, s9, s8
	s_mov_b64 s[8:9], s[52:53]
.LBB61_237:                             ;   in Loop: Header=BB61_16 Depth=1
	s_sub_u32 s66, s33, s8
	s_subb_u32 s67, s63, s9
	v_cmp_gt_i64_e32 vcc, s[66:67], v[0:1]
	s_mov_b64 s[28:29], 0
	s_mov_b64 s[46:47], 0
                                        ; implicit-def: $vgpr52
	s_and_saveexec_b64 s[34:35], vcc
	v_readlane_b32 s71, v61, 42
	s_cbranch_execz .LBB61_249
; %bb.238:                              ;   in Loop: Header=BB61_16 Depth=1
	v_mov_b32_e32 v4, v12
	v_mov_b32_e32 v9, v1
	;; [unrolled: 1-line block ×4, first 2 shown]
                                        ; implicit-def: $sgpr68_sgpr69
	s_branch .LBB61_242
.LBB61_239:                             ;   in Loop: Header=BB61_242 Depth=2
	s_or_b64 exec, exec, s[8:9]
	s_waitcnt lgkmcnt(0)
	s_barrier
	ds_read_b32 v10, v3 offset:3072
	s_waitcnt lgkmcnt(0)
	s_barrier
	v_cmp_neq_f16_e32 vcc, 0, v10
	s_cbranch_vccnz .LBB61_245
; %bb.240:                              ;   in Loop: Header=BB61_242 Depth=2
	v_add_co_u32_e32 v8, vcc, s23, v8
	v_addc_co_u32_e32 v9, vcc, 0, v9, vcc
	v_mov_b32_e32 v11, s57
	v_add_co_u32_e32 v4, vcc, s56, v4
	v_addc_co_u32_e32 v5, vcc, v5, v11, vcc
	v_cmp_le_i64_e32 vcc, s[66:67], v[8:9]
	s_mov_b64 s[8:9], 0
	s_orn2_b64 vcc, vcc, exec
.LBB61_241:                             ;   in Loop: Header=BB61_242 Depth=2
	s_and_b64 vcc, exec, vcc
	s_or_b64 s[46:47], vcc, s[46:47]
	s_andn2_b64 s[68:69], s[68:69], exec
	s_and_b64 s[8:9], s[8:9], exec
	s_or_b64 s[68:69], s[68:69], s[8:9]
	s_andn2_b64 exec, exec, s[46:47]
	s_cbranch_execz .LBB61_248
.LBB61_242:                             ;   Parent Loop BB61_16 Depth=1
                                        ; =>  This Inner Loop Header: Depth=2
	v_cmp_gt_i64_e32 vcc, s[24:25], v[8:9]
	s_and_saveexec_b64 s[8:9], vcc
	s_cbranch_execz .LBB61_239
; %bb.243:                              ;   in Loop: Header=BB61_242 Depth=2
	global_load_ushort v10, v[4:5], off
	s_waitcnt vmcnt(0)
	v_cmp_lt_i16_e32 vcc, -1, v10
	v_cndmask_b32_e32 v11, v47, v48, vcc
	v_xor_b32_sdwa v11, v11, v10 dst_sel:DWORD dst_unused:UNUSED_PAD src0_sel:DWORD src1_sel:WORD_0
	v_cmp_o_f16_e32 vcc, v10, v10
	v_cndmask_b32_e32 v11, v47, v11, vcc
	v_and_b32_e32 v11, v11, v51
	v_cmp_eq_u32_e32 vcc, v11, v44
	s_and_b64 exec, exec, vcc
	s_cbranch_execz .LBB61_239
; %bb.244:                              ;   in Loop: Header=BB61_242 Depth=2
	v_perm_b32 v10, v10, s3, v50
	ds_write_b32 v3, v10 offset:3072
	s_branch .LBB61_239
.LBB61_245:                             ;   in Loop: Header=BB61_242 Depth=2
	s_mov_b64 vcc, -1
                                        ; implicit-def: $vgpr8_vgpr9
                                        ; implicit-def: $vgpr4_vgpr5
	s_mov_b64 s[8:9], -1
	s_branch .LBB61_241
.LBB61_246:                             ;   in Loop: Header=BB61_16 Depth=1
                                        ; implicit-def: $sgpr6_sgpr7
	s_branch .LBB61_189
.LBB61_247:                             ;   in Loop: Header=BB61_16 Depth=1
                                        ; implicit-def: $sgpr8_sgpr9
	s_branch .LBB61_206
.LBB61_248:                             ;   in Loop: Header=BB61_16 Depth=1
	s_or_b64 exec, exec, s[46:47]
	v_lshrrev_b32_e32 v52, 16, v10
	s_and_b64 s[46:47], s[68:69], exec
.LBB61_249:                             ;   in Loop: Header=BB61_16 Depth=1
	s_or_b64 exec, exec, s[34:35]
	v_readlane_b32 s67, v61, 41
.LBB61_250:                             ;   in Loop: Header=BB61_16 Depth=1
	s_and_b64 vcc, exec, s[28:29]
	s_cbranch_vccz .LBB61_265
; %bb.251:                              ;   in Loop: Header=BB61_16 Depth=1
	s_add_u32 s34, s6, s67
	s_addc_u32 s15, s7, s71
	s_mov_b32 s14, s53
	s_cmp_lg_u64 s[14:15], 0
	s_cbranch_scc0 .LBB61_286
; %bb.252:                              ;   in Loop: Header=BB61_16 Depth=1
	s_add_u32 s8, s23, 0
	s_addc_u32 s9, 0, 0
	s_xor_b64 s[44:45], s[8:9], 0
	v_cvt_f32_u32_e32 v4, s44
	v_cvt_f32_u32_e32 v5, s45
	s_sub_u32 s14, 0, s44
	s_subb_u32 s28, 0, s45
	v_mac_f32_e32 v4, 0x4f800000, v5
	v_rcp_f32_e32 v4, v4
	v_mul_f32_e32 v4, 0x5f7ffffc, v4
	v_mul_f32_e32 v5, 0x2f800000, v4
	v_trunc_f32_e32 v5, v5
	v_mac_f32_e32 v4, 0xcf800000, v5
	v_cvt_u32_f32_e32 v5, v5
	v_cvt_u32_f32_e32 v4, v4
	v_readfirstlane_b32 s29, v5
	v_readfirstlane_b32 s8, v4
	s_mul_i32 s9, s14, s29
	s_mul_hi_u32 s52, s14, s8
	s_mul_i32 s35, s28, s8
	s_add_i32 s9, s52, s9
	s_mul_i32 s62, s14, s8
	s_add_i32 s9, s9, s35
	s_mul_i32 s52, s8, s9
	s_mul_hi_u32 s66, s8, s62
	s_mul_hi_u32 s35, s8, s9
	s_add_u32 s52, s66, s52
	s_addc_u32 s35, 0, s35
	s_mul_hi_u32 s67, s29, s62
	s_mul_i32 s62, s29, s62
	s_add_u32 s52, s52, s62
	s_mul_hi_u32 s66, s29, s9
	s_addc_u32 s35, s35, s67
	s_addc_u32 s52, s66, 0
	s_mul_i32 s9, s29, s9
	s_add_u32 s9, s35, s9
	s_addc_u32 s35, 0, s52
	s_add_u32 s52, s8, s9
	s_cselect_b64 s[8:9], -1, 0
	s_cmp_lg_u64 s[8:9], 0
	s_addc_u32 s29, s29, s35
	s_mul_i32 s8, s14, s29
	s_mul_hi_u32 s9, s14, s52
	s_add_i32 s8, s9, s8
	s_mul_i32 s28, s28, s52
	s_add_i32 s8, s8, s28
	s_mul_i32 s14, s14, s52
	s_mul_hi_u32 s28, s29, s14
	s_mul_i32 s35, s29, s14
	s_mul_i32 s66, s52, s8
	s_mul_hi_u32 s14, s52, s14
	s_mul_hi_u32 s62, s52, s8
	s_add_u32 s14, s14, s66
	s_addc_u32 s62, 0, s62
	s_add_u32 s14, s14, s35
	s_mul_hi_u32 s9, s29, s8
	s_addc_u32 s14, s62, s28
	s_addc_u32 s9, s9, 0
	s_mul_i32 s8, s29, s8
	s_add_u32 s8, s14, s8
	s_addc_u32 s14, 0, s9
	s_add_u32 s35, s52, s8
	s_cselect_b64 s[8:9], -1, 0
	s_cmp_lg_u64 s[8:9], 0
	s_addc_u32 s14, s29, s14
	s_ashr_i32 s28, s15, 31
	s_add_u32 s8, s34, s28
	s_mov_b32 s29, s28
	s_addc_u32 s9, s15, s28
	s_xor_b64 s[8:9], s[8:9], s[28:29]
	s_mul_i32 s62, s8, s14
	s_mul_hi_u32 s66, s8, s35
	s_mul_hi_u32 s52, s8, s14
	s_add_u32 s62, s66, s62
	s_addc_u32 s52, 0, s52
	s_mul_hi_u32 s67, s9, s35
	s_mul_i32 s35, s9, s35
	s_add_u32 s35, s62, s35
	s_mul_hi_u32 s66, s9, s14
	s_addc_u32 s35, s52, s67
	s_addc_u32 s52, s66, 0
	s_mul_i32 s14, s9, s14
	s_add_u32 s14, s35, s14
	s_addc_u32 s35, 0, s52
	s_mul_i32 s35, s44, s35
	s_mul_hi_u32 s52, s44, s14
	s_add_i32 s35, s52, s35
	s_mul_i32 s52, s45, s14
	s_add_i32 s35, s35, s52
	s_sub_i32 s52, s9, s35
	s_mul_i32 s14, s44, s14
	s_sub_u32 s8, s8, s14
	s_cselect_b64 s[66:67], -1, 0
	s_cmp_lg_u64 s[66:67], 0
	s_subb_u32 s14, s52, s45
	s_sub_u32 s52, s8, s44
	s_cselect_b64 s[68:69], -1, 0
	s_cmp_lg_u64 s[68:69], 0
	s_subb_u32 s62, s14, 0
	s_cmp_ge_u32 s62, s45
	s_cselect_b32 s71, -1, 0
	s_cmp_ge_u32 s52, s44
	s_cselect_b32 vcc_lo, -1, 0
	s_cmp_eq_u32 s62, s45
	s_cselect_b32 s71, vcc_lo, s71
	s_cmp_lg_u64 s[68:69], 0
	s_subb_u32 s14, s14, s45
	s_sub_u32 vcc_lo, s52, s44
	s_cselect_b64 s[68:69], -1, 0
	s_cmp_lg_u64 s[68:69], 0
	s_subb_u32 s14, s14, 0
	s_cmp_lg_u32 s71, 0
	s_cselect_b32 s52, vcc_lo, s52
	s_cselect_b32 s14, s14, s62
	s_cmp_lg_u64 s[66:67], 0
	s_subb_u32 s9, s9, s35
	s_cmp_ge_u32 s9, s45
	s_cselect_b32 s35, -1, 0
	s_cmp_ge_u32 s8, s44
	s_cselect_b32 s44, -1, 0
	s_cmp_eq_u32 s9, s45
	s_cselect_b32 s35, s44, s35
	s_cmp_lg_u32 s35, 0
	s_cselect_b32 s9, s14, s9
	s_cselect_b32 s8, s52, s8
	s_xor_b64 s[8:9], s[8:9], s[28:29]
	s_sub_u32 s8, s8, s28
	s_subb_u32 s9, s9, s28
	s_cbranch_execnz .LBB61_254
.LBB61_253:                             ;   in Loop: Header=BB61_16 Depth=1
	v_cvt_f32_u32_e32 v4, s23
	s_sub_i32 s8, 0, s23
	v_rcp_iflag_f32_e32 v4, v4
	v_mul_f32_e32 v4, 0x4f7ffffe, v4
	v_cvt_u32_f32_e32 v4, v4
	v_readfirstlane_b32 s9, v4
	s_mul_i32 s8, s8, s9
	s_mul_hi_u32 s8, s9, s8
	s_add_i32 s9, s9, s8
	s_mul_hi_u32 s8, s34, s9
	s_mul_i32 s8, s8, s23
	s_sub_i32 s8, s34, s8
	s_sub_i32 s9, s8, s23
	s_cmp_ge_u32 s8, s23
	s_cselect_b32 s8, s9, s8
	s_sub_i32 s9, s8, s23
	s_cmp_ge_u32 s8, s23
	s_cselect_b32 s52, s9, s8
	s_mov_b64 s[8:9], s[52:53]
.LBB61_254:                             ;   in Loop: Header=BB61_16 Depth=1
	s_sub_u32 s28, s34, s8
	s_subb_u32 s29, s15, s9
	v_cmp_gt_i64_e32 vcc, s[28:29], v[0:1]
                                        ; implicit-def: $vgpr52
	s_and_saveexec_b64 s[14:15], vcc
	v_readlane_b32 s71, v61, 42
	s_cbranch_execz .LBB61_264
; %bb.255:                              ;   in Loop: Header=BB61_16 Depth=1
	v_mov_b32_e32 v5, v1
	s_mov_b64 s[34:35], 0
	v_mov_b32_e32 v8, v45
	v_mov_b32_e32 v4, v0
                                        ; implicit-def: $sgpr44_sgpr45
	s_branch .LBB61_259
.LBB61_256:                             ;   in Loop: Header=BB61_259 Depth=2
	s_or_b64 exec, exec, s[8:9]
	s_waitcnt lgkmcnt(0)
	s_barrier
	ds_read_b32 v9, v3 offset:3072
	s_waitcnt lgkmcnt(0)
	s_barrier
	v_cmp_eq_f16_e32 vcc, 0, v9
	s_cbranch_vccz .LBB61_262
; %bb.257:                              ;   in Loop: Header=BB61_259 Depth=2
	v_add_co_u32_e32 v4, vcc, s23, v4
	v_addc_co_u32_e32 v5, vcc, 0, v5, vcc
	v_cmp_le_i64_e32 vcc, s[28:29], v[4:5]
	v_add_u32_e32 v8, s2, v8
	s_mov_b64 s[8:9], 0
	s_orn2_b64 s[66:67], vcc, exec
.LBB61_258:                             ;   in Loop: Header=BB61_259 Depth=2
	s_and_b64 s[66:67], exec, s[66:67]
	s_or_b64 s[34:35], s[66:67], s[34:35]
	s_andn2_b64 s[44:45], s[44:45], exec
	s_and_b64 s[8:9], s[8:9], exec
	s_or_b64 s[44:45], s[44:45], s[8:9]
	s_andn2_b64 exec, exec, s[34:35]
	s_cbranch_execz .LBB61_263
.LBB61_259:                             ;   Parent Loop BB61_16 Depth=1
                                        ; =>  This Inner Loop Header: Depth=2
	v_cmp_gt_u64_e32 vcc, s[6:7], v[4:5]
	s_and_saveexec_b64 s[8:9], vcc
	s_cbranch_execz .LBB61_256
; %bb.260:                              ;   in Loop: Header=BB61_259 Depth=2
	ds_read_u16 v9, v8
	s_waitcnt lgkmcnt(0)
	v_cmp_lt_i16_e32 vcc, -1, v9
	v_cndmask_b32_e32 v10, v47, v48, vcc
	v_xor_b32_sdwa v10, v10, v9 dst_sel:DWORD dst_unused:UNUSED_PAD src0_sel:DWORD src1_sel:WORD_0
	v_cmp_o_f16_e32 vcc, v9, v9
	v_cndmask_b32_e32 v10, v47, v10, vcc
	v_and_b32_e32 v10, v10, v51
	v_cmp_eq_u32_e32 vcc, v10, v44
	s_and_b64 exec, exec, vcc
	s_cbranch_execz .LBB61_256
; %bb.261:                              ;   in Loop: Header=BB61_259 Depth=2
	v_perm_b32 v9, v9, s3, v50
	ds_write_b32 v3, v9 offset:3072
	s_branch .LBB61_256
.LBB61_262:                             ;   in Loop: Header=BB61_259 Depth=2
	s_mov_b64 s[66:67], -1
                                        ; implicit-def: $vgpr4_vgpr5
                                        ; implicit-def: $vgpr8
	s_mov_b64 s[8:9], -1
	s_branch .LBB61_258
.LBB61_263:                             ;   in Loop: Header=BB61_16 Depth=1
	s_or_b64 exec, exec, s[34:35]
	s_andn2_b64 s[6:7], s[46:47], exec
	s_and_b64 s[8:9], s[44:45], exec
	v_lshrrev_b32_e32 v52, 16, v9
	s_or_b64 s[46:47], s[6:7], s[8:9]
.LBB61_264:                             ;   in Loop: Header=BB61_16 Depth=1
	s_or_b64 exec, exec, s[14:15]
	s_mov_b64 s[14:15], 0
	s_mov_b64 s[44:45], -1
	v_readlane_b32 s67, v61, 41
.LBB61_265:                             ;   in Loop: Header=BB61_16 Depth=1
	s_orn2_b64 s[28:29], s[46:47], exec
.LBB61_266:                             ;   in Loop: Header=BB61_16 Depth=1
	s_or_b64 exec, exec, s[90:91]
	s_mov_b64 s[8:9], 0
	s_and_saveexec_b64 s[6:7], s[28:29]
	s_cbranch_execz .LBB61_277
; %bb.267:                              ;   in Loop: Header=BB61_16 Depth=1
	v_mov_b32_e32 v4, 1
	s_xor_b64 s[8:9], s[42:43], -1
	v_mov_b32_e32 v5, 0
	v_mov_b32_e32 v2, 1
	s_and_saveexec_b64 s[28:29], s[8:9]
	s_cbranch_execz .LBB61_276
; %bb.268:                              ;   in Loop: Header=BB61_16 Depth=1
	v_cmp_ge_i64_e32 vcc, s[16:17], v[6:7]
	s_and_saveexec_b64 s[8:9], vcc
	s_xor_b64 s[34:35], exec, s[8:9]
	s_cbranch_execz .LBB61_273
; %bb.269:                              ;   in Loop: Header=BB61_16 Depth=1
	ds_read_b64 v[4:5], v3 offset:5120
	v_or_b32_e32 v44, s70, v44
	v_or_b32_e32 v51, s70, v51
	s_waitcnt lgkmcnt(0)
	v_cmp_ne_u64_e32 vcc, 0, v[4:5]
	s_cbranch_vccnz .LBB61_273
; %bb.270:                              ;   in Loop: Header=BB61_16 Depth=1
	s_mov_b64 s[8:9], exec
	v_readlane_b32 s42, v61, 12
	v_readlane_b32 s43, v61, 13
	s_and_b64 s[42:43], s[8:9], s[42:43]
	s_mov_b64 exec, s[42:43]
; %bb.271:                              ;   in Loop: Header=BB61_16 Depth=1
	v_mov_b32_e32 v4, s16
	v_mov_b32_e32 v5, s17
	ds_write_b64 v3, v[4:5] offset:5128
; %bb.272:                              ;   in Loop: Header=BB61_16 Depth=1
	s_or_b64 exec, exec, s[8:9]
	s_waitcnt lgkmcnt(0)
	s_barrier
.LBB61_273:                             ;   in Loop: Header=BB61_16 Depth=1
	s_andn2_saveexec_b64 s[8:9], s[34:35]
; %bb.274:                              ;   in Loop: Header=BB61_16 Depth=1
	v_mov_b32_e32 v2, s17
	v_subrev_co_u32_e32 v6, vcc, s16, v6
	v_subb_co_u32_e32 v7, vcc, v7, v2, vcc
; %bb.275:                              ;   in Loop: Header=BB61_16 Depth=1
	s_or_b64 exec, exec, s[8:9]
	v_mov_b32_e32 v4, v6
	v_mov_b32_e32 v2, 8
	;; [unrolled: 1-line block ×3, first 2 shown]
.LBB61_276:                             ;   in Loop: Header=BB61_16 Depth=1
	s_or_b64 exec, exec, s[28:29]
	v_mov_b32_e32 v7, v5
	s_mov_b64 s[8:9], exec
	v_mov_b32_e32 v6, v4
.LBB61_277:                             ;   in Loop: Header=BB61_16 Depth=1
	s_or_b64 exec, exec, s[6:7]
	s_orn2_b64 s[6:7], s[8:9], exec
.LBB61_278:                             ;   in Loop: Header=BB61_16 Depth=1
	s_or_b64 exec, exec, s[40:41]
	s_andn2_b64 s[8:9], s[36:37], exec
	s_and_b64 s[16:17], s[44:45], exec
	s_or_b64 s[36:37], s[8:9], s[16:17]
	s_andn2_b64 s[8:9], s[50:51], exec
	s_and_b64 s[14:15], s[14:15], exec
	v_mov_b32_e32 v4, v6
	s_or_b64 s[50:51], s[8:9], s[14:15]
	s_and_b64 s[14:15], s[6:7], exec
	v_mov_b32_e32 v5, v7
.LBB61_279:                             ;   in Loop: Header=BB61_16 Depth=1
	s_or_b64 exec, exec, s[38:39]
	s_orn2_b64 s[6:7], s[14:15], exec
.LBB61_280:                             ;   in Loop: Header=BB61_16 Depth=1
	s_or_b64 exec, exec, s[48:49]
	s_andn2_b64 s[8:9], s[92:93], exec
	s_and_b64 s[14:15], s[36:37], exec
	s_or_b64 s[92:93], s[8:9], s[14:15]
	s_andn2_b64 s[4:5], s[4:5], exec
	s_and_b64 s[8:9], s[50:51], exec
	v_mov_b32_e32 v9, v5
	s_or_b64 s[4:5], s[4:5], s[8:9]
	s_and_b64 s[14:15], s[6:7], exec
	v_mov_b32_e32 v8, v4
.LBB61_281:                             ;   in Loop: Header=BB61_16 Depth=1
	s_or_b64 exec, exec, s[94:95]
	s_orn2_b64 s[6:7], s[14:15], exec
.LBB61_282:                             ;   in Loop: Header=BB61_16 Depth=1
	s_or_b64 exec, exec, s[26:27]
	s_mov_b64 s[14:15], 0
	s_and_saveexec_b64 s[8:9], s[6:7]
	s_xor_b64 s[6:7], exec, s[8:9]
	s_cbranch_execz .LBB61_14
; %bb.283:                              ;   in Loop: Header=BB61_16 Depth=1
	v_and_b32_e32 v2, 7, v2
	v_cmp_eq_u32_e32 vcc, 0, v2
	s_mov_b64 s[16:17], -1
	s_mov_b64 s[8:9], -1
	s_and_saveexec_b64 s[14:15], vcc
	s_cbranch_execz .LBB61_13
; %bb.284:                              ;   in Loop: Header=BB61_16 Depth=1
	s_xor_b32 s61, s61, 1
	s_add_i32 s20, s60, -2
	s_cmp_eq_u32 s60, 0
	s_cselect_b64 s[16:17], -1, 0
	s_xor_b64 s[8:9], exec, -1
	s_orn2_b64 s[16:17], s[16:17], exec
	s_mov_b32 s60, s20
	s_branch .LBB61_13
.LBB61_285:                             ;   in Loop: Header=BB61_16 Depth=1
                                        ; implicit-def: $sgpr8_sgpr9
	s_andn2_b64 vcc, exec, s[28:29]
	s_cbranch_vccz .LBB61_236
	s_branch .LBB61_237
.LBB61_286:                             ;   in Loop: Header=BB61_16 Depth=1
                                        ; implicit-def: $sgpr8_sgpr9
	s_branch .LBB61_253
.LBB61_287:
	s_or_b64 exec, exec, s[76:77]
	s_xor_b64 s[6:7], s[82:83], -1
	s_xor_b64 s[0:1], s[78:79], -1
	;; [unrolled: 1-line block ×3, first 2 shown]
	s_mov_b64 s[2:3], 0
	s_and_saveexec_b64 s[4:5], s[0:1]
	s_xor_b64 s[4:5], exec, s[4:5]
	s_cbranch_execnz .LBB61_292
; %bb.288:
	s_andn2_saveexec_b64 s[0:1], s[4:5]
	s_cbranch_execnz .LBB61_317
.LBB61_289:
	s_or_b64 exec, exec, s[0:1]
	s_and_saveexec_b64 s[0:1], s[2:3]
.LBB61_290:
	; divergent unreachable
.LBB61_291:
	s_endpgm
.LBB61_292:
	s_and_saveexec_b64 s[0:1], s[6:7]
	s_xor_b64 s[6:7], exec, s[0:1]
	s_cbranch_execz .LBB61_315
; %bb.293:
	s_and_saveexec_b64 s[0:1], s[8:9]
	s_xor_b64 s[2:3], exec, s[0:1]
; %bb.294:
	v_and_b32_e32 v2, 0x8000, v44
	v_mov_b32_e32 v3, 0x8000
	v_mov_b32_e32 v4, 0xffff
	v_cmp_eq_u32_e32 vcc, 0, v2
	v_cndmask_b32_e32 v2, v3, v4, vcc
	v_xor_b32_e32 v52, v2, v44
; %bb.295:
	s_or_b64 exec, exec, s[2:3]
	s_mov_b64 s[2:3], exec
	v_readlane_b32 s0, v61, 12
	v_readlane_b32 s1, v61, 13
	;; [unrolled: 1-line block ×3, first 2 shown]
	s_and_b64 s[0:1], s[2:3], s[0:1]
	s_mov_b32 s22, s8
	v_readlane_b32 s9, v61, 15
	s_mov_b64 exec, s[0:1]
; %bb.296:
	v_mov_b32_e32 v2, 0
	v_mov_b32_e32 v3, s24
	ds_write_b32 v2, v3 offset:5140
; %bb.297:
	s_or_b64 exec, exec, s[2:3]
	s_waitcnt lgkmcnt(0)
	s_barrier
	s_mov_b64 s[10:11], exec
	v_readlane_b32 s0, v61, 39
	v_readlane_b32 s1, v61, 40
	s_and_b64 s[0:1], s[10:11], s[0:1]
	s_mov_b64 exec, s[0:1]
	s_cbranch_execz .LBB61_312
; %bb.298:
	v_mov_b32_e32 v2, 0
	ds_read_b32 v4, v2 offset:5140
	v_cmp_u_f16_e32 vcc, v52, v52
	s_mov_b64 s[8:9], 0
	s_xor_b64 s[12:13], vcc, -1
                                        ; implicit-def: $sgpr14_sgpr15
                                        ; implicit-def: $sgpr16_sgpr17
                                        ; implicit-def: $sgpr18_sgpr19
	s_waitcnt lgkmcnt(0)
	v_ashrrev_i32_e32 v5, 31, v4
	s_branch .LBB61_301
.LBB61_299:                             ;   in Loop: Header=BB61_301 Depth=1
	s_or_b64 exec, exec, s[30:31]
	s_andn2_b64 s[0:1], s[18:19], exec
	s_and_b64 s[2:3], s[26:27], exec
	s_or_b64 s[18:19], s[0:1], s[2:3]
	s_andn2_b64 s[0:1], s[16:17], exec
	s_and_b64 s[2:3], s[28:29], exec
	s_or_b64 s[16:17], s[0:1], s[2:3]
.LBB61_300:                             ;   in Loop: Header=BB61_301 Depth=1
	s_or_b64 exec, exec, s[20:21]
	s_and_b64 s[0:1], exec, s[16:17]
	s_or_b64 s[8:9], s[0:1], s[8:9]
	s_andn2_b64 s[0:1], s[14:15], exec
	s_and_b64 s[2:3], s[18:19], exec
	s_or_b64 s[14:15], s[0:1], s[2:3]
	s_andn2_b64 exec, exec, s[8:9]
	s_cbranch_execz .LBB61_307
.LBB61_301:                             ; =>This Inner Loop Header: Depth=1
	v_mov_b32_e32 v3, v1
	v_mov_b32_e32 v2, v0
	v_cmp_lt_i64_e32 vcc, v[2:3], v[4:5]
	s_or_b64 s[18:19], s[18:19], exec
	s_or_b64 s[16:17], s[16:17], exec
                                        ; implicit-def: $vgpr0_vgpr1
	s_and_saveexec_b64 s[20:21], vcc
	s_cbranch_execz .LBB61_300
; %bb.302:                              ;   in Loop: Header=BB61_301 Depth=1
	global_load_ushort v0, v[12:13], off
	s_mov_b64 s[28:29], -1
	s_mov_b64 s[26:27], 0
	s_waitcnt vmcnt(0)
	v_cmp_o_f16_e64 s[2:3], v0, v0
	v_cmp_neq_f16_e32 vcc, v0, v52
	s_or_b64 s[0:1], s[12:13], s[2:3]
	s_and_b64 s[0:1], vcc, s[0:1]
                                        ; implicit-def: $vgpr0_vgpr1
	s_and_saveexec_b64 s[30:31], s[0:1]
	s_cbranch_execz .LBB61_299
; %bb.303:                              ;   in Loop: Header=BB61_301 Depth=1
	v_add_co_u32_e32 v0, vcc, s23, v2
	v_addc_co_u32_e32 v1, vcc, 0, v3, vcc
	v_cmp_le_i64_e32 vcc, s[24:25], v[0:1]
	v_mov_b32_e32 v3, s57
	v_add_co_u32_e64 v12, s[2:3], s56, v12
	s_mov_b64 s[26:27], exec
	v_addc_co_u32_e64 v13, s[2:3], v13, v3, s[2:3]
	s_orn2_b64 s[28:29], vcc, exec
	s_branch .LBB61_299
.LBB61_304:
                                        ; implicit-def: $sgpr16_sgpr17
	s_branch .LBB61_3
.LBB61_305:
                                        ; implicit-def: $sgpr0_sgpr1
                                        ; kill: killed $sgpr0_sgpr1
	s_branch .LBB61_6
.LBB61_306:
                                        ; implicit-def: $sgpr10_sgpr11
                                        ; kill: killed $sgpr10_sgpr11
	s_load_dwordx2 s[18:19], s[4:5], 0x0
	s_branch .LBB61_9
.LBB61_307:
	s_or_b64 exec, exec, s[8:9]
	s_xor_b64 s[0:1], s[14:15], -1
	s_and_saveexec_b64 s[2:3], s[0:1]
	s_xor_b64 s[2:3], exec, s[2:3]
	s_cbranch_execz .LBB61_312
; %bb.308:
	s_mov_b64 s[2:3], exec
	s_brev_b32 s0, -2
.LBB61_309:                             ; =>This Inner Loop Header: Depth=1
	s_ff1_i32_b64 s1, s[2:3]
	v_readlane_b32 s12, v2, s1
	s_lshl_b64 s[8:9], 1, s1
	s_min_i32 s0, s0, s12
	s_andn2_b64 s[2:3], s[2:3], s[8:9]
	s_cmp_lg_u64 s[2:3], 0
	s_cbranch_scc1 .LBB61_309
; %bb.310:
	v_mbcnt_lo_u32_b32 v0, exec_lo, 0
	v_mbcnt_hi_u32_b32 v0, exec_hi, v0
	v_cmp_eq_u32_e32 vcc, 0, v0
	s_and_saveexec_b64 s[2:3], vcc
	s_xor_b64 s[2:3], exec, s[2:3]
; %bb.311:
	v_mov_b32_e32 v0, 0
	v_mov_b32_e32 v1, s0
	ds_min_i32 v0, v1 offset:5140
.LBB61_312:
	s_or_b64 exec, exec, s[10:11]
	s_waitcnt lgkmcnt(0)
	s_barrier
	s_mov_b64 s[2:3], exec
	v_readlane_b32 s0, v61, 12
	v_readlane_b32 s1, v61, 13
	s_and_b64 s[0:1], s[2:3], s[0:1]
	s_mov_b64 exec, s[0:1]
	s_cbranch_execz .LBB61_314
; %bb.313:
	v_readlane_b32 s8, v61, 0
	v_readlane_b32 s9, v61, 1
	;; [unrolled: 1-line block ×4, first 2 shown]
	s_mul_i32 s0, s10, s9
	s_mul_hi_u32 s1, s10, s8
	s_add_i32 s0, s1, s0
	s_mul_i32 s1, s11, s8
	s_add_i32 s0, s0, s1
	s_mul_i32 s1, s10, s8
	v_readlane_b32 s12, v61, 35
	s_sub_u32 s8, s22, s1
	v_readlane_b32 s14, v61, 37
	v_readlane_b32 s15, v61, 38
	s_subb_u32 s0, 0, s0
	s_mul_i32 s1, s8, s15
	s_mul_hi_u32 s9, s8, s14
	v_readlane_b32 s13, v61, 36
	s_add_i32 s1, s9, s1
	s_mul_i32 s0, s0, s14
	s_add_i32 s1, s1, s0
	s_mul_i32 s0, s8, s14
	s_mul_i32 s8, s10, s13
	s_mul_hi_u32 s9, s10, s12
	s_add_i32 s8, s9, s8
	s_mul_i32 s9, s11, s12
	s_add_i32 s9, s8, s9
	s_mul_i32 s8, s10, s12
	v_readlane_b32 s12, v61, 2
	v_readlane_b32 s13, v61, 3
	;; [unrolled: 1-line block ×4, first 2 shown]
	s_mul_i32 s10, s14, s13
	s_mul_hi_u32 s11, s14, s12
	s_add_i32 s10, s11, s10
	s_mul_i32 s11, s15, s12
	s_add_i32 s10, s10, s11
	s_mul_i32 s11, s14, s12
	v_readlane_b32 s16, v61, 31
	s_sub_u32 s12, s22, s11
	v_readlane_b32 s18, v61, 33
	v_readlane_b32 s19, v61, 34
	s_subb_u32 s10, 0, s10
	s_mul_i32 s11, s12, s19
	s_mul_hi_u32 s13, s12, s18
	v_readlane_b32 s17, v61, 32
	s_add_i32 s11, s13, s11
	s_mul_i32 s10, s10, s18
	s_add_i32 s11, s11, s10
	s_mul_i32 s10, s12, s18
	s_mul_i32 s12, s14, s17
	s_mul_hi_u32 s13, s14, s16
	s_add_i32 s12, s13, s12
	s_mul_i32 s13, s15, s16
	s_add_i32 s13, s12, s13
	s_mul_i32 s12, s14, s16
	s_lshl_b64 s[8:9], s[8:9], 1
	v_readlane_b32 s14, v61, 10
	v_readlane_b32 s15, v61, 11
	s_add_u32 s8, s14, s8
	s_addc_u32 s9, s15, s9
	s_lshl_b64 s[0:1], s[0:1], 1
	v_mov_b32_e32 v2, 0
	s_add_u32 s0, s8, s0
	ds_read_b32 v0, v2 offset:5140
	s_addc_u32 s1, s9, s1
	s_lshl_b64 s[8:9], s[12:13], 3
	v_readlane_b32 s12, v61, 8
	v_readlane_b32 s13, v61, 9
	s_add_u32 s12, s12, s8
	s_addc_u32 s13, s13, s9
	s_lshl_b64 s[8:9], s[10:11], 3
	s_add_u32 s8, s12, s8
	s_addc_u32 s9, s13, s9
	s_waitcnt lgkmcnt(0)
	v_ashrrev_i32_e32 v1, 31, v0
	global_store_dwordx2 v2, v[0:1], s[8:9]
	global_store_short v2, v52, s[0:1]
.LBB61_314:
	s_or_b64 exec, exec, s[2:3]
.LBB61_315:
	s_or_saveexec_b64 s[0:1], s[6:7]
	s_mov_b64 s[2:3], 0
	s_xor_b64 exec, exec, s[0:1]
	s_cbranch_execnz .LBB61_318
.LBB61_316:
	s_or_b64 exec, exec, s[0:1]
	s_and_b64 s[2:3], s[2:3], exec
	s_andn2_saveexec_b64 s[0:1], s[4:5]
	s_cbranch_execz .LBB61_289
.LBB61_317:
	s_or_b64 s[2:3], s[2:3], exec
	s_trap 2
	s_or_b64 exec, exec, s[0:1]
	s_and_saveexec_b64 s[0:1], s[2:3]
	s_cbranch_execnz .LBB61_290
	s_branch .LBB61_291
.LBB61_318:
	s_mov_b64 s[2:3], exec
	s_trap 2
	s_branch .LBB61_316
	.section	.rodata,"a",@progbits
	.p2align	6, 0x0
	.amdhsa_kernel _ZN2at6native12_GLOBAL__N_114gatherKthValueIN3c104HalfElLi2EEEvNS_4cuda6detail10TensorInfoIKT_T0_EESA_SA_SA_SA_NS7_IS8_SA_EENS7_IlSA_EE
		.amdhsa_group_segment_fixed_size 5144
		.amdhsa_private_segment_fixed_size 0
		.amdhsa_kernarg_size 1536
		.amdhsa_user_sgpr_count 6
		.amdhsa_user_sgpr_private_segment_buffer 1
		.amdhsa_user_sgpr_dispatch_ptr 0
		.amdhsa_user_sgpr_queue_ptr 0
		.amdhsa_user_sgpr_kernarg_segment_ptr 1
		.amdhsa_user_sgpr_dispatch_id 0
		.amdhsa_user_sgpr_flat_scratch_init 0
		.amdhsa_user_sgpr_private_segment_size 0
		.amdhsa_uses_dynamic_stack 0
		.amdhsa_system_sgpr_private_segment_wavefront_offset 0
		.amdhsa_system_sgpr_workgroup_id_x 1
		.amdhsa_system_sgpr_workgroup_id_y 1
		.amdhsa_system_sgpr_workgroup_id_z 1
		.amdhsa_system_sgpr_workgroup_info 0
		.amdhsa_system_vgpr_workitem_id 0
		.amdhsa_next_free_vgpr 62
		.amdhsa_next_free_sgpr 96
		.amdhsa_reserve_vcc 1
		.amdhsa_reserve_flat_scratch 0
		.amdhsa_float_round_mode_32 0
		.amdhsa_float_round_mode_16_64 0
		.amdhsa_float_denorm_mode_32 3
		.amdhsa_float_denorm_mode_16_64 3
		.amdhsa_dx10_clamp 1
		.amdhsa_ieee_mode 1
		.amdhsa_fp16_overflow 0
		.amdhsa_exception_fp_ieee_invalid_op 0
		.amdhsa_exception_fp_denorm_src 0
		.amdhsa_exception_fp_ieee_div_zero 0
		.amdhsa_exception_fp_ieee_overflow 0
		.amdhsa_exception_fp_ieee_underflow 0
		.amdhsa_exception_fp_ieee_inexact 0
		.amdhsa_exception_int_div_zero 0
	.end_amdhsa_kernel
	.section	.text._ZN2at6native12_GLOBAL__N_114gatherKthValueIN3c104HalfElLi2EEEvNS_4cuda6detail10TensorInfoIKT_T0_EESA_SA_SA_SA_NS7_IS8_SA_EENS7_IlSA_EE,"axG",@progbits,_ZN2at6native12_GLOBAL__N_114gatherKthValueIN3c104HalfElLi2EEEvNS_4cuda6detail10TensorInfoIKT_T0_EESA_SA_SA_SA_NS7_IS8_SA_EENS7_IlSA_EE,comdat
.Lfunc_end61:
	.size	_ZN2at6native12_GLOBAL__N_114gatherKthValueIN3c104HalfElLi2EEEvNS_4cuda6detail10TensorInfoIKT_T0_EESA_SA_SA_SA_NS7_IS8_SA_EENS7_IlSA_EE, .Lfunc_end61-_ZN2at6native12_GLOBAL__N_114gatherKthValueIN3c104HalfElLi2EEEvNS_4cuda6detail10TensorInfoIKT_T0_EESA_SA_SA_SA_NS7_IS8_SA_EENS7_IlSA_EE
                                        ; -- End function
	.set _ZN2at6native12_GLOBAL__N_114gatherKthValueIN3c104HalfElLi2EEEvNS_4cuda6detail10TensorInfoIKT_T0_EESA_SA_SA_SA_NS7_IS8_SA_EENS7_IlSA_EE.num_vgpr, 62
	.set _ZN2at6native12_GLOBAL__N_114gatherKthValueIN3c104HalfElLi2EEEvNS_4cuda6detail10TensorInfoIKT_T0_EESA_SA_SA_SA_NS7_IS8_SA_EENS7_IlSA_EE.num_agpr, 0
	.set _ZN2at6native12_GLOBAL__N_114gatherKthValueIN3c104HalfElLi2EEEvNS_4cuda6detail10TensorInfoIKT_T0_EESA_SA_SA_SA_NS7_IS8_SA_EENS7_IlSA_EE.numbered_sgpr, 96
	.set _ZN2at6native12_GLOBAL__N_114gatherKthValueIN3c104HalfElLi2EEEvNS_4cuda6detail10TensorInfoIKT_T0_EESA_SA_SA_SA_NS7_IS8_SA_EENS7_IlSA_EE.num_named_barrier, 0
	.set _ZN2at6native12_GLOBAL__N_114gatherKthValueIN3c104HalfElLi2EEEvNS_4cuda6detail10TensorInfoIKT_T0_EESA_SA_SA_SA_NS7_IS8_SA_EENS7_IlSA_EE.private_seg_size, 0
	.set _ZN2at6native12_GLOBAL__N_114gatherKthValueIN3c104HalfElLi2EEEvNS_4cuda6detail10TensorInfoIKT_T0_EESA_SA_SA_SA_NS7_IS8_SA_EENS7_IlSA_EE.uses_vcc, 1
	.set _ZN2at6native12_GLOBAL__N_114gatherKthValueIN3c104HalfElLi2EEEvNS_4cuda6detail10TensorInfoIKT_T0_EESA_SA_SA_SA_NS7_IS8_SA_EENS7_IlSA_EE.uses_flat_scratch, 0
	.set _ZN2at6native12_GLOBAL__N_114gatherKthValueIN3c104HalfElLi2EEEvNS_4cuda6detail10TensorInfoIKT_T0_EESA_SA_SA_SA_NS7_IS8_SA_EENS7_IlSA_EE.has_dyn_sized_stack, 0
	.set _ZN2at6native12_GLOBAL__N_114gatherKthValueIN3c104HalfElLi2EEEvNS_4cuda6detail10TensorInfoIKT_T0_EESA_SA_SA_SA_NS7_IS8_SA_EENS7_IlSA_EE.has_recursion, 0
	.set _ZN2at6native12_GLOBAL__N_114gatherKthValueIN3c104HalfElLi2EEEvNS_4cuda6detail10TensorInfoIKT_T0_EESA_SA_SA_SA_NS7_IS8_SA_EENS7_IlSA_EE.has_indirect_call, 0
	.section	.AMDGPU.csdata,"",@progbits
; Kernel info:
; codeLenInByte = 18780
; TotalNumSgprs: 100
; NumVgprs: 62
; ScratchSize: 0
; MemoryBound: 0
; FloatMode: 240
; IeeeMode: 1
; LDSByteSize: 5144 bytes/workgroup (compile time only)
; SGPRBlocks: 12
; VGPRBlocks: 15
; NumSGPRsForWavesPerEU: 100
; NumVGPRsForWavesPerEU: 62
; Occupancy: 4
; WaveLimiterHint : 1
; COMPUTE_PGM_RSRC2:SCRATCH_EN: 0
; COMPUTE_PGM_RSRC2:USER_SGPR: 6
; COMPUTE_PGM_RSRC2:TRAP_HANDLER: 0
; COMPUTE_PGM_RSRC2:TGID_X_EN: 1
; COMPUTE_PGM_RSRC2:TGID_Y_EN: 1
; COMPUTE_PGM_RSRC2:TGID_Z_EN: 1
; COMPUTE_PGM_RSRC2:TIDIG_COMP_CNT: 0
	.section	.text._ZN2at6native12_GLOBAL__N_114gatherKthValueIN3c104HalfElLi3EEEvNS_4cuda6detail10TensorInfoIKT_T0_EESA_SA_SA_SA_NS7_IS8_SA_EENS7_IlSA_EE,"axG",@progbits,_ZN2at6native12_GLOBAL__N_114gatherKthValueIN3c104HalfElLi3EEEvNS_4cuda6detail10TensorInfoIKT_T0_EESA_SA_SA_SA_NS7_IS8_SA_EENS7_IlSA_EE,comdat
	.globl	_ZN2at6native12_GLOBAL__N_114gatherKthValueIN3c104HalfElLi3EEEvNS_4cuda6detail10TensorInfoIKT_T0_EESA_SA_SA_SA_NS7_IS8_SA_EENS7_IlSA_EE ; -- Begin function _ZN2at6native12_GLOBAL__N_114gatherKthValueIN3c104HalfElLi3EEEvNS_4cuda6detail10TensorInfoIKT_T0_EESA_SA_SA_SA_NS7_IS8_SA_EENS7_IlSA_EE
	.p2align	8
	.type	_ZN2at6native12_GLOBAL__N_114gatherKthValueIN3c104HalfElLi3EEEvNS_4cuda6detail10TensorInfoIKT_T0_EESA_SA_SA_SA_NS7_IS8_SA_EENS7_IlSA_EE,@function
_ZN2at6native12_GLOBAL__N_114gatherKthValueIN3c104HalfElLi3EEEvNS_4cuda6detail10TensorInfoIKT_T0_EESA_SA_SA_SA_NS7_IS8_SA_EENS7_IlSA_EE: ; @_ZN2at6native12_GLOBAL__N_114gatherKthValueIN3c104HalfElLi3EEEvNS_4cuda6detail10TensorInfoIKT_T0_EESA_SA_SA_SA_NS7_IS8_SA_EENS7_IlSA_EE
; %bb.0:
	s_load_dwordx2 s[18:19], s[4:5], 0x500
	s_load_dwordx8 s[24:31], s[4:5], 0x1a0
	s_add_u32 s16, s4, 0x500
	s_addc_u32 s17, s5, 0
	s_mov_b32 s49, 0
	s_waitcnt lgkmcnt(0)
	s_mul_i32 s0, s19, s8
	s_add_i32 s0, s0, s7
	s_mul_i32 s0, s0, s18
	s_add_i32 s48, s0, s6
	v_mov_b32_e32 v1, s48
	v_mov_b32_e32 v2, s49
	v_cmp_le_i64_e32 vcc, s[28:29], v[1:2]
	s_cbranch_vccnz .LBB62_309
; %bb.1:
	s_load_dwordx4 s[8:11], s[4:5], 0x10
	s_mov_b32 s0, s49
	s_waitcnt lgkmcnt(0)
	s_mov_b32 s1, s11
	s_cmp_lg_u64 s[0:1], 0
	s_cbranch_scc0 .LBB62_6
; %bb.2:
	s_ashr_i32 s0, s11, 31
	s_add_u32 s2, s10, s0
	s_mov_b32 s1, s0
	s_addc_u32 s3, s11, s0
	s_xor_b64 s[2:3], s[2:3], s[0:1]
	v_cvt_f32_u32_e32 v1, s2
	v_cvt_f32_u32_e32 v2, s3
	s_sub_u32 s7, 0, s2
	s_subb_u32 s19, 0, s3
	v_madmk_f32 v1, v2, 0x4f800000, v1
	v_rcp_f32_e32 v1, v1
	v_mul_f32_e32 v1, 0x5f7ffffc, v1
	v_mul_f32_e32 v2, 0x2f800000, v1
	v_trunc_f32_e32 v2, v2
	v_madmk_f32 v1, v2, 0xcf800000, v1
	v_cvt_u32_f32_e32 v2, v2
	v_cvt_u32_f32_e32 v1, v1
	v_readfirstlane_b32 s20, v2
	v_readfirstlane_b32 s14, v1
	s_mul_i32 s15, s7, s20
	s_mul_hi_u32 s22, s7, s14
	s_mul_i32 s21, s19, s14
	s_add_i32 s15, s22, s15
	s_add_i32 s15, s15, s21
	s_mul_i32 s23, s7, s14
	s_mul_i32 s22, s14, s15
	s_mul_hi_u32 s28, s14, s23
	s_mul_hi_u32 s21, s14, s15
	s_add_u32 s22, s28, s22
	s_addc_u32 s21, 0, s21
	s_mul_hi_u32 s29, s20, s23
	s_mul_i32 s23, s20, s23
	s_add_u32 s22, s22, s23
	s_mul_hi_u32 s28, s20, s15
	s_addc_u32 s21, s21, s29
	s_addc_u32 s22, s28, 0
	s_mul_i32 s15, s20, s15
	s_add_u32 s15, s21, s15
	s_addc_u32 s21, 0, s22
	s_add_u32 s22, s14, s15
	s_cselect_b64 s[14:15], -1, 0
	s_cmp_lg_u64 s[14:15], 0
	s_addc_u32 s20, s20, s21
	s_mul_i32 s14, s7, s20
	s_mul_hi_u32 s15, s7, s22
	s_add_i32 s14, s15, s14
	s_mul_i32 s19, s19, s22
	s_add_i32 s14, s14, s19
	s_mul_i32 s7, s7, s22
	s_mul_hi_u32 s19, s20, s7
	s_mul_i32 s21, s20, s7
	s_mul_i32 s28, s22, s14
	s_mul_hi_u32 s7, s22, s7
	s_mul_hi_u32 s23, s22, s14
	s_add_u32 s7, s7, s28
	s_addc_u32 s23, 0, s23
	s_add_u32 s7, s7, s21
	s_mul_hi_u32 s15, s20, s14
	s_addc_u32 s7, s23, s19
	s_addc_u32 s15, s15, 0
	s_mul_i32 s14, s20, s14
	s_add_u32 s7, s7, s14
	s_addc_u32 s19, 0, s15
	s_add_u32 s7, s22, s7
	s_cselect_b64 s[14:15], -1, 0
	s_cmp_lg_u64 s[14:15], 0
	s_addc_u32 s19, s20, s19
	s_add_u32 s14, s48, 0
	s_addc_u32 s15, 0, 0
	s_xor_b64 s[14:15], s[14:15], 0
	s_mul_i32 s21, s14, s19
	s_mul_hi_u32 s22, s14, s7
	s_mul_hi_u32 s20, s14, s19
	s_add_u32 s21, s22, s21
	s_addc_u32 s20, 0, s20
	s_mul_hi_u32 s23, s15, s7
	s_mul_i32 s7, s15, s7
	s_add_u32 s7, s21, s7
	s_mul_hi_u32 s22, s15, s19
	s_addc_u32 s7, s20, s23
	s_addc_u32 s20, s22, 0
	s_mul_i32 s19, s15, s19
	s_add_u32 s7, s7, s19
	s_addc_u32 s19, 0, s20
	s_mul_i32 s20, s2, s19
	s_mul_hi_u32 s21, s2, s7
	s_add_i32 s20, s21, s20
	s_mul_i32 s21, s3, s7
	s_add_i32 s28, s20, s21
	s_sub_i32 s22, s15, s28
	s_mul_i32 s20, s2, s7
	s_sub_u32 s14, s14, s20
	s_cselect_b64 s[20:21], -1, 0
	s_cmp_lg_u64 s[20:21], 0
	s_subb_u32 s29, s22, s3
	s_sub_u32 s33, s14, s2
	s_cselect_b64 s[22:23], -1, 0
	s_cmp_lg_u64 s[22:23], 0
	s_subb_u32 s22, s29, 0
	s_cmp_ge_u32 s22, s3
	s_cselect_b32 s23, -1, 0
	s_cmp_ge_u32 s33, s2
	s_cselect_b32 s29, -1, 0
	s_cmp_eq_u32 s22, s3
	s_cselect_b32 s22, s29, s23
	s_add_u32 s23, s7, 1
	s_addc_u32 s29, s19, 0
	s_add_u32 s33, s7, 2
	s_addc_u32 s34, s19, 0
	s_cmp_lg_u32 s22, 0
	s_cselect_b32 s22, s33, s23
	s_cselect_b32 s23, s34, s29
	s_cmp_lg_u64 s[20:21], 0
	s_subb_u32 s15, s15, s28
	s_cmp_ge_u32 s15, s3
	s_cselect_b32 s20, -1, 0
	s_cmp_ge_u32 s14, s2
	s_cselect_b32 s2, -1, 0
	s_cmp_eq_u32 s15, s3
	s_cselect_b32 s2, s2, s20
	s_cmp_lg_u32 s2, 0
	s_cselect_b32 s3, s23, s19
	s_cselect_b32 s2, s22, s7
	s_xor_b64 s[0:1], 0, s[0:1]
	s_xor_b64 s[2:3], s[2:3], s[0:1]
	s_sub_u32 s2, s2, s0
	s_subb_u32 s3, s3, s1
	s_cbranch_execnz .LBB62_4
.LBB62_3:
	v_cvt_f32_u32_e32 v1, s10
	s_sub_i32 s0, 0, s10
	s_mov_b32 s3, 0
	v_rcp_iflag_f32_e32 v1, v1
	v_mul_f32_e32 v1, 0x4f7ffffe, v1
	v_cvt_u32_f32_e32 v1, v1
	v_readfirstlane_b32 s1, v1
	s_mul_i32 s0, s0, s1
	s_mul_hi_u32 s0, s1, s0
	s_add_i32 s1, s1, s0
	s_mul_hi_u32 s0, s48, s1
	s_mul_i32 s2, s0, s10
	s_sub_i32 s2, s48, s2
	s_add_i32 s1, s0, 1
	s_sub_i32 s7, s2, s10
	s_cmp_ge_u32 s2, s10
	s_cselect_b32 s0, s1, s0
	s_cselect_b32 s2, s7, s2
	s_add_i32 s1, s0, 1
	s_cmp_ge_u32 s2, s10
	s_cselect_b32 s2, s1, s0
.LBB62_4:
	s_or_b64 s[0:1], s[2:3], s[8:9]
	s_mov_b32 s0, 0
	s_cmp_lg_u64 s[0:1], 0
	s_cbranch_scc0 .LBB62_7
; %bb.5:
	s_ashr_i32 s12, s9, 31
	s_add_u32 s0, s8, s12
	s_mov_b32 s13, s12
	s_addc_u32 s1, s9, s12
	s_xor_b64 s[14:15], s[0:1], s[12:13]
	v_cvt_f32_u32_e32 v1, s14
	v_cvt_f32_u32_e32 v2, s15
	s_sub_u32 s7, 0, s14
	s_subb_u32 s19, 0, s15
	s_mov_b64 s[0:1], 0
	v_madmk_f32 v1, v2, 0x4f800000, v1
	v_rcp_f32_e32 v1, v1
	v_mul_f32_e32 v1, 0x5f7ffffc, v1
	v_mul_f32_e32 v2, 0x2f800000, v1
	v_trunc_f32_e32 v2, v2
	v_madmk_f32 v1, v2, 0xcf800000, v1
	v_cvt_u32_f32_e32 v2, v2
	v_cvt_u32_f32_e32 v1, v1
	v_readfirstlane_b32 s22, v2
	v_readfirstlane_b32 s20, v1
	s_mul_i32 s21, s7, s22
	s_mul_hi_u32 s28, s7, s20
	s_mul_i32 s23, s19, s20
	s_add_i32 s21, s28, s21
	s_add_i32 s21, s21, s23
	s_mul_i32 s29, s7, s20
	s_mul_i32 s28, s20, s21
	s_mul_hi_u32 s33, s20, s29
	s_mul_hi_u32 s23, s20, s21
	s_add_u32 s28, s33, s28
	s_addc_u32 s23, 0, s23
	s_mul_hi_u32 s34, s22, s29
	s_mul_i32 s29, s22, s29
	s_add_u32 s28, s28, s29
	s_mul_hi_u32 s33, s22, s21
	s_addc_u32 s23, s23, s34
	s_addc_u32 s28, s33, 0
	s_mul_i32 s21, s22, s21
	s_add_u32 s21, s23, s21
	s_addc_u32 s23, 0, s28
	s_add_u32 s28, s20, s21
	s_cselect_b64 s[20:21], -1, 0
	s_cmp_lg_u64 s[20:21], 0
	s_addc_u32 s22, s22, s23
	s_mul_i32 s20, s7, s22
	s_mul_hi_u32 s21, s7, s28
	s_add_i32 s20, s21, s20
	s_mul_i32 s19, s19, s28
	s_add_i32 s20, s20, s19
	s_mul_i32 s7, s7, s28
	s_mul_hi_u32 s21, s22, s7
	s_mul_i32 s23, s22, s7
	s_mul_i32 s33, s28, s20
	s_mul_hi_u32 s7, s28, s7
	s_mul_hi_u32 s29, s28, s20
	s_add_u32 s7, s7, s33
	s_addc_u32 s29, 0, s29
	s_add_u32 s7, s7, s23
	s_mul_hi_u32 s19, s22, s20
	s_addc_u32 s7, s29, s21
	s_addc_u32 s19, s19, 0
	s_mul_i32 s20, s22, s20
	s_add_u32 s7, s7, s20
	s_addc_u32 s19, 0, s19
	s_add_u32 s7, s28, s7
	s_cselect_b64 s[20:21], -1, 0
	s_cmp_lg_u64 s[20:21], 0
	s_addc_u32 s19, s22, s19
	s_ashr_i32 s20, s3, 31
	s_add_u32 s22, s2, s20
	s_mov_b32 s21, s20
	s_addc_u32 s23, s3, s20
	s_xor_b64 s[22:23], s[22:23], s[20:21]
	s_mul_i32 s29, s22, s19
	s_mul_hi_u32 s33, s22, s7
	s_mul_hi_u32 s28, s22, s19
	s_add_u32 s29, s33, s29
	s_addc_u32 s28, 0, s28
	s_mul_hi_u32 s34, s23, s7
	s_mul_i32 s7, s23, s7
	s_add_u32 s7, s29, s7
	s_mul_hi_u32 s33, s23, s19
	s_addc_u32 s7, s28, s34
	s_addc_u32 s28, s33, 0
	s_mul_i32 s19, s23, s19
	s_add_u32 s7, s7, s19
	s_addc_u32 s19, 0, s28
	s_mul_i32 s28, s14, s19
	s_mul_hi_u32 s29, s14, s7
	s_add_i32 s28, s29, s28
	s_mul_i32 s29, s15, s7
	s_add_i32 s33, s28, s29
	s_sub_i32 s34, s23, s33
	s_mul_i32 s28, s14, s7
	s_sub_u32 s22, s22, s28
	s_cselect_b64 s[28:29], -1, 0
	s_cmp_lg_u64 s[28:29], 0
	s_subb_u32 s36, s34, s15
	s_sub_u32 s37, s22, s14
	s_cselect_b64 s[34:35], -1, 0
	s_cmp_lg_u64 s[34:35], 0
	s_subb_u32 s34, s36, 0
	s_cmp_ge_u32 s34, s15
	s_cselect_b32 s35, -1, 0
	s_cmp_ge_u32 s37, s14
	s_cselect_b32 s36, -1, 0
	s_cmp_eq_u32 s34, s15
	s_cselect_b32 s34, s36, s35
	s_add_u32 s35, s7, 1
	s_addc_u32 s36, s19, 0
	s_add_u32 s37, s7, 2
	s_addc_u32 s38, s19, 0
	s_cmp_lg_u32 s34, 0
	s_cselect_b32 s34, s37, s35
	s_cselect_b32 s35, s38, s36
	s_cmp_lg_u64 s[28:29], 0
	s_subb_u32 s23, s23, s33
	s_cmp_ge_u32 s23, s15
	s_cselect_b32 s28, -1, 0
	s_cmp_ge_u32 s22, s14
	s_cselect_b32 s14, -1, 0
	s_cmp_eq_u32 s23, s15
	s_cselect_b32 s14, s14, s28
	s_cmp_lg_u32 s14, 0
	s_cselect_b32 s15, s35, s19
	s_cselect_b32 s14, s34, s7
	s_xor_b64 s[12:13], s[20:21], s[12:13]
	s_xor_b64 s[14:15], s[14:15], s[12:13]
	s_sub_u32 s20, s14, s12
	s_subb_u32 s21, s15, s13
	s_branch .LBB62_8
.LBB62_6:
                                        ; implicit-def: $sgpr2_sgpr3
	s_branch .LBB62_3
.LBB62_7:
	s_mov_b64 s[0:1], -1
                                        ; implicit-def: $sgpr20_sgpr21
.LBB62_8:
	s_load_dwordx4 s[12:15], s[4:5], 0x1d0
                                        ; implicit-def: $vgpr56 : SGPR spill to VGPR lane
	s_andn2_b64 vcc, exec, s[0:1]
	s_waitcnt lgkmcnt(0)
	v_writelane_b32 v56, s12, 0
	v_writelane_b32 v56, s13, 1
	;; [unrolled: 1-line block ×4, first 2 shown]
	s_cbranch_vccnz .LBB62_10
; %bb.9:
	v_cvt_f32_u32_e32 v1, s8
	s_sub_i32 s0, 0, s8
	s_mov_b32 s21, 0
	v_rcp_iflag_f32_e32 v1, v1
	v_mul_f32_e32 v1, 0x4f7ffffe, v1
	v_cvt_u32_f32_e32 v1, v1
	v_readfirstlane_b32 s1, v1
	s_mul_i32 s0, s0, s1
	s_mul_hi_u32 s0, s1, s0
	s_add_i32 s1, s1, s0
	s_mul_hi_u32 s0, s2, s1
	s_mul_i32 s7, s0, s8
	s_sub_i32 s7, s2, s7
	s_add_i32 s1, s0, 1
	s_sub_i32 s12, s7, s8
	s_cmp_ge_u32 s7, s8
	s_cselect_b32 s0, s1, s0
	s_cselect_b32 s7, s12, s7
	s_add_i32 s1, s0, 1
	s_cmp_ge_u32 s7, s8
	s_cselect_b32 s20, s1, s0
.LBB62_10:
	s_load_dwordx4 s[12:15], s[4:5], 0x1d0
	s_mov_b32 s0, 0
	s_waitcnt lgkmcnt(0)
	s_mov_b32 s1, s15
	s_cmp_lg_u64 s[0:1], 0
	s_cbranch_scc0 .LBB62_15
; %bb.11:
	s_ashr_i32 s0, s15, 31
	s_add_u32 s12, s14, s0
	s_mov_b32 s1, s0
	s_addc_u32 s13, s15, s0
	s_xor_b64 s[14:15], s[12:13], s[0:1]
	v_cvt_f32_u32_e32 v1, s14
	v_cvt_f32_u32_e32 v2, s15
	s_sub_u32 s7, 0, s14
	s_subb_u32 s19, 0, s15
	v_madmk_f32 v1, v2, 0x4f800000, v1
	v_rcp_f32_e32 v1, v1
	v_mul_f32_e32 v1, 0x5f7ffffc, v1
	v_mul_f32_e32 v2, 0x2f800000, v1
	v_trunc_f32_e32 v2, v2
	v_madmk_f32 v1, v2, 0xcf800000, v1
	v_cvt_u32_f32_e32 v2, v2
	v_cvt_u32_f32_e32 v1, v1
	v_readfirstlane_b32 s28, v2
	v_readfirstlane_b32 s22, v1
	s_mul_i32 s23, s7, s28
	s_mul_hi_u32 s33, s7, s22
	s_mul_i32 s29, s19, s22
	s_add_i32 s23, s33, s23
	s_add_i32 s23, s23, s29
	s_mul_i32 s34, s7, s22
	s_mul_i32 s33, s22, s23
	s_mul_hi_u32 s35, s22, s34
	s_mul_hi_u32 s29, s22, s23
	s_add_u32 s33, s35, s33
	s_addc_u32 s29, 0, s29
	s_mul_hi_u32 s36, s28, s34
	s_mul_i32 s34, s28, s34
	s_add_u32 s33, s33, s34
	s_mul_hi_u32 s35, s28, s23
	s_addc_u32 s29, s29, s36
	s_addc_u32 s33, s35, 0
	s_mul_i32 s23, s28, s23
	s_add_u32 s23, s29, s23
	s_addc_u32 s29, 0, s33
	s_add_u32 s33, s22, s23
	s_cselect_b64 s[22:23], -1, 0
	s_cmp_lg_u64 s[22:23], 0
	s_addc_u32 s28, s28, s29
	s_mul_i32 s22, s7, s28
	s_mul_hi_u32 s23, s7, s33
	s_add_i32 s22, s23, s22
	s_mul_i32 s19, s19, s33
	s_add_i32 s22, s22, s19
	s_mul_i32 s7, s7, s33
	s_mul_hi_u32 s23, s28, s7
	s_mul_i32 s29, s28, s7
	s_mul_i32 s35, s33, s22
	s_mul_hi_u32 s7, s33, s7
	s_mul_hi_u32 s34, s33, s22
	s_add_u32 s7, s7, s35
	s_addc_u32 s34, 0, s34
	s_add_u32 s7, s7, s29
	s_mul_hi_u32 s19, s28, s22
	s_addc_u32 s7, s34, s23
	s_addc_u32 s19, s19, 0
	s_mul_i32 s22, s28, s22
	s_add_u32 s7, s7, s22
	s_addc_u32 s19, 0, s19
	s_add_u32 s7, s33, s7
	s_cselect_b64 s[22:23], -1, 0
	s_cmp_lg_u64 s[22:23], 0
	s_addc_u32 s19, s28, s19
	s_add_u32 s22, s48, 0
	s_addc_u32 s23, 0, 0
	s_xor_b64 s[22:23], s[22:23], 0
	s_mul_i32 s29, s22, s19
	s_mul_hi_u32 s33, s22, s7
	s_mul_hi_u32 s28, s22, s19
	s_add_u32 s29, s33, s29
	s_addc_u32 s28, 0, s28
	s_mul_hi_u32 s34, s23, s7
	s_mul_i32 s7, s23, s7
	s_add_u32 s7, s29, s7
	s_mul_hi_u32 s33, s23, s19
	s_addc_u32 s7, s28, s34
	s_addc_u32 s28, s33, 0
	s_mul_i32 s19, s23, s19
	s_add_u32 s7, s7, s19
	s_addc_u32 s19, 0, s28
	s_mul_i32 s28, s14, s19
	s_mul_hi_u32 s29, s14, s7
	s_add_i32 s28, s29, s28
	s_mul_i32 s29, s15, s7
	s_add_i32 s33, s28, s29
	s_sub_i32 s34, s23, s33
	s_mul_i32 s28, s14, s7
	s_sub_u32 s22, s22, s28
	s_cselect_b64 s[28:29], -1, 0
	s_cmp_lg_u64 s[28:29], 0
	s_subb_u32 s36, s34, s15
	s_sub_u32 s37, s22, s14
	s_cselect_b64 s[34:35], -1, 0
	s_cmp_lg_u64 s[34:35], 0
	s_subb_u32 s34, s36, 0
	s_cmp_ge_u32 s34, s15
	s_cselect_b32 s35, -1, 0
	s_cmp_ge_u32 s37, s14
	s_cselect_b32 s36, -1, 0
	s_cmp_eq_u32 s34, s15
	s_cselect_b32 s34, s36, s35
	s_add_u32 s35, s7, 1
	s_addc_u32 s36, s19, 0
	s_add_u32 s37, s7, 2
	s_addc_u32 s38, s19, 0
	s_cmp_lg_u32 s34, 0
	s_cselect_b32 s34, s37, s35
	s_cselect_b32 s35, s38, s36
	s_cmp_lg_u64 s[28:29], 0
	s_subb_u32 s23, s23, s33
	s_cmp_ge_u32 s23, s15
	s_cselect_b32 s28, -1, 0
	s_cmp_ge_u32 s22, s14
	s_cselect_b32 s14, -1, 0
	s_cmp_eq_u32 s23, s15
	s_cselect_b32 s14, s14, s28
	s_cmp_lg_u32 s14, 0
	s_cselect_b32 s15, s35, s19
	s_cselect_b32 s14, s34, s7
	s_xor_b64 s[0:1], 0, s[0:1]
	s_xor_b64 s[14:15], s[14:15], s[0:1]
	s_sub_u32 s22, s14, s0
	s_subb_u32 s23, s15, s1
	s_cbranch_execnz .LBB62_13
.LBB62_12:
	s_load_dwordx4 s[12:15], s[4:5], 0x1d0
	s_mov_b32 s23, 0
	s_waitcnt lgkmcnt(0)
	v_cvt_f32_u32_e32 v1, s14
	s_sub_i32 s0, 0, s14
	v_rcp_iflag_f32_e32 v1, v1
	v_mul_f32_e32 v1, 0x4f7ffffe, v1
	v_cvt_u32_f32_e32 v1, v1
	v_readfirstlane_b32 s1, v1
	s_mul_i32 s0, s0, s1
	s_mul_hi_u32 s0, s1, s0
	s_add_i32 s1, s1, s0
	s_mul_hi_u32 s0, s48, s1
	s_mul_i32 s7, s0, s14
	s_sub_i32 s7, s48, s7
	s_add_i32 s1, s0, 1
	s_sub_i32 s12, s7, s14
	s_cmp_ge_u32 s7, s14
	s_cselect_b32 s0, s1, s0
	s_cselect_b32 s7, s12, s7
	s_add_i32 s1, s0, 1
	s_cmp_ge_u32 s7, s14
	s_cselect_b32 s22, s1, s0
.LBB62_13:
	s_load_dwordx4 s[36:39], s[4:5], 0x1d0
	s_waitcnt lgkmcnt(0)
	s_or_b64 s[0:1], s[22:23], s[36:37]
	s_mov_b32 s0, 0
	s_cmp_lg_u64 s[0:1], 0
	v_writelane_b32 v56, s22, 4
	v_writelane_b32 v56, s23, 5
	s_cbranch_scc0 .LBB62_16
; %bb.14:
	s_ashr_i32 s12, s37, 31
	s_add_u32 s0, s36, s12
	s_mov_b32 s13, s12
	s_addc_u32 s1, s37, s12
	s_xor_b64 s[14:15], s[0:1], s[12:13]
	v_cvt_f32_u32_e32 v1, s14
	v_cvt_f32_u32_e32 v2, s15
	s_sub_u32 s7, 0, s14
	s_subb_u32 s19, 0, s15
	s_mov_b64 s[0:1], 0
	v_madmk_f32 v1, v2, 0x4f800000, v1
	v_rcp_f32_e32 v1, v1
	v_mul_f32_e32 v1, 0x5f7ffffc, v1
	v_mul_f32_e32 v2, 0x2f800000, v1
	v_trunc_f32_e32 v2, v2
	v_madmk_f32 v1, v2, 0xcf800000, v1
	v_cvt_u32_f32_e32 v2, v2
	v_cvt_u32_f32_e32 v1, v1
	v_readfirstlane_b32 s28, v2
	v_readfirstlane_b32 s22, v1
	s_mul_i32 s23, s7, s28
	s_mul_hi_u32 s33, s7, s22
	s_mul_i32 s29, s19, s22
	s_add_i32 s23, s33, s23
	s_add_i32 s23, s23, s29
	s_mul_i32 s34, s7, s22
	s_mul_i32 s33, s22, s23
	s_mul_hi_u32 s35, s22, s34
	s_mul_hi_u32 s29, s22, s23
	s_add_u32 s33, s35, s33
	s_addc_u32 s29, 0, s29
	s_mul_hi_u32 s36, s28, s34
	s_mul_i32 s34, s28, s34
	s_add_u32 s33, s33, s34
	s_mul_hi_u32 s35, s28, s23
	s_addc_u32 s29, s29, s36
	s_addc_u32 s33, s35, 0
	s_mul_i32 s23, s28, s23
	s_add_u32 s23, s29, s23
	s_addc_u32 s29, 0, s33
	s_add_u32 s33, s22, s23
	s_cselect_b64 s[22:23], -1, 0
	s_cmp_lg_u64 s[22:23], 0
	s_addc_u32 s28, s28, s29
	s_mul_i32 s22, s7, s28
	s_mul_hi_u32 s23, s7, s33
	s_add_i32 s22, s23, s22
	s_mul_i32 s19, s19, s33
	s_add_i32 s22, s22, s19
	s_mul_i32 s7, s7, s33
	s_mul_hi_u32 s23, s28, s7
	s_mul_i32 s29, s28, s7
	s_mul_i32 s35, s33, s22
	s_mul_hi_u32 s7, s33, s7
	s_mul_hi_u32 s34, s33, s22
	s_add_u32 s7, s7, s35
	s_addc_u32 s34, 0, s34
	s_add_u32 s7, s7, s29
	s_mul_hi_u32 s19, s28, s22
	s_addc_u32 s7, s34, s23
	s_addc_u32 s19, s19, 0
	s_mul_i32 s22, s28, s22
	s_add_u32 s7, s7, s22
	s_addc_u32 s19, 0, s19
	s_add_u32 s7, s33, s7
	s_cselect_b64 s[22:23], -1, 0
	s_cmp_lg_u64 s[22:23], 0
	v_readlane_b32 s22, v56, 4
	v_readlane_b32 s23, v56, 5
	s_addc_u32 s19, s28, s19
	s_ashr_i32 s22, s23, 31
	v_readlane_b32 s28, v56, 4
	v_readlane_b32 s34, v56, 4
	;; [unrolled: 1-line block ×3, first 2 shown]
	s_add_u32 s28, s28, s22
	v_readlane_b32 s35, v56, 5
	s_mov_b32 s23, s22
	s_addc_u32 s29, s35, s22
	s_xor_b64 s[28:29], s[28:29], s[22:23]
	s_mul_i32 s34, s28, s19
	s_mul_hi_u32 s35, s28, s7
	s_mul_hi_u32 s33, s28, s19
	s_add_u32 s34, s35, s34
	s_addc_u32 s33, 0, s33
	s_mul_hi_u32 s36, s29, s7
	s_mul_i32 s7, s29, s7
	s_add_u32 s7, s34, s7
	s_mul_hi_u32 s35, s29, s19
	s_addc_u32 s7, s33, s36
	s_addc_u32 s33, s35, 0
	s_mul_i32 s19, s29, s19
	s_add_u32 s7, s7, s19
	s_addc_u32 s19, 0, s33
	s_mul_i32 s33, s14, s19
	s_mul_hi_u32 s34, s14, s7
	s_add_i32 s33, s34, s33
	s_mul_i32 s34, s15, s7
	s_add_i32 s33, s33, s34
	s_sub_i32 s36, s29, s33
	s_mul_i32 s34, s14, s7
	s_sub_u32 s28, s28, s34
	s_cselect_b64 s[34:35], -1, 0
	s_cmp_lg_u64 s[34:35], 0
	s_subb_u32 s38, s36, s15
	s_sub_u32 s39, s28, s14
	s_cselect_b64 s[36:37], -1, 0
	s_cmp_lg_u64 s[36:37], 0
	s_subb_u32 s36, s38, 0
	s_cmp_ge_u32 s36, s15
	s_cselect_b32 s37, -1, 0
	s_cmp_ge_u32 s39, s14
	s_cselect_b32 s38, -1, 0
	s_cmp_eq_u32 s36, s15
	s_cselect_b32 s36, s38, s37
	s_add_u32 s37, s7, 1
	s_addc_u32 s38, s19, 0
	s_add_u32 s39, s7, 2
	s_addc_u32 s40, s19, 0
	s_cmp_lg_u32 s36, 0
	s_cselect_b32 s36, s39, s37
	s_cselect_b32 s37, s40, s38
	s_cmp_lg_u64 s[34:35], 0
	s_subb_u32 s29, s29, s33
	s_cmp_ge_u32 s29, s15
	s_cselect_b32 s33, -1, 0
	s_cmp_ge_u32 s28, s14
	s_cselect_b32 s14, -1, 0
	s_cmp_eq_u32 s29, s15
	s_cselect_b32 s14, s14, s33
	s_cmp_lg_u32 s14, 0
	s_cselect_b32 s15, s37, s19
	s_cselect_b32 s14, s36, s7
	s_xor_b64 s[12:13], s[22:23], s[12:13]
	s_xor_b64 s[14:15], s[14:15], s[12:13]
	s_sub_u32 s12, s14, s12
	v_readlane_b32 s22, v56, 4
	s_subb_u32 s13, s15, s13
	v_readlane_b32 s23, v56, 5
	v_writelane_b32 v56, s12, 10
	v_writelane_b32 v56, s13, 11
	s_branch .LBB62_17
.LBB62_15:
                                        ; implicit-def: $sgpr22_sgpr23
	s_branch .LBB62_12
.LBB62_16:
	s_mov_b64 s[0:1], -1
                                        ; implicit-def: $sgpr12_sgpr13
                                        ; kill: killed $sgpr12_sgpr13
.LBB62_17:
	s_load_dwordx4 s[12:15], s[4:5], 0x370
	s_andn2_b64 vcc, exec, s[0:1]
	s_waitcnt lgkmcnt(0)
	v_writelane_b32 v56, s12, 6
	v_writelane_b32 v56, s13, 7
	;; [unrolled: 1-line block ×4, first 2 shown]
	s_cbranch_vccnz .LBB62_19
; %bb.18:
	s_load_dwordx4 s[12:15], s[4:5], 0x1d0
	s_waitcnt lgkmcnt(0)
	s_mov_b64 s[38:39], s[14:15]
	s_mov_b64 s[36:37], s[12:13]
	v_cvt_f32_u32_e32 v1, s36
	s_sub_i32 s0, 0, s36
	s_mov_b32 s13, 0
	v_rcp_iflag_f32_e32 v1, v1
	v_mul_f32_e32 v1, 0x4f7ffffe, v1
	v_cvt_u32_f32_e32 v1, v1
	v_readfirstlane_b32 s1, v1
	s_mul_i32 s0, s0, s1
	s_mul_hi_u32 s0, s1, s0
	s_add_i32 s1, s1, s0
	s_mul_hi_u32 s0, s22, s1
	s_mul_i32 s7, s0, s36
	s_sub_i32 s7, s22, s7
	s_add_i32 s1, s0, 1
	s_sub_i32 s12, s7, s36
	s_cmp_ge_u32 s7, s36
	s_cselect_b32 s0, s1, s0
	s_cselect_b32 s7, s12, s7
	s_add_i32 s1, s0, 1
	s_cmp_ge_u32 s7, s36
	s_cselect_b32 s12, s1, s0
	v_writelane_b32 v56, s12, 10
	v_writelane_b32 v56, s13, 11
.LBB62_19:
	s_load_dwordx4 s[12:15], s[4:5], 0x370
	s_mov_b32 s0, 0
	s_waitcnt lgkmcnt(0)
	s_mov_b32 s1, s15
	s_cmp_lg_u64 s[0:1], 0
	s_cbranch_scc0 .LBB62_24
; %bb.20:
	s_ashr_i32 s0, s15, 31
	s_add_u32 s12, s14, s0
	s_mov_b32 s1, s0
	s_addc_u32 s13, s15, s0
	s_xor_b64 s[14:15], s[12:13], s[0:1]
	v_cvt_f32_u32_e32 v1, s14
	v_cvt_f32_u32_e32 v2, s15
	s_sub_u32 s7, 0, s14
	s_subb_u32 s19, 0, s15
	v_madmk_f32 v1, v2, 0x4f800000, v1
	v_rcp_f32_e32 v1, v1
	v_mul_f32_e32 v1, 0x5f7ffffc, v1
	v_mul_f32_e32 v2, 0x2f800000, v1
	v_trunc_f32_e32 v2, v2
	v_madmk_f32 v1, v2, 0xcf800000, v1
	v_cvt_u32_f32_e32 v2, v2
	v_cvt_u32_f32_e32 v1, v1
	v_readfirstlane_b32 s28, v2
	v_readfirstlane_b32 s22, v1
	s_mul_i32 s23, s7, s28
	s_mul_hi_u32 s33, s7, s22
	s_mul_i32 s29, s19, s22
	s_add_i32 s23, s33, s23
	s_add_i32 s23, s23, s29
	s_mul_i32 s34, s7, s22
	s_mul_i32 s33, s22, s23
	s_mul_hi_u32 s35, s22, s34
	s_mul_hi_u32 s29, s22, s23
	s_add_u32 s33, s35, s33
	s_addc_u32 s29, 0, s29
	s_mul_hi_u32 s36, s28, s34
	s_mul_i32 s34, s28, s34
	s_add_u32 s33, s33, s34
	s_mul_hi_u32 s35, s28, s23
	s_addc_u32 s29, s29, s36
	s_addc_u32 s33, s35, 0
	s_mul_i32 s23, s28, s23
	s_add_u32 s23, s29, s23
	s_addc_u32 s29, 0, s33
	s_add_u32 s33, s22, s23
	s_cselect_b64 s[22:23], -1, 0
	s_cmp_lg_u64 s[22:23], 0
	s_addc_u32 s28, s28, s29
	s_mul_i32 s22, s7, s28
	s_mul_hi_u32 s23, s7, s33
	s_add_i32 s22, s23, s22
	s_mul_i32 s19, s19, s33
	s_add_i32 s22, s22, s19
	s_mul_i32 s7, s7, s33
	s_mul_hi_u32 s23, s28, s7
	s_mul_i32 s29, s28, s7
	s_mul_i32 s35, s33, s22
	s_mul_hi_u32 s7, s33, s7
	s_mul_hi_u32 s34, s33, s22
	s_add_u32 s7, s7, s35
	s_addc_u32 s34, 0, s34
	s_add_u32 s7, s7, s29
	s_mul_hi_u32 s19, s28, s22
	s_addc_u32 s7, s34, s23
	s_addc_u32 s19, s19, 0
	s_mul_i32 s22, s28, s22
	s_add_u32 s7, s7, s22
	s_addc_u32 s19, 0, s19
	s_add_u32 s7, s33, s7
	s_cselect_b64 s[22:23], -1, 0
	s_cmp_lg_u64 s[22:23], 0
	s_addc_u32 s19, s28, s19
	s_add_u32 s22, s48, 0
	s_addc_u32 s23, 0, 0
	s_xor_b64 s[22:23], s[22:23], 0
	s_mul_i32 s29, s22, s19
	s_mul_hi_u32 s33, s22, s7
	s_mul_hi_u32 s28, s22, s19
	s_add_u32 s29, s33, s29
	s_addc_u32 s28, 0, s28
	s_mul_hi_u32 s34, s23, s7
	s_mul_i32 s7, s23, s7
	s_add_u32 s7, s29, s7
	s_mul_hi_u32 s33, s23, s19
	s_addc_u32 s7, s28, s34
	s_addc_u32 s28, s33, 0
	s_mul_i32 s19, s23, s19
	s_add_u32 s7, s7, s19
	s_addc_u32 s19, 0, s28
	s_mul_i32 s28, s14, s19
	s_mul_hi_u32 s29, s14, s7
	s_add_i32 s28, s29, s28
	s_mul_i32 s29, s15, s7
	s_add_i32 s33, s28, s29
	s_sub_i32 s34, s23, s33
	s_mul_i32 s28, s14, s7
	s_sub_u32 s22, s22, s28
	s_cselect_b64 s[28:29], -1, 0
	s_cmp_lg_u64 s[28:29], 0
	s_subb_u32 s36, s34, s15
	s_sub_u32 s37, s22, s14
	s_cselect_b64 s[34:35], -1, 0
	s_cmp_lg_u64 s[34:35], 0
	s_subb_u32 s34, s36, 0
	s_cmp_ge_u32 s34, s15
	s_cselect_b32 s35, -1, 0
	s_cmp_ge_u32 s37, s14
	s_cselect_b32 s36, -1, 0
	s_cmp_eq_u32 s34, s15
	s_cselect_b32 s34, s36, s35
	s_add_u32 s35, s7, 1
	s_addc_u32 s36, s19, 0
	s_add_u32 s37, s7, 2
	s_addc_u32 s38, s19, 0
	s_cmp_lg_u32 s34, 0
	s_cselect_b32 s34, s37, s35
	s_cselect_b32 s35, s38, s36
	s_cmp_lg_u64 s[28:29], 0
	s_subb_u32 s23, s23, s33
	s_cmp_ge_u32 s23, s15
	s_cselect_b32 s28, -1, 0
	s_cmp_ge_u32 s22, s14
	s_cselect_b32 s14, -1, 0
	s_cmp_eq_u32 s23, s15
	s_cselect_b32 s14, s14, s28
	s_cmp_lg_u32 s14, 0
	s_cselect_b32 s15, s35, s19
	s_cselect_b32 s14, s34, s7
	s_xor_b64 s[0:1], 0, s[0:1]
	s_xor_b64 s[14:15], s[14:15], s[0:1]
	s_sub_u32 s42, s14, s0
	s_subb_u32 s43, s15, s1
	s_cbranch_execnz .LBB62_22
.LBB62_21:
	s_load_dwordx4 s[12:15], s[4:5], 0x370
	s_mov_b32 s43, 0
	s_waitcnt lgkmcnt(0)
	v_cvt_f32_u32_e32 v1, s14
	s_sub_i32 s0, 0, s14
	v_rcp_iflag_f32_e32 v1, v1
	v_mul_f32_e32 v1, 0x4f7ffffe, v1
	v_cvt_u32_f32_e32 v1, v1
	v_readfirstlane_b32 s1, v1
	s_mul_i32 s0, s0, s1
	s_mul_hi_u32 s0, s1, s0
	s_add_i32 s1, s1, s0
	s_mul_hi_u32 s0, s48, s1
	s_mul_i32 s7, s0, s14
	s_sub_i32 s7, s48, s7
	s_add_i32 s1, s0, 1
	s_sub_i32 s12, s7, s14
	s_cmp_ge_u32 s7, s14
	s_cselect_b32 s0, s1, s0
	s_cselect_b32 s7, s12, s7
	s_add_i32 s1, s0, 1
	s_cmp_ge_u32 s7, s14
	s_cselect_b32 s42, s1, s0
.LBB62_22:
	s_load_dwordx2 s[28:29], s[4:5], 0xe0
	s_load_dwordx4 s[12:15], s[4:5], 0xd0
	s_load_dwordx4 s[36:39], s[4:5], 0x370
	s_waitcnt lgkmcnt(0)
	s_or_b64 s[0:1], s[42:43], s[36:37]
	s_mov_b32 s0, 0
	s_cmp_lg_u64 s[0:1], 0
	v_writelane_b32 v56, s42, 12
	v_writelane_b32 v56, s43, 13
	s_cbranch_scc0 .LBB62_25
; %bb.23:
	s_ashr_i32 s34, s37, 31
	s_add_u32 s0, s36, s34
	s_mov_b32 s35, s34
	s_addc_u32 s1, s37, s34
	s_xor_b64 s[44:45], s[0:1], s[34:35]
	v_cvt_f32_u32_e32 v1, s44
	v_cvt_f32_u32_e32 v2, s45
	s_sub_u32 s7, 0, s44
	s_subb_u32 s19, 0, s45
	s_mov_b64 s[0:1], 0
	v_madmk_f32 v1, v2, 0x4f800000, v1
	v_rcp_f32_e32 v1, v1
	v_mul_f32_e32 v1, 0x5f7ffffc, v1
	v_mul_f32_e32 v2, 0x2f800000, v1
	v_trunc_f32_e32 v2, v2
	v_madmk_f32 v1, v2, 0xcf800000, v1
	v_cvt_u32_f32_e32 v2, v2
	v_cvt_u32_f32_e32 v1, v1
	v_readfirstlane_b32 s33, v2
	v_readfirstlane_b32 s22, v1
	s_mul_i32 s23, s7, s33
	s_mul_hi_u32 s37, s7, s22
	s_mul_i32 s36, s19, s22
	s_add_i32 s23, s37, s23
	s_add_i32 s23, s23, s36
	s_mul_i32 s38, s7, s22
	s_mul_i32 s37, s22, s23
	s_mul_hi_u32 s39, s22, s38
	s_mul_hi_u32 s36, s22, s23
	s_add_u32 s37, s39, s37
	s_addc_u32 s36, 0, s36
	s_mul_hi_u32 s40, s33, s38
	s_mul_i32 s38, s33, s38
	s_add_u32 s37, s37, s38
	s_mul_hi_u32 s39, s33, s23
	s_addc_u32 s36, s36, s40
	s_addc_u32 s37, s39, 0
	s_mul_i32 s23, s33, s23
	s_add_u32 s23, s36, s23
	s_addc_u32 s36, 0, s37
	s_add_u32 s37, s22, s23
	s_cselect_b64 s[22:23], -1, 0
	s_cmp_lg_u64 s[22:23], 0
	s_addc_u32 s33, s33, s36
	s_mul_i32 s22, s7, s33
	s_mul_hi_u32 s23, s7, s37
	s_add_i32 s22, s23, s22
	s_mul_i32 s19, s19, s37
	s_add_i32 s22, s22, s19
	s_mul_i32 s7, s7, s37
	s_mul_hi_u32 s23, s33, s7
	s_mul_i32 s36, s33, s7
	s_mul_i32 s39, s37, s22
	s_mul_hi_u32 s7, s37, s7
	s_mul_hi_u32 s38, s37, s22
	s_add_u32 s7, s7, s39
	s_addc_u32 s38, 0, s38
	s_add_u32 s7, s7, s36
	s_mul_hi_u32 s19, s33, s22
	s_addc_u32 s7, s38, s23
	s_addc_u32 s19, s19, 0
	s_mul_i32 s22, s33, s22
	s_add_u32 s7, s7, s22
	s_addc_u32 s19, 0, s19
	s_add_u32 s7, s37, s7
	s_cselect_b64 s[22:23], -1, 0
	s_cmp_lg_u64 s[22:23], 0
	s_addc_u32 s19, s33, s19
	s_ashr_i32 s22, s43, 31
	s_add_u32 s36, s42, s22
	s_mov_b32 s23, s22
	s_addc_u32 s37, s43, s22
	s_xor_b64 s[36:37], s[36:37], s[22:23]
	s_mul_i32 s38, s36, s19
	s_mul_hi_u32 s39, s36, s7
	s_mul_hi_u32 s33, s36, s19
	s_add_u32 s38, s39, s38
	s_addc_u32 s33, 0, s33
	s_mul_hi_u32 s40, s37, s7
	s_mul_i32 s7, s37, s7
	s_add_u32 s7, s38, s7
	s_mul_hi_u32 s39, s37, s19
	s_addc_u32 s7, s33, s40
	s_addc_u32 s33, s39, 0
	s_mul_i32 s19, s37, s19
	s_add_u32 s7, s7, s19
	s_addc_u32 s19, 0, s33
	s_mul_i32 s33, s44, s19
	s_mul_hi_u32 s38, s44, s7
	s_add_i32 s33, s38, s33
	s_mul_i32 s38, s45, s7
	s_add_i32 s33, s33, s38
	s_sub_i32 s40, s37, s33
	s_mul_i32 s38, s44, s7
	s_sub_u32 s36, s36, s38
	s_cselect_b64 s[38:39], -1, 0
	s_cmp_lg_u64 s[38:39], 0
	s_subb_u32 s42, s40, s45
	s_sub_u32 s43, s36, s44
	s_cselect_b64 s[40:41], -1, 0
	s_cmp_lg_u64 s[40:41], 0
	s_subb_u32 s40, s42, 0
	s_cmp_ge_u32 s40, s45
	s_cselect_b32 s41, -1, 0
	s_cmp_ge_u32 s43, s44
	s_cselect_b32 s42, -1, 0
	s_cmp_eq_u32 s40, s45
	s_cselect_b32 s40, s42, s41
	s_add_u32 s41, s7, 1
	s_addc_u32 s42, s19, 0
	s_add_u32 s43, s7, 2
	s_addc_u32 s46, s19, 0
	s_cmp_lg_u32 s40, 0
	s_cselect_b32 s40, s43, s41
	s_cselect_b32 s41, s46, s42
	s_cmp_lg_u64 s[38:39], 0
	s_subb_u32 s33, s37, s33
	s_cmp_ge_u32 s33, s45
	s_cselect_b32 s37, -1, 0
	s_cmp_ge_u32 s36, s44
	s_cselect_b32 s36, -1, 0
	s_cmp_eq_u32 s33, s45
	s_cselect_b32 s33, s36, s37
	s_cmp_lg_u32 s33, 0
	s_cselect_b32 s37, s41, s19
	s_cselect_b32 s36, s40, s7
	s_xor_b64 s[22:23], s[22:23], s[34:35]
	s_xor_b64 s[34:35], s[36:37], s[22:23]
	s_sub_u32 s22, s34, s22
	s_subb_u32 s23, s35, s23
	v_writelane_b32 v56, s22, 26
	v_writelane_b32 v56, s23, 27
	s_branch .LBB62_26
.LBB62_24:
                                        ; implicit-def: $sgpr42_sgpr43
	s_branch .LBB62_21
.LBB62_25:
	s_mov_b64 s[0:1], -1
                                        ; implicit-def: $sgpr22_sgpr23
                                        ; kill: killed $sgpr22_sgpr23
.LBB62_26:
	s_load_dwordx2 s[22:23], s[4:5], 0x440
	s_load_dwordx4 s[36:39], s[4:5], 0x430
	s_andn2_b64 vcc, exec, s[0:1]
	s_load_dwordx2 s[34:35], s[4:5], 0x0
	s_waitcnt lgkmcnt(0)
	v_writelane_b32 v56, s22, 14
	v_writelane_b32 v56, s23, 15
	s_load_dwordx2 s[22:23], s[4:5], 0x2a0
	v_writelane_b32 v56, s36, 16
	v_writelane_b32 v56, s37, 17
	;; [unrolled: 1-line block ×4, first 2 shown]
	s_load_dwordx4 s[36:39], s[4:5], 0x290
	s_waitcnt lgkmcnt(0)
	v_writelane_b32 v56, s22, 20
	v_writelane_b32 v56, s23, 21
	;; [unrolled: 1-line block ×6, first 2 shown]
	s_cbranch_vccnz .LBB62_28
; %bb.27:
	s_load_dwordx4 s[36:39], s[4:5], 0x370
	v_readlane_b32 s22, v56, 12
	s_waitcnt lgkmcnt(0)
	s_mov_b32 s37, 0
	v_readlane_b32 s23, v56, 13
	v_cvt_f32_u32_e32 v1, s36
	s_sub_i32 s0, 0, s36
	v_rcp_iflag_f32_e32 v1, v1
	v_mul_f32_e32 v1, 0x4f7ffffe, v1
	v_cvt_u32_f32_e32 v1, v1
	v_readfirstlane_b32 s1, v1
	s_mul_i32 s0, s0, s1
	s_mul_hi_u32 s0, s1, s0
	s_add_i32 s1, s1, s0
	s_mul_hi_u32 s0, s22, s1
	s_mul_i32 s7, s0, s36
	s_sub_i32 s7, s22, s7
	s_add_i32 s1, s0, 1
	s_sub_i32 s19, s7, s36
	s_cmp_ge_u32 s7, s36
	s_cselect_b32 s0, s1, s0
	s_cselect_b32 s7, s19, s7
	s_add_i32 s1, s0, 1
	s_cmp_ge_u32 s7, s36
	s_cselect_b32 s36, s1, s0
	v_writelane_b32 v56, s36, 26
	v_writelane_b32 v56, s37, 27
.LBB62_28:
	s_load_dwordx2 s[0:1], s[4:5], 0x360
	s_mov_b32 s65, 0
	s_waitcnt lgkmcnt(0)
	v_writelane_b32 v56, s0, 28
	v_writelane_b32 v56, s1, 29
	s_load_dwordx2 s[0:1], s[4:5], 0x1c0
	s_waitcnt lgkmcnt(0)
	v_writelane_b32 v56, s0, 30
	v_writelane_b32 v56, s1, 31
	v_cmp_eq_u32_e64 s[0:1], 0, v0
	s_mov_b64 s[4:5], exec
	v_writelane_b32 v56, s0, 32
	v_writelane_b32 v56, s1, 33
	s_and_b64 s[0:1], s[4:5], s[0:1]
	s_mov_b64 exec, s[0:1]
	s_cbranch_execz .LBB62_30
; %bb.29:
	v_mov_b32_e32 v1, 0
	v_mov_b32_e32 v3, s24
	v_mov_b32_e32 v4, s25
	v_mov_b32_e32 v2, v1
	ds_write_b32 v1, v1 offset:5136
	ds_write_b128 v1, v[1:4] offset:5120
.LBB62_30:
	s_or_b64 exec, exec, s[4:5]
	s_mul_i32 s0, s20, s9
	s_mul_hi_u32 s1, s20, s8
	s_add_i32 s0, s1, s0
	s_mul_i32 s1, s21, s8
	s_add_i32 s0, s0, s1
	s_mul_i32 s1, s20, s8
	s_sub_u32 s4, s2, s1
	s_subb_u32 s0, s3, s0
	s_mul_i32 s1, s4, s15
	s_mul_hi_u32 s5, s4, s14
	s_add_i32 s1, s5, s1
	s_mul_i32 s0, s0, s14
	s_add_i32 s1, s1, s0
	s_mul_i32 s0, s4, s14
	s_mul_i32 s4, s20, s13
	s_mul_hi_u32 s5, s20, s12
	s_mul_i32 s7, s2, s11
	s_mul_hi_u32 s8, s2, s10
	s_add_i32 s4, s5, s4
	s_mul_i32 s5, s21, s12
	s_add_i32 s7, s8, s7
	s_mul_i32 s3, s3, s10
	s_add_i32 s5, s4, s5
	s_add_i32 s7, s7, s3
	s_mul_i32 s2, s2, s10
	s_mov_b32 s8, s48
	v_writelane_b32 v56, s8, 34
	s_sub_u32 s2, s48, s2
	v_writelane_b32 v56, s9, 35
	s_subb_u32 s3, 0, s7
	s_mul_i32 s7, s2, s29
	s_mul_hi_u32 s8, s2, s28
	s_mul_i32 s4, s20, s12
	s_add_i32 s7, s8, s7
	s_mul_i32 s3, s3, s28
	s_add_i32 s3, s7, s3
	s_lshl_b64 s[4:5], s[4:5], 1
	s_add_u32 s7, s34, s4
	s_addc_u32 s10, s35, s5
	s_lshl_b64 s[8:9], s[0:1], 1
	s_mul_i32 s2, s2, s28
	s_add_u32 s0, s7, s8
	s_addc_u32 s1, s10, s9
	s_lshl_b64 s[10:11], s[2:3], 1
	s_add_u32 s66, s0, s10
	s_addc_u32 s67, s1, s11
	v_mad_u64_u32 v[4:5], s[0:1], s30, v0, 0
	v_mbcnt_lo_u32_b32 v1, -1, 0
	v_mbcnt_hi_u32_b32 v32, -1, v1
	v_mov_b32_e32 v1, v5
	v_mad_u64_u32 v[1:2], s[0:1], s31, v0, v[1:2]
	v_mov_b32_e32 v5, 0x600
	v_mov_b32_e32 v6, 0
	v_cmp_gt_i64_e64 s[0:1], s[24:25], v[5:6]
	v_mov_b32_e32 v5, v1
	v_writelane_b32 v56, s0, 36
	v_lshlrev_b64 v[6:7], 1, v[4:5]
	s_waitcnt lgkmcnt(0)
	s_barrier
	v_cmp_gt_u32_e32 vcc, 64, v0
	v_cmp_gt_i32_e64 s[2:3], 4, v32
	v_writelane_b32 v56, s1, 37
	v_lshlrev_b64 v[1:2], v32, -1
	s_load_dword s0, s[16:17], 0xc
	s_and_b64 s[70:71], vcc, s[2:3]
	v_mov_b32_e32 v8, s67
	v_add_co_u32_e32 v14, vcc, s66, v6
	v_mov_b32_e32 v3, 0
	v_addc_co_u32_e32 v15, vcc, v8, v7, vcc
	v_not_b32_e32 v33, v2
	v_add_u32_e32 v2, 2, v0
	v_cmp_gt_i64_e32 vcc, s[24:25], v[2:3]
	v_not_b32_e32 v34, v1
	v_mov_b32_e32 v1, s25
	s_waitcnt lgkmcnt(0)
	s_and_b32 s23, s0, 0xffff
	s_bfe_u32 s0, s0, 0xa0006
	v_cndmask_b32_e32 v8, 0, v1, vcc
	v_mov_b32_e32 v1, s24
	s_cmp_gt_u32 s23, 63
	v_cndmask_b32_e32 v1, v2, v1, vcc
	v_not_b32_e32 v2, v0
	s_cselect_b64 s[2:3], -1, 0
	s_add_u32 s83, s23, -1
	v_add_co_u32_e32 v1, vcc, v1, v2
	v_writelane_b32 v56, s2, 38
	s_addc_u32 s1, 0, -1
	v_addc_co_u32_e32 v2, vcc, -1, v8, vcc
	v_writelane_b32 v56, s3, 39
	s_add_u32 s33, s83, s24
	v_cmp_lt_u64_e64 s[2:3], 1, v[1:2]
	v_writelane_b32 v56, s1, 40
	s_addc_u32 s75, s1, s25
	s_cmp_lt_u32 s6, s18
	v_writelane_b32 v56, s2, 41
	v_and_b32_e32 v16, -2, v1
	v_mov_b32_e32 v17, v2
	s_cselect_b32 s1, 12, 18
	v_writelane_b32 v56, s3, 42
	v_cmp_ne_u64_e64 s[2:3], v[1:2], v[16:17]
	s_add_u32 s76, s16, s1
	s_addc_u32 s77, s17, 0
	v_writelane_b32 v56, s2, 43
	s_add_i32 s1, s0, -1
	v_writelane_b32 v56, s3, 44
	s_bfe_u32 s2, s23, 0x30006
	s_and_b32 s1, s1, 0xffff
	s_cmp_gt_u32 s1, 6
	s_cselect_b64 s[6:7], -1, 0
	v_writelane_b32 v56, s6, 45
	s_and_b32 s22, s0, 0x3f8
	v_writelane_b32 v56, s7, 46
	s_cmp_lg_u32 s2, 0
	v_writelane_b32 v56, s2, 47
	s_cselect_b64 s[0:1], -1, 0
	v_lshlrev_b32_e32 v35, 3, v0
	v_writelane_b32 v56, s0, 48
	v_or_b32_e32 v2, 6, v35
	v_writelane_b32 v56, s1, 49
	v_mad_u64_u32 v[18:19], s[0:1], s30, v2, 0
	s_add_u32 s2, s4, s10
	s_addc_u32 s0, s5, s11
	s_add_u32 s2, s2, s8
	v_mov_b32_e32 v1, v19
	s_addc_u32 s3, s0, s9
	v_mad_u64_u32 v[1:2], s[0:1], s31, v2, v[1:2]
	v_or_b32_e32 v2, 4, v35
	v_mad_u64_u32 v[19:20], s[0:1], s30, v2, 0
	v_mov_b32_e32 v36, v1
	v_or_b32_e32 v8, 2, v35
	v_mov_b32_e32 v1, v20
	v_mad_u64_u32 v[1:2], s[0:1], s31, v2, v[1:2]
	v_mad_u64_u32 v[20:21], s[0:1], s30, v8, 0
	s_add_u32 s2, s34, s2
	s_addc_u32 s3, s35, s3
	v_mov_b32_e32 v2, s3
	v_writelane_b32 v56, s2, 50
	v_add_co_u32_e32 v12, vcc, s2, v6
	v_mov_b32_e32 v37, v1
	v_mov_b32_e32 v1, v21
	v_addc_co_u32_e32 v13, vcc, v2, v7, vcc
	v_mad_u64_u32 v[6:7], s[0:1], s31, v8, v[1:2]
	v_lshlrev_b32_e32 v2, 2, v32
	v_mov_b32_e32 v1, v3
	v_and_b32_e32 v39, 0x100, v2
	v_lshrrev_b32_e32 v2, 1, v0
	v_cmp_gt_i64_e64 s[0:1], s[24:25], v[0:1]
	v_and_b32_e32 v2, 0x1e0, v2
	v_writelane_b32 v56, s3, 51
	v_or_b32_e32 v40, 0xc00, v2
	v_mov_b32_e32 v2, s25
	v_add_co_u32_e32 v41, vcc, s24, v0
	s_mul_i32 s2, s31, s23
	s_mul_hi_u32 s3, s30, s23
	v_writelane_b32 v56, s0, 52
	v_lshlrev_b64 v[23:24], 3, v[4:5]
	v_addc_co_u32_e32 v42, vcc, 0, v2, vcc
	v_mov_b32_e32 v2, 0xc00
	s_add_i32 s3, s3, s2
	s_mul_i32 s2, s30, s23
	v_lshlrev_b32_e32 v45, 1, v0
	v_mov_b32_e32 v26, s26
	v_cmp_eq_u32_e64 s[10:11], 0, v32
	v_cmp_gt_u32_e64 s[12:13], 2, v0
	v_writelane_b32 v56, s1, 53
	v_mov_b32_e32 v38, v6
	v_lshlrev_b32_e32 v21, 2, v0
	v_mov_b32_e32 v22, v3
	s_mov_b32 s0, s30
	s_mov_b32 s1, s31
	s_lshl_b64 s[84:85], s[30:31], 1
	s_lshl_b64 s[86:87], s[30:31], 3
	v_lshl_or_b32 v43, v32, 3, v2
	s_lshl_b64 s[68:69], s[2:3], 1
	s_lshl_b32 s2, s23, 1
	s_mov_b32 s72, 14
	s_mov_b64 s[88:89], 0
	s_movk_i32 s3, 0x3c00
	s_mov_b32 s73, 0
	v_add_u32_e32 v46, 0xc00, v45
	v_mov_b32_e32 v47, 0xffff
	v_mov_b32_e32 v48, 0x8000
	v_mov_b32_e32 v49, -1
	v_mov_b32_e32 v50, 0x5040100
	v_mov_b32_e32 v52, 0
	;; [unrolled: 1-line block ×4, first 2 shown]
	v_add_co_u32_e32 v25, vcc, v16, v0
	v_mov_b32_e32 v27, s27
                                        ; implicit-def: $sgpr90_sgpr91
                                        ; implicit-def: $sgpr94_sgpr95
                                        ; implicit-def: $sgpr92_sgpr93
                                        ; implicit-def: $sgpr60_sgpr61
                                        ; implicit-def: $sgpr56_sgpr57
                                        ; implicit-def: $sgpr58_sgpr59
	s_branch .LBB62_34
.LBB62_31:                              ;   in Loop: Header=BB62_34 Depth=1
	s_or_b64 exec, exec, s[16:17]
	s_and_b64 s[6:7], s[6:7], exec
	s_andn2_b64 s[44:45], s[44:45], exec
	s_andn2_b64 s[14:15], s[14:15], exec
	s_orn2_b64 s[20:21], s[8:9], exec
.LBB62_32:                              ;   in Loop: Header=BB62_34 Depth=1
	s_or_b64 exec, exec, s[4:5]
	s_andn2_b64 s[4:5], s[58:59], exec
	s_and_b64 s[6:7], s[6:7], exec
	s_or_b64 s[58:59], s[4:5], s[6:7]
	s_andn2_b64 s[4:5], s[56:57], exec
	s_and_b64 s[6:7], s[44:45], exec
	s_or_b64 s[56:57], s[4:5], s[6:7]
	;; [unrolled: 3-line block ×3, first 2 shown]
	s_orn2_b64 s[4:5], s[20:21], exec
.LBB62_33:                              ;   in Loop: Header=BB62_34 Depth=1
	s_or_b64 exec, exec, s[18:19]
	s_and_b64 s[4:5], exec, s[4:5]
	s_or_b64 s[88:89], s[4:5], s[88:89]
	s_andn2_b64 s[4:5], s[92:93], exec
	s_and_b64 s[6:7], s[58:59], exec
	s_or_b64 s[92:93], s[4:5], s[6:7]
	s_andn2_b64 s[4:5], s[94:95], exec
	s_and_b64 s[6:7], s[56:57], exec
	;; [unrolled: 3-line block ×3, first 2 shown]
	v_mov_b32_e32 v27, v9
	s_or_b64 s[90:91], s[4:5], s[6:7]
	v_mov_b32_e32 v26, v8
	s_andn2_b64 exec, exec, s[88:89]
	s_cbranch_execz .LBB62_305
.LBB62_34:                              ; =>This Loop Header: Depth=1
                                        ;     Child Loop BB62_39 Depth 2
                                        ;     Child Loop BB62_53 Depth 2
	;; [unrolled: 1-line block ×17, first 2 shown]
	ds_read_b128 v[4:7], v3 offset:5120
	s_waitcnt lgkmcnt(0)
	v_readfirstlane_b32 s27, v5
	v_readfirstlane_b32 s26, v4
	v_cmp_gt_i64_e64 s[4:5], s[26:27], 0
	s_and_b64 vcc, exec, s[4:5]
	s_cbranch_vccnz .LBB62_66
; %bb.35:                               ;   in Loop: Header=BB62_34 Depth=1
	v_readlane_b32 s4, v56, 36
	v_readlane_b32 s5, v56, 37
	s_and_b64 vcc, exec, s[4:5]
	s_cbranch_vccz .LBB62_47
; %bb.36:                               ;   in Loop: Header=BB62_34 Depth=1
	s_mov_b64 s[4:5], 0x601
	v_cmp_gt_i64_e32 vcc, s[4:5], v[6:7]
	s_mov_b64 s[4:5], 0
	s_mov_b64 s[6:7], 0
	s_cbranch_vccz .LBB62_48
; %bb.37:                               ;   in Loop: Header=BB62_34 Depth=1
	global_load_ushort v8, v[14:15], off
	global_load_ushort v6, v3, s[76:77]
	s_waitcnt vmcnt(0)
	v_and_b32_e32 v2, 0xffff, v6
	v_add_co_u32_e32 v7, vcc, v0, v2
	v_addc_co_u32_e64 v4, s[6:7], 0, 0, vcc
	v_readlane_b32 s6, v56, 50
	v_mul_lo_u32 v9, s84, v4
	v_readlane_b32 s7, v56, 51
	v_mov_b32_e32 v4, s6
	v_mov_b32_e32 v5, s7
	v_mul_lo_u32 v10, s85, v7
	v_mad_u64_u32 v[4:5], s[6:7], s84, v7, v[4:5]
	v_readfirstlane_b32 s6, v6
	s_and_b32 s6, 0xffff, s6
	s_mul_i32 s7, s85, s6
	s_mul_hi_u32 s8, s84, s6
	v_mov_b32_e32 v7, v1
	v_add3_u32 v5, v10, v5, v9
	s_add_i32 s27, s8, s7
	s_mul_i32 s28, s84, s6
	s_mov_b64 s[6:7], 0
	v_mov_b32_e32 v6, v0
	s_branch .LBB62_39
.LBB62_38:                              ;   in Loop: Header=BB62_39 Depth=2
	s_or_b64 exec, exec, s[8:9]
	v_mov_b32_e32 v8, s27
	v_add_co_u32_e32 v4, vcc, s28, v4
	v_addc_co_u32_e32 v5, vcc, v5, v8, vcc
	s_waitcnt vmcnt(0)
	v_mov_b32_e32 v8, v9
	s_andn2_b64 exec, exec, s[6:7]
	s_cbranch_execz .LBB62_100
.LBB62_39:                              ;   Parent Loop BB62_34 Depth=1
                                        ; =>  This Inner Loop Header: Depth=2
	v_add_co_u32_e32 v6, vcc, v6, v2
	v_addc_co_u32_e32 v7, vcc, 0, v7, vcc
	v_cmp_gt_i64_e64 s[14:15], s[24:25], v[6:7]
	v_cmp_le_i64_e32 vcc, s[24:25], v[6:7]
	s_waitcnt lgkmcnt(0)
	v_mov_b32_e32 v10, 0
	v_mov_b32_e32 v9, 0
	s_and_saveexec_b64 s[8:9], s[14:15]
	s_cbranch_execz .LBB62_41
; %bb.40:                               ;   in Loop: Header=BB62_39 Depth=2
	global_load_ushort v9, v[4:5], off
.LBB62_41:                              ;   in Loop: Header=BB62_39 Depth=2
	s_or_b64 exec, exec, s[8:9]
	v_cmp_lt_i16_e64 s[14:15], -1, v8
	v_cndmask_b32_e64 v11, v47, v48, s[14:15]
	v_xor_b32_sdwa v11, v11, v8 dst_sel:DWORD dst_unused:UNUSED_PAD src0_sel:DWORD src1_sel:WORD_0
	v_cmp_o_f16_e64 s[14:15], v8, v8
	v_cndmask_b32_e64 v11, v47, v11, s[14:15]
	v_and_b32_e32 v11, v11, v51
	v_cmp_eq_u32_e64 s[14:15], v11, v44
	s_cmp_lg_u64 s[14:15], 0
	s_cselect_b64 s[8:9], -1, 0
	s_and_b64 s[16:17], s[10:11], s[8:9]
	s_and_saveexec_b64 s[8:9], s[16:17]
	s_cbranch_execz .LBB62_45
; %bb.42:                               ;   in Loop: Header=BB62_39 Depth=2
	s_mov_b64 s[20:21], exec
	v_mbcnt_lo_u32_b32 v10, s20, 0
	v_mbcnt_hi_u32_b32 v10, s21, v10
	s_bcnt1_i32_b64 s29, s[14:15]
	v_cmp_eq_u32_e64 s[16:17], 0, v10
                                        ; implicit-def: $vgpr11
	s_and_saveexec_b64 s[18:19], s[16:17]
; %bb.43:                               ;   in Loop: Header=BB62_39 Depth=2
	s_bcnt1_i32_b64 s16, s[20:21]
	s_mul_i32 s16, s29, s16
	v_mov_b32_e32 v11, s16
	ds_add_rtn_u32 v11, v3, v11 offset:5136
; %bb.44:                               ;   in Loop: Header=BB62_39 Depth=2
	s_or_b64 exec, exec, s[18:19]
	s_waitcnt lgkmcnt(0)
	v_readfirstlane_b32 s16, v11
	v_mov_b32_e32 v11, s16
	v_mad_u32_u24 v10, s29, v10, v11
.LBB62_45:                              ;   in Loop: Header=BB62_39 Depth=2
	s_or_b64 exec, exec, s[8:9]
	ds_bpermute_b32 v10, v39, v10
	s_and_b64 s[8:9], exec, vcc
	s_or_b64 s[6:7], s[8:9], s[6:7]
	s_and_saveexec_b64 s[8:9], s[14:15]
	s_cbranch_execz .LBB62_38
; %bb.46:                               ;   in Loop: Header=BB62_39 Depth=2
	v_and_b32_e32 v28, s14, v34
	v_and_b32_e32 v11, s15, v33
	v_bcnt_u32_b32 v28, v28, 0
	v_bcnt_u32_b32 v11, v11, v28
	v_lshlrev_b32_e32 v11, 1, v11
	s_waitcnt lgkmcnt(0)
	v_lshl_add_u32 v10, v10, 1, v11
	ds_write_b16 v10, v8
	s_branch .LBB62_38
.LBB62_47:                              ;   in Loop: Header=BB62_34 Depth=1
	s_mov_b64 s[4:5], -1
	s_mov_b64 s[6:7], 0
.LBB62_48:                              ;   in Loop: Header=BB62_34 Depth=1
	s_and_b64 vcc, exec, s[4:5]
	s_cbranch_vccz .LBB62_64
.LBB62_49:                              ;   in Loop: Header=BB62_34 Depth=1
	s_mov_b64 s[4:5], exec
	v_readlane_b32 s6, v56, 52
	v_readlane_b32 s7, v56, 53
	s_and_b64 s[6:7], s[4:5], s[6:7]
	s_mov_b64 exec, s[6:7]
	s_cbranch_execz .LBB62_61
; %bb.50:                               ;   in Loop: Header=BB62_34 Depth=1
	global_load_ushort v2, v3, s[76:77]
	global_load_ushort v11, v[14:15], off
	v_mov_b32_e32 v6, v0
	s_waitcnt vmcnt(1)
	v_readfirstlane_b32 s8, v2
	v_add_u32_sdwa v2, v2, v0 dst_sel:DWORD dst_unused:UNUSED_PAD src0_sel:WORD_0 src1_sel:DWORD
	v_cmp_gt_i64_e32 vcc, s[24:25], v[2:3]
	s_and_saveexec_b64 s[6:7], vcc
	s_cbranch_execz .LBB62_60
; %bb.51:                               ;   in Loop: Header=BB62_34 Depth=1
	s_and_b32 s18, s8, 0xffff
	s_cmp_eq_u32 s18, 1
	v_readlane_b32 s14, v56, 41
                                        ; implicit-def: $vgpr6_vgpr7
	s_cselect_b64 s[8:9], -1, 0
	v_readlane_b32 s15, v56, 42
	v_mov_b32_e32 v8, v1
	v_mov_b32_e32 v5, v3
	s_and_b64 s[8:9], s[14:15], s[8:9]
	s_mov_b64 s[16:17], -1
	v_mov_b32_e32 v7, v0
	v_mov_b32_e32 v4, v2
	s_and_saveexec_b64 s[14:15], s[8:9]
	s_cbranch_execz .LBB62_55
; %bb.52:                               ;   in Loop: Header=BB62_34 Depth=1
	v_add_co_u32_e32 v4, vcc, 1, v2
	v_addc_co_u32_e64 v5, s[8:9], 0, 0, vcc
	v_mov_b32_e32 v8, v16
	v_mov_b32_e32 v7, v5
	s_waitcnt vmcnt(0)
	v_lshlrev_b32_e32 v28, 16, v11
	s_mov_b64 s[16:17], 0
	v_mov_b32_e32 v9, v17
	v_mov_b32_e32 v10, v45
	;; [unrolled: 1-line block ×5, first 2 shown]
.LBB62_53:                              ;   Parent Loop BB62_34 Depth=1
                                        ; =>  This Inner Loop Header: Depth=2
	v_mul_lo_u32 v11, v7, s30
	v_mul_lo_u32 v31, v6, s31
	v_mad_u64_u32 v[29:30], s[8:9], v6, s30, 0
	v_mad_u64_u32 v[53:54], s[8:9], v4, s0, 0
	v_add3_u32 v30, v30, v31, v11
	v_mul_lo_u32 v11, v5, s0
	v_mul_lo_u32 v31, v4, s1
	v_lshlrev_b64 v[29:30], 1, v[29:30]
	s_mov_b32 s8, 0x5040100
	v_add3_u32 v54, v54, v31, v11
	v_lshlrev_b64 v[53:54], 1, v[53:54]
	v_mov_b32_e32 v11, s67
	v_add_co_u32_e32 v53, vcc, s66, v53
	v_addc_co_u32_e32 v54, vcc, v11, v54, vcc
	v_add_co_u32_e32 v29, vcc, s66, v29
	v_addc_co_u32_e32 v30, vcc, v11, v30, vcc
	global_load_ushort v31, v[53:54], off
	global_load_ushort v11, v[29:30], off
	v_add_co_u32_e32 v6, vcc, 2, v6
	v_addc_co_u32_e32 v7, vcc, 0, v7, vcc
	v_add_co_u32_e32 v4, vcc, 2, v4
	v_addc_co_u32_e32 v5, vcc, 0, v5, vcc
	v_add_co_u32_e32 v8, vcc, -2, v8
	v_addc_co_u32_e32 v9, vcc, -1, v9, vcc
	v_cmp_eq_u64_e32 vcc, 0, v[8:9]
	s_or_b64 s[16:17], vcc, s[16:17]
	s_waitcnt vmcnt(1)
	v_alignbit_b32 v28, v31, v28, 16
	s_waitcnt vmcnt(0)
	v_perm_b32 v29, v11, v31, s8
	ds_write_b32 v10, v28
	v_add_u32_e32 v10, 4, v10
	v_mov_b32_e32 v28, v29
	s_andn2_b64 exec, exec, s[16:17]
	s_cbranch_execnz .LBB62_53
; %bb.54:                               ;   in Loop: Header=BB62_34 Depth=1
	s_or_b64 exec, exec, s[16:17]
	v_readlane_b32 s8, v56, 43
	v_add_co_u32_e32 v4, vcc, v2, v16
	v_readlane_b32 s9, v56, 44
	v_addc_co_u32_e32 v5, vcc, 0, v17, vcc
	v_add_co_u32_e32 v6, vcc, -1, v4
	s_orn2_b64 s[16:17], s[8:9], exec
	v_mov_b32_e32 v7, v25
	v_mov_b32_e32 v8, v26
.LBB62_55:                              ;   in Loop: Header=BB62_34 Depth=1
	s_or_b64 exec, exec, s[14:15]
	s_and_saveexec_b64 s[8:9], s[16:17]
	s_cbranch_execz .LBB62_59
; %bb.56:                               ;   in Loop: Header=BB62_34 Depth=1
	v_readlane_b32 s14, v56, 50
	v_readlane_b32 s15, v56, 51
	v_mov_b32_e32 v8, s14
	v_mov_b32_e32 v9, s15
	v_mad_u64_u32 v[9:10], s[14:15], s84, v4, v[8:9]
	v_mul_lo_u32 v2, s84, v5
	v_mul_lo_u32 v6, s85, v4
	s_mul_i32 s14, s85, s18
	s_mul_hi_u32 s15, s84, s18
	s_mov_b64 s[16:17], 0
	s_sub_u32 s19, 0, s18
	v_add3_u32 v10, v6, v10, v2
	s_add_i32 s20, s15, s14
.LBB62_57:                              ;   Parent Loop BB62_34 Depth=1
                                        ; =>  This Inner Loop Header: Depth=2
	s_waitcnt vmcnt(0)
	v_mov_b32_e32 v2, v11
	global_load_ushort v11, v[9:10], off
	v_mov_b32_e32 v29, v5
	v_mov_b32_e32 v28, v4
	v_lshlrev_b32_e32 v4, 1, v7
	ds_write_b16 v4, v2
	v_add_co_u32_e32 v4, vcc, s18, v28
	v_addc_co_u32_e32 v5, vcc, 0, v29, vcc
	s_mul_i32 s14, s84, s18
	v_mov_b32_e32 v2, s20
	v_add_co_u32_e32 v9, vcc, s14, v9
	v_addc_co_u32_e32 v10, vcc, v10, v2, vcc
	v_cmp_le_i64_e32 vcc, s[24:25], v[4:5]
	v_add_co_u32_e64 v6, s[14:15], s19, v4
	s_or_b64 s[16:17], vcc, s[16:17]
	v_mov_b32_e32 v7, v28
	v_mov_b32_e32 v8, v29
	s_andn2_b64 exec, exec, s[16:17]
	s_cbranch_execnz .LBB62_57
; %bb.58:                               ;   in Loop: Header=BB62_34 Depth=1
	s_or_b64 exec, exec, s[16:17]
.LBB62_59:                              ;   in Loop: Header=BB62_34 Depth=1
	s_or_b64 exec, exec, s[8:9]
.LBB62_60:                              ;   in Loop: Header=BB62_34 Depth=1
	s_or_b64 exec, exec, s[6:7]
	v_lshlrev_b32_e32 v2, 1, v6
	s_waitcnt vmcnt(0)
	ds_write_b16 v2, v11
.LBB62_61:                              ;   in Loop: Header=BB62_34 Depth=1
	s_or_b64 exec, exec, s[4:5]
	s_waitcnt lgkmcnt(0)
	s_barrier
	s_mov_b64 s[4:5], exec
	v_readlane_b32 s6, v56, 32
	v_readlane_b32 s7, v56, 33
	s_and_b64 s[6:7], s[4:5], s[6:7]
	s_mov_b64 exec, s[6:7]
; %bb.62:                               ;   in Loop: Header=BB62_34 Depth=1
	v_mov_b32_e32 v4, s24
	v_mov_b32_e32 v5, s25
	ds_write_b64 v3, v[4:5] offset:5120
; %bb.63:                               ;   in Loop: Header=BB62_34 Depth=1
	s_or_b64 exec, exec, s[4:5]
	s_mov_b64 s[6:7], -1
	s_waitcnt lgkmcnt(0)
	s_barrier
.LBB62_64:                              ;   in Loop: Header=BB62_34 Depth=1
	s_and_b64 vcc, exec, s[6:7]
	s_cbranch_vccz .LBB62_66
; %bb.65:                               ;   in Loop: Header=BB62_34 Depth=1
	ds_read_b64 v[4:5], v3 offset:5120
	s_waitcnt lgkmcnt(0)
	v_readfirstlane_b32 s26, v4
.LBB62_66:                              ;   in Loop: Header=BB62_34 Depth=1
	s_cmp_lt_i32 s26, 1
	s_mov_b64 s[4:5], -1
                                        ; implicit-def: $vgpr4_vgpr5
                                        ; implicit-def: $vgpr8_vgpr9
	s_cbranch_scc1 .LBB62_76
; %bb.67:                               ;   in Loop: Header=BB62_34 Depth=1
	s_and_b64 vcc, exec, s[4:5]
	s_cbranch_vccnz .LBB62_90
.LBB62_68:                              ;   in Loop: Header=BB62_34 Depth=1
	s_lshl_b32 s6, s73, 6
	s_and_saveexec_b64 s[4:5], s[10:11]
	s_cbranch_execz .LBB62_70
.LBB62_69:                              ;   in Loop: Header=BB62_34 Depth=1
	v_lshl_add_u32 v2, s6, 3, v40
	ds_write_b128 v2, v[4:7]
	ds_write_b128 v2, v[8:11] offset:16
.LBB62_70:                              ;   in Loop: Header=BB62_34 Depth=1
	s_or_b64 exec, exec, s[4:5]
	s_waitcnt lgkmcnt(0)
	s_barrier
	s_and_saveexec_b64 s[4:5], s[70:71]
	s_cbranch_execz .LBB62_108
; %bb.71:                               ;   in Loop: Header=BB62_34 Depth=1
	v_readlane_b32 s8, v56, 38
	v_mov_b32_e32 v4, 0
	v_readlane_b32 s9, v56, 39
	v_mov_b32_e32 v5, 0
	s_andn2_b64 vcc, exec, s[8:9]
	s_cbranch_vccnz .LBB62_107
; %bb.72:                               ;   in Loop: Header=BB62_34 Depth=1
	v_readlane_b32 s8, v56, 45
	v_readlane_b32 s9, v56, 46
	s_andn2_b64 vcc, exec, s[8:9]
	s_cbranch_vccnz .LBB62_103
; %bb.73:                               ;   in Loop: Header=BB62_34 Depth=1
	v_mov_b32_e32 v4, 0
	v_lshl_add_u32 v2, s73, 9, v43
	v_mov_b32_e32 v5, 0
	s_mov_b32 s7, 0
.LBB62_74:                              ;   Parent Loop BB62_34 Depth=1
                                        ; =>  This Inner Loop Header: Depth=2
	ds_read2_b64 v[6:9], v2 offset1:4
	s_add_i32 s7, s7, 8
	s_cmp_eq_u32 s22, s7
	s_waitcnt lgkmcnt(0)
	v_add_co_u32_e32 v4, vcc, v6, v4
	v_addc_co_u32_e32 v5, vcc, v7, v5, vcc
	v_add_co_u32_e32 v8, vcc, v8, v4
	v_addc_co_u32_e32 v9, vcc, v9, v5, vcc
	ds_read2_b64 v[4:7], v2 offset0:8 offset1:12
	s_waitcnt lgkmcnt(0)
	v_add_co_u32_e32 v4, vcc, v4, v8
	v_addc_co_u32_e32 v5, vcc, v5, v9, vcc
	v_add_co_u32_e32 v8, vcc, v6, v4
	v_addc_co_u32_e32 v9, vcc, v7, v5, vcc
	ds_read2_b64 v[4:7], v2 offset0:16 offset1:20
	s_waitcnt lgkmcnt(0)
	v_add_co_u32_e32 v4, vcc, v4, v8
	v_addc_co_u32_e32 v5, vcc, v5, v9, vcc
	v_add_co_u32_e32 v8, vcc, v6, v4
	v_addc_co_u32_e32 v9, vcc, v7, v5, vcc
	ds_read2_b64 v[4:7], v2 offset0:24 offset1:28
	v_add_u32_e32 v2, 0x100, v2
	s_waitcnt lgkmcnt(0)
	v_add_co_u32_e32 v4, vcc, v4, v8
	v_addc_co_u32_e32 v5, vcc, v5, v9, vcc
	v_add_co_u32_e32 v4, vcc, v6, v4
	v_addc_co_u32_e32 v5, vcc, v7, v5, vcc
	s_cbranch_scc0 .LBB62_74
; %bb.75:                               ;   in Loop: Header=BB62_34 Depth=1
	s_mov_b32 s7, s22
	s_branch .LBB62_104
.LBB62_76:                              ;   in Loop: Header=BB62_34 Depth=1
	global_load_ushort v2, v3, s[76:77]
	s_mov_b32 s4, s65
	s_waitcnt vmcnt(0)
	v_readfirstlane_b32 s5, v2
	s_and_b32 s27, s5, 0xffff
	s_lshl_b32 s8, s27, 2
	s_mov_b32 s5, s25
	s_cmp_lg_u64 s[4:5], 0
	s_cbranch_scc0 .LBB62_99
; %bb.77:                               ;   in Loop: Header=BB62_34 Depth=1
	s_add_u32 s4, s8, 0
	s_addc_u32 s5, 0, 0
	s_xor_b64 s[4:5], s[4:5], 0
	v_cvt_f32_u32_e32 v2, s4
	v_cvt_f32_u32_e32 v4, s5
	s_sub_u32 s9, 0, s4
	s_subb_u32 s14, 0, s5
	v_mac_f32_e32 v2, 0x4f800000, v4
	v_rcp_f32_e32 v2, v2
	v_mul_f32_e32 v2, 0x5f7ffffc, v2
	v_mul_f32_e32 v4, 0x2f800000, v2
	v_trunc_f32_e32 v4, v4
	v_mac_f32_e32 v2, 0xcf800000, v4
	v_cvt_u32_f32_e32 v4, v4
	v_cvt_u32_f32_e32 v2, v2
	v_readfirstlane_b32 s15, v4
	v_readfirstlane_b32 s6, v2
	s_mul_i32 s7, s9, s15
	s_mul_hi_u32 s17, s9, s6
	s_mul_i32 s16, s14, s6
	s_add_i32 s7, s17, s7
	s_mul_i32 s18, s9, s6
	s_add_i32 s7, s7, s16
	s_mul_i32 s17, s6, s7
	s_mul_hi_u32 s19, s6, s18
	s_mul_hi_u32 s16, s6, s7
	s_add_u32 s17, s19, s17
	s_addc_u32 s16, 0, s16
	s_mul_hi_u32 s20, s15, s18
	s_mul_i32 s18, s15, s18
	s_add_u32 s17, s17, s18
	s_mul_hi_u32 s19, s15, s7
	s_addc_u32 s16, s16, s20
	s_addc_u32 s17, s19, 0
	s_mul_i32 s7, s15, s7
	s_add_u32 s7, s16, s7
	s_addc_u32 s16, 0, s17
	s_add_u32 s17, s6, s7
	s_cselect_b64 s[6:7], -1, 0
	s_cmp_lg_u64 s[6:7], 0
	s_addc_u32 s15, s15, s16
	s_mul_i32 s6, s9, s15
	s_mul_hi_u32 s7, s9, s17
	s_add_i32 s6, s7, s6
	s_mul_i32 s14, s14, s17
	s_add_i32 s6, s6, s14
	s_mul_i32 s9, s9, s17
	s_mul_hi_u32 s14, s15, s9
	s_mul_i32 s16, s15, s9
	s_mul_i32 s19, s17, s6
	s_mul_hi_u32 s9, s17, s9
	s_mul_hi_u32 s18, s17, s6
	s_add_u32 s9, s9, s19
	s_addc_u32 s18, 0, s18
	s_add_u32 s9, s9, s16
	s_mul_hi_u32 s7, s15, s6
	s_addc_u32 s9, s18, s14
	s_addc_u32 s7, s7, 0
	s_mul_i32 s6, s15, s6
	s_add_u32 s6, s9, s6
	s_addc_u32 s9, 0, s7
	s_add_u32 s16, s17, s6
	s_cselect_b64 s[6:7], -1, 0
	s_cmp_lg_u64 s[6:7], 0
	s_addc_u32 s9, s15, s9
	s_ashr_i32 s6, s25, 31
	s_add_u32 s14, s24, s6
	s_mov_b32 s7, s6
	s_addc_u32 s15, s25, s6
	s_xor_b64 s[14:15], s[14:15], s[6:7]
	s_mul_i32 s18, s14, s9
	s_mul_hi_u32 s19, s14, s16
	s_mul_hi_u32 s17, s14, s9
	s_add_u32 s18, s19, s18
	s_addc_u32 s17, 0, s17
	s_mul_hi_u32 s20, s15, s16
	s_mul_i32 s16, s15, s16
	s_add_u32 s16, s18, s16
	s_mul_hi_u32 s19, s15, s9
	s_addc_u32 s16, s17, s20
	s_addc_u32 s17, s19, 0
	s_mul_i32 s9, s15, s9
	s_add_u32 s9, s16, s9
	s_addc_u32 s16, 0, s17
	s_mul_i32 s16, s4, s16
	s_mul_hi_u32 s17, s4, s9
	s_add_i32 s16, s17, s16
	s_mul_i32 s17, s5, s9
	s_add_i32 s20, s16, s17
	s_sub_i32 s18, s15, s20
	s_mul_i32 s9, s4, s9
	s_sub_u32 s9, s14, s9
	s_cselect_b64 s[16:17], -1, 0
	s_cmp_lg_u64 s[16:17], 0
	s_subb_u32 s14, s18, s5
	s_sub_u32 s21, s9, s4
	s_cselect_b64 s[18:19], -1, 0
	s_cmp_lg_u64 s[18:19], 0
	s_subb_u32 s28, s14, 0
	s_cmp_ge_u32 s28, s5
	s_cselect_b32 s29, -1, 0
	s_cmp_ge_u32 s21, s4
	s_cselect_b32 s34, -1, 0
	s_cmp_eq_u32 s28, s5
	s_cselect_b32 s29, s34, s29
	s_cmp_lg_u64 s[18:19], 0
	s_subb_u32 s14, s14, s5
	s_sub_u32 s34, s21, s4
	s_cselect_b64 s[18:19], -1, 0
	s_cmp_lg_u64 s[18:19], 0
	s_subb_u32 s14, s14, 0
	s_cmp_lg_u32 s29, 0
	s_cselect_b32 s18, s34, s21
	s_cselect_b32 s14, s14, s28
	s_cmp_lg_u64 s[16:17], 0
	s_subb_u32 s15, s15, s20
	s_cmp_ge_u32 s15, s5
	s_cselect_b32 s16, -1, 0
	s_cmp_ge_u32 s9, s4
	s_cselect_b32 s4, -1, 0
	s_cmp_eq_u32 s15, s5
	s_cselect_b32 s4, s4, s16
	s_cmp_lg_u32 s4, 0
	s_cselect_b32 s5, s14, s15
	s_cselect_b32 s4, s18, s9
	s_xor_b64 s[4:5], s[4:5], s[6:7]
	s_sub_u32 s44, s4, s6
	s_subb_u32 s45, s5, s6
	s_cbranch_execnz .LBB62_79
.LBB62_78:                              ;   in Loop: Header=BB62_34 Depth=1
	v_cvt_f32_u32_e32 v2, s8
	s_sub_i32 s4, 0, s8
	v_rcp_iflag_f32_e32 v2, v2
	v_mul_f32_e32 v2, 0x4f7ffffe, v2
	v_cvt_u32_f32_e32 v2, v2
	v_readfirstlane_b32 s5, v2
	s_mul_i32 s4, s4, s5
	s_mul_hi_u32 s4, s5, s4
	s_add_i32 s5, s5, s4
	s_mul_hi_u32 s4, s24, s5
	s_mul_i32 s4, s4, s8
	s_sub_i32 s4, s24, s4
	s_sub_i32 s5, s4, s8
	s_cmp_ge_u32 s4, s8
	s_cselect_b32 s4, s5, s4
	s_sub_i32 s5, s4, s8
	s_cmp_ge_u32 s4, s8
	s_cselect_b32 s64, s5, s4
	s_mov_b64 s[44:45], s[64:65]
.LBB62_79:                              ;   in Loop: Header=BB62_34 Depth=1
	s_sub_u32 s6, s24, s44
	s_subb_u32 s7, s25, s45
	v_cmp_gt_i64_e32 vcc, s[6:7], v[21:22]
	v_mov_b32_e32 v4, 0
	v_mov_b32_e32 v6, 0
	v_mov_b32_e32 v8, 0
	v_mov_b32_e32 v10, 0
	v_mov_b32_e32 v5, 0
	v_mov_b32_e32 v7, 0
	v_mov_b32_e32 v9, 0
	v_mov_b32_e32 v11, 0
	s_and_saveexec_b64 s[46:47], vcc
	s_cbranch_execz .LBB62_83
; %bb.80:                               ;   in Loop: Header=BB62_34 Depth=1
	s_mul_i32 s4, s87, s27
	s_mul_hi_u32 s5, s86, s27
	v_mov_b32_e32 v29, v22
	s_add_i32 s9, s5, s4
	s_mov_b64 s[48:49], 0
	s_mov_b64 s[50:51], s[66:67]
	;; [unrolled: 1-line block ×6, first 2 shown]
	v_mov_b32_e32 v28, v21
.LBB62_81:                              ;   Parent Loop BB62_34 Depth=1
                                        ; =>  This Inner Loop Header: Depth=2
	v_add_co_u32_e32 v4, vcc, s50, v23
	v_mov_b32_e32 v2, s51
	v_addc_co_u32_e32 v5, vcc, v2, v24, vcc
	global_load_ushort v6, v[4:5], off
	v_add_co_u32_e32 v4, vcc, s50, v20
	v_addc_co_u32_e32 v5, vcc, v2, v38, vcc
	global_load_ushort v7, v[4:5], off
	v_add_co_u32_e32 v4, vcc, s50, v19
	;; [unrolled: 3-line block ×3, first 2 shown]
	v_addc_co_u32_e32 v5, vcc, v2, v36, vcc
	global_load_ushort v2, v[4:5], off
	s_waitcnt vmcnt(3)
	v_cmp_lt_i16_e32 vcc, -1, v6
	v_cndmask_b32_e32 v4, v47, v48, vcc
	v_cmp_o_f16_e32 vcc, v6, v6
	v_xor_b32_sdwa v4, v4, v6 dst_sel:DWORD dst_unused:UNUSED_PAD src0_sel:DWORD src1_sel:WORD_0
	v_cndmask_b32_e32 v4, v47, v4, vcc
	s_waitcnt vmcnt(2)
	v_cmp_lt_i16_e32 vcc, -1, v7
	v_cndmask_b32_e32 v5, v47, v48, vcc
	v_cmp_o_f16_e32 vcc, v7, v7
	v_xor_b32_sdwa v5, v5, v7 dst_sel:DWORD dst_unused:UNUSED_PAD src0_sel:DWORD src1_sel:WORD_0
	v_cndmask_b32_e32 v5, v47, v5, vcc
	;; [unrolled: 6-line block ×3, first 2 shown]
	s_waitcnt vmcnt(0)
	v_cmp_lt_i16_e32 vcc, -1, v2
	v_cndmask_b32_e32 v7, v47, v48, vcc
	v_cmp_o_f16_e32 vcc, v2, v2
	v_xor_b32_sdwa v2, v7, v2 dst_sel:DWORD dst_unused:UNUSED_PAD src0_sel:DWORD src1_sel:WORD_0
	v_and_b32_e32 v7, v4, v51
	v_bfe_u32 v4, v4, s72, 2
	v_cndmask_b32_e32 v2, v47, v2, vcc
	v_cmp_eq_u32_e32 vcc, v7, v44
	v_and_b32_e32 v7, v5, v51
	v_bfe_u32 v5, v5, s72, 2
	v_cmp_eq_u32_e64 s[20:21], 0, v4
	v_cmp_eq_u32_e64 s[14:15], v7, v44
	v_and_b32_e32 v7, v6, v51
	v_bfe_u32 v6, v6, s72, 2
	s_and_b64 s[28:29], vcc, s[20:21]
	v_cmp_eq_u32_e64 s[20:21], 0, v5
	v_cmp_eq_u32_e64 s[16:17], v7, v44
	v_and_b32_e32 v7, v2, v51
	v_bfe_u32 v2, v2, s72, 2
	s_and_b64 s[36:37], s[14:15], s[20:21]
	v_cmp_eq_u32_e64 s[20:21], 0, v6
	v_cmp_eq_u32_e64 s[18:19], v7, v44
	s_and_b64 s[38:39], s[16:17], s[20:21]
	v_cmp_eq_u32_e64 s[20:21], 0, v2
	v_cndmask_b32_e64 v7, 0, 1, s[28:29]
	s_and_b64 s[40:41], s[18:19], s[20:21]
	v_cmp_ne_u32_e64 s[20:21], 0, v7
	v_cndmask_b32_e64 v7, 0, 1, s[36:37]
	s_bcnt1_i32_b64 s28, s[20:21]
	v_cmp_ne_u32_e64 s[20:21], 0, v7
	v_cndmask_b32_e64 v7, 0, 1, s[38:39]
	s_bcnt1_i32_b64 s29, s[20:21]
	;; [unrolled: 3-line block ×3, first 2 shown]
	v_cmp_ne_u32_e64 s[20:21], 0, v7
	s_bcnt1_i32_b64 s20, s[20:21]
	s_add_u32 s21, s28, s54
	s_addc_u32 s28, 0, s55
	s_add_u32 s21, s21, s29
	s_addc_u32 s28, s28, 0
	;; [unrolled: 2-line block ×3, first 2 shown]
	s_add_u32 s54, s21, s20
	v_cmp_eq_u32_e64 s[20:21], 1, v4
	s_addc_u32 s55, s28, 0
	s_and_b64 s[28:29], vcc, s[20:21]
	v_cmp_eq_u32_e64 s[20:21], 1, v5
	s_and_b64 s[36:37], s[14:15], s[20:21]
	v_cmp_eq_u32_e64 s[20:21], 1, v6
	s_and_b64 s[38:39], s[16:17], s[20:21]
	v_cmp_eq_u32_e64 s[20:21], 1, v2
	v_cndmask_b32_e64 v7, 0, 1, s[28:29]
	s_and_b64 s[40:41], s[18:19], s[20:21]
	v_cmp_ne_u32_e64 s[20:21], 0, v7
	v_cndmask_b32_e64 v7, 0, 1, s[36:37]
	s_bcnt1_i32_b64 s28, s[20:21]
	v_cmp_ne_u32_e64 s[20:21], 0, v7
	v_cndmask_b32_e64 v7, 0, 1, s[38:39]
	s_bcnt1_i32_b64 s29, s[20:21]
	;; [unrolled: 3-line block ×3, first 2 shown]
	v_cmp_ne_u32_e64 s[20:21], 0, v7
	s_bcnt1_i32_b64 s20, s[20:21]
	s_add_u32 s21, s28, s34
	s_addc_u32 s28, 0, s35
	s_add_u32 s21, s21, s29
	s_addc_u32 s28, s28, 0
	;; [unrolled: 2-line block ×3, first 2 shown]
	s_add_u32 s34, s21, s20
	v_cmp_eq_u32_e64 s[20:21], 2, v4
	s_addc_u32 s35, s28, 0
	s_and_b64 s[28:29], vcc, s[20:21]
	v_cmp_eq_u32_e64 s[20:21], 2, v5
	s_and_b64 s[36:37], s[14:15], s[20:21]
	v_cmp_eq_u32_e64 s[20:21], 2, v6
	s_and_b64 s[38:39], s[16:17], s[20:21]
	v_cmp_eq_u32_e64 s[20:21], 2, v2
	v_cndmask_b32_e64 v7, 0, 1, s[28:29]
	s_and_b64 s[40:41], s[18:19], s[20:21]
	v_cmp_ne_u32_e64 s[20:21], 0, v7
	v_cndmask_b32_e64 v7, 0, 1, s[36:37]
	s_bcnt1_i32_b64 s28, s[20:21]
	v_cmp_ne_u32_e64 s[20:21], 0, v7
	v_cndmask_b32_e64 v7, 0, 1, s[38:39]
	s_bcnt1_i32_b64 s29, s[20:21]
	;; [unrolled: 3-line block ×3, first 2 shown]
	v_cmp_ne_u32_e64 s[20:21], 0, v7
	s_bcnt1_i32_b64 s20, s[20:21]
	s_add_u32 s4, s28, s4
	s_addc_u32 s5, 0, s5
	s_add_u32 s4, s4, s29
	s_addc_u32 s5, s5, 0
	;; [unrolled: 2-line block ×3, first 2 shown]
	s_add_u32 s4, s4, s20
	v_cmp_eq_u32_e64 s[20:21], 3, v4
	s_addc_u32 s5, s5, 0
	s_and_b64 s[20:21], vcc, s[20:21]
	v_cmp_eq_u32_e32 vcc, 3, v5
	s_and_b64 s[14:15], s[14:15], vcc
	v_cmp_eq_u32_e32 vcc, 3, v6
	s_and_b64 s[16:17], s[16:17], vcc
	v_cmp_eq_u32_e32 vcc, 3, v2
	v_cndmask_b32_e64 v2, 0, 1, s[20:21]
	s_and_b64 s[18:19], s[18:19], vcc
	v_cmp_ne_u32_e32 vcc, 0, v2
	v_cndmask_b32_e64 v2, 0, 1, s[14:15]
	s_bcnt1_i32_b64 s20, vcc
	v_cmp_ne_u32_e32 vcc, 0, v2
	v_cndmask_b32_e64 v2, 0, 1, s[16:17]
	s_bcnt1_i32_b64 s14, vcc
	;; [unrolled: 3-line block ×3, first 2 shown]
	v_cmp_ne_u32_e32 vcc, 0, v2
	s_bcnt1_i32_b64 s16, vcc
	s_add_u32 s17, s20, s62
	s_addc_u32 s18, 0, s63
	s_add_u32 s14, s17, s14
	s_addc_u32 s17, s18, 0
	;; [unrolled: 2-line block ×3, first 2 shown]
	s_add_u32 s62, s14, s16
	v_add_co_u32_e32 v28, vcc, s8, v28
	s_addc_u32 s63, s15, 0
	v_addc_co_u32_e32 v29, vcc, 0, v29, vcc
	s_mul_i32 s14, s86, s27
	s_add_u32 s50, s50, s14
	v_cmp_le_i64_e32 vcc, s[6:7], v[28:29]
	s_addc_u32 s51, s51, s9
	v_mov_b32_e32 v4, s54
	v_mov_b32_e32 v6, s34
	v_mov_b32_e32 v9, s5
	v_mov_b32_e32 v10, s62
	s_or_b64 s[48:49], vcc, s[48:49]
	v_mov_b32_e32 v5, s55
	v_mov_b32_e32 v7, s35
	;; [unrolled: 1-line block ×4, first 2 shown]
	s_andn2_b64 exec, exec, s[48:49]
	s_cbranch_execnz .LBB62_81
; %bb.82:                               ;   in Loop: Header=BB62_34 Depth=1
	s_or_b64 exec, exec, s[48:49]
.LBB62_83:                              ;   in Loop: Header=BB62_34 Depth=1
	s_or_b64 exec, exec, s[46:47]
	v_mov_b32_e32 v2, s7
	v_add_co_u32_e32 v28, vcc, s6, v0
	v_addc_co_u32_e32 v29, vcc, 0, v2, vcc
	v_cmp_gt_i64_e32 vcc, s[24:25], v[28:29]
	s_and_saveexec_b64 s[4:5], vcc
	s_cbranch_execz .LBB62_89
; %bb.84:                               ;   in Loop: Header=BB62_34 Depth=1
	v_mul_lo_u32 v2, v29, s30
	v_mul_lo_u32 v53, v28, s31
	v_mad_u64_u32 v[30:31], s[6:7], v28, s30, 0
	v_readlane_b32 s6, v56, 50
	v_readlane_b32 s7, v56, 51
	v_add3_u32 v31, v31, v53, v2
	v_lshlrev_b64 v[30:31], 1, v[30:31]
	v_mov_b32_e32 v2, s67
	v_add_co_u32_e32 v30, vcc, s66, v30
	v_addc_co_u32_e32 v31, vcc, v2, v31, vcc
	global_load_ushort v2, v[30:31], off
	v_add_co_u32_e32 v30, vcc, s27, v41
	v_addc_co_u32_e32 v31, vcc, 0, v42, vcc
	v_mov_b32_e32 v53, s45
	v_subrev_co_u32_e32 v54, vcc, s44, v30
	v_subb_co_u32_e32 v30, vcc, v31, v53, vcc
	v_mul_lo_u32 v53, s84, v30
	v_mov_b32_e32 v31, s7
	v_mov_b32_e32 v30, s6
	v_mul_lo_u32 v55, s85, v54
	v_mad_u64_u32 v[30:31], s[6:7], s84, v54, v[30:31]
	s_mul_i32 s6, s85, s27
	s_mul_hi_u32 s7, s84, s27
	v_add3_u32 v31, v55, v31, v53
	s_add_i32 s16, s7, s6
	s_mov_b64 s[6:7], 0
	s_branch .LBB62_86
.LBB62_85:                              ;   in Loop: Header=BB62_86 Depth=2
	s_or_b64 exec, exec, s[8:9]
	s_and_b64 s[8:9], exec, vcc
	s_waitcnt vmcnt(0)
	v_cmp_lt_i16_e32 vcc, -1, v2
	v_cndmask_b32_e32 v54, v47, v48, vcc
	v_xor_b32_sdwa v54, v54, v2 dst_sel:DWORD dst_unused:UNUSED_PAD src0_sel:DWORD src1_sel:WORD_0
	v_cmp_o_f16_e32 vcc, v2, v2
	v_cndmask_b32_e32 v2, v47, v54, vcc
	v_and_b32_e32 v54, v2, v51
	v_bfe_u32 v2, v2, s72, 2
	s_or_b64 s[6:7], s[8:9], s[6:7]
	v_cmp_eq_u32_e32 vcc, v54, v44
	v_cmp_eq_u32_e64 s[14:15], 0, v2
	s_and_b64 s[8:9], vcc, s[14:15]
	v_cndmask_b32_e64 v54, 0, 1, s[8:9]
	v_cmp_ne_u32_e64 s[14:15], 0, v54
	s_bcnt1_i32_b64 s8, s[14:15]
	v_add_co_u32_e64 v4, s[14:15], s8, v4
	v_addc_co_u32_e64 v5, s[14:15], 0, v5, s[14:15]
	v_cmp_eq_u32_e64 s[14:15], 1, v2
	s_and_b64 s[8:9], vcc, s[14:15]
	v_cndmask_b32_e64 v54, 0, 1, s[8:9]
	v_cmp_ne_u32_e64 s[14:15], 0, v54
	s_bcnt1_i32_b64 s8, s[14:15]
	v_add_co_u32_e64 v6, s[14:15], s8, v6
	v_addc_co_u32_e64 v7, s[14:15], 0, v7, s[14:15]
	;; [unrolled: 7-line block ×3, first 2 shown]
	v_cmp_eq_u32_e64 s[14:15], 3, v2
	s_and_b64 s[8:9], vcc, s[14:15]
	v_cndmask_b32_e64 v2, 0, 1, s[8:9]
	v_cmp_ne_u32_e32 vcc, 0, v2
	s_bcnt1_i32_b64 s8, vcc
	v_add_co_u32_e32 v10, vcc, s8, v10
	v_addc_co_u32_e32 v11, vcc, 0, v11, vcc
	s_mul_i32 s8, s84, s27
	v_mov_b32_e32 v2, s16
	v_add_co_u32_e32 v30, vcc, s8, v30
	v_addc_co_u32_e32 v31, vcc, v31, v2, vcc
	v_mov_b32_e32 v2, v53
	s_andn2_b64 exec, exec, s[6:7]
	s_cbranch_execz .LBB62_88
.LBB62_86:                              ;   Parent Loop BB62_34 Depth=1
                                        ; =>  This Inner Loop Header: Depth=2
	v_add_co_u32_e32 v28, vcc, s27, v28
	v_addc_co_u32_e32 v29, vcc, 0, v29, vcc
	v_cmp_gt_i64_e64 s[14:15], s[24:25], v[28:29]
	v_cmp_le_i64_e32 vcc, s[24:25], v[28:29]
	v_mov_b32_e32 v53, 0
	s_and_saveexec_b64 s[8:9], s[14:15]
	s_cbranch_execz .LBB62_85
; %bb.87:                               ;   in Loop: Header=BB62_86 Depth=2
	global_load_ushort v53, v[30:31], off
	s_branch .LBB62_85
.LBB62_88:                              ;   in Loop: Header=BB62_34 Depth=1
	s_or_b64 exec, exec, s[6:7]
.LBB62_89:                              ;   in Loop: Header=BB62_34 Depth=1
	s_or_b64 exec, exec, s[4:5]
	s_branch .LBB62_68
.LBB62_90:                              ;   in Loop: Header=BB62_34 Depth=1
	global_load_ushort v2, v3, s[76:77]
	v_mov_b32_e32 v8, 0
	v_mov_b32_e32 v9, 0
	s_waitcnt vmcnt(0)
	v_readfirstlane_b32 s4, v2
	s_and_b32 s8, 0xffff, s4
	s_lshl_b32 s9, s8, 2
	v_cvt_f32_u32_e32 v4, s9
	s_sub_i32 s4, 0, s9
	v_rcp_iflag_f32_e32 v6, v4
	v_mov_b32_e32 v4, 0
	v_mov_b32_e32 v5, 0
	v_mul_f32_e32 v6, 0x4f7ffffe, v6
	v_cvt_u32_f32_e32 v10, v6
	v_mov_b32_e32 v6, 0
	v_mov_b32_e32 v7, 0
	v_readfirstlane_b32 s5, v10
	s_mul_i32 s4, s4, s5
	s_mul_hi_u32 s4, s5, s4
	s_add_i32 s5, s5, s4
	s_mul_hi_u32 s4, s26, s5
	s_mul_i32 s5, s4, s9
	s_sub_i32 s5, s26, s5
	s_add_i32 s6, s4, 1
	s_sub_i32 s7, s5, s9
	s_cmp_ge_u32 s5, s9
	s_cselect_b32 s4, s6, s4
	s_cselect_b32 s5, s7, s5
	s_add_i32 s6, s4, 1
	s_cmp_ge_u32 s5, s9
	s_cselect_b32 s4, s6, s4
	s_mul_hi_u32 s5, s8, s4
	s_mul_i32 s4, s8, s4
	s_lshl_b64 s[6:7], s[4:5], 2
	v_cmp_gt_u64_e32 vcc, s[6:7], v[21:22]
	v_mov_b32_e32 v10, 0
	v_mov_b32_e32 v11, 0
	s_and_saveexec_b64 s[34:35], vcc
	s_cbranch_execz .LBB62_94
; %bb.91:                               ;   in Loop: Header=BB62_34 Depth=1
	v_mov_b32_e32 v29, v22
	s_lshl_b32 s5, s8, 3
	s_mov_b64 s[44:45], 0
	v_mov_b32_e32 v30, v35
	s_mov_b64 s[46:47], 0
	s_mov_b64 s[48:49], 0
	;; [unrolled: 1-line block ×4, first 2 shown]
	v_mov_b32_e32 v28, v21
.LBB62_92:                              ;   Parent Loop BB62_34 Depth=1
                                        ; =>  This Inner Loop Header: Depth=2
	ds_read_b64 v[4:5], v30
	v_add_u32_e32 v30, s5, v30
	s_waitcnt lgkmcnt(0)
	v_cmp_lt_i16_e32 vcc, -1, v4
	v_cndmask_b32_e32 v6, v47, v48, vcc
	v_cmp_o_f16_e32 vcc, v4, v4
	v_xor_b32_sdwa v6, v6, v4 dst_sel:DWORD dst_unused:UNUSED_PAD src0_sel:DWORD src1_sel:WORD_0
	v_cndmask_b32_e32 v6, v47, v6, vcc
	v_cmp_gt_i16_sdwa vcc, v4, v49 src0_sel:WORD_1 src1_sel:DWORD
	v_cndmask_b32_e32 v7, v47, v48, vcc
	v_cmp_o_f16_sdwa vcc, v4, v4 src0_sel:WORD_1 src1_sel:WORD_1
	v_xor_b32_sdwa v4, v7, v4 dst_sel:DWORD dst_unused:UNUSED_PAD src0_sel:DWORD src1_sel:WORD_1
	v_cndmask_b32_e32 v4, v47, v4, vcc
	v_cmp_lt_i16_e32 vcc, -1, v5
	v_cndmask_b32_e32 v7, v47, v48, vcc
	v_cmp_o_f16_e32 vcc, v5, v5
	v_xor_b32_sdwa v7, v7, v5 dst_sel:DWORD dst_unused:UNUSED_PAD src0_sel:DWORD src1_sel:WORD_0
	v_cndmask_b32_e32 v7, v47, v7, vcc
	v_cmp_gt_i16_sdwa vcc, v5, v49 src0_sel:WORD_1 src1_sel:DWORD
	v_cndmask_b32_e32 v8, v47, v48, vcc
	v_cmp_o_f16_sdwa vcc, v5, v5 src0_sel:WORD_1 src1_sel:WORD_1
	v_xor_b32_sdwa v5, v8, v5 dst_sel:DWORD dst_unused:UNUSED_PAD src0_sel:DWORD src1_sel:WORD_1
	v_and_b32_e32 v8, v6, v51
	v_bfe_u32 v6, v6, s72, 2
	v_cndmask_b32_e32 v5, v47, v5, vcc
	v_cmp_eq_u32_e32 vcc, v8, v44
	v_and_b32_e32 v8, v4, v51
	v_bfe_u32 v4, v4, s72, 2
	v_cmp_eq_u32_e64 s[20:21], 0, v6
	v_cmp_eq_u32_e64 s[14:15], v8, v44
	v_and_b32_e32 v8, v7, v51
	v_bfe_u32 v7, v7, s72, 2
	s_and_b64 s[28:29], vcc, s[20:21]
	v_cmp_eq_u32_e64 s[20:21], 0, v4
	v_cmp_eq_u32_e64 s[16:17], v8, v44
	v_and_b32_e32 v8, v5, v51
	v_bfe_u32 v5, v5, s72, 2
	s_and_b64 s[36:37], s[14:15], s[20:21]
	v_cmp_eq_u32_e64 s[20:21], 0, v7
	v_cmp_eq_u32_e64 s[18:19], v8, v44
	s_and_b64 s[38:39], s[16:17], s[20:21]
	v_cmp_eq_u32_e64 s[20:21], 0, v5
	v_cndmask_b32_e64 v8, 0, 1, s[28:29]
	s_and_b64 s[40:41], s[18:19], s[20:21]
	v_cmp_ne_u32_e64 s[20:21], 0, v8
	v_cndmask_b32_e64 v8, 0, 1, s[36:37]
	s_bcnt1_i32_b64 s27, s[20:21]
	v_cmp_ne_u32_e64 s[20:21], 0, v8
	v_cndmask_b32_e64 v8, 0, 1, s[38:39]
	s_bcnt1_i32_b64 s28, s[20:21]
	;; [unrolled: 3-line block ×3, first 2 shown]
	v_cmp_ne_u32_e64 s[20:21], 0, v8
	s_bcnt1_i32_b64 s20, s[20:21]
	s_add_u32 s21, s27, s54
	s_addc_u32 s27, 0, s55
	s_add_u32 s21, s21, s28
	s_addc_u32 s27, s27, 0
	;; [unrolled: 2-line block ×3, first 2 shown]
	s_add_u32 s54, s21, s20
	v_cmp_eq_u32_e64 s[20:21], 1, v6
	s_addc_u32 s55, s27, 0
	s_and_b64 s[28:29], vcc, s[20:21]
	v_cmp_eq_u32_e64 s[20:21], 1, v4
	s_and_b64 s[36:37], s[14:15], s[20:21]
	v_cmp_eq_u32_e64 s[20:21], 1, v7
	s_and_b64 s[38:39], s[16:17], s[20:21]
	v_cmp_eq_u32_e64 s[20:21], 1, v5
	v_cndmask_b32_e64 v8, 0, 1, s[28:29]
	s_and_b64 s[40:41], s[18:19], s[20:21]
	v_cmp_ne_u32_e64 s[20:21], 0, v8
	v_cndmask_b32_e64 v8, 0, 1, s[36:37]
	s_bcnt1_i32_b64 s27, s[20:21]
	v_cmp_ne_u32_e64 s[20:21], 0, v8
	v_cndmask_b32_e64 v8, 0, 1, s[38:39]
	s_bcnt1_i32_b64 s28, s[20:21]
	;; [unrolled: 3-line block ×3, first 2 shown]
	v_cmp_ne_u32_e64 s[20:21], 0, v8
	s_bcnt1_i32_b64 s20, s[20:21]
	s_add_u32 s21, s27, s50
	s_addc_u32 s27, 0, s51
	s_add_u32 s21, s21, s28
	s_addc_u32 s27, s27, 0
	;; [unrolled: 2-line block ×3, first 2 shown]
	s_add_u32 s50, s21, s20
	v_cmp_eq_u32_e64 s[20:21], 2, v6
	s_addc_u32 s51, s27, 0
	s_and_b64 s[28:29], vcc, s[20:21]
	v_cmp_eq_u32_e64 s[20:21], 2, v4
	s_and_b64 s[36:37], s[14:15], s[20:21]
	v_cmp_eq_u32_e64 s[20:21], 2, v7
	s_and_b64 s[38:39], s[16:17], s[20:21]
	v_cmp_eq_u32_e64 s[20:21], 2, v5
	v_cndmask_b32_e64 v8, 0, 1, s[28:29]
	s_and_b64 s[40:41], s[18:19], s[20:21]
	v_cmp_ne_u32_e64 s[20:21], 0, v8
	v_cndmask_b32_e64 v8, 0, 1, s[36:37]
	s_bcnt1_i32_b64 s27, s[20:21]
	v_cmp_ne_u32_e64 s[20:21], 0, v8
	v_cndmask_b32_e64 v8, 0, 1, s[38:39]
	s_bcnt1_i32_b64 s28, s[20:21]
	v_cmp_ne_u32_e64 s[20:21], 0, v8
	v_cndmask_b32_e64 v8, 0, 1, s[40:41]
	s_bcnt1_i32_b64 s29, s[20:21]
	v_cmp_ne_u32_e64 s[20:21], 0, v8
	s_bcnt1_i32_b64 s20, s[20:21]
	s_add_u32 s21, s27, s48
	s_addc_u32 s27, 0, s49
	s_add_u32 s21, s21, s28
	s_addc_u32 s27, s27, 0
	;; [unrolled: 2-line block ×3, first 2 shown]
	s_add_u32 s48, s21, s20
	v_cmp_eq_u32_e64 s[20:21], 3, v6
	s_addc_u32 s49, s27, 0
	s_and_b64 s[20:21], vcc, s[20:21]
	v_cmp_eq_u32_e32 vcc, 3, v4
	s_and_b64 s[14:15], s[14:15], vcc
	v_cmp_eq_u32_e32 vcc, 3, v7
	s_and_b64 s[16:17], s[16:17], vcc
	v_cmp_eq_u32_e32 vcc, 3, v5
	v_cndmask_b32_e64 v4, 0, 1, s[20:21]
	s_and_b64 s[18:19], s[18:19], vcc
	v_cmp_ne_u32_e32 vcc, 0, v4
	v_cndmask_b32_e64 v4, 0, 1, s[14:15]
	s_bcnt1_i32_b64 s20, vcc
	v_cmp_ne_u32_e32 vcc, 0, v4
	v_cndmask_b32_e64 v4, 0, 1, s[16:17]
	s_bcnt1_i32_b64 s14, vcc
	;; [unrolled: 3-line block ×3, first 2 shown]
	v_cmp_ne_u32_e32 vcc, 0, v4
	s_bcnt1_i32_b64 s16, vcc
	s_add_u32 s17, s20, s46
	s_addc_u32 s18, 0, s47
	s_add_u32 s14, s17, s14
	s_addc_u32 s17, s18, 0
	s_add_u32 s14, s14, s15
	v_add_co_u32_e32 v28, vcc, s9, v28
	s_addc_u32 s15, s17, 0
	v_addc_co_u32_e32 v29, vcc, 0, v29, vcc
	s_add_u32 s46, s14, s16
	v_cmp_le_u64_e32 vcc, s[6:7], v[28:29]
	s_addc_u32 s47, s15, 0
	v_mov_b32_e32 v4, s54
	v_mov_b32_e32 v6, s50
	;; [unrolled: 1-line block ×4, first 2 shown]
	s_or_b64 s[44:45], vcc, s[44:45]
	v_mov_b32_e32 v5, s55
	v_mov_b32_e32 v7, s51
	;; [unrolled: 1-line block ×4, first 2 shown]
	s_andn2_b64 exec, exec, s[44:45]
	s_cbranch_execnz .LBB62_92
; %bb.93:                               ;   in Loop: Header=BB62_34 Depth=1
	s_or_b64 exec, exec, s[44:45]
.LBB62_94:                              ;   in Loop: Header=BB62_34 Depth=1
	s_or_b64 exec, exec, s[34:35]
	v_mov_b32_e32 v29, s7
	v_add_co_u32_e32 v28, vcc, s6, v0
	s_and_b32 s64, s26, 0x7fffffff
	v_addc_co_u32_e32 v29, vcc, 0, v29, vcc
	v_cmp_gt_u64_e32 vcc, s[64:65], v[28:29]
	s_and_saveexec_b64 s[6:7], vcc
	s_cbranch_execz .LBB62_98
; %bb.95:                               ;   in Loop: Header=BB62_34 Depth=1
	v_lshl_add_u32 v30, s4, 3, v45
	s_lshl_b32 s8, s8, 1
	s_mov_b64 s[4:5], 0
.LBB62_96:                              ;   Parent Loop BB62_34 Depth=1
                                        ; =>  This Inner Loop Header: Depth=2
	ds_read_u16 v31, v30
	v_add_u32_e32 v30, s8, v30
	s_waitcnt lgkmcnt(0)
	v_cmp_lt_i16_e32 vcc, -1, v31
	v_cndmask_b32_e32 v53, v47, v48, vcc
	v_cmp_o_f16_e32 vcc, v31, v31
	v_xor_b32_sdwa v31, v53, v31 dst_sel:DWORD dst_unused:UNUSED_PAD src0_sel:DWORD src1_sel:WORD_0
	v_cndmask_b32_e32 v31, v47, v31, vcc
	v_and_b32_e32 v53, v31, v51
	v_bfe_u32 v31, v31, s72, 2
	v_cmp_eq_u32_e32 vcc, v53, v44
	v_cmp_eq_u32_e64 s[14:15], 0, v31
	s_and_b64 s[14:15], vcc, s[14:15]
	v_cndmask_b32_e64 v53, 0, 1, s[14:15]
	v_cmp_ne_u32_e64 s[14:15], 0, v53
	s_bcnt1_i32_b64 s9, s[14:15]
	v_add_co_u32_e64 v4, s[14:15], s9, v4
	v_addc_co_u32_e64 v5, s[14:15], 0, v5, s[14:15]
	v_cmp_eq_u32_e64 s[14:15], 1, v31
	s_and_b64 s[14:15], vcc, s[14:15]
	v_cndmask_b32_e64 v53, 0, 1, s[14:15]
	v_cmp_ne_u32_e64 s[14:15], 0, v53
	s_bcnt1_i32_b64 s9, s[14:15]
	v_add_co_u32_e64 v6, s[14:15], s9, v6
	v_addc_co_u32_e64 v7, s[14:15], 0, v7, s[14:15]
	v_cmp_eq_u32_e64 s[14:15], 2, v31
	s_and_b64 s[14:15], vcc, s[14:15]
	v_cndmask_b32_e64 v53, 0, 1, s[14:15]
	v_cmp_ne_u32_e64 s[14:15], 0, v53
	s_bcnt1_i32_b64 s9, s[14:15]
	v_add_co_u32_e64 v8, s[14:15], s9, v8
	v_addc_co_u32_e64 v9, s[14:15], 0, v9, s[14:15]
	v_cmp_eq_u32_e64 s[14:15], 3, v31
	s_and_b64 s[14:15], vcc, s[14:15]
	v_cndmask_b32_e64 v31, 0, 1, s[14:15]
	v_cmp_ne_u32_e32 vcc, 0, v31
	s_bcnt1_i32_b64 s9, vcc
	v_add_co_u32_e32 v10, vcc, s9, v10
	v_addc_co_u32_e32 v11, vcc, 0, v11, vcc
	v_add_co_u32_sdwa v28, vcc, v28, v2 dst_sel:DWORD dst_unused:UNUSED_PAD src0_sel:DWORD src1_sel:WORD_0
	v_addc_co_u32_e32 v29, vcc, 0, v29, vcc
	v_cmp_le_u64_e32 vcc, s[64:65], v[28:29]
	s_or_b64 s[4:5], vcc, s[4:5]
	s_andn2_b64 exec, exec, s[4:5]
	s_cbranch_execnz .LBB62_96
; %bb.97:                               ;   in Loop: Header=BB62_34 Depth=1
	s_or_b64 exec, exec, s[4:5]
.LBB62_98:                              ;   in Loop: Header=BB62_34 Depth=1
	s_or_b64 exec, exec, s[6:7]
	s_lshl_b32 s6, s73, 6
	s_and_saveexec_b64 s[4:5], s[10:11]
	s_cbranch_execnz .LBB62_69
	s_branch .LBB62_70
.LBB62_99:                              ;   in Loop: Header=BB62_34 Depth=1
                                        ; implicit-def: $sgpr44_sgpr45
	s_branch .LBB62_78
.LBB62_100:                             ;   in Loop: Header=BB62_34 Depth=1
	s_or_b64 exec, exec, s[6:7]
	s_waitcnt lgkmcnt(0)
	s_barrier
	s_mov_b64 s[6:7], exec
	v_readlane_b32 s8, v56, 32
	v_readlane_b32 s9, v56, 33
	s_and_b64 s[8:9], s[6:7], s[8:9]
	s_mov_b64 exec, s[8:9]
	s_cbranch_execz .LBB62_102
; %bb.101:                              ;   in Loop: Header=BB62_34 Depth=1
	ds_read_b32 v4, v3 offset:5136
	s_waitcnt lgkmcnt(0)
	v_ashrrev_i32_e32 v5, 31, v4
	ds_write_b64 v3, v[4:5] offset:5120
.LBB62_102:                             ;   in Loop: Header=BB62_34 Depth=1
	s_or_b64 exec, exec, s[6:7]
	s_waitcnt lgkmcnt(0)
	s_barrier
	s_mov_b64 s[6:7], -1
	s_and_b64 vcc, exec, s[4:5]
	s_cbranch_vccnz .LBB62_49
	s_branch .LBB62_64
.LBB62_103:                             ;   in Loop: Header=BB62_34 Depth=1
	v_mov_b32_e32 v4, 0
	v_mov_b32_e32 v5, 0
	s_mov_b32 s7, 0
.LBB62_104:                             ;   in Loop: Header=BB62_34 Depth=1
	v_readlane_b32 s8, v56, 48
	v_readlane_b32 s9, v56, 49
	s_andn2_b64 vcc, exec, s[8:9]
	s_cbranch_vccnz .LBB62_107
; %bb.105:                              ;   in Loop: Header=BB62_34 Depth=1
	s_lshl_b32 s8, s73, 9
	s_lshl_b32 s7, s7, 5
	s_add_i32 s8, s8, s7
	v_add_u32_e32 v2, s8, v43
	v_readlane_b32 s7, v56, 47
.LBB62_106:                             ;   Parent Loop BB62_34 Depth=1
                                        ; =>  This Inner Loop Header: Depth=2
	ds_read_b64 v[6:7], v2
	s_add_i32 s7, s7, -1
	v_add_u32_e32 v2, 32, v2
	s_cmp_lg_u32 s7, 0
	s_waitcnt lgkmcnt(0)
	v_add_co_u32_e32 v4, vcc, v6, v4
	v_addc_co_u32_e32 v5, vcc, v7, v5, vcc
	s_cbranch_scc1 .LBB62_106
.LBB62_107:                             ;   in Loop: Header=BB62_34 Depth=1
	v_add_lshl_u32 v2, s6, v32, 3
	ds_write_b64 v2, v[4:5] offset:3072
.LBB62_108:                             ;   in Loop: Header=BB62_34 Depth=1
	s_or_b64 exec, exec, s[4:5]
	s_lshl_b32 s4, s6, 3
	v_mov_b32_e32 v2, s4
	s_waitcnt lgkmcnt(0)
	s_barrier
	ds_read_b128 v[8:11], v2 offset:3088
	ds_read_b128 v[4:7], v2 offset:3072
	v_cmp_eq_u64_e64 s[14:15], 1, v[26:27]
	s_lshl_b32 s82, 3, s72
	s_not_b32 s78, s82
	s_waitcnt lgkmcnt(1)
	v_readfirstlane_b32 s62, v8
	s_waitcnt lgkmcnt(0)
	v_cmp_eq_u64_e32 vcc, 1, v[4:5]
	v_readfirstlane_b32 s63, v9
	v_readfirstlane_b32 s16, v10
	;; [unrolled: 1-line block ×3, first 2 shown]
	s_and_b64 s[6:7], vcc, s[14:15]
	s_mov_b64 s[4:5], -1
	s_mov_b64 s[8:9], -1
                                        ; implicit-def: $sgpr26_sgpr27
                                        ; implicit-def: $sgpr20_sgpr21
	s_and_saveexec_b64 s[14:15], s[6:7]
	s_cbranch_execz .LBB62_142
; %bb.109:                              ;   in Loop: Header=BB62_34 Depth=1
	ds_read_b64 v[8:9], v3 offset:5120
	s_waitcnt lgkmcnt(0)
	s_barrier
	v_readfirstlane_b32 s18, v8
	v_readfirstlane_b32 s19, v9
	s_and_saveexec_b64 s[8:9], s[12:13]
; %bb.110:                              ;   in Loop: Header=BB62_34 Depth=1
	ds_write_b16 v46, v3
; %bb.111:                              ;   in Loop: Header=BB62_34 Depth=1
	s_or_b64 exec, exec, s[8:9]
	v_cmp_lt_i64_e64 s[8:9], s[18:19], 1
	v_and_b32_e32 v44, s78, v44
	v_or_b32_e32 v51, s82, v51
	s_mov_b64 s[20:21], -1
	s_mov_b64 s[26:27], 0
	s_and_b64 vcc, exec, s[8:9]
	s_mov_b64 s[28:29], 0
	s_mov_b64 s[8:9], -1
	s_waitcnt lgkmcnt(0)
	s_barrier
                                        ; implicit-def: $vgpr52
	s_cbranch_vccz .LBB62_126
; %bb.112:                              ;   in Loop: Header=BB62_34 Depth=1
	s_mov_b32 s74, s65
	s_cmp_lg_u64 s[74:75], 0
	s_cbranch_scc0 .LBB62_169
; %bb.113:                              ;   in Loop: Header=BB62_34 Depth=1
	s_add_u32 s8, s23, 0
	s_addc_u32 s9, 0, 0
	s_xor_b64 s[28:29], s[8:9], 0
	v_cvt_f32_u32_e32 v2, s28
	v_cvt_f32_u32_e32 v8, s29
	s_sub_u32 s34, 0, s28
	s_subb_u32 s35, 0, s29
	v_mac_f32_e32 v2, 0x4f800000, v8
	v_rcp_f32_e32 v2, v2
	v_mul_f32_e32 v2, 0x5f7ffffc, v2
	v_mul_f32_e32 v8, 0x2f800000, v2
	v_trunc_f32_e32 v8, v8
	v_mac_f32_e32 v2, 0xcf800000, v8
	v_cvt_u32_f32_e32 v8, v8
	v_cvt_u32_f32_e32 v2, v2
	v_readfirstlane_b32 s36, v8
	v_readfirstlane_b32 s8, v2
	s_mul_i32 s9, s34, s36
	s_mul_hi_u32 s38, s34, s8
	s_mul_i32 s37, s35, s8
	s_add_i32 s9, s38, s9
	s_mul_i32 s39, s34, s8
	s_add_i32 s9, s9, s37
	s_mul_i32 s38, s8, s9
	s_mul_hi_u32 s40, s8, s39
	s_mul_hi_u32 s37, s8, s9
	s_add_u32 s38, s40, s38
	s_addc_u32 s37, 0, s37
	s_mul_hi_u32 s41, s36, s39
	s_mul_i32 s39, s36, s39
	s_add_u32 s38, s38, s39
	s_mul_hi_u32 s40, s36, s9
	s_addc_u32 s37, s37, s41
	s_addc_u32 s38, s40, 0
	s_mul_i32 s9, s36, s9
	s_add_u32 s9, s37, s9
	s_addc_u32 s37, 0, s38
	s_add_u32 s38, s8, s9
	s_cselect_b64 s[8:9], -1, 0
	s_cmp_lg_u64 s[8:9], 0
	s_addc_u32 s36, s36, s37
	s_mul_i32 s8, s34, s36
	s_mul_hi_u32 s9, s34, s38
	s_add_i32 s8, s9, s8
	s_mul_i32 s35, s35, s38
	s_add_i32 s8, s8, s35
	s_mul_i32 s34, s34, s38
	s_mul_hi_u32 s35, s36, s34
	s_mul_i32 s37, s36, s34
	s_mul_i32 s40, s38, s8
	s_mul_hi_u32 s34, s38, s34
	s_mul_hi_u32 s39, s38, s8
	s_add_u32 s34, s34, s40
	s_addc_u32 s39, 0, s39
	s_add_u32 s34, s34, s37
	s_mul_hi_u32 s9, s36, s8
	s_addc_u32 s34, s39, s35
	s_addc_u32 s9, s9, 0
	s_mul_i32 s8, s36, s8
	s_add_u32 s8, s34, s8
	s_addc_u32 s34, 0, s9
	s_add_u32 s37, s38, s8
	s_cselect_b64 s[8:9], -1, 0
	s_cmp_lg_u64 s[8:9], 0
	s_addc_u32 s36, s36, s34
	s_ashr_i32 s34, s75, 31
	s_add_u32 s8, s33, s34
	s_mov_b32 s35, s34
	s_addc_u32 s9, s75, s34
	s_xor_b64 s[8:9], s[8:9], s[34:35]
	s_mul_i32 s39, s8, s36
	s_mul_hi_u32 s40, s8, s37
	s_mul_hi_u32 s38, s8, s36
	s_add_u32 s39, s40, s39
	s_addc_u32 s38, 0, s38
	s_mul_hi_u32 s41, s9, s37
	s_mul_i32 s37, s9, s37
	s_add_u32 s37, s39, s37
	s_mul_hi_u32 s40, s9, s36
	s_addc_u32 s37, s38, s41
	s_addc_u32 s38, s40, 0
	s_mul_i32 s36, s9, s36
	s_add_u32 s36, s37, s36
	s_addc_u32 s37, 0, s38
	s_mul_i32 s37, s28, s37
	s_mul_hi_u32 s38, s28, s36
	s_add_i32 s37, s38, s37
	s_mul_i32 s38, s29, s36
	s_add_i32 s40, s37, s38
	s_sub_i32 s38, s9, s40
	s_mul_i32 s36, s28, s36
	s_sub_u32 s8, s8, s36
	s_cselect_b64 s[36:37], -1, 0
	s_cmp_lg_u64 s[36:37], 0
	s_subb_u32 s41, s38, s29
	s_sub_u32 s42, s8, s28
	s_cselect_b64 s[38:39], -1, 0
	s_cmp_lg_u64 s[38:39], 0
	s_subb_u32 s43, s41, 0
	s_cmp_ge_u32 s43, s29
	s_cselect_b32 s44, -1, 0
	s_cmp_ge_u32 s42, s28
	s_cselect_b32 s45, -1, 0
	s_cmp_eq_u32 s43, s29
	s_cselect_b32 s44, s45, s44
	s_cmp_lg_u64 s[38:39], 0
	s_subb_u32 s41, s41, s29
	s_sub_u32 s45, s42, s28
	s_cselect_b64 s[38:39], -1, 0
	s_cmp_lg_u64 s[38:39], 0
	s_subb_u32 s38, s41, 0
	s_cmp_lg_u32 s44, 0
	s_cselect_b32 s39, s45, s42
	s_cselect_b32 s38, s38, s43
	s_cmp_lg_u64 s[36:37], 0
	s_subb_u32 s9, s9, s40
	s_cmp_ge_u32 s9, s29
	s_cselect_b32 s36, -1, 0
	s_cmp_ge_u32 s8, s28
	s_cselect_b32 s28, -1, 0
	s_cmp_eq_u32 s9, s29
	s_cselect_b32 s28, s28, s36
	s_cmp_lg_u32 s28, 0
	s_cselect_b32 s9, s38, s9
	s_cselect_b32 s8, s39, s8
	s_xor_b64 s[8:9], s[8:9], s[34:35]
	s_sub_u32 s8, s8, s34
	s_subb_u32 s9, s9, s34
	s_cbranch_execnz .LBB62_115
.LBB62_114:                             ;   in Loop: Header=BB62_34 Depth=1
	v_cvt_f32_u32_e32 v2, s23
	s_sub_i32 s8, 0, s23
	v_rcp_iflag_f32_e32 v2, v2
	v_mul_f32_e32 v2, 0x4f7ffffe, v2
	v_cvt_u32_f32_e32 v2, v2
	v_readfirstlane_b32 s9, v2
	s_mul_i32 s8, s8, s9
	s_mul_hi_u32 s8, s9, s8
	s_add_i32 s9, s9, s8
	s_mul_hi_u32 s8, s33, s9
	s_mul_i32 s8, s8, s23
	s_sub_i32 s8, s33, s8
	s_sub_i32 s9, s8, s23
	s_cmp_ge_u32 s8, s23
	s_cselect_b32 s8, s9, s8
	s_sub_i32 s9, s8, s23
	s_cmp_ge_u32 s8, s23
	s_cselect_b32 s64, s9, s8
	s_mov_b64 s[8:9], s[64:65]
.LBB62_115:                             ;   in Loop: Header=BB62_34 Depth=1
	s_sub_u32 s36, s33, s8
	s_subb_u32 s37, s75, s9
	v_cmp_gt_i64_e32 vcc, s[36:37], v[0:1]
	s_mov_b64 s[8:9], 0
	s_mov_b64 s[28:29], 0
                                        ; implicit-def: $vgpr52
	s_and_saveexec_b64 s[34:35], vcc
	s_cbranch_execz .LBB62_125
; %bb.116:                              ;   in Loop: Header=BB62_34 Depth=1
	v_mov_b32_e32 v8, v12
	v_mov_b32_e32 v11, v1
	;; [unrolled: 1-line block ×4, first 2 shown]
                                        ; implicit-def: $sgpr38_sgpr39
	s_branch .LBB62_120
.LBB62_117:                             ;   in Loop: Header=BB62_120 Depth=2
	s_or_b64 exec, exec, s[40:41]
	s_waitcnt lgkmcnt(0)
	s_barrier
	ds_read_b32 v2, v3 offset:3072
	s_waitcnt lgkmcnt(0)
	s_barrier
	v_cmp_neq_f16_e32 vcc, 0, v2
	s_cbranch_vccnz .LBB62_123
; %bb.118:                              ;   in Loop: Header=BB62_120 Depth=2
	v_add_co_u32_e32 v10, vcc, s23, v10
	v_addc_co_u32_e32 v11, vcc, 0, v11, vcc
	v_mov_b32_e32 v28, s69
	v_add_co_u32_e32 v8, vcc, s68, v8
	v_addc_co_u32_e32 v9, vcc, v9, v28, vcc
	v_cmp_le_i64_e32 vcc, s[36:37], v[10:11]
	s_mov_b64 s[40:41], 0
	s_orn2_b64 s[42:43], vcc, exec
.LBB62_119:                             ;   in Loop: Header=BB62_120 Depth=2
	s_and_b64 s[42:43], exec, s[42:43]
	s_or_b64 s[28:29], s[42:43], s[28:29]
	s_andn2_b64 s[38:39], s[38:39], exec
	s_and_b64 s[40:41], s[40:41], exec
	s_or_b64 s[38:39], s[38:39], s[40:41]
	s_andn2_b64 exec, exec, s[28:29]
	s_cbranch_execz .LBB62_124
.LBB62_120:                             ;   Parent Loop BB62_34 Depth=1
                                        ; =>  This Inner Loop Header: Depth=2
	v_cmp_gt_i64_e32 vcc, s[24:25], v[10:11]
	s_and_saveexec_b64 s[40:41], vcc
	s_cbranch_execz .LBB62_117
; %bb.121:                              ;   in Loop: Header=BB62_120 Depth=2
	global_load_ushort v2, v[8:9], off
	s_waitcnt vmcnt(0)
	v_cmp_lt_i16_e32 vcc, -1, v2
	v_cndmask_b32_e32 v28, v47, v48, vcc
	v_xor_b32_sdwa v28, v28, v2 dst_sel:DWORD dst_unused:UNUSED_PAD src0_sel:DWORD src1_sel:WORD_0
	v_cmp_o_f16_e32 vcc, v2, v2
	v_cndmask_b32_e32 v28, v47, v28, vcc
	v_and_b32_e32 v28, v28, v51
	v_cmp_eq_u32_e32 vcc, v28, v44
	s_and_b64 exec, exec, vcc
	s_cbranch_execz .LBB62_117
; %bb.122:                              ;   in Loop: Header=BB62_120 Depth=2
	v_perm_b32 v2, v2, s3, v50
	ds_write_b32 v3, v2 offset:3072
	s_branch .LBB62_117
.LBB62_123:                             ;   in Loop: Header=BB62_120 Depth=2
	s_mov_b64 s[42:43], -1
                                        ; implicit-def: $vgpr10_vgpr11
                                        ; implicit-def: $vgpr8_vgpr9
	s_mov_b64 s[40:41], -1
	s_branch .LBB62_119
.LBB62_124:                             ;   in Loop: Header=BB62_34 Depth=1
	s_or_b64 exec, exec, s[28:29]
	v_lshrrev_b32_e32 v52, 16, v2
	s_and_b64 s[28:29], s[38:39], exec
.LBB62_125:                             ;   in Loop: Header=BB62_34 Depth=1
	s_or_b64 exec, exec, s[34:35]
.LBB62_126:                             ;   in Loop: Header=BB62_34 Depth=1
	s_and_b64 vcc, exec, s[8:9]
	s_cbranch_vccz .LBB62_141
; %bb.127:                              ;   in Loop: Header=BB62_34 Depth=1
	s_add_u32 s34, s18, s83
	v_readlane_b32 s8, v56, 40
	s_addc_u32 s21, s19, s8
	s_mov_b32 s20, s65
	s_cmp_lg_u64 s[20:21], 0
	s_cbranch_scc0 .LBB62_170
; %bb.128:                              ;   in Loop: Header=BB62_34 Depth=1
	s_add_u32 s8, s23, 0
	s_addc_u32 s9, 0, 0
	s_xor_b64 s[26:27], s[8:9], 0
	v_cvt_f32_u32_e32 v2, s26
	v_cvt_f32_u32_e32 v8, s27
	s_sub_u32 s20, 0, s26
	s_subb_u32 s35, 0, s27
	v_mac_f32_e32 v2, 0x4f800000, v8
	v_rcp_f32_e32 v2, v2
	v_mul_f32_e32 v2, 0x5f7ffffc, v2
	v_mul_f32_e32 v8, 0x2f800000, v2
	v_trunc_f32_e32 v8, v8
	v_mac_f32_e32 v2, 0xcf800000, v8
	v_cvt_u32_f32_e32 v8, v8
	v_cvt_u32_f32_e32 v2, v2
	v_readfirstlane_b32 s36, v8
	v_readfirstlane_b32 s8, v2
	s_mul_i32 s9, s20, s36
	s_mul_hi_u32 s38, s20, s8
	s_mul_i32 s37, s35, s8
	s_add_i32 s9, s38, s9
	s_mul_i32 s39, s20, s8
	s_add_i32 s9, s9, s37
	s_mul_i32 s38, s8, s9
	s_mul_hi_u32 s40, s8, s39
	s_mul_hi_u32 s37, s8, s9
	s_add_u32 s38, s40, s38
	s_addc_u32 s37, 0, s37
	s_mul_hi_u32 s41, s36, s39
	s_mul_i32 s39, s36, s39
	s_add_u32 s38, s38, s39
	s_mul_hi_u32 s40, s36, s9
	s_addc_u32 s37, s37, s41
	s_addc_u32 s38, s40, 0
	s_mul_i32 s9, s36, s9
	s_add_u32 s9, s37, s9
	s_addc_u32 s37, 0, s38
	s_add_u32 s38, s8, s9
	s_cselect_b64 s[8:9], -1, 0
	s_cmp_lg_u64 s[8:9], 0
	s_addc_u32 s36, s36, s37
	s_mul_i32 s8, s20, s36
	s_mul_hi_u32 s9, s20, s38
	s_add_i32 s8, s9, s8
	s_mul_i32 s35, s35, s38
	s_add_i32 s8, s8, s35
	s_mul_i32 s20, s20, s38
	s_mul_hi_u32 s35, s36, s20
	s_mul_i32 s37, s36, s20
	s_mul_i32 s40, s38, s8
	s_mul_hi_u32 s20, s38, s20
	s_mul_hi_u32 s39, s38, s8
	s_add_u32 s20, s20, s40
	s_addc_u32 s39, 0, s39
	s_add_u32 s20, s20, s37
	s_mul_hi_u32 s9, s36, s8
	s_addc_u32 s20, s39, s35
	s_addc_u32 s9, s9, 0
	s_mul_i32 s8, s36, s8
	s_add_u32 s8, s20, s8
	s_addc_u32 s20, 0, s9
	s_add_u32 s35, s38, s8
	s_cselect_b64 s[8:9], -1, 0
	s_cmp_lg_u64 s[8:9], 0
	s_addc_u32 s20, s36, s20
	s_ashr_i32 s36, s21, 31
	s_add_u32 s8, s34, s36
	s_mov_b32 s37, s36
	s_addc_u32 s9, s21, s36
	s_xor_b64 s[8:9], s[8:9], s[36:37]
	s_mul_i32 s39, s8, s20
	s_mul_hi_u32 s40, s8, s35
	s_mul_hi_u32 s38, s8, s20
	s_add_u32 s39, s40, s39
	s_addc_u32 s38, 0, s38
	s_mul_hi_u32 s41, s9, s35
	s_mul_i32 s35, s9, s35
	s_add_u32 s35, s39, s35
	s_mul_hi_u32 s40, s9, s20
	s_addc_u32 s35, s38, s41
	s_addc_u32 s38, s40, 0
	s_mul_i32 s20, s9, s20
	s_add_u32 s20, s35, s20
	s_addc_u32 s35, 0, s38
	s_mul_i32 s35, s26, s35
	s_mul_hi_u32 s38, s26, s20
	s_add_i32 s35, s38, s35
	s_mul_i32 s38, s27, s20
	s_add_i32 s35, s35, s38
	s_sub_i32 s40, s9, s35
	s_mul_i32 s20, s26, s20
	s_sub_u32 s8, s8, s20
	s_cselect_b64 s[38:39], -1, 0
	s_cmp_lg_u64 s[38:39], 0
	s_subb_u32 s20, s40, s27
	s_sub_u32 s42, s8, s26
	s_cselect_b64 s[40:41], -1, 0
	s_cmp_lg_u64 s[40:41], 0
	s_subb_u32 s43, s20, 0
	s_cmp_ge_u32 s43, s27
	s_cselect_b32 s44, -1, 0
	s_cmp_ge_u32 s42, s26
	s_cselect_b32 s45, -1, 0
	s_cmp_eq_u32 s43, s27
	s_cselect_b32 s44, s45, s44
	s_cmp_lg_u64 s[40:41], 0
	s_subb_u32 s20, s20, s27
	s_sub_u32 s45, s42, s26
	s_cselect_b64 s[40:41], -1, 0
	s_cmp_lg_u64 s[40:41], 0
	s_subb_u32 s20, s20, 0
	s_cmp_lg_u32 s44, 0
	s_cselect_b32 s40, s45, s42
	s_cselect_b32 s20, s20, s43
	s_cmp_lg_u64 s[38:39], 0
	s_subb_u32 s9, s9, s35
	s_cmp_ge_u32 s9, s27
	s_cselect_b32 s35, -1, 0
	s_cmp_ge_u32 s8, s26
	s_cselect_b32 s26, -1, 0
	s_cmp_eq_u32 s9, s27
	s_cselect_b32 s26, s26, s35
	s_cmp_lg_u32 s26, 0
	s_cselect_b32 s9, s20, s9
	s_cselect_b32 s8, s40, s8
	s_xor_b64 s[8:9], s[8:9], s[36:37]
	s_sub_u32 s8, s8, s36
	s_subb_u32 s9, s9, s36
	s_cbranch_execnz .LBB62_130
.LBB62_129:                             ;   in Loop: Header=BB62_34 Depth=1
	v_cvt_f32_u32_e32 v2, s23
	s_sub_i32 s8, 0, s23
	v_rcp_iflag_f32_e32 v2, v2
	v_mul_f32_e32 v2, 0x4f7ffffe, v2
	v_cvt_u32_f32_e32 v2, v2
	v_readfirstlane_b32 s9, v2
	s_mul_i32 s8, s8, s9
	s_mul_hi_u32 s8, s9, s8
	s_add_i32 s9, s9, s8
	s_mul_hi_u32 s8, s34, s9
	s_mul_i32 s8, s8, s23
	s_sub_i32 s8, s34, s8
	s_sub_i32 s9, s8, s23
	s_cmp_ge_u32 s8, s23
	s_cselect_b32 s8, s9, s8
	s_sub_i32 s9, s8, s23
	s_cmp_ge_u32 s8, s23
	s_cselect_b32 s64, s9, s8
	s_mov_b64 s[8:9], s[64:65]
.LBB62_130:                             ;   in Loop: Header=BB62_34 Depth=1
	s_sub_u32 s20, s34, s8
	s_subb_u32 s21, s21, s9
	v_cmp_gt_i64_e32 vcc, s[20:21], v[0:1]
                                        ; implicit-def: $vgpr52
	s_and_saveexec_b64 s[8:9], vcc
	s_cbranch_execz .LBB62_140
; %bb.131:                              ;   in Loop: Header=BB62_34 Depth=1
	v_mov_b32_e32 v9, v1
	s_mov_b64 s[26:27], 0
	v_mov_b32_e32 v2, v45
	v_mov_b32_e32 v8, v0
                                        ; implicit-def: $sgpr34_sgpr35
	s_branch .LBB62_135
.LBB62_132:                             ;   in Loop: Header=BB62_135 Depth=2
	s_or_b64 exec, exec, s[36:37]
	s_waitcnt lgkmcnt(0)
	s_barrier
	ds_read_b32 v10, v3 offset:3072
	s_waitcnt lgkmcnt(0)
	s_barrier
	v_cmp_neq_f16_e32 vcc, 0, v10
	s_cbranch_vccnz .LBB62_138
; %bb.133:                              ;   in Loop: Header=BB62_135 Depth=2
	v_add_co_u32_e32 v8, vcc, s23, v8
	v_addc_co_u32_e32 v9, vcc, 0, v9, vcc
	v_cmp_le_i64_e32 vcc, s[20:21], v[8:9]
	v_add_u32_e32 v2, s2, v2
	s_mov_b64 s[36:37], 0
	s_orn2_b64 s[38:39], vcc, exec
.LBB62_134:                             ;   in Loop: Header=BB62_135 Depth=2
	s_and_b64 s[38:39], exec, s[38:39]
	s_or_b64 s[26:27], s[38:39], s[26:27]
	s_andn2_b64 s[34:35], s[34:35], exec
	s_and_b64 s[36:37], s[36:37], exec
	s_or_b64 s[34:35], s[34:35], s[36:37]
	s_andn2_b64 exec, exec, s[26:27]
	s_cbranch_execz .LBB62_139
.LBB62_135:                             ;   Parent Loop BB62_34 Depth=1
                                        ; =>  This Inner Loop Header: Depth=2
	v_cmp_gt_u64_e32 vcc, s[18:19], v[8:9]
	s_and_saveexec_b64 s[36:37], vcc
	s_cbranch_execz .LBB62_132
; %bb.136:                              ;   in Loop: Header=BB62_135 Depth=2
	ds_read_u16 v10, v2
	s_waitcnt lgkmcnt(0)
	v_cmp_lt_i16_e32 vcc, -1, v10
	v_cndmask_b32_e32 v11, v47, v48, vcc
	v_xor_b32_sdwa v11, v11, v10 dst_sel:DWORD dst_unused:UNUSED_PAD src0_sel:DWORD src1_sel:WORD_0
	v_cmp_o_f16_e32 vcc, v10, v10
	v_cndmask_b32_e32 v11, v47, v11, vcc
	v_and_b32_e32 v11, v11, v51
	v_cmp_eq_u32_e32 vcc, v11, v44
	s_and_b64 exec, exec, vcc
	s_cbranch_execz .LBB62_132
; %bb.137:                              ;   in Loop: Header=BB62_135 Depth=2
	v_perm_b32 v10, v10, s3, v50
	ds_write_b32 v3, v10 offset:3072
	s_branch .LBB62_132
.LBB62_138:                             ;   in Loop: Header=BB62_135 Depth=2
	s_mov_b64 s[38:39], -1
                                        ; implicit-def: $vgpr8_vgpr9
                                        ; implicit-def: $vgpr2
	s_mov_b64 s[36:37], -1
	s_branch .LBB62_134
.LBB62_139:                             ;   in Loop: Header=BB62_34 Depth=1
	s_or_b64 exec, exec, s[26:27]
	s_andn2_b64 s[18:19], s[28:29], exec
	s_and_b64 s[20:21], s[34:35], exec
	v_lshrrev_b32_e32 v52, 16, v10
	s_or_b64 s[28:29], s[18:19], s[20:21]
.LBB62_140:                             ;   in Loop: Header=BB62_34 Depth=1
	s_or_b64 exec, exec, s[8:9]
	s_mov_b64 s[20:21], 0
	s_mov_b64 s[26:27], -1
.LBB62_141:                             ;   in Loop: Header=BB62_34 Depth=1
	s_orn2_b64 s[8:9], s[28:29], exec
.LBB62_142:                             ;   in Loop: Header=BB62_34 Depth=1
	s_or_b64 exec, exec, s[14:15]
	s_andn2_b64 s[14:15], s[56:57], exec
	s_and_b64 s[18:19], s[26:27], exec
	s_or_b64 s[56:57], s[14:15], s[18:19]
	s_andn2_b64 s[14:15], s[60:61], exec
	s_and_b64 s[18:19], s[20:21], exec
	s_andn2_b64 s[58:59], s[58:59], exec
	s_or_b64 s[60:61], s[14:15], s[18:19]
                                        ; implicit-def: $vgpr8_vgpr9
	s_and_saveexec_b64 s[18:19], s[8:9]
	s_cbranch_execz .LBB62_33
; %bb.143:                              ;   in Loop: Header=BB62_34 Depth=1
	v_mov_b32_e32 v8, 1
	s_xor_b64 s[8:9], s[6:7], -1
	v_mov_b32_e32 v2, 1
	v_mov_b32_e32 v9, 0
	s_mov_b64 s[6:7], 0
	s_and_saveexec_b64 s[4:5], s[8:9]
	s_cbranch_execz .LBB62_152
; %bb.144:                              ;   in Loop: Header=BB62_34 Depth=1
	v_cmp_le_i64_e32 vcc, v[26:27], v[4:5]
	s_and_saveexec_b64 s[6:7], vcc
	s_xor_b64 s[6:7], exec, s[6:7]
	s_cbranch_execz .LBB62_149
; %bb.145:                              ;   in Loop: Header=BB62_34 Depth=1
	ds_read_b64 v[8:9], v3 offset:5120
	v_and_b32_e32 v44, s78, v44
	v_or_b32_e32 v51, s82, v51
	s_waitcnt lgkmcnt(0)
	v_cmp_ne_u64_e32 vcc, 0, v[8:9]
	s_cbranch_vccnz .LBB62_149
; %bb.146:                              ;   in Loop: Header=BB62_34 Depth=1
	s_mov_b64 s[8:9], exec
	v_readlane_b32 s14, v56, 32
	v_readlane_b32 s15, v56, 33
	s_and_b64 s[14:15], s[8:9], s[14:15]
	s_mov_b64 exec, s[14:15]
; %bb.147:                              ;   in Loop: Header=BB62_34 Depth=1
	ds_write_b64 v3, v[4:5] offset:5128
; %bb.148:                              ;   in Loop: Header=BB62_34 Depth=1
	s_or_b64 exec, exec, s[8:9]
	s_waitcnt lgkmcnt(0)
	s_barrier
.LBB62_149:                             ;   in Loop: Header=BB62_34 Depth=1
	s_or_saveexec_b64 s[6:7], s[6:7]
	s_mov_b64 s[8:9], 0
	v_mov_b32_e32 v2, 8
	s_xor_b64 exec, exec, s[6:7]
; %bb.150:                              ;   in Loop: Header=BB62_34 Depth=1
	v_sub_co_u32_e32 v26, vcc, v26, v4
	v_subb_co_u32_e32 v27, vcc, v27, v5, vcc
	v_mov_b32_e32 v2, 0
	s_mov_b64 s[8:9], exec
; %bb.151:                              ;   in Loop: Header=BB62_34 Depth=1
	s_or_b64 exec, exec, s[6:7]
	v_mov_b32_e32 v8, v26
	s_and_b64 s[6:7], s[8:9], exec
	v_mov_b32_e32 v9, v27
.LBB62_152:                             ;   in Loop: Header=BB62_34 Depth=1
	s_or_b64 exec, exec, s[4:5]
	s_mov_b64 s[20:21], -1
	s_mov_b64 s[4:5], -1
                                        ; implicit-def: $sgpr14_sgpr15
                                        ; implicit-def: $sgpr44_sgpr45
	s_and_saveexec_b64 s[8:9], s[6:7]
	s_xor_b64 s[26:27], exec, s[8:9]
	s_cbranch_execz .LBB62_300
; %bb.153:                              ;   in Loop: Header=BB62_34 Depth=1
	v_cmp_eq_u64_e32 vcc, 1, v[6:7]
	v_cmp_eq_u64_e64 s[14:15], 1, v[8:9]
	s_mov_b64 s[8:9], -1
	s_and_b64 s[4:5], vcc, s[14:15]
                                        ; implicit-def: $sgpr44_sgpr45
                                        ; implicit-def: $sgpr14_sgpr15
	s_and_saveexec_b64 s[6:7], s[4:5]
	s_cbranch_execz .LBB62_189
; %bb.154:                              ;   in Loop: Header=BB62_34 Depth=1
	ds_read_b64 v[4:5], v3 offset:5120
	s_waitcnt lgkmcnt(0)
	s_barrier
	v_readfirstlane_b32 s34, v4
	v_readfirstlane_b32 s35, v5
	s_and_saveexec_b64 s[8:9], s[12:13]
; %bb.155:                              ;   in Loop: Header=BB62_34 Depth=1
	ds_write_b16 v46, v3
; %bb.156:                              ;   in Loop: Header=BB62_34 Depth=1
	s_or_b64 exec, exec, s[8:9]
	v_cmp_gt_i64_e64 s[8:9], s[34:35], 0
	v_and_b32_e32 v4, s78, v44
	v_lshl_or_b32 v44, 1, s72, v4
	v_or_b32_e32 v51, s82, v51
	s_mov_b64 s[14:15], -1
	s_mov_b64 s[44:45], 0
	s_and_b64 vcc, exec, s[8:9]
	s_mov_b64 s[28:29], 0
	s_mov_b64 s[46:47], -1
	s_waitcnt lgkmcnt(0)
	s_barrier
                                        ; implicit-def: $vgpr52
	s_cbranch_vccnz .LBB62_173
; %bb.157:                              ;   in Loop: Header=BB62_34 Depth=1
	s_mov_b32 s74, s65
	s_cmp_lg_u64 s[74:75], 0
	s_cbranch_scc0 .LBB62_217
; %bb.158:                              ;   in Loop: Header=BB62_34 Depth=1
	s_add_u32 s8, s23, 0
	s_addc_u32 s9, 0, 0
	s_xor_b64 s[28:29], s[8:9], 0
	v_cvt_f32_u32_e32 v4, s28
	v_cvt_f32_u32_e32 v5, s29
	s_sub_u32 s36, 0, s28
	s_subb_u32 s37, 0, s29
	v_mac_f32_e32 v4, 0x4f800000, v5
	v_rcp_f32_e32 v4, v4
	v_mul_f32_e32 v4, 0x5f7ffffc, v4
	v_mul_f32_e32 v5, 0x2f800000, v4
	v_trunc_f32_e32 v5, v5
	v_mac_f32_e32 v4, 0xcf800000, v5
	v_cvt_u32_f32_e32 v5, v5
	v_cvt_u32_f32_e32 v4, v4
	v_readfirstlane_b32 s38, v5
	v_readfirstlane_b32 s8, v4
	s_mul_i32 s9, s36, s38
	s_mul_hi_u32 s40, s36, s8
	s_mul_i32 s39, s37, s8
	s_add_i32 s9, s40, s9
	s_mul_i32 s41, s36, s8
	s_add_i32 s9, s9, s39
	s_mul_i32 s40, s8, s9
	s_mul_hi_u32 s42, s8, s41
	s_mul_hi_u32 s39, s8, s9
	s_add_u32 s40, s42, s40
	s_addc_u32 s39, 0, s39
	s_mul_hi_u32 s43, s38, s41
	s_mul_i32 s41, s38, s41
	s_add_u32 s40, s40, s41
	s_mul_hi_u32 s42, s38, s9
	s_addc_u32 s39, s39, s43
	s_addc_u32 s40, s42, 0
	s_mul_i32 s9, s38, s9
	s_add_u32 s9, s39, s9
	s_addc_u32 s39, 0, s40
	s_add_u32 s40, s8, s9
	s_cselect_b64 s[8:9], -1, 0
	s_cmp_lg_u64 s[8:9], 0
	s_addc_u32 s38, s38, s39
	s_mul_i32 s8, s36, s38
	s_mul_hi_u32 s9, s36, s40
	s_add_i32 s8, s9, s8
	s_mul_i32 s37, s37, s40
	s_add_i32 s8, s8, s37
	s_mul_i32 s36, s36, s40
	s_mul_hi_u32 s37, s38, s36
	s_mul_i32 s39, s38, s36
	s_mul_i32 s42, s40, s8
	s_mul_hi_u32 s36, s40, s36
	s_mul_hi_u32 s41, s40, s8
	s_add_u32 s36, s36, s42
	s_addc_u32 s41, 0, s41
	s_add_u32 s36, s36, s39
	s_mul_hi_u32 s9, s38, s8
	s_addc_u32 s36, s41, s37
	s_addc_u32 s9, s9, 0
	s_mul_i32 s8, s38, s8
	s_add_u32 s8, s36, s8
	s_addc_u32 s36, 0, s9
	s_add_u32 s39, s40, s8
	s_cselect_b64 s[8:9], -1, 0
	s_cmp_lg_u64 s[8:9], 0
	s_addc_u32 s38, s38, s36
	s_ashr_i32 s36, s75, 31
	s_add_u32 s8, s33, s36
	s_mov_b32 s37, s36
	s_addc_u32 s9, s75, s36
	s_xor_b64 s[8:9], s[8:9], s[36:37]
	s_mul_i32 s41, s8, s38
	s_mul_hi_u32 s42, s8, s39
	s_mul_hi_u32 s40, s8, s38
	s_add_u32 s41, s42, s41
	s_addc_u32 s40, 0, s40
	s_mul_hi_u32 s43, s9, s39
	s_mul_i32 s39, s9, s39
	s_add_u32 s39, s41, s39
	s_mul_hi_u32 s42, s9, s38
	s_addc_u32 s39, s40, s43
	s_addc_u32 s40, s42, 0
	s_mul_i32 s38, s9, s38
	s_add_u32 s38, s39, s38
	s_addc_u32 s39, 0, s40
	s_mul_i32 s39, s28, s39
	s_mul_hi_u32 s40, s28, s38
	s_add_i32 s39, s40, s39
	s_mul_i32 s40, s29, s38
	s_add_i32 s42, s39, s40
	s_sub_i32 s40, s9, s42
	s_mul_i32 s38, s28, s38
	s_sub_u32 s8, s8, s38
	s_cselect_b64 s[38:39], -1, 0
	s_cmp_lg_u64 s[38:39], 0
	s_subb_u32 s43, s40, s29
	s_sub_u32 s46, s8, s28
	s_cselect_b64 s[40:41], -1, 0
	s_cmp_lg_u64 s[40:41], 0
	s_subb_u32 s47, s43, 0
	s_cmp_ge_u32 s47, s29
	s_cselect_b32 s48, -1, 0
	s_cmp_ge_u32 s46, s28
	s_cselect_b32 s49, -1, 0
	s_cmp_eq_u32 s47, s29
	s_cselect_b32 s48, s49, s48
	s_cmp_lg_u64 s[40:41], 0
	s_subb_u32 s43, s43, s29
	s_sub_u32 s49, s46, s28
	s_cselect_b64 s[40:41], -1, 0
	s_cmp_lg_u64 s[40:41], 0
	s_subb_u32 s40, s43, 0
	s_cmp_lg_u32 s48, 0
	s_cselect_b32 s41, s49, s46
	s_cselect_b32 s40, s40, s47
	s_cmp_lg_u64 s[38:39], 0
	s_subb_u32 s9, s9, s42
	s_cmp_ge_u32 s9, s29
	s_cselect_b32 s38, -1, 0
	s_cmp_ge_u32 s8, s28
	s_cselect_b32 s28, -1, 0
	s_cmp_eq_u32 s9, s29
	s_cselect_b32 s28, s28, s38
	s_cmp_lg_u32 s28, 0
	s_cselect_b32 s9, s40, s9
	s_cselect_b32 s8, s41, s8
	s_xor_b64 s[8:9], s[8:9], s[36:37]
	s_sub_u32 s8, s8, s36
	s_subb_u32 s9, s9, s36
	s_cbranch_execnz .LBB62_160
.LBB62_159:                             ;   in Loop: Header=BB62_34 Depth=1
	v_cvt_f32_u32_e32 v4, s23
	s_sub_i32 s8, 0, s23
	v_rcp_iflag_f32_e32 v4, v4
	v_mul_f32_e32 v4, 0x4f7ffffe, v4
	v_cvt_u32_f32_e32 v4, v4
	v_readfirstlane_b32 s9, v4
	s_mul_i32 s8, s8, s9
	s_mul_hi_u32 s8, s9, s8
	s_add_i32 s9, s9, s8
	s_mul_hi_u32 s8, s33, s9
	s_mul_i32 s8, s8, s23
	s_sub_i32 s8, s33, s8
	s_sub_i32 s9, s8, s23
	s_cmp_ge_u32 s8, s23
	s_cselect_b32 s8, s9, s8
	s_sub_i32 s9, s8, s23
	s_cmp_ge_u32 s8, s23
	s_cselect_b32 s64, s9, s8
	s_mov_b64 s[8:9], s[64:65]
.LBB62_160:                             ;   in Loop: Header=BB62_34 Depth=1
	s_sub_u32 s36, s33, s8
	s_subb_u32 s37, s75, s9
	v_cmp_gt_i64_e32 vcc, s[36:37], v[0:1]
	s_mov_b64 s[46:47], 0
	s_mov_b64 s[28:29], 0
                                        ; implicit-def: $vgpr52
	s_and_saveexec_b64 s[8:9], vcc
	s_cbranch_execz .LBB62_172
; %bb.161:                              ;   in Loop: Header=BB62_34 Depth=1
	v_mov_b32_e32 v4, v12
	v_mov_b32_e32 v11, v1
	v_mov_b32_e32 v5, v13
	v_mov_b32_e32 v10, v0
                                        ; implicit-def: $sgpr38_sgpr39
	s_branch .LBB62_165
.LBB62_162:                             ;   in Loop: Header=BB62_165 Depth=2
	s_or_b64 exec, exec, s[40:41]
	s_waitcnt lgkmcnt(0)
	s_barrier
	ds_read_b32 v26, v3 offset:3072
	s_waitcnt lgkmcnt(0)
	s_barrier
	v_cmp_neq_f16_e32 vcc, 0, v26
	s_cbranch_vccnz .LBB62_168
; %bb.163:                              ;   in Loop: Header=BB62_165 Depth=2
	v_add_co_u32_e32 v10, vcc, s23, v10
	v_addc_co_u32_e32 v11, vcc, 0, v11, vcc
	v_mov_b32_e32 v27, s69
	v_add_co_u32_e32 v4, vcc, s68, v4
	v_addc_co_u32_e32 v5, vcc, v5, v27, vcc
	v_cmp_le_i64_e32 vcc, s[36:37], v[10:11]
	s_mov_b64 s[40:41], 0
	s_orn2_b64 s[42:43], vcc, exec
.LBB62_164:                             ;   in Loop: Header=BB62_165 Depth=2
	s_and_b64 s[42:43], exec, s[42:43]
	s_or_b64 s[28:29], s[42:43], s[28:29]
	s_andn2_b64 s[38:39], s[38:39], exec
	s_and_b64 s[40:41], s[40:41], exec
	s_or_b64 s[38:39], s[38:39], s[40:41]
	s_andn2_b64 exec, exec, s[28:29]
	s_cbranch_execz .LBB62_171
.LBB62_165:                             ;   Parent Loop BB62_34 Depth=1
                                        ; =>  This Inner Loop Header: Depth=2
	v_cmp_gt_i64_e32 vcc, s[24:25], v[10:11]
	s_and_saveexec_b64 s[40:41], vcc
	s_cbranch_execz .LBB62_162
; %bb.166:                              ;   in Loop: Header=BB62_165 Depth=2
	global_load_ushort v26, v[4:5], off
	s_waitcnt vmcnt(0)
	v_cmp_lt_i16_e32 vcc, -1, v26
	v_cndmask_b32_e32 v27, v47, v48, vcc
	v_xor_b32_sdwa v27, v27, v26 dst_sel:DWORD dst_unused:UNUSED_PAD src0_sel:DWORD src1_sel:WORD_0
	v_cmp_o_f16_e32 vcc, v26, v26
	v_cndmask_b32_e32 v27, v47, v27, vcc
	v_and_b32_e32 v27, v27, v51
	v_cmp_eq_u32_e32 vcc, v27, v44
	s_and_b64 exec, exec, vcc
	s_cbranch_execz .LBB62_162
; %bb.167:                              ;   in Loop: Header=BB62_165 Depth=2
	v_perm_b32 v26, v26, s3, v50
	ds_write_b32 v3, v26 offset:3072
	s_branch .LBB62_162
.LBB62_168:                             ;   in Loop: Header=BB62_165 Depth=2
	s_mov_b64 s[42:43], -1
                                        ; implicit-def: $vgpr10_vgpr11
                                        ; implicit-def: $vgpr4_vgpr5
	s_mov_b64 s[40:41], -1
	s_branch .LBB62_164
.LBB62_169:                             ;   in Loop: Header=BB62_34 Depth=1
                                        ; implicit-def: $sgpr8_sgpr9
	s_branch .LBB62_114
.LBB62_170:                             ;   in Loop: Header=BB62_34 Depth=1
                                        ; implicit-def: $sgpr8_sgpr9
	s_branch .LBB62_129
.LBB62_171:                             ;   in Loop: Header=BB62_34 Depth=1
	s_or_b64 exec, exec, s[28:29]
	v_lshrrev_b32_e32 v52, 16, v26
	s_and_b64 s[28:29], s[38:39], exec
.LBB62_172:                             ;   in Loop: Header=BB62_34 Depth=1
	s_or_b64 exec, exec, s[8:9]
.LBB62_173:                             ;   in Loop: Header=BB62_34 Depth=1
	s_and_b64 vcc, exec, s[46:47]
	s_cbranch_vccz .LBB62_188
; %bb.174:                              ;   in Loop: Header=BB62_34 Depth=1
	s_add_u32 s38, s34, s83
	v_readlane_b32 s8, v56, 40
	s_addc_u32 s15, s35, s8
	s_mov_b32 s14, s65
	s_cmp_lg_u64 s[14:15], 0
	s_cbranch_scc0 .LBB62_218
; %bb.175:                              ;   in Loop: Header=BB62_34 Depth=1
	s_add_u32 s8, s23, 0
	s_addc_u32 s9, 0, 0
	s_xor_b64 s[44:45], s[8:9], 0
	v_cvt_f32_u32_e32 v4, s44
	v_cvt_f32_u32_e32 v5, s45
	s_sub_u32 s14, 0, s44
	s_subb_u32 s36, 0, s45
	v_mac_f32_e32 v4, 0x4f800000, v5
	v_rcp_f32_e32 v4, v4
	v_mul_f32_e32 v4, 0x5f7ffffc, v4
	v_mul_f32_e32 v5, 0x2f800000, v4
	v_trunc_f32_e32 v5, v5
	v_mac_f32_e32 v4, 0xcf800000, v5
	v_cvt_u32_f32_e32 v5, v5
	v_cvt_u32_f32_e32 v4, v4
	v_readfirstlane_b32 s37, v5
	v_readfirstlane_b32 s8, v4
	s_mul_i32 s9, s14, s37
	s_mul_hi_u32 s40, s14, s8
	s_mul_i32 s39, s36, s8
	s_add_i32 s9, s40, s9
	s_mul_i32 s41, s14, s8
	s_add_i32 s9, s9, s39
	s_mul_i32 s40, s8, s9
	s_mul_hi_u32 s42, s8, s41
	s_mul_hi_u32 s39, s8, s9
	s_add_u32 s40, s42, s40
	s_addc_u32 s39, 0, s39
	s_mul_hi_u32 s43, s37, s41
	s_mul_i32 s41, s37, s41
	s_add_u32 s40, s40, s41
	s_mul_hi_u32 s42, s37, s9
	s_addc_u32 s39, s39, s43
	s_addc_u32 s40, s42, 0
	s_mul_i32 s9, s37, s9
	s_add_u32 s9, s39, s9
	s_addc_u32 s39, 0, s40
	s_add_u32 s40, s8, s9
	s_cselect_b64 s[8:9], -1, 0
	s_cmp_lg_u64 s[8:9], 0
	s_addc_u32 s37, s37, s39
	s_mul_i32 s8, s14, s37
	s_mul_hi_u32 s9, s14, s40
	s_add_i32 s8, s9, s8
	s_mul_i32 s36, s36, s40
	s_add_i32 s8, s8, s36
	s_mul_i32 s14, s14, s40
	s_mul_hi_u32 s36, s37, s14
	s_mul_i32 s39, s37, s14
	s_mul_i32 s42, s40, s8
	s_mul_hi_u32 s14, s40, s14
	s_mul_hi_u32 s41, s40, s8
	s_add_u32 s14, s14, s42
	s_addc_u32 s41, 0, s41
	s_add_u32 s14, s14, s39
	s_mul_hi_u32 s9, s37, s8
	s_addc_u32 s14, s41, s36
	s_addc_u32 s9, s9, 0
	s_mul_i32 s8, s37, s8
	s_add_u32 s8, s14, s8
	s_addc_u32 s14, 0, s9
	s_add_u32 s39, s40, s8
	s_cselect_b64 s[8:9], -1, 0
	s_cmp_lg_u64 s[8:9], 0
	s_addc_u32 s14, s37, s14
	s_ashr_i32 s36, s15, 31
	s_add_u32 s8, s38, s36
	s_mov_b32 s37, s36
	s_addc_u32 s9, s15, s36
	s_xor_b64 s[8:9], s[8:9], s[36:37]
	s_mul_i32 s41, s8, s14
	s_mul_hi_u32 s42, s8, s39
	s_mul_hi_u32 s40, s8, s14
	s_add_u32 s41, s42, s41
	s_addc_u32 s40, 0, s40
	s_mul_hi_u32 s43, s9, s39
	s_mul_i32 s39, s9, s39
	s_add_u32 s39, s41, s39
	s_mul_hi_u32 s42, s9, s14
	s_addc_u32 s39, s40, s43
	s_addc_u32 s40, s42, 0
	s_mul_i32 s14, s9, s14
	s_add_u32 s14, s39, s14
	s_addc_u32 s39, 0, s40
	s_mul_i32 s39, s44, s39
	s_mul_hi_u32 s40, s44, s14
	s_add_i32 s39, s40, s39
	s_mul_i32 s40, s45, s14
	s_add_i32 s39, s39, s40
	s_sub_i32 s42, s9, s39
	s_mul_i32 s14, s44, s14
	s_sub_u32 s8, s8, s14
	s_cselect_b64 s[40:41], -1, 0
	s_cmp_lg_u64 s[40:41], 0
	s_subb_u32 s14, s42, s45
	s_sub_u32 s46, s8, s44
	s_cselect_b64 s[42:43], -1, 0
	s_cmp_lg_u64 s[42:43], 0
	s_subb_u32 s47, s14, 0
	s_cmp_ge_u32 s47, s45
	s_cselect_b32 s48, -1, 0
	s_cmp_ge_u32 s46, s44
	s_cselect_b32 s49, -1, 0
	s_cmp_eq_u32 s47, s45
	s_cselect_b32 s48, s49, s48
	s_cmp_lg_u64 s[42:43], 0
	s_subb_u32 s14, s14, s45
	s_sub_u32 s49, s46, s44
	s_cselect_b64 s[42:43], -1, 0
	s_cmp_lg_u64 s[42:43], 0
	s_subb_u32 s14, s14, 0
	s_cmp_lg_u32 s48, 0
	s_cselect_b32 s42, s49, s46
	s_cselect_b32 s14, s14, s47
	s_cmp_lg_u64 s[40:41], 0
	s_subb_u32 s9, s9, s39
	s_cmp_ge_u32 s9, s45
	s_cselect_b32 s39, -1, 0
	s_cmp_ge_u32 s8, s44
	s_cselect_b32 s40, -1, 0
	s_cmp_eq_u32 s9, s45
	s_cselect_b32 s39, s40, s39
	s_cmp_lg_u32 s39, 0
	s_cselect_b32 s9, s14, s9
	s_cselect_b32 s8, s42, s8
	s_xor_b64 s[8:9], s[8:9], s[36:37]
	s_sub_u32 s8, s8, s36
	s_subb_u32 s9, s9, s36
	s_cbranch_execnz .LBB62_177
.LBB62_176:                             ;   in Loop: Header=BB62_34 Depth=1
	v_cvt_f32_u32_e32 v4, s23
	s_sub_i32 s8, 0, s23
	v_rcp_iflag_f32_e32 v4, v4
	v_mul_f32_e32 v4, 0x4f7ffffe, v4
	v_cvt_u32_f32_e32 v4, v4
	v_readfirstlane_b32 s9, v4
	s_mul_i32 s8, s8, s9
	s_mul_hi_u32 s8, s9, s8
	s_add_i32 s9, s9, s8
	s_mul_hi_u32 s8, s38, s9
	s_mul_i32 s8, s8, s23
	s_sub_i32 s8, s38, s8
	s_sub_i32 s9, s8, s23
	s_cmp_ge_u32 s8, s23
	s_cselect_b32 s8, s9, s8
	s_sub_i32 s9, s8, s23
	s_cmp_ge_u32 s8, s23
	s_cselect_b32 s64, s9, s8
	s_mov_b64 s[8:9], s[64:65]
.LBB62_177:                             ;   in Loop: Header=BB62_34 Depth=1
	s_sub_u32 s14, s38, s8
	s_subb_u32 s15, s15, s9
	v_cmp_gt_i64_e32 vcc, s[14:15], v[0:1]
                                        ; implicit-def: $vgpr52
	s_and_saveexec_b64 s[8:9], vcc
	s_cbranch_execz .LBB62_187
; %bb.178:                              ;   in Loop: Header=BB62_34 Depth=1
	v_mov_b32_e32 v5, v1
	s_mov_b64 s[36:37], 0
	v_mov_b32_e32 v10, v45
	v_mov_b32_e32 v4, v0
                                        ; implicit-def: $sgpr38_sgpr39
	s_branch .LBB62_182
.LBB62_179:                             ;   in Loop: Header=BB62_182 Depth=2
	s_or_b64 exec, exec, s[40:41]
	s_waitcnt lgkmcnt(0)
	s_barrier
	ds_read_b32 v11, v3 offset:3072
	s_waitcnt lgkmcnt(0)
	s_barrier
	v_cmp_eq_f16_e32 vcc, 0, v11
	s_cbranch_vccz .LBB62_185
; %bb.180:                              ;   in Loop: Header=BB62_182 Depth=2
	v_add_co_u32_e32 v4, vcc, s23, v4
	v_addc_co_u32_e32 v5, vcc, 0, v5, vcc
	v_cmp_le_i64_e32 vcc, s[14:15], v[4:5]
	v_add_u32_e32 v10, s2, v10
	s_mov_b64 s[40:41], 0
	s_orn2_b64 s[42:43], vcc, exec
.LBB62_181:                             ;   in Loop: Header=BB62_182 Depth=2
	s_and_b64 s[42:43], exec, s[42:43]
	s_or_b64 s[36:37], s[42:43], s[36:37]
	s_andn2_b64 s[38:39], s[38:39], exec
	s_and_b64 s[40:41], s[40:41], exec
	s_or_b64 s[38:39], s[38:39], s[40:41]
	s_andn2_b64 exec, exec, s[36:37]
	s_cbranch_execz .LBB62_186
.LBB62_182:                             ;   Parent Loop BB62_34 Depth=1
                                        ; =>  This Inner Loop Header: Depth=2
	v_cmp_gt_u64_e32 vcc, s[34:35], v[4:5]
	s_and_saveexec_b64 s[40:41], vcc
	s_cbranch_execz .LBB62_179
; %bb.183:                              ;   in Loop: Header=BB62_182 Depth=2
	ds_read_u16 v11, v10
	s_waitcnt lgkmcnt(0)
	v_cmp_lt_i16_e32 vcc, -1, v11
	v_cndmask_b32_e32 v26, v47, v48, vcc
	v_xor_b32_sdwa v26, v26, v11 dst_sel:DWORD dst_unused:UNUSED_PAD src0_sel:DWORD src1_sel:WORD_0
	v_cmp_o_f16_e32 vcc, v11, v11
	v_cndmask_b32_e32 v26, v47, v26, vcc
	v_and_b32_e32 v26, v26, v51
	v_cmp_eq_u32_e32 vcc, v26, v44
	s_and_b64 exec, exec, vcc
	s_cbranch_execz .LBB62_179
; %bb.184:                              ;   in Loop: Header=BB62_182 Depth=2
	v_perm_b32 v11, v11, s3, v50
	ds_write_b32 v3, v11 offset:3072
	s_branch .LBB62_179
.LBB62_185:                             ;   in Loop: Header=BB62_182 Depth=2
	s_mov_b64 s[42:43], -1
                                        ; implicit-def: $vgpr4_vgpr5
                                        ; implicit-def: $vgpr10
	s_mov_b64 s[40:41], -1
	s_branch .LBB62_181
.LBB62_186:                             ;   in Loop: Header=BB62_34 Depth=1
	s_or_b64 exec, exec, s[36:37]
	s_andn2_b64 s[14:15], s[28:29], exec
	s_and_b64 s[28:29], s[38:39], exec
	v_lshrrev_b32_e32 v52, 16, v11
	s_or_b64 s[28:29], s[14:15], s[28:29]
.LBB62_187:                             ;   in Loop: Header=BB62_34 Depth=1
	s_or_b64 exec, exec, s[8:9]
	s_mov_b64 s[14:15], 0
	s_mov_b64 s[44:45], -1
.LBB62_188:                             ;   in Loop: Header=BB62_34 Depth=1
	s_orn2_b64 s[8:9], s[28:29], exec
.LBB62_189:                             ;   in Loop: Header=BB62_34 Depth=1
	s_or_b64 exec, exec, s[6:7]
	s_mov_b64 s[6:7], 0
	s_and_saveexec_b64 s[46:47], s[8:9]
	s_cbranch_execz .LBB62_299
; %bb.190:                              ;   in Loop: Header=BB62_34 Depth=1
	v_mov_b32_e32 v4, 1
	s_xor_b64 s[6:7], s[4:5], -1
	v_mov_b32_e32 v2, 1
	v_mov_b32_e32 v5, 0
	s_mov_b64 s[8:9], 0
	s_and_saveexec_b64 s[4:5], s[6:7]
	s_cbranch_execz .LBB62_200
; %bb.191:                              ;   in Loop: Header=BB62_34 Depth=1
	v_cmp_le_i64_e32 vcc, v[8:9], v[6:7]
	s_and_saveexec_b64 s[6:7], vcc
	s_xor_b64 s[6:7], exec, s[6:7]
	s_cbranch_execz .LBB62_197
; %bb.192:                              ;   in Loop: Header=BB62_34 Depth=1
	ds_read_b64 v[4:5], v3 offset:5120
	v_and_b32_e32 v2, s78, v44
	v_lshl_or_b32 v44, 1, s72, v2
	v_or_b32_e32 v51, s82, v51
	s_waitcnt lgkmcnt(0)
	v_cmp_ne_u64_e32 vcc, 0, v[4:5]
	s_cbranch_vccnz .LBB62_196
; %bb.193:                              ;   in Loop: Header=BB62_34 Depth=1
	s_mov_b64 s[8:9], exec
	v_readlane_b32 s28, v56, 32
	v_readlane_b32 s29, v56, 33
	s_and_b64 s[28:29], s[8:9], s[28:29]
	s_mov_b64 exec, s[28:29]
; %bb.194:                              ;   in Loop: Header=BB62_34 Depth=1
	ds_write_b64 v3, v[6:7] offset:5128
; %bb.195:                              ;   in Loop: Header=BB62_34 Depth=1
	s_or_b64 exec, exec, s[8:9]
	s_waitcnt lgkmcnt(0)
	s_barrier
.LBB62_196:                             ;   in Loop: Header=BB62_34 Depth=1
                                        ; implicit-def: $vgpr4_vgpr5_vgpr6_vgpr7
.LBB62_197:                             ;   in Loop: Header=BB62_34 Depth=1
	s_or_saveexec_b64 s[6:7], s[6:7]
	s_mov_b64 s[8:9], 0
	v_mov_b32_e32 v2, 8
	s_xor_b64 exec, exec, s[6:7]
; %bb.198:                              ;   in Loop: Header=BB62_34 Depth=1
	v_sub_co_u32_e32 v8, vcc, v8, v6
	v_subb_co_u32_e32 v9, vcc, v9, v7, vcc
	v_mov_b32_e32 v2, 0
	s_mov_b64 s[8:9], exec
; %bb.199:                              ;   in Loop: Header=BB62_34 Depth=1
	s_or_b64 exec, exec, s[6:7]
	v_mov_b32_e32 v4, v8
	s_and_b64 s[8:9], s[8:9], exec
	v_mov_b32_e32 v5, v9
.LBB62_200:                             ;   in Loop: Header=BB62_34 Depth=1
	s_or_b64 exec, exec, s[4:5]
	s_mov_b64 s[4:5], -1
                                        ; implicit-def: $sgpr50_sgpr51
                                        ; implicit-def: $sgpr6_sgpr7
	s_and_saveexec_b64 s[48:49], s[8:9]
	s_cbranch_execz .LBB62_298
; %bb.201:                              ;   in Loop: Header=BB62_34 Depth=1
	s_cmp_eq_u64 s[62:63], 1
	v_cmp_eq_u64_e32 vcc, 1, v[4:5]
	s_cselect_b64 s[4:5], -1, 0
	s_and_b64 s[34:35], s[4:5], vcc
	s_mov_b64 s[8:9], -1
                                        ; implicit-def: $sgpr6_sgpr7
                                        ; implicit-def: $sgpr50_sgpr51
	s_and_saveexec_b64 s[4:5], s[34:35]
	s_cbranch_execz .LBB62_237
; %bb.202:                              ;   in Loop: Header=BB62_34 Depth=1
	ds_read_b64 v[6:7], v3 offset:5120
	s_waitcnt lgkmcnt(0)
	s_barrier
	v_readfirstlane_b32 s54, v6
	v_readfirstlane_b32 s55, v7
	s_and_saveexec_b64 s[6:7], s[12:13]
; %bb.203:                              ;   in Loop: Header=BB62_34 Depth=1
	ds_write_b16 v46, v3
; %bb.204:                              ;   in Loop: Header=BB62_34 Depth=1
	s_or_b64 exec, exec, s[6:7]
	v_cmp_gt_i64_e64 s[8:9], s[54:55], 0
	v_and_b32_e32 v6, s78, v44
	v_lshl_or_b32 v44, 2, s72, v6
	v_or_b32_e32 v51, s82, v51
	s_mov_b64 s[50:51], -1
	s_mov_b64 s[6:7], 0
	s_and_b64 vcc, exec, s[8:9]
	s_mov_b64 s[28:29], 0
	s_mov_b64 s[52:53], -1
	s_waitcnt lgkmcnt(0)
	s_barrier
                                        ; implicit-def: $vgpr52
	s_cbranch_vccnz .LBB62_221
; %bb.205:                              ;   in Loop: Header=BB62_34 Depth=1
	s_mov_b32 s74, s65
	s_cmp_lg_u64 s[74:75], 0
	s_cbranch_scc0 .LBB62_264
; %bb.206:                              ;   in Loop: Header=BB62_34 Depth=1
	s_add_u32 s8, s23, 0
	s_addc_u32 s9, 0, 0
	s_xor_b64 s[28:29], s[8:9], 0
	v_cvt_f32_u32_e32 v6, s28
	v_cvt_f32_u32_e32 v7, s29
	s_sub_u32 s36, 0, s28
	s_subb_u32 s37, 0, s29
	v_mac_f32_e32 v6, 0x4f800000, v7
	v_rcp_f32_e32 v6, v6
	v_mul_f32_e32 v6, 0x5f7ffffc, v6
	v_mul_f32_e32 v7, 0x2f800000, v6
	v_trunc_f32_e32 v7, v7
	v_mac_f32_e32 v6, 0xcf800000, v7
	v_cvt_u32_f32_e32 v7, v7
	v_cvt_u32_f32_e32 v6, v6
	v_readfirstlane_b32 s38, v7
	v_readfirstlane_b32 s8, v6
	s_mul_i32 s9, s36, s38
	s_mul_hi_u32 s40, s36, s8
	s_mul_i32 s39, s37, s8
	s_add_i32 s9, s40, s9
	s_mul_i32 s41, s36, s8
	s_add_i32 s9, s9, s39
	s_mul_i32 s40, s8, s9
	s_mul_hi_u32 s42, s8, s41
	s_mul_hi_u32 s39, s8, s9
	s_add_u32 s40, s42, s40
	s_addc_u32 s39, 0, s39
	s_mul_hi_u32 s43, s38, s41
	s_mul_i32 s41, s38, s41
	s_add_u32 s40, s40, s41
	s_mul_hi_u32 s42, s38, s9
	s_addc_u32 s39, s39, s43
	s_addc_u32 s40, s42, 0
	s_mul_i32 s9, s38, s9
	s_add_u32 s9, s39, s9
	s_addc_u32 s39, 0, s40
	s_add_u32 s40, s8, s9
	s_cselect_b64 s[8:9], -1, 0
	s_cmp_lg_u64 s[8:9], 0
	s_addc_u32 s38, s38, s39
	s_mul_i32 s8, s36, s38
	s_mul_hi_u32 s9, s36, s40
	s_add_i32 s8, s9, s8
	s_mul_i32 s37, s37, s40
	s_add_i32 s8, s8, s37
	s_mul_i32 s36, s36, s40
	s_mul_hi_u32 s37, s38, s36
	s_mul_i32 s39, s38, s36
	s_mul_i32 s42, s40, s8
	s_mul_hi_u32 s36, s40, s36
	s_mul_hi_u32 s41, s40, s8
	s_add_u32 s36, s36, s42
	s_addc_u32 s41, 0, s41
	s_add_u32 s36, s36, s39
	s_mul_hi_u32 s9, s38, s8
	s_addc_u32 s36, s41, s37
	s_addc_u32 s9, s9, 0
	s_mul_i32 s8, s38, s8
	s_add_u32 s8, s36, s8
	s_addc_u32 s36, 0, s9
	s_add_u32 s39, s40, s8
	s_cselect_b64 s[8:9], -1, 0
	s_cmp_lg_u64 s[8:9], 0
	s_addc_u32 s38, s38, s36
	s_ashr_i32 s36, s75, 31
	s_add_u32 s8, s33, s36
	s_mov_b32 s37, s36
	s_addc_u32 s9, s75, s36
	s_xor_b64 s[8:9], s[8:9], s[36:37]
	s_mul_i32 s41, s8, s38
	s_mul_hi_u32 s42, s8, s39
	s_mul_hi_u32 s40, s8, s38
	s_add_u32 s41, s42, s41
	s_addc_u32 s40, 0, s40
	s_mul_hi_u32 s43, s9, s39
	s_mul_i32 s39, s9, s39
	s_add_u32 s39, s41, s39
	s_mul_hi_u32 s42, s9, s38
	s_addc_u32 s39, s40, s43
	s_addc_u32 s40, s42, 0
	s_mul_i32 s38, s9, s38
	s_add_u32 s38, s39, s38
	s_addc_u32 s39, 0, s40
	s_mul_i32 s39, s28, s39
	s_mul_hi_u32 s40, s28, s38
	s_add_i32 s39, s40, s39
	s_mul_i32 s40, s29, s38
	s_add_i32 s42, s39, s40
	s_sub_i32 s40, s9, s42
	s_mul_i32 s38, s28, s38
	s_sub_u32 s8, s8, s38
	s_cselect_b64 s[38:39], -1, 0
	s_cmp_lg_u64 s[38:39], 0
	s_subb_u32 s43, s40, s29
	s_sub_u32 s52, s8, s28
	s_cselect_b64 s[40:41], -1, 0
	s_cmp_lg_u64 s[40:41], 0
	s_subb_u32 s53, s43, 0
	s_cmp_ge_u32 s53, s29
	s_cselect_b32 s64, -1, 0
	s_cmp_ge_u32 s52, s28
	s_cselect_b32 s74, -1, 0
	s_cmp_eq_u32 s53, s29
	s_cselect_b32 s64, s74, s64
	s_cmp_lg_u64 s[40:41], 0
	s_subb_u32 s43, s43, s29
	s_sub_u32 s74, s52, s28
	s_cselect_b64 s[40:41], -1, 0
	s_cmp_lg_u64 s[40:41], 0
	s_subb_u32 s40, s43, 0
	s_cmp_lg_u32 s64, 0
	s_cselect_b32 s41, s74, s52
	s_cselect_b32 s40, s40, s53
	s_cmp_lg_u64 s[38:39], 0
	s_subb_u32 s9, s9, s42
	s_cmp_ge_u32 s9, s29
	s_cselect_b32 s38, -1, 0
	s_cmp_ge_u32 s8, s28
	s_cselect_b32 s28, -1, 0
	s_cmp_eq_u32 s9, s29
	s_cselect_b32 s28, s28, s38
	s_cmp_lg_u32 s28, 0
	s_cselect_b32 s9, s40, s9
	s_cselect_b32 s8, s41, s8
	s_xor_b64 s[8:9], s[8:9], s[36:37]
	s_sub_u32 s8, s8, s36
	s_subb_u32 s9, s9, s36
	s_cbranch_execnz .LBB62_208
.LBB62_207:                             ;   in Loop: Header=BB62_34 Depth=1
	v_cvt_f32_u32_e32 v6, s23
	s_sub_i32 s8, 0, s23
	v_rcp_iflag_f32_e32 v6, v6
	v_mul_f32_e32 v6, 0x4f7ffffe, v6
	v_cvt_u32_f32_e32 v6, v6
	v_readfirstlane_b32 s9, v6
	s_mul_i32 s8, s8, s9
	s_mul_hi_u32 s8, s9, s8
	s_add_i32 s9, s9, s8
	s_mul_hi_u32 s8, s33, s9
	s_mul_i32 s8, s8, s23
	s_sub_i32 s8, s33, s8
	s_sub_i32 s9, s8, s23
	s_cmp_ge_u32 s8, s23
	s_cselect_b32 s8, s9, s8
	s_sub_i32 s9, s8, s23
	s_cmp_ge_u32 s8, s23
	s_cselect_b32 s64, s9, s8
	s_mov_b64 s[8:9], s[64:65]
.LBB62_208:                             ;   in Loop: Header=BB62_34 Depth=1
	s_sub_u32 s36, s33, s8
	s_subb_u32 s37, s75, s9
	v_cmp_gt_i64_e32 vcc, s[36:37], v[0:1]
	s_mov_b64 s[52:53], 0
	s_mov_b64 s[28:29], 0
                                        ; implicit-def: $vgpr52
	s_and_saveexec_b64 s[8:9], vcc
	s_cbranch_execz .LBB62_220
; %bb.209:                              ;   in Loop: Header=BB62_34 Depth=1
	v_mov_b32_e32 v6, v12
	v_mov_b32_e32 v9, v1
	;; [unrolled: 1-line block ×4, first 2 shown]
                                        ; implicit-def: $sgpr38_sgpr39
	s_branch .LBB62_213
.LBB62_210:                             ;   in Loop: Header=BB62_213 Depth=2
	s_or_b64 exec, exec, s[40:41]
	s_waitcnt lgkmcnt(0)
	s_barrier
	ds_read_b32 v10, v3 offset:3072
	s_waitcnt lgkmcnt(0)
	s_barrier
	v_cmp_neq_f16_e32 vcc, 0, v10
	s_cbranch_vccnz .LBB62_216
; %bb.211:                              ;   in Loop: Header=BB62_213 Depth=2
	v_add_co_u32_e32 v8, vcc, s23, v8
	v_addc_co_u32_e32 v9, vcc, 0, v9, vcc
	v_mov_b32_e32 v11, s69
	v_add_co_u32_e32 v6, vcc, s68, v6
	v_addc_co_u32_e32 v7, vcc, v7, v11, vcc
	v_cmp_le_i64_e32 vcc, s[36:37], v[8:9]
	s_mov_b64 s[40:41], 0
	s_orn2_b64 s[42:43], vcc, exec
.LBB62_212:                             ;   in Loop: Header=BB62_213 Depth=2
	s_and_b64 s[42:43], exec, s[42:43]
	s_or_b64 s[28:29], s[42:43], s[28:29]
	s_andn2_b64 s[38:39], s[38:39], exec
	s_and_b64 s[40:41], s[40:41], exec
	s_or_b64 s[38:39], s[38:39], s[40:41]
	s_andn2_b64 exec, exec, s[28:29]
	s_cbranch_execz .LBB62_219
.LBB62_213:                             ;   Parent Loop BB62_34 Depth=1
                                        ; =>  This Inner Loop Header: Depth=2
	v_cmp_gt_i64_e32 vcc, s[24:25], v[8:9]
	s_and_saveexec_b64 s[40:41], vcc
	s_cbranch_execz .LBB62_210
; %bb.214:                              ;   in Loop: Header=BB62_213 Depth=2
	global_load_ushort v10, v[6:7], off
	s_waitcnt vmcnt(0)
	v_cmp_lt_i16_e32 vcc, -1, v10
	v_cndmask_b32_e32 v11, v47, v48, vcc
	v_xor_b32_sdwa v11, v11, v10 dst_sel:DWORD dst_unused:UNUSED_PAD src0_sel:DWORD src1_sel:WORD_0
	v_cmp_o_f16_e32 vcc, v10, v10
	v_cndmask_b32_e32 v11, v47, v11, vcc
	v_and_b32_e32 v11, v11, v51
	v_cmp_eq_u32_e32 vcc, v11, v44
	s_and_b64 exec, exec, vcc
	s_cbranch_execz .LBB62_210
; %bb.215:                              ;   in Loop: Header=BB62_213 Depth=2
	v_perm_b32 v10, v10, s3, v50
	ds_write_b32 v3, v10 offset:3072
	s_branch .LBB62_210
.LBB62_216:                             ;   in Loop: Header=BB62_213 Depth=2
	s_mov_b64 s[42:43], -1
                                        ; implicit-def: $vgpr8_vgpr9
                                        ; implicit-def: $vgpr6_vgpr7
	s_mov_b64 s[40:41], -1
	s_branch .LBB62_212
.LBB62_217:                             ;   in Loop: Header=BB62_34 Depth=1
                                        ; implicit-def: $sgpr8_sgpr9
	s_branch .LBB62_159
.LBB62_218:                             ;   in Loop: Header=BB62_34 Depth=1
                                        ; implicit-def: $sgpr8_sgpr9
	s_branch .LBB62_176
.LBB62_219:                             ;   in Loop: Header=BB62_34 Depth=1
	s_or_b64 exec, exec, s[28:29]
	v_lshrrev_b32_e32 v52, 16, v10
	s_and_b64 s[28:29], s[38:39], exec
.LBB62_220:                             ;   in Loop: Header=BB62_34 Depth=1
	s_or_b64 exec, exec, s[8:9]
.LBB62_221:                             ;   in Loop: Header=BB62_34 Depth=1
	s_and_b64 vcc, exec, s[52:53]
	s_cbranch_vccz .LBB62_236
; %bb.222:                              ;   in Loop: Header=BB62_34 Depth=1
	s_add_u32 s38, s54, s83
	v_readlane_b32 s6, v56, 40
	s_addc_u32 s7, s55, s6
	s_mov_b32 s6, s65
	s_cmp_lg_u64 s[6:7], 0
	s_cbranch_scc0 .LBB62_265
; %bb.223:                              ;   in Loop: Header=BB62_34 Depth=1
	s_add_u32 s8, s23, 0
	s_addc_u32 s9, 0, 0
	s_xor_b64 s[50:51], s[8:9], 0
	v_cvt_f32_u32_e32 v6, s50
	v_cvt_f32_u32_e32 v7, s51
	s_sub_u32 s6, 0, s50
	s_subb_u32 s36, 0, s51
	v_mac_f32_e32 v6, 0x4f800000, v7
	v_rcp_f32_e32 v6, v6
	v_mul_f32_e32 v6, 0x5f7ffffc, v6
	v_mul_f32_e32 v7, 0x2f800000, v6
	v_trunc_f32_e32 v7, v7
	v_mac_f32_e32 v6, 0xcf800000, v7
	v_cvt_u32_f32_e32 v7, v7
	v_cvt_u32_f32_e32 v6, v6
	v_readfirstlane_b32 s37, v7
	v_readfirstlane_b32 s8, v6
	s_mul_i32 s9, s6, s37
	s_mul_hi_u32 s40, s6, s8
	s_mul_i32 s39, s36, s8
	s_add_i32 s9, s40, s9
	s_mul_i32 s41, s6, s8
	s_add_i32 s9, s9, s39
	s_mul_i32 s40, s8, s9
	s_mul_hi_u32 s42, s8, s41
	s_mul_hi_u32 s39, s8, s9
	s_add_u32 s40, s42, s40
	s_addc_u32 s39, 0, s39
	s_mul_hi_u32 s43, s37, s41
	s_mul_i32 s41, s37, s41
	s_add_u32 s40, s40, s41
	s_mul_hi_u32 s42, s37, s9
	s_addc_u32 s39, s39, s43
	s_addc_u32 s40, s42, 0
	s_mul_i32 s9, s37, s9
	s_add_u32 s9, s39, s9
	s_addc_u32 s39, 0, s40
	s_add_u32 s40, s8, s9
	s_cselect_b64 s[8:9], -1, 0
	s_cmp_lg_u64 s[8:9], 0
	s_addc_u32 s37, s37, s39
	s_mul_i32 s8, s6, s37
	s_mul_hi_u32 s9, s6, s40
	s_add_i32 s8, s9, s8
	s_mul_i32 s36, s36, s40
	s_add_i32 s8, s8, s36
	s_mul_i32 s6, s6, s40
	s_mul_hi_u32 s36, s37, s6
	s_mul_i32 s39, s37, s6
	s_mul_i32 s42, s40, s8
	s_mul_hi_u32 s6, s40, s6
	s_mul_hi_u32 s41, s40, s8
	s_add_u32 s6, s6, s42
	s_addc_u32 s41, 0, s41
	s_add_u32 s6, s6, s39
	s_mul_hi_u32 s9, s37, s8
	s_addc_u32 s6, s41, s36
	s_addc_u32 s9, s9, 0
	s_mul_i32 s8, s37, s8
	s_add_u32 s6, s6, s8
	s_addc_u32 s36, 0, s9
	s_add_u32 s6, s40, s6
	s_cselect_b64 s[8:9], -1, 0
	s_cmp_lg_u64 s[8:9], 0
	s_addc_u32 s39, s37, s36
	s_ashr_i32 s36, s7, 31
	s_add_u32 s8, s38, s36
	s_mov_b32 s37, s36
	s_addc_u32 s9, s7, s36
	s_xor_b64 s[8:9], s[8:9], s[36:37]
	s_mul_i32 s41, s8, s39
	s_mul_hi_u32 s42, s8, s6
	s_mul_hi_u32 s40, s8, s39
	s_add_u32 s41, s42, s41
	s_addc_u32 s40, 0, s40
	s_mul_hi_u32 s43, s9, s6
	s_mul_i32 s6, s9, s6
	s_add_u32 s6, s41, s6
	s_mul_hi_u32 s42, s9, s39
	s_addc_u32 s6, s40, s43
	s_addc_u32 s40, s42, 0
	s_mul_i32 s39, s9, s39
	s_add_u32 s6, s6, s39
	s_addc_u32 s39, 0, s40
	s_mul_i32 s39, s50, s39
	s_mul_hi_u32 s40, s50, s6
	s_add_i32 s39, s40, s39
	s_mul_i32 s40, s51, s6
	s_add_i32 s39, s39, s40
	s_sub_i32 s42, s9, s39
	s_mul_i32 s6, s50, s6
	s_sub_u32 s6, s8, s6
	s_cselect_b64 s[40:41], -1, 0
	s_cmp_lg_u64 s[40:41], 0
	s_subb_u32 s8, s42, s51
	s_sub_u32 s52, s6, s50
	s_cselect_b64 s[42:43], -1, 0
	s_cmp_lg_u64 s[42:43], 0
	s_subb_u32 s53, s8, 0
	s_cmp_ge_u32 s53, s51
	s_cselect_b32 s64, -1, 0
	s_cmp_ge_u32 s52, s50
	s_cselect_b32 s74, -1, 0
	s_cmp_eq_u32 s53, s51
	s_cselect_b32 s64, s74, s64
	s_cmp_lg_u64 s[42:43], 0
	s_subb_u32 s8, s8, s51
	s_sub_u32 s74, s52, s50
	s_cselect_b64 s[42:43], -1, 0
	s_cmp_lg_u64 s[42:43], 0
	s_subb_u32 s8, s8, 0
	s_cmp_lg_u32 s64, 0
	s_cselect_b32 s42, s74, s52
	s_cselect_b32 s8, s8, s53
	s_cmp_lg_u64 s[40:41], 0
	s_subb_u32 s9, s9, s39
	s_cmp_ge_u32 s9, s51
	s_cselect_b32 s39, -1, 0
	s_cmp_ge_u32 s6, s50
	s_cselect_b32 s40, -1, 0
	s_cmp_eq_u32 s9, s51
	s_cselect_b32 s39, s40, s39
	s_cmp_lg_u32 s39, 0
	s_cselect_b32 s9, s8, s9
	s_cselect_b32 s8, s42, s6
	s_xor_b64 s[8:9], s[8:9], s[36:37]
	s_sub_u32 s8, s8, s36
	s_subb_u32 s9, s9, s36
	s_cbranch_execnz .LBB62_225
.LBB62_224:                             ;   in Loop: Header=BB62_34 Depth=1
	v_cvt_f32_u32_e32 v6, s23
	s_sub_i32 s6, 0, s23
	v_rcp_iflag_f32_e32 v6, v6
	v_mul_f32_e32 v6, 0x4f7ffffe, v6
	v_cvt_u32_f32_e32 v6, v6
	v_readfirstlane_b32 s8, v6
	s_mul_i32 s6, s6, s8
	s_mul_hi_u32 s6, s8, s6
	s_add_i32 s8, s8, s6
	s_mul_hi_u32 s6, s38, s8
	s_mul_i32 s6, s6, s23
	s_sub_i32 s6, s38, s6
	s_sub_i32 s8, s6, s23
	s_cmp_ge_u32 s6, s23
	s_cselect_b32 s6, s8, s6
	s_sub_i32 s8, s6, s23
	s_cmp_ge_u32 s6, s23
	s_cselect_b32 s64, s8, s6
	s_mov_b64 s[8:9], s[64:65]
.LBB62_225:                             ;   in Loop: Header=BB62_34 Depth=1
	s_sub_u32 s8, s38, s8
	s_subb_u32 s9, s7, s9
	v_cmp_gt_i64_e32 vcc, s[8:9], v[0:1]
                                        ; implicit-def: $vgpr52
	s_and_saveexec_b64 s[6:7], vcc
	s_cbranch_execz .LBB62_235
; %bb.226:                              ;   in Loop: Header=BB62_34 Depth=1
	v_mov_b32_e32 v7, v1
	s_mov_b64 s[36:37], 0
	v_mov_b32_e32 v8, v45
	v_mov_b32_e32 v6, v0
                                        ; implicit-def: $sgpr38_sgpr39
	s_branch .LBB62_230
.LBB62_227:                             ;   in Loop: Header=BB62_230 Depth=2
	s_or_b64 exec, exec, s[40:41]
	s_waitcnt lgkmcnt(0)
	s_barrier
	ds_read_b32 v9, v3 offset:3072
	s_waitcnt lgkmcnt(0)
	s_barrier
	v_cmp_eq_f16_e32 vcc, 0, v9
	s_cbranch_vccz .LBB62_233
; %bb.228:                              ;   in Loop: Header=BB62_230 Depth=2
	v_add_co_u32_e32 v6, vcc, s23, v6
	v_addc_co_u32_e32 v7, vcc, 0, v7, vcc
	v_cmp_le_i64_e32 vcc, s[8:9], v[6:7]
	v_add_u32_e32 v8, s2, v8
	s_mov_b64 s[40:41], 0
	s_orn2_b64 s[42:43], vcc, exec
.LBB62_229:                             ;   in Loop: Header=BB62_230 Depth=2
	s_and_b64 s[42:43], exec, s[42:43]
	s_or_b64 s[36:37], s[42:43], s[36:37]
	s_andn2_b64 s[38:39], s[38:39], exec
	s_and_b64 s[40:41], s[40:41], exec
	s_or_b64 s[38:39], s[38:39], s[40:41]
	s_andn2_b64 exec, exec, s[36:37]
	s_cbranch_execz .LBB62_234
.LBB62_230:                             ;   Parent Loop BB62_34 Depth=1
                                        ; =>  This Inner Loop Header: Depth=2
	v_cmp_gt_u64_e32 vcc, s[54:55], v[6:7]
	s_and_saveexec_b64 s[40:41], vcc
	s_cbranch_execz .LBB62_227
; %bb.231:                              ;   in Loop: Header=BB62_230 Depth=2
	ds_read_u16 v9, v8
	s_waitcnt lgkmcnt(0)
	v_cmp_lt_i16_e32 vcc, -1, v9
	v_cndmask_b32_e32 v10, v47, v48, vcc
	v_xor_b32_sdwa v10, v10, v9 dst_sel:DWORD dst_unused:UNUSED_PAD src0_sel:DWORD src1_sel:WORD_0
	v_cmp_o_f16_e32 vcc, v9, v9
	v_cndmask_b32_e32 v10, v47, v10, vcc
	v_and_b32_e32 v10, v10, v51
	v_cmp_eq_u32_e32 vcc, v10, v44
	s_and_b64 exec, exec, vcc
	s_cbranch_execz .LBB62_227
; %bb.232:                              ;   in Loop: Header=BB62_230 Depth=2
	v_perm_b32 v9, v9, s3, v50
	ds_write_b32 v3, v9 offset:3072
	s_branch .LBB62_227
.LBB62_233:                             ;   in Loop: Header=BB62_230 Depth=2
	s_mov_b64 s[42:43], -1
                                        ; implicit-def: $vgpr6_vgpr7
                                        ; implicit-def: $vgpr8
	s_mov_b64 s[40:41], -1
	s_branch .LBB62_229
.LBB62_234:                             ;   in Loop: Header=BB62_34 Depth=1
	s_or_b64 exec, exec, s[36:37]
	s_andn2_b64 s[8:9], s[28:29], exec
	s_and_b64 s[28:29], s[38:39], exec
	v_lshrrev_b32_e32 v52, 16, v9
	s_or_b64 s[28:29], s[8:9], s[28:29]
.LBB62_235:                             ;   in Loop: Header=BB62_34 Depth=1
	s_or_b64 exec, exec, s[6:7]
	s_mov_b64 s[50:51], 0
	s_mov_b64 s[6:7], -1
.LBB62_236:                             ;   in Loop: Header=BB62_34 Depth=1
	s_orn2_b64 s[8:9], s[28:29], exec
.LBB62_237:                             ;   in Loop: Header=BB62_34 Depth=1
	s_or_b64 exec, exec, s[4:5]
	s_mov_b64 s[28:29], 0
	s_and_saveexec_b64 s[4:5], s[8:9]
	s_cbranch_execz .LBB62_297
; %bb.238:                              ;   in Loop: Header=BB62_34 Depth=1
	v_mov_b32_e32 v6, 1
	s_xor_b64 s[8:9], s[34:35], -1
	v_mov_b32_e32 v2, 1
	v_mov_b32_e32 v7, 0
	s_mov_b64 s[36:37], 0
	s_and_saveexec_b64 s[28:29], s[8:9]
	s_cbranch_execz .LBB62_247
; %bb.239:                              ;   in Loop: Header=BB62_34 Depth=1
	v_cmp_ge_i64_e32 vcc, s[62:63], v[4:5]
	s_and_saveexec_b64 s[8:9], vcc
	s_xor_b64 s[8:9], exec, s[8:9]
	s_cbranch_execz .LBB62_244
; %bb.240:                              ;   in Loop: Header=BB62_34 Depth=1
	ds_read_b64 v[6:7], v3 offset:5120
	v_and_b32_e32 v2, s78, v44
	v_lshl_or_b32 v44, 2, s72, v2
	v_or_b32_e32 v51, s82, v51
	s_waitcnt lgkmcnt(0)
	v_cmp_ne_u64_e32 vcc, 0, v[6:7]
	s_cbranch_vccnz .LBB62_244
; %bb.241:                              ;   in Loop: Header=BB62_34 Depth=1
	s_mov_b64 s[34:35], exec
	v_readlane_b32 s36, v56, 32
	v_readlane_b32 s37, v56, 33
	s_and_b64 s[36:37], s[34:35], s[36:37]
	s_mov_b64 exec, s[36:37]
; %bb.242:                              ;   in Loop: Header=BB62_34 Depth=1
	v_mov_b32_e32 v6, s62
	v_mov_b32_e32 v7, s63
	ds_write_b64 v3, v[6:7] offset:5128
; %bb.243:                              ;   in Loop: Header=BB62_34 Depth=1
	s_or_b64 exec, exec, s[34:35]
	s_waitcnt lgkmcnt(0)
	s_barrier
.LBB62_244:                             ;   in Loop: Header=BB62_34 Depth=1
	s_or_saveexec_b64 s[8:9], s[8:9]
	s_mov_b64 s[34:35], 0
	v_mov_b32_e32 v2, 8
	s_xor_b64 exec, exec, s[8:9]
; %bb.245:                              ;   in Loop: Header=BB62_34 Depth=1
	v_subrev_co_u32_e32 v4, vcc, s62, v4
	v_mov_b32_e32 v2, s63
	v_subb_co_u32_e32 v5, vcc, v5, v2, vcc
	v_mov_b32_e32 v2, 0
	s_mov_b64 s[34:35], exec
; %bb.246:                              ;   in Loop: Header=BB62_34 Depth=1
	s_or_b64 exec, exec, s[8:9]
	v_mov_b32_e32 v7, v5
	s_and_b64 s[36:37], s[34:35], exec
	v_mov_b32_e32 v6, v4
.LBB62_247:                             ;   in Loop: Header=BB62_34 Depth=1
	s_or_b64 exec, exec, s[28:29]
	s_mov_b64 s[8:9], -1
                                        ; implicit-def: $sgpr78_sgpr79
                                        ; implicit-def: $sgpr52_sgpr53
	s_and_saveexec_b64 s[34:35], s[36:37]
	s_cbranch_execz .LBB62_296
; %bb.248:                              ;   in Loop: Header=BB62_34 Depth=1
	s_cmp_eq_u64 s[16:17], 1
	v_cmp_eq_u64_e32 vcc, 1, v[6:7]
	s_cselect_b64 s[8:9], -1, 0
	s_and_b64 s[54:55], s[8:9], vcc
	s_mov_b64 s[28:29], -1
                                        ; implicit-def: $sgpr78_sgpr79
                                        ; implicit-def: $sgpr52_sgpr53
	s_and_saveexec_b64 s[62:63], s[54:55]
	s_cbranch_execz .LBB62_284
; %bb.249:                              ;   in Loop: Header=BB62_34 Depth=1
	ds_read_b64 v[4:5], v3 offset:5120
	s_waitcnt lgkmcnt(0)
	s_barrier
	v_readfirstlane_b32 s28, v4
	v_readfirstlane_b32 s29, v5
	s_and_saveexec_b64 s[8:9], s[12:13]
; %bb.250:                              ;   in Loop: Header=BB62_34 Depth=1
	ds_write_b16 v46, v3
; %bb.251:                              ;   in Loop: Header=BB62_34 Depth=1
	s_or_b64 exec, exec, s[8:9]
	v_cmp_gt_i64_e64 s[8:9], s[28:29], 0
	v_or_b32_e32 v44, s82, v44
	v_or_b32_e32 v51, s82, v51
	s_mov_b64 s[52:53], -1
	s_mov_b64 s[78:79], 0
	s_and_b64 vcc, exec, s[8:9]
	s_mov_b64 s[80:81], 0
	s_mov_b64 s[8:9], -1
	s_waitcnt lgkmcnt(0)
	s_barrier
                                        ; implicit-def: $vgpr52
	v_writelane_b32 v56, s83, 54
	s_cbranch_vccnz .LBB62_268
; %bb.252:                              ;   in Loop: Header=BB62_34 Depth=1
	s_mov_b32 s74, s65
	s_cmp_lg_u64 s[74:75], 0
	s_cbranch_scc0 .LBB62_303
; %bb.253:                              ;   in Loop: Header=BB62_34 Depth=1
	s_add_u32 s8, s23, 0
	s_addc_u32 s9, 0, 0
	s_xor_b64 s[80:81], s[8:9], 0
	v_cvt_f32_u32_e32 v4, s80
	v_cvt_f32_u32_e32 v5, s81
	s_sub_u32 s36, 0, s80
	s_subb_u32 s37, 0, s81
	v_mac_f32_e32 v4, 0x4f800000, v5
	v_rcp_f32_e32 v4, v4
	v_mul_f32_e32 v4, 0x5f7ffffc, v4
	v_mul_f32_e32 v5, 0x2f800000, v4
	v_trunc_f32_e32 v5, v5
	v_mac_f32_e32 v4, 0xcf800000, v5
	v_cvt_u32_f32_e32 v5, v5
	v_cvt_u32_f32_e32 v4, v4
	v_readfirstlane_b32 s38, v5
	v_readfirstlane_b32 s8, v4
	s_mul_i32 s9, s36, s38
	s_mul_hi_u32 s40, s36, s8
	s_mul_i32 s39, s37, s8
	s_add_i32 s9, s40, s9
	s_mul_i32 s41, s36, s8
	s_add_i32 s9, s9, s39
	s_mul_i32 s40, s8, s9
	s_mul_hi_u32 s42, s8, s41
	s_mul_hi_u32 s39, s8, s9
	s_add_u32 s40, s42, s40
	s_addc_u32 s39, 0, s39
	s_mul_hi_u32 s43, s38, s41
	s_mul_i32 s41, s38, s41
	s_add_u32 s40, s40, s41
	s_mul_hi_u32 s42, s38, s9
	s_addc_u32 s39, s39, s43
	s_addc_u32 s40, s42, 0
	s_mul_i32 s9, s38, s9
	s_add_u32 s9, s39, s9
	s_addc_u32 s39, 0, s40
	s_add_u32 s40, s8, s9
	s_cselect_b64 s[8:9], -1, 0
	s_cmp_lg_u64 s[8:9], 0
	s_addc_u32 s38, s38, s39
	s_mul_i32 s8, s36, s38
	s_mul_hi_u32 s9, s36, s40
	s_add_i32 s8, s9, s8
	s_mul_i32 s37, s37, s40
	s_add_i32 s8, s8, s37
	s_mul_i32 s36, s36, s40
	s_mul_hi_u32 s37, s38, s36
	s_mul_i32 s39, s38, s36
	s_mul_i32 s42, s40, s8
	s_mul_hi_u32 s36, s40, s36
	s_mul_hi_u32 s41, s40, s8
	s_add_u32 s36, s36, s42
	s_addc_u32 s41, 0, s41
	s_add_u32 s36, s36, s39
	s_mul_hi_u32 s9, s38, s8
	s_addc_u32 s36, s41, s37
	s_addc_u32 s9, s9, 0
	s_mul_i32 s8, s38, s8
	s_add_u32 s8, s36, s8
	s_addc_u32 s36, 0, s9
	s_add_u32 s39, s40, s8
	s_cselect_b64 s[8:9], -1, 0
	s_cmp_lg_u64 s[8:9], 0
	s_addc_u32 s38, s38, s36
	s_ashr_i32 s36, s75, 31
	s_add_u32 s8, s33, s36
	s_mov_b32 s37, s36
	s_addc_u32 s9, s75, s36
	s_xor_b64 s[8:9], s[8:9], s[36:37]
	s_mul_i32 s41, s8, s38
	s_mul_hi_u32 s42, s8, s39
	s_mul_hi_u32 s40, s8, s38
	s_add_u32 s41, s42, s41
	s_addc_u32 s40, 0, s40
	s_mul_hi_u32 s43, s9, s39
	s_mul_i32 s39, s9, s39
	s_add_u32 s39, s41, s39
	s_mul_hi_u32 s42, s9, s38
	s_addc_u32 s39, s40, s43
	s_addc_u32 s40, s42, 0
	s_mul_i32 s38, s9, s38
	s_add_u32 s38, s39, s38
	s_addc_u32 s39, 0, s40
	s_mul_i32 s39, s80, s39
	s_mul_hi_u32 s40, s80, s38
	s_add_i32 s39, s40, s39
	s_mul_i32 s40, s81, s38
	s_add_i32 s42, s39, s40
	s_sub_i32 s40, s9, s42
	s_mul_i32 s38, s80, s38
	s_sub_u32 s8, s8, s38
	s_cselect_b64 s[38:39], -1, 0
	s_cmp_lg_u64 s[38:39], 0
	s_subb_u32 s43, s40, s81
	s_sub_u32 s64, s8, s80
	s_cselect_b64 s[40:41], -1, 0
	s_cmp_lg_u64 s[40:41], 0
	s_subb_u32 s74, s43, 0
	s_cmp_ge_u32 s74, s81
	s_cselect_b32 s83, -1, 0
	s_cmp_ge_u32 s64, s80
	s_cselect_b32 vcc_lo, -1, 0
	s_cmp_eq_u32 s74, s81
	s_cselect_b32 s83, vcc_lo, s83
	s_cmp_lg_u64 s[40:41], 0
	s_subb_u32 s43, s43, s81
	s_sub_u32 vcc_lo, s64, s80
	s_cselect_b64 s[40:41], -1, 0
	s_cmp_lg_u64 s[40:41], 0
	s_subb_u32 s40, s43, 0
	s_cmp_lg_u32 s83, 0
	s_cselect_b32 s41, vcc_lo, s64
	s_cselect_b32 s40, s40, s74
	s_cmp_lg_u64 s[38:39], 0
	s_subb_u32 s9, s9, s42
	s_cmp_ge_u32 s9, s81
	s_cselect_b32 s38, -1, 0
	s_cmp_ge_u32 s8, s80
	s_cselect_b32 s39, -1, 0
	s_cmp_eq_u32 s9, s81
	s_cselect_b32 s38, s39, s38
	s_cmp_lg_u32 s38, 0
	s_cselect_b32 s9, s40, s9
	s_cselect_b32 s8, s41, s8
	s_xor_b64 s[8:9], s[8:9], s[36:37]
	s_sub_u32 s8, s8, s36
	s_subb_u32 s9, s9, s36
	s_cbranch_execnz .LBB62_255
.LBB62_254:                             ;   in Loop: Header=BB62_34 Depth=1
	v_cvt_f32_u32_e32 v4, s23
	s_sub_i32 s8, 0, s23
	v_rcp_iflag_f32_e32 v4, v4
	v_mul_f32_e32 v4, 0x4f7ffffe, v4
	v_cvt_u32_f32_e32 v4, v4
	v_readfirstlane_b32 s9, v4
	s_mul_i32 s8, s8, s9
	s_mul_hi_u32 s8, s9, s8
	s_add_i32 s9, s9, s8
	s_mul_hi_u32 s8, s33, s9
	s_mul_i32 s8, s8, s23
	s_sub_i32 s8, s33, s8
	s_sub_i32 s9, s8, s23
	s_cmp_ge_u32 s8, s23
	s_cselect_b32 s8, s9, s8
	s_sub_i32 s9, s8, s23
	s_cmp_ge_u32 s8, s23
	s_cselect_b32 s64, s9, s8
	s_mov_b64 s[8:9], s[64:65]
.LBB62_255:                             ;   in Loop: Header=BB62_34 Depth=1
	s_sub_u32 s38, s33, s8
	s_subb_u32 s39, s75, s9
	v_cmp_gt_i64_e32 vcc, s[38:39], v[0:1]
	s_mov_b64 s[8:9], 0
	s_mov_b64 s[80:81], 0
                                        ; implicit-def: $vgpr52
	s_and_saveexec_b64 s[36:37], vcc
	v_readlane_b32 s83, v56, 54
	s_cbranch_execz .LBB62_267
; %bb.256:                              ;   in Loop: Header=BB62_34 Depth=1
	v_mov_b32_e32 v4, v12
	v_mov_b32_e32 v9, v1
	;; [unrolled: 1-line block ×4, first 2 shown]
                                        ; implicit-def: $sgpr40_sgpr41
	s_branch .LBB62_260
.LBB62_257:                             ;   in Loop: Header=BB62_260 Depth=2
	s_or_b64 exec, exec, s[42:43]
	s_waitcnt lgkmcnt(0)
	s_barrier
	ds_read_b32 v10, v3 offset:3072
	s_waitcnt lgkmcnt(0)
	s_barrier
	v_cmp_neq_f16_e32 vcc, 0, v10
	s_cbranch_vccnz .LBB62_263
; %bb.258:                              ;   in Loop: Header=BB62_260 Depth=2
	v_add_co_u32_e32 v8, vcc, s23, v8
	v_addc_co_u32_e32 v9, vcc, 0, v9, vcc
	v_mov_b32_e32 v11, s69
	v_add_co_u32_e32 v4, vcc, s68, v4
	v_addc_co_u32_e32 v5, vcc, v5, v11, vcc
	v_cmp_le_i64_e32 vcc, s[38:39], v[8:9]
	s_mov_b64 s[42:43], 0
	s_orn2_b64 vcc, vcc, exec
.LBB62_259:                             ;   in Loop: Header=BB62_260 Depth=2
	s_and_b64 vcc, exec, vcc
	s_or_b64 s[80:81], vcc, s[80:81]
	s_andn2_b64 s[40:41], s[40:41], exec
	s_and_b64 s[42:43], s[42:43], exec
	s_or_b64 s[40:41], s[40:41], s[42:43]
	s_andn2_b64 exec, exec, s[80:81]
	s_cbranch_execz .LBB62_266
.LBB62_260:                             ;   Parent Loop BB62_34 Depth=1
                                        ; =>  This Inner Loop Header: Depth=2
	v_cmp_gt_i64_e32 vcc, s[24:25], v[8:9]
	s_and_saveexec_b64 s[42:43], vcc
	s_cbranch_execz .LBB62_257
; %bb.261:                              ;   in Loop: Header=BB62_260 Depth=2
	global_load_ushort v10, v[4:5], off
	s_waitcnt vmcnt(0)
	v_cmp_lt_i16_e32 vcc, -1, v10
	v_cndmask_b32_e32 v11, v47, v48, vcc
	v_xor_b32_sdwa v11, v11, v10 dst_sel:DWORD dst_unused:UNUSED_PAD src0_sel:DWORD src1_sel:WORD_0
	v_cmp_o_f16_e32 vcc, v10, v10
	v_cndmask_b32_e32 v11, v47, v11, vcc
	v_and_b32_e32 v11, v11, v51
	v_cmp_eq_u32_e32 vcc, v11, v44
	s_and_b64 exec, exec, vcc
	s_cbranch_execz .LBB62_257
; %bb.262:                              ;   in Loop: Header=BB62_260 Depth=2
	v_perm_b32 v10, v10, s3, v50
	ds_write_b32 v3, v10 offset:3072
	s_branch .LBB62_257
.LBB62_263:                             ;   in Loop: Header=BB62_260 Depth=2
	s_mov_b64 vcc, -1
                                        ; implicit-def: $vgpr8_vgpr9
                                        ; implicit-def: $vgpr4_vgpr5
	s_mov_b64 s[42:43], -1
	s_branch .LBB62_259
.LBB62_264:                             ;   in Loop: Header=BB62_34 Depth=1
                                        ; implicit-def: $sgpr8_sgpr9
	s_branch .LBB62_207
.LBB62_265:                             ;   in Loop: Header=BB62_34 Depth=1
                                        ; implicit-def: $sgpr8_sgpr9
	s_branch .LBB62_224
.LBB62_266:                             ;   in Loop: Header=BB62_34 Depth=1
	s_or_b64 exec, exec, s[80:81]
	v_lshrrev_b32_e32 v52, 16, v10
	s_and_b64 s[80:81], s[40:41], exec
.LBB62_267:                             ;   in Loop: Header=BB62_34 Depth=1
	s_or_b64 exec, exec, s[36:37]
.LBB62_268:                             ;   in Loop: Header=BB62_34 Depth=1
	s_and_b64 vcc, exec, s[8:9]
	s_cbranch_vccz .LBB62_283
; %bb.269:                              ;   in Loop: Header=BB62_34 Depth=1
	s_add_u32 s38, s28, s83
	v_readlane_b32 s8, v56, 40
	s_addc_u32 s53, s29, s8
	s_mov_b32 s52, s65
	s_cmp_lg_u64 s[52:53], 0
	s_cbranch_scc0 .LBB62_304
; %bb.270:                              ;   in Loop: Header=BB62_34 Depth=1
	s_add_u32 s8, s23, 0
	s_addc_u32 s9, 0, 0
	s_xor_b64 s[78:79], s[8:9], 0
	v_cvt_f32_u32_e32 v4, s78
	v_cvt_f32_u32_e32 v5, s79
	s_sub_u32 s36, 0, s78
	s_subb_u32 s37, 0, s79
	v_mac_f32_e32 v4, 0x4f800000, v5
	v_rcp_f32_e32 v4, v4
	v_mul_f32_e32 v4, 0x5f7ffffc, v4
	v_mul_f32_e32 v5, 0x2f800000, v4
	v_trunc_f32_e32 v5, v5
	v_mac_f32_e32 v4, 0xcf800000, v5
	v_cvt_u32_f32_e32 v5, v5
	v_cvt_u32_f32_e32 v4, v4
	v_readfirstlane_b32 s39, v5
	v_readfirstlane_b32 s8, v4
	s_mul_i32 s9, s36, s39
	s_mul_hi_u32 s41, s36, s8
	s_mul_i32 s40, s37, s8
	s_add_i32 s9, s41, s9
	s_mul_i32 s42, s36, s8
	s_add_i32 s9, s9, s40
	s_mul_i32 s41, s8, s9
	s_mul_hi_u32 s43, s8, s42
	s_mul_hi_u32 s40, s8, s9
	s_add_u32 s41, s43, s41
	s_addc_u32 s40, 0, s40
	s_mul_hi_u32 s52, s39, s42
	s_mul_i32 s42, s39, s42
	s_add_u32 s41, s41, s42
	s_mul_hi_u32 s43, s39, s9
	s_addc_u32 s40, s40, s52
	s_addc_u32 s41, s43, 0
	s_mul_i32 s9, s39, s9
	s_add_u32 s9, s40, s9
	s_addc_u32 s40, 0, s41
	s_add_u32 s41, s8, s9
	s_cselect_b64 s[8:9], -1, 0
	s_cmp_lg_u64 s[8:9], 0
	s_addc_u32 s39, s39, s40
	s_mul_i32 s8, s36, s39
	s_mul_hi_u32 s9, s36, s41
	s_add_i32 s8, s9, s8
	s_mul_i32 s37, s37, s41
	s_add_i32 s8, s8, s37
	s_mul_i32 s36, s36, s41
	s_mul_hi_u32 s37, s39, s36
	s_mul_i32 s40, s39, s36
	s_mul_i32 s43, s41, s8
	s_mul_hi_u32 s36, s41, s36
	s_mul_hi_u32 s42, s41, s8
	s_add_u32 s36, s36, s43
	s_addc_u32 s42, 0, s42
	s_add_u32 s36, s36, s40
	s_mul_hi_u32 s9, s39, s8
	s_addc_u32 s36, s42, s37
	s_addc_u32 s9, s9, 0
	s_mul_i32 s8, s39, s8
	s_add_u32 s8, s36, s8
	s_addc_u32 s36, 0, s9
	s_add_u32 s40, s41, s8
	s_cselect_b64 s[8:9], -1, 0
	s_cmp_lg_u64 s[8:9], 0
	s_addc_u32 s39, s39, s36
	s_ashr_i32 s36, s53, 31
	s_add_u32 s8, s38, s36
	s_mov_b32 s37, s36
	s_addc_u32 s9, s53, s36
	s_xor_b64 s[8:9], s[8:9], s[36:37]
	s_mul_i32 s42, s8, s39
	s_mul_hi_u32 s43, s8, s40
	s_mul_hi_u32 s41, s8, s39
	s_add_u32 s42, s43, s42
	s_addc_u32 s41, 0, s41
	s_mul_hi_u32 s52, s9, s40
	s_mul_i32 s40, s9, s40
	s_add_u32 s40, s42, s40
	s_mul_hi_u32 s43, s9, s39
	s_addc_u32 s40, s41, s52
	s_addc_u32 s41, s43, 0
	s_mul_i32 s39, s9, s39
	s_add_u32 s39, s40, s39
	s_addc_u32 s40, 0, s41
	s_mul_i32 s40, s78, s40
	s_mul_hi_u32 s41, s78, s39
	s_add_i32 s40, s41, s40
	s_mul_i32 s41, s79, s39
	s_add_i32 s52, s40, s41
	s_sub_i32 s42, s9, s52
	s_mul_i32 s39, s78, s39
	s_sub_u32 s8, s8, s39
	s_cselect_b64 s[40:41], -1, 0
	s_cmp_lg_u64 s[40:41], 0
	s_subb_u32 s39, s42, s79
	s_sub_u32 s64, s8, s78
	s_cselect_b64 s[42:43], -1, 0
	s_cmp_lg_u64 s[42:43], 0
	s_subb_u32 s74, s39, 0
	s_cmp_ge_u32 s74, s79
	s_cselect_b32 s83, -1, 0
	s_cmp_ge_u32 s64, s78
	s_cselect_b32 vcc_lo, -1, 0
	s_cmp_eq_u32 s74, s79
	s_cselect_b32 s83, vcc_lo, s83
	s_cmp_lg_u64 s[42:43], 0
	s_subb_u32 s39, s39, s79
	s_sub_u32 vcc_lo, s64, s78
	s_cselect_b64 s[42:43], -1, 0
	s_cmp_lg_u64 s[42:43], 0
	s_subb_u32 s39, s39, 0
	s_cmp_lg_u32 s83, 0
	s_cselect_b32 s42, vcc_lo, s64
	s_cselect_b32 s39, s39, s74
	s_cmp_lg_u64 s[40:41], 0
	s_subb_u32 s9, s9, s52
	s_cmp_ge_u32 s9, s79
	s_cselect_b32 s40, -1, 0
	s_cmp_ge_u32 s8, s78
	s_cselect_b32 s41, -1, 0
	s_cmp_eq_u32 s9, s79
	s_cselect_b32 s40, s41, s40
	s_cmp_lg_u32 s40, 0
	s_cselect_b32 s9, s39, s9
	s_cselect_b32 s8, s42, s8
	s_xor_b64 s[8:9], s[8:9], s[36:37]
	s_sub_u32 s8, s8, s36
	s_subb_u32 s9, s9, s36
	s_cbranch_execnz .LBB62_272
.LBB62_271:                             ;   in Loop: Header=BB62_34 Depth=1
	v_cvt_f32_u32_e32 v4, s23
	s_sub_i32 s8, 0, s23
	v_rcp_iflag_f32_e32 v4, v4
	v_mul_f32_e32 v4, 0x4f7ffffe, v4
	v_cvt_u32_f32_e32 v4, v4
	v_readfirstlane_b32 s9, v4
	s_mul_i32 s8, s8, s9
	s_mul_hi_u32 s8, s9, s8
	s_add_i32 s9, s9, s8
	s_mul_hi_u32 s8, s38, s9
	s_mul_i32 s8, s8, s23
	s_sub_i32 s8, s38, s8
	s_sub_i32 s9, s8, s23
	s_cmp_ge_u32 s8, s23
	s_cselect_b32 s8, s9, s8
	s_sub_i32 s9, s8, s23
	s_cmp_ge_u32 s8, s23
	s_cselect_b32 s64, s9, s8
	s_mov_b64 s[8:9], s[64:65]
.LBB62_272:                             ;   in Loop: Header=BB62_34 Depth=1
	s_sub_u32 s36, s38, s8
	s_subb_u32 s37, s53, s9
	v_cmp_gt_i64_e32 vcc, s[36:37], v[0:1]
                                        ; implicit-def: $vgpr52
	s_and_saveexec_b64 s[8:9], vcc
	v_readlane_b32 s83, v56, 54
	s_cbranch_execz .LBB62_282
; %bb.273:                              ;   in Loop: Header=BB62_34 Depth=1
	v_mov_b32_e32 v5, v1
	s_mov_b64 s[38:39], 0
	v_mov_b32_e32 v8, v45
	v_mov_b32_e32 v4, v0
                                        ; implicit-def: $sgpr40_sgpr41
	s_branch .LBB62_277
.LBB62_274:                             ;   in Loop: Header=BB62_277 Depth=2
	s_or_b64 exec, exec, s[42:43]
	s_waitcnt lgkmcnt(0)
	s_barrier
	ds_read_b32 v9, v3 offset:3072
	s_waitcnt lgkmcnt(0)
	s_barrier
	v_cmp_eq_f16_e32 vcc, 0, v9
	s_cbranch_vccz .LBB62_280
; %bb.275:                              ;   in Loop: Header=BB62_277 Depth=2
	v_add_co_u32_e32 v4, vcc, s23, v4
	v_addc_co_u32_e32 v5, vcc, 0, v5, vcc
	v_cmp_le_i64_e32 vcc, s[36:37], v[4:5]
	v_add_u32_e32 v8, s2, v8
	s_mov_b64 s[42:43], 0
	s_orn2_b64 s[52:53], vcc, exec
.LBB62_276:                             ;   in Loop: Header=BB62_277 Depth=2
	s_and_b64 s[52:53], exec, s[52:53]
	s_or_b64 s[38:39], s[52:53], s[38:39]
	s_andn2_b64 s[40:41], s[40:41], exec
	s_and_b64 s[42:43], s[42:43], exec
	s_or_b64 s[40:41], s[40:41], s[42:43]
	s_andn2_b64 exec, exec, s[38:39]
	s_cbranch_execz .LBB62_281
.LBB62_277:                             ;   Parent Loop BB62_34 Depth=1
                                        ; =>  This Inner Loop Header: Depth=2
	v_cmp_gt_u64_e32 vcc, s[28:29], v[4:5]
	s_and_saveexec_b64 s[42:43], vcc
	s_cbranch_execz .LBB62_274
; %bb.278:                              ;   in Loop: Header=BB62_277 Depth=2
	ds_read_u16 v9, v8
	s_waitcnt lgkmcnt(0)
	v_cmp_lt_i16_e32 vcc, -1, v9
	v_cndmask_b32_e32 v10, v47, v48, vcc
	v_xor_b32_sdwa v10, v10, v9 dst_sel:DWORD dst_unused:UNUSED_PAD src0_sel:DWORD src1_sel:WORD_0
	v_cmp_o_f16_e32 vcc, v9, v9
	v_cndmask_b32_e32 v10, v47, v10, vcc
	v_and_b32_e32 v10, v10, v51
	v_cmp_eq_u32_e32 vcc, v10, v44
	s_and_b64 exec, exec, vcc
	s_cbranch_execz .LBB62_274
; %bb.279:                              ;   in Loop: Header=BB62_277 Depth=2
	v_perm_b32 v9, v9, s3, v50
	ds_write_b32 v3, v9 offset:3072
	s_branch .LBB62_274
.LBB62_280:                             ;   in Loop: Header=BB62_277 Depth=2
	s_mov_b64 s[52:53], -1
                                        ; implicit-def: $vgpr4_vgpr5
                                        ; implicit-def: $vgpr8
	s_mov_b64 s[42:43], -1
	s_branch .LBB62_276
.LBB62_281:                             ;   in Loop: Header=BB62_34 Depth=1
	s_or_b64 exec, exec, s[38:39]
	s_andn2_b64 s[28:29], s[80:81], exec
	s_and_b64 s[36:37], s[40:41], exec
	v_lshrrev_b32_e32 v52, 16, v9
	s_or_b64 s[80:81], s[28:29], s[36:37]
.LBB62_282:                             ;   in Loop: Header=BB62_34 Depth=1
	s_or_b64 exec, exec, s[8:9]
	s_mov_b64 s[52:53], 0
	s_mov_b64 s[78:79], -1
.LBB62_283:                             ;   in Loop: Header=BB62_34 Depth=1
	s_orn2_b64 s[28:29], s[80:81], exec
.LBB62_284:                             ;   in Loop: Header=BB62_34 Depth=1
	s_or_b64 exec, exec, s[62:63]
	s_mov_b64 s[36:37], 0
	s_and_saveexec_b64 s[8:9], s[28:29]
	s_cbranch_execz .LBB62_295
; %bb.285:                              ;   in Loop: Header=BB62_34 Depth=1
	v_mov_b32_e32 v4, 1
	s_xor_b64 s[36:37], s[54:55], -1
	v_mov_b32_e32 v5, 0
	v_mov_b32_e32 v2, 1
	s_and_saveexec_b64 s[28:29], s[36:37]
	s_cbranch_execz .LBB62_294
; %bb.286:                              ;   in Loop: Header=BB62_34 Depth=1
	v_cmp_ge_i64_e32 vcc, s[16:17], v[6:7]
	s_and_saveexec_b64 s[36:37], vcc
	s_xor_b64 s[36:37], exec, s[36:37]
	s_cbranch_execz .LBB62_291
; %bb.287:                              ;   in Loop: Header=BB62_34 Depth=1
	ds_read_b64 v[4:5], v3 offset:5120
	v_or_b32_e32 v44, s82, v44
	v_or_b32_e32 v51, s82, v51
	s_waitcnt lgkmcnt(0)
	v_cmp_ne_u64_e32 vcc, 0, v[4:5]
	s_cbranch_vccnz .LBB62_291
; %bb.288:                              ;   in Loop: Header=BB62_34 Depth=1
	s_mov_b64 s[38:39], exec
	v_readlane_b32 s40, v56, 32
	v_readlane_b32 s41, v56, 33
	s_and_b64 s[40:41], s[38:39], s[40:41]
	s_mov_b64 exec, s[40:41]
; %bb.289:                              ;   in Loop: Header=BB62_34 Depth=1
	v_mov_b32_e32 v4, s16
	v_mov_b32_e32 v5, s17
	ds_write_b64 v3, v[4:5] offset:5128
; %bb.290:                              ;   in Loop: Header=BB62_34 Depth=1
	s_or_b64 exec, exec, s[38:39]
	s_waitcnt lgkmcnt(0)
	s_barrier
.LBB62_291:                             ;   in Loop: Header=BB62_34 Depth=1
	s_andn2_saveexec_b64 s[36:37], s[36:37]
; %bb.292:                              ;   in Loop: Header=BB62_34 Depth=1
	v_mov_b32_e32 v2, s17
	v_subrev_co_u32_e32 v6, vcc, s16, v6
	v_subb_co_u32_e32 v7, vcc, v7, v2, vcc
; %bb.293:                              ;   in Loop: Header=BB62_34 Depth=1
	s_or_b64 exec, exec, s[36:37]
	v_mov_b32_e32 v4, v6
	v_mov_b32_e32 v2, 8
	;; [unrolled: 1-line block ×3, first 2 shown]
.LBB62_294:                             ;   in Loop: Header=BB62_34 Depth=1
	s_or_b64 exec, exec, s[28:29]
	v_mov_b32_e32 v7, v5
	s_mov_b64 s[36:37], exec
	v_mov_b32_e32 v6, v4
.LBB62_295:                             ;   in Loop: Header=BB62_34 Depth=1
	s_or_b64 exec, exec, s[8:9]
	s_orn2_b64 s[8:9], s[36:37], exec
.LBB62_296:                             ;   in Loop: Header=BB62_34 Depth=1
	s_or_b64 exec, exec, s[34:35]
	s_andn2_b64 s[6:7], s[6:7], exec
	s_and_b64 s[16:17], s[78:79], exec
	s_or_b64 s[6:7], s[6:7], s[16:17]
	s_andn2_b64 s[16:17], s[50:51], exec
	s_and_b64 s[28:29], s[52:53], exec
	v_mov_b32_e32 v4, v6
	s_or_b64 s[50:51], s[16:17], s[28:29]
	s_and_b64 s[28:29], s[8:9], exec
	v_mov_b32_e32 v5, v7
.LBB62_297:                             ;   in Loop: Header=BB62_34 Depth=1
	s_or_b64 exec, exec, s[4:5]
	s_orn2_b64 s[4:5], s[28:29], exec
.LBB62_298:                             ;   in Loop: Header=BB62_34 Depth=1
	s_or_b64 exec, exec, s[48:49]
	s_andn2_b64 s[8:9], s[44:45], exec
	s_and_b64 s[6:7], s[6:7], exec
	s_or_b64 s[44:45], s[8:9], s[6:7]
	s_andn2_b64 s[6:7], s[14:15], exec
	s_and_b64 s[8:9], s[50:51], exec
	v_mov_b32_e32 v9, v5
	s_or_b64 s[14:15], s[6:7], s[8:9]
	s_and_b64 s[6:7], s[4:5], exec
	v_mov_b32_e32 v8, v4
.LBB62_299:                             ;   in Loop: Header=BB62_34 Depth=1
	s_or_b64 exec, exec, s[46:47]
	s_orn2_b64 s[4:5], s[6:7], exec
.LBB62_300:                             ;   in Loop: Header=BB62_34 Depth=1
	s_or_b64 exec, exec, s[26:27]
	s_mov_b64 s[6:7], 0
	s_and_saveexec_b64 s[8:9], s[4:5]
	s_xor_b64 s[4:5], exec, s[8:9]
	s_cbranch_execz .LBB62_32
; %bb.301:                              ;   in Loop: Header=BB62_34 Depth=1
	v_and_b32_e32 v2, 7, v2
	v_cmp_eq_u32_e32 vcc, 0, v2
	s_mov_b64 s[8:9], -1
	s_mov_b64 s[6:7], -1
	s_and_saveexec_b64 s[16:17], vcc
	s_cbranch_execz .LBB62_31
; %bb.302:                              ;   in Loop: Header=BB62_34 Depth=1
	s_xor_b32 s73, s73, 1
	s_add_i32 s20, s72, -2
	s_cmp_eq_u32 s72, 0
	s_cselect_b64 s[8:9], -1, 0
	s_xor_b64 s[6:7], exec, -1
	s_orn2_b64 s[8:9], s[8:9], exec
	s_mov_b32 s72, s20
	s_branch .LBB62_31
.LBB62_303:                             ;   in Loop: Header=BB62_34 Depth=1
                                        ; implicit-def: $sgpr8_sgpr9
	s_branch .LBB62_254
.LBB62_304:                             ;   in Loop: Header=BB62_34 Depth=1
                                        ; implicit-def: $sgpr8_sgpr9
	s_branch .LBB62_271
.LBB62_305:
	s_or_b64 exec, exec, s[88:89]
	s_xor_b64 s[6:7], s[94:95], -1
	s_xor_b64 s[0:1], s[90:91], -1
	;; [unrolled: 1-line block ×3, first 2 shown]
	s_mov_b64 s[2:3], 0
	s_and_saveexec_b64 s[4:5], s[0:1]
	s_xor_b64 s[4:5], exec, s[4:5]
	s_cbranch_execnz .LBB62_310
; %bb.306:
	s_andn2_saveexec_b64 s[0:1], s[4:5]
	s_cbranch_execnz .LBB62_332
.LBB62_307:
	s_or_b64 exec, exec, s[0:1]
	s_and_saveexec_b64 s[0:1], s[2:3]
.LBB62_308:
	; divergent unreachable
.LBB62_309:
	s_endpgm
.LBB62_310:
	s_and_saveexec_b64 s[0:1], s[6:7]
	s_xor_b64 s[6:7], exec, s[0:1]
	s_cbranch_execz .LBB62_330
; %bb.311:
	s_and_saveexec_b64 s[0:1], s[8:9]
	s_xor_b64 s[2:3], exec, s[0:1]
; %bb.312:
	v_and_b32_e32 v2, 0x8000, v44
	v_mov_b32_e32 v3, 0x8000
	v_mov_b32_e32 v4, 0xffff
	v_cmp_eq_u32_e32 vcc, 0, v2
	v_cndmask_b32_e32 v2, v3, v4, vcc
	v_xor_b32_e32 v52, v2, v44
; %bb.313:
	s_or_b64 exec, exec, s[2:3]
	s_mov_b64 s[2:3], exec
	v_readlane_b32 s0, v56, 32
	v_readlane_b32 s1, v56, 33
	;; [unrolled: 1-line block ×3, first 2 shown]
	s_and_b64 s[0:1], s[2:3], s[0:1]
	s_mov_b32 s22, s8
	v_readlane_b32 s9, v56, 35
	s_mov_b64 exec, s[0:1]
; %bb.314:
	v_mov_b32_e32 v2, 0
	v_mov_b32_e32 v3, s24
	ds_write_b32 v2, v3 offset:5140
; %bb.315:
	s_or_b64 exec, exec, s[2:3]
	s_waitcnt lgkmcnt(0)
	s_barrier
	s_mov_b64 s[10:11], exec
	v_readlane_b32 s0, v56, 52
	v_readlane_b32 s1, v56, 53
	s_and_b64 s[0:1], s[10:11], s[0:1]
	s_mov_b64 exec, s[0:1]
	s_cbranch_execz .LBB62_327
; %bb.316:
	v_mov_b32_e32 v2, 0
	ds_read_b32 v4, v2 offset:5140
	v_cmp_u_f16_e32 vcc, v52, v52
	s_mov_b64 s[8:9], 0
	s_xor_b64 s[12:13], vcc, -1
                                        ; implicit-def: $sgpr14_sgpr15
                                        ; implicit-def: $sgpr16_sgpr17
                                        ; implicit-def: $sgpr18_sgpr19
	s_waitcnt lgkmcnt(0)
	v_ashrrev_i32_e32 v5, 31, v4
	s_branch .LBB62_319
.LBB62_317:                             ;   in Loop: Header=BB62_319 Depth=1
	s_or_b64 exec, exec, s[30:31]
	s_andn2_b64 s[0:1], s[18:19], exec
	s_and_b64 s[2:3], s[26:27], exec
	s_or_b64 s[18:19], s[0:1], s[2:3]
	s_andn2_b64 s[0:1], s[16:17], exec
	s_and_b64 s[2:3], s[28:29], exec
	s_or_b64 s[16:17], s[0:1], s[2:3]
.LBB62_318:                             ;   in Loop: Header=BB62_319 Depth=1
	s_or_b64 exec, exec, s[20:21]
	s_and_b64 s[0:1], exec, s[16:17]
	s_or_b64 s[8:9], s[0:1], s[8:9]
	s_andn2_b64 s[0:1], s[14:15], exec
	s_and_b64 s[2:3], s[18:19], exec
	s_or_b64 s[14:15], s[0:1], s[2:3]
	s_andn2_b64 exec, exec, s[8:9]
	s_cbranch_execz .LBB62_322
.LBB62_319:                             ; =>This Inner Loop Header: Depth=1
	v_mov_b32_e32 v3, v1
	v_mov_b32_e32 v2, v0
	v_cmp_lt_i64_e32 vcc, v[2:3], v[4:5]
	s_or_b64 s[18:19], s[18:19], exec
	s_or_b64 s[16:17], s[16:17], exec
                                        ; implicit-def: $vgpr0_vgpr1
	s_and_saveexec_b64 s[20:21], vcc
	s_cbranch_execz .LBB62_318
; %bb.320:                              ;   in Loop: Header=BB62_319 Depth=1
	global_load_ushort v0, v[12:13], off
	s_mov_b64 s[28:29], -1
	s_mov_b64 s[26:27], 0
	s_waitcnt vmcnt(0)
	v_cmp_o_f16_e64 s[2:3], v0, v0
	v_cmp_neq_f16_e32 vcc, v0, v52
	s_or_b64 s[0:1], s[12:13], s[2:3]
	s_and_b64 s[0:1], vcc, s[0:1]
                                        ; implicit-def: $vgpr0_vgpr1
	s_and_saveexec_b64 s[30:31], s[0:1]
	s_cbranch_execz .LBB62_317
; %bb.321:                              ;   in Loop: Header=BB62_319 Depth=1
	v_add_co_u32_e32 v0, vcc, s23, v2
	v_addc_co_u32_e32 v1, vcc, 0, v3, vcc
	v_cmp_le_i64_e32 vcc, s[24:25], v[0:1]
	v_mov_b32_e32 v3, s69
	v_add_co_u32_e64 v12, s[2:3], s68, v12
	s_mov_b64 s[26:27], exec
	v_addc_co_u32_e64 v13, s[2:3], v13, v3, s[2:3]
	s_orn2_b64 s[28:29], vcc, exec
	s_branch .LBB62_317
.LBB62_322:
	s_or_b64 exec, exec, s[8:9]
	s_xor_b64 s[0:1], s[14:15], -1
	s_and_saveexec_b64 s[2:3], s[0:1]
	s_xor_b64 s[2:3], exec, s[2:3]
	s_cbranch_execz .LBB62_327
; %bb.323:
	s_mov_b64 s[2:3], exec
	s_brev_b32 s0, -2
.LBB62_324:                             ; =>This Inner Loop Header: Depth=1
	s_ff1_i32_b64 s1, s[2:3]
	v_readlane_b32 s12, v2, s1
	s_lshl_b64 s[8:9], 1, s1
	s_min_i32 s0, s0, s12
	s_andn2_b64 s[2:3], s[2:3], s[8:9]
	s_cmp_lg_u64 s[2:3], 0
	s_cbranch_scc1 .LBB62_324
; %bb.325:
	v_mbcnt_lo_u32_b32 v0, exec_lo, 0
	v_mbcnt_hi_u32_b32 v0, exec_hi, v0
	v_cmp_eq_u32_e32 vcc, 0, v0
	s_and_saveexec_b64 s[2:3], vcc
	s_xor_b64 s[2:3], exec, s[2:3]
; %bb.326:
	v_mov_b32_e32 v0, 0
	v_mov_b32_e32 v1, s0
	ds_min_i32 v0, v1 offset:5140
.LBB62_327:
	s_or_b64 exec, exec, s[10:11]
	s_waitcnt lgkmcnt(0)
	s_barrier
	s_mov_b64 s[2:3], exec
	v_readlane_b32 s0, v56, 32
	v_readlane_b32 s1, v56, 33
	s_and_b64 s[0:1], s[2:3], s[0:1]
	s_mov_b64 exec, s[0:1]
	s_cbranch_execz .LBB62_329
; %bb.328:
	v_readlane_b32 s24, v56, 6
	v_readlane_b32 s26, v56, 8
	;; [unrolled: 1-line block ×5, first 2 shown]
	s_mul_i32 s0, s20, s27
	s_mul_hi_u32 s1, s20, s26
	s_add_i32 s0, s1, s0
	s_mul_i32 s1, s21, s26
	s_add_i32 s0, s0, s1
	s_mul_i32 s1, s20, s26
	v_readlane_b32 s10, v56, 14
	s_sub_u32 s8, s22, s1
	v_readlane_b32 s11, v56, 15
	s_subb_u32 s0, 0, s0
	s_mul_i32 s1, s8, s11
	s_mul_hi_u32 s9, s8, s10
	v_readlane_b32 s12, v56, 0
	s_add_i32 s1, s9, s1
	s_mul_i32 s0, s0, s10
	v_readlane_b32 s13, v56, 1
	v_readlane_b32 s18, v56, 10
	s_add_i32 s1, s1, s0
	s_mul_i32 s0, s8, s10
	v_readlane_b32 s19, v56, 11
	s_mul_i32 s8, s18, s13
	s_mul_hi_u32 s9, s18, s12
	s_add_i32 s8, s9, s8
	s_mul_i32 s9, s19, s12
	s_add_i32 s8, s8, s9
	s_mul_i32 s9, s18, s12
	v_readlane_b32 s16, v56, 4
	v_readlane_b32 s28, v56, 22
	;; [unrolled: 1-line block ×3, first 2 shown]
	s_sub_u32 s10, s16, s9
	v_readlane_b32 s30, v56, 24
	v_readlane_b32 s31, v56, 25
	s_subb_u32 s8, s17, s8
	s_mul_i32 s9, s10, s31
	s_mul_hi_u32 s11, s10, s30
	v_readlane_b32 s14, v56, 2
	v_readlane_b32 s15, v56, 3
	;; [unrolled: 1-line block ×3, first 2 shown]
	s_add_i32 s9, s11, s9
	s_mul_i32 s8, s8, s30
	s_add_i32 s9, s9, s8
	s_mul_i32 s8, s10, s30
	s_mul_i32 s10, s18, s29
	s_mul_hi_u32 s11, s18, s28
	s_mul_i32 s12, s16, s15
	s_mul_hi_u32 s13, s16, s14
	s_add_i32 s10, s11, s10
	s_mul_i32 s11, s19, s28
	s_add_i32 s12, s13, s12
	s_mul_i32 s13, s17, s14
	s_add_i32 s11, s10, s11
	s_add_i32 s12, s12, s13
	s_mul_i32 s13, s16, s14
	v_readlane_b32 s16, v56, 20
	s_sub_u32 s14, s22, s13
	v_readlane_b32 s17, v56, 21
	s_subb_u32 s12, 0, s12
	s_mul_i32 s13, s14, s17
	s_mul_hi_u32 s15, s14, s16
	v_readlane_b32 s25, v56, 7
	s_mul_i32 s10, s18, s28
	s_add_i32 s13, s15, s13
	s_mul_i32 s12, s12, s16
	v_readlane_b32 s18, v56, 26
	s_add_i32 s13, s13, s12
	s_mul_i32 s12, s14, s16
	v_readlane_b32 s19, v56, 27
	s_mul_i32 s14, s18, s25
	s_mul_hi_u32 s15, s18, s24
	s_add_i32 s14, s15, s14
	s_mul_i32 s15, s19, s24
	s_add_i32 s14, s14, s15
	s_mul_i32 s15, s18, s24
	s_sub_u32 s16, s20, s15
	s_subb_u32 s14, s21, s14
	v_readlane_b32 s20, v56, 16
	v_readlane_b32 s22, v56, 18
	;; [unrolled: 1-line block ×3, first 2 shown]
	s_mul_i32 s15, s16, s23
	s_mul_hi_u32 s17, s16, s22
	v_readlane_b32 s21, v56, 17
	s_add_i32 s15, s17, s15
	s_mul_i32 s14, s14, s22
	s_add_i32 s15, s15, s14
	s_mul_i32 s14, s16, s22
	s_mul_i32 s16, s18, s21
	s_mul_hi_u32 s17, s18, s20
	s_add_i32 s16, s17, s16
	s_mul_i32 s17, s19, s20
	s_add_i32 s17, s16, s17
	s_mul_i32 s16, s18, s20
	s_lshl_b64 s[10:11], s[10:11], 1
	v_readlane_b32 s18, v56, 30
	v_readlane_b32 s19, v56, 31
	s_add_u32 s10, s18, s10
	s_addc_u32 s11, s19, s11
	s_lshl_b64 s[8:9], s[8:9], 1
	s_add_u32 s10, s10, s8
	s_addc_u32 s11, s11, s9
	s_lshl_b64 s[8:9], s[12:13], 1
	;; [unrolled: 3-line block ×3, first 2 shown]
	v_readlane_b32 s12, v56, 28
	v_mov_b32_e32 v2, 0
	v_readlane_b32 s13, v56, 29
	s_add_u32 s12, s12, s10
	ds_read_b32 v0, v2 offset:5140
	s_addc_u32 s13, s13, s11
	s_lshl_b64 s[10:11], s[14:15], 3
	s_add_u32 s10, s12, s10
	s_addc_u32 s11, s13, s11
	s_lshl_b64 s[0:1], s[0:1], 3
	s_add_u32 s0, s10, s0
	s_addc_u32 s1, s11, s1
	s_waitcnt lgkmcnt(0)
	v_ashrrev_i32_e32 v1, 31, v0
	global_store_dwordx2 v2, v[0:1], s[0:1]
	global_store_short v2, v52, s[8:9]
.LBB62_329:
	s_or_b64 exec, exec, s[2:3]
.LBB62_330:
	s_or_saveexec_b64 s[0:1], s[6:7]
	s_mov_b64 s[2:3], 0
	s_xor_b64 exec, exec, s[0:1]
	s_cbranch_execnz .LBB62_333
.LBB62_331:
	s_or_b64 exec, exec, s[0:1]
	s_and_b64 s[2:3], s[2:3], exec
	s_andn2_saveexec_b64 s[0:1], s[4:5]
	s_cbranch_execz .LBB62_307
.LBB62_332:
	s_or_b64 s[2:3], s[2:3], exec
	s_trap 2
	s_or_b64 exec, exec, s[0:1]
	s_and_saveexec_b64 s[0:1], s[2:3]
	s_cbranch_execnz .LBB62_308
	s_branch .LBB62_309
.LBB62_333:
	s_mov_b64 s[2:3], exec
	s_trap 2
	s_branch .LBB62_331
	.section	.rodata,"a",@progbits
	.p2align	6, 0x0
	.amdhsa_kernel _ZN2at6native12_GLOBAL__N_114gatherKthValueIN3c104HalfElLi3EEEvNS_4cuda6detail10TensorInfoIKT_T0_EESA_SA_SA_SA_NS7_IS8_SA_EENS7_IlSA_EE
		.amdhsa_group_segment_fixed_size 5144
		.amdhsa_private_segment_fixed_size 0
		.amdhsa_kernarg_size 1536
		.amdhsa_user_sgpr_count 6
		.amdhsa_user_sgpr_private_segment_buffer 1
		.amdhsa_user_sgpr_dispatch_ptr 0
		.amdhsa_user_sgpr_queue_ptr 0
		.amdhsa_user_sgpr_kernarg_segment_ptr 1
		.amdhsa_user_sgpr_dispatch_id 0
		.amdhsa_user_sgpr_flat_scratch_init 0
		.amdhsa_user_sgpr_private_segment_size 0
		.amdhsa_uses_dynamic_stack 0
		.amdhsa_system_sgpr_private_segment_wavefront_offset 0
		.amdhsa_system_sgpr_workgroup_id_x 1
		.amdhsa_system_sgpr_workgroup_id_y 1
		.amdhsa_system_sgpr_workgroup_id_z 1
		.amdhsa_system_sgpr_workgroup_info 0
		.amdhsa_system_vgpr_workitem_id 0
		.amdhsa_next_free_vgpr 57
		.amdhsa_next_free_sgpr 96
		.amdhsa_reserve_vcc 1
		.amdhsa_reserve_flat_scratch 0
		.amdhsa_float_round_mode_32 0
		.amdhsa_float_round_mode_16_64 0
		.amdhsa_float_denorm_mode_32 3
		.amdhsa_float_denorm_mode_16_64 3
		.amdhsa_dx10_clamp 1
		.amdhsa_ieee_mode 1
		.amdhsa_fp16_overflow 0
		.amdhsa_exception_fp_ieee_invalid_op 0
		.amdhsa_exception_fp_denorm_src 0
		.amdhsa_exception_fp_ieee_div_zero 0
		.amdhsa_exception_fp_ieee_overflow 0
		.amdhsa_exception_fp_ieee_underflow 0
		.amdhsa_exception_fp_ieee_inexact 0
		.amdhsa_exception_int_div_zero 0
	.end_amdhsa_kernel
	.section	.text._ZN2at6native12_GLOBAL__N_114gatherKthValueIN3c104HalfElLi3EEEvNS_4cuda6detail10TensorInfoIKT_T0_EESA_SA_SA_SA_NS7_IS8_SA_EENS7_IlSA_EE,"axG",@progbits,_ZN2at6native12_GLOBAL__N_114gatherKthValueIN3c104HalfElLi3EEEvNS_4cuda6detail10TensorInfoIKT_T0_EESA_SA_SA_SA_NS7_IS8_SA_EENS7_IlSA_EE,comdat
.Lfunc_end62:
	.size	_ZN2at6native12_GLOBAL__N_114gatherKthValueIN3c104HalfElLi3EEEvNS_4cuda6detail10TensorInfoIKT_T0_EESA_SA_SA_SA_NS7_IS8_SA_EENS7_IlSA_EE, .Lfunc_end62-_ZN2at6native12_GLOBAL__N_114gatherKthValueIN3c104HalfElLi3EEEvNS_4cuda6detail10TensorInfoIKT_T0_EESA_SA_SA_SA_NS7_IS8_SA_EENS7_IlSA_EE
                                        ; -- End function
	.set _ZN2at6native12_GLOBAL__N_114gatherKthValueIN3c104HalfElLi3EEEvNS_4cuda6detail10TensorInfoIKT_T0_EESA_SA_SA_SA_NS7_IS8_SA_EENS7_IlSA_EE.num_vgpr, 57
	.set _ZN2at6native12_GLOBAL__N_114gatherKthValueIN3c104HalfElLi3EEEvNS_4cuda6detail10TensorInfoIKT_T0_EESA_SA_SA_SA_NS7_IS8_SA_EENS7_IlSA_EE.num_agpr, 0
	.set _ZN2at6native12_GLOBAL__N_114gatherKthValueIN3c104HalfElLi3EEEvNS_4cuda6detail10TensorInfoIKT_T0_EESA_SA_SA_SA_NS7_IS8_SA_EENS7_IlSA_EE.numbered_sgpr, 96
	.set _ZN2at6native12_GLOBAL__N_114gatherKthValueIN3c104HalfElLi3EEEvNS_4cuda6detail10TensorInfoIKT_T0_EESA_SA_SA_SA_NS7_IS8_SA_EENS7_IlSA_EE.num_named_barrier, 0
	.set _ZN2at6native12_GLOBAL__N_114gatherKthValueIN3c104HalfElLi3EEEvNS_4cuda6detail10TensorInfoIKT_T0_EESA_SA_SA_SA_NS7_IS8_SA_EENS7_IlSA_EE.private_seg_size, 0
	.set _ZN2at6native12_GLOBAL__N_114gatherKthValueIN3c104HalfElLi3EEEvNS_4cuda6detail10TensorInfoIKT_T0_EESA_SA_SA_SA_NS7_IS8_SA_EENS7_IlSA_EE.uses_vcc, 1
	.set _ZN2at6native12_GLOBAL__N_114gatherKthValueIN3c104HalfElLi3EEEvNS_4cuda6detail10TensorInfoIKT_T0_EESA_SA_SA_SA_NS7_IS8_SA_EENS7_IlSA_EE.uses_flat_scratch, 0
	.set _ZN2at6native12_GLOBAL__N_114gatherKthValueIN3c104HalfElLi3EEEvNS_4cuda6detail10TensorInfoIKT_T0_EESA_SA_SA_SA_NS7_IS8_SA_EENS7_IlSA_EE.has_dyn_sized_stack, 0
	.set _ZN2at6native12_GLOBAL__N_114gatherKthValueIN3c104HalfElLi3EEEvNS_4cuda6detail10TensorInfoIKT_T0_EESA_SA_SA_SA_NS7_IS8_SA_EENS7_IlSA_EE.has_recursion, 0
	.set _ZN2at6native12_GLOBAL__N_114gatherKthValueIN3c104HalfElLi3EEEvNS_4cuda6detail10TensorInfoIKT_T0_EESA_SA_SA_SA_NS7_IS8_SA_EENS7_IlSA_EE.has_indirect_call, 0
	.section	.AMDGPU.csdata,"",@progbits
; Kernel info:
; codeLenInByte = 21284
; TotalNumSgprs: 100
; NumVgprs: 57
; ScratchSize: 0
; MemoryBound: 0
; FloatMode: 240
; IeeeMode: 1
; LDSByteSize: 5144 bytes/workgroup (compile time only)
; SGPRBlocks: 12
; VGPRBlocks: 14
; NumSGPRsForWavesPerEU: 100
; NumVGPRsForWavesPerEU: 57
; Occupancy: 4
; WaveLimiterHint : 1
; COMPUTE_PGM_RSRC2:SCRATCH_EN: 0
; COMPUTE_PGM_RSRC2:USER_SGPR: 6
; COMPUTE_PGM_RSRC2:TRAP_HANDLER: 0
; COMPUTE_PGM_RSRC2:TGID_X_EN: 1
; COMPUTE_PGM_RSRC2:TGID_Y_EN: 1
; COMPUTE_PGM_RSRC2:TGID_Z_EN: 1
; COMPUTE_PGM_RSRC2:TIDIG_COMP_CNT: 0
	.section	.text._ZN2at6native12_GLOBAL__N_114gatherKthValueIN3c104HalfElLin1EEEvNS_4cuda6detail10TensorInfoIKT_T0_EESA_SA_SA_SA_NS7_IS8_SA_EENS7_IlSA_EE,"axG",@progbits,_ZN2at6native12_GLOBAL__N_114gatherKthValueIN3c104HalfElLin1EEEvNS_4cuda6detail10TensorInfoIKT_T0_EESA_SA_SA_SA_NS7_IS8_SA_EENS7_IlSA_EE,comdat
	.globl	_ZN2at6native12_GLOBAL__N_114gatherKthValueIN3c104HalfElLin1EEEvNS_4cuda6detail10TensorInfoIKT_T0_EESA_SA_SA_SA_NS7_IS8_SA_EENS7_IlSA_EE ; -- Begin function _ZN2at6native12_GLOBAL__N_114gatherKthValueIN3c104HalfElLin1EEEvNS_4cuda6detail10TensorInfoIKT_T0_EESA_SA_SA_SA_NS7_IS8_SA_EENS7_IlSA_EE
	.p2align	8
	.type	_ZN2at6native12_GLOBAL__N_114gatherKthValueIN3c104HalfElLin1EEEvNS_4cuda6detail10TensorInfoIKT_T0_EESA_SA_SA_SA_NS7_IS8_SA_EENS7_IlSA_EE,@function
_ZN2at6native12_GLOBAL__N_114gatherKthValueIN3c104HalfElLin1EEEvNS_4cuda6detail10TensorInfoIKT_T0_EESA_SA_SA_SA_NS7_IS8_SA_EENS7_IlSA_EE: ; @_ZN2at6native12_GLOBAL__N_114gatherKthValueIN3c104HalfElLin1EEEvNS_4cuda6detail10TensorInfoIKT_T0_EESA_SA_SA_SA_NS7_IS8_SA_EENS7_IlSA_EE
; %bb.0:
	s_load_dwordx2 s[12:13], s[4:5], 0x500
	s_load_dwordx8 s[24:31], s[4:5], 0x1a0
	s_add_u32 s10, s4, 0x500
	s_addc_u32 s11, s5, 0
	s_mov_b32 s1, 0
	s_waitcnt lgkmcnt(0)
	s_mul_i32 s0, s13, s8
	s_add_i32 s0, s0, s7
	s_mul_i32 s0, s0, s12
	s_add_i32 s0, s0, s6
	v_mov_b32_e32 v2, s1
	v_mov_b32_e32 v1, s0
	v_cmp_le_i64_e32 vcc, s[28:29], v[1:2]
	s_cbranch_vccnz .LBB63_307
; %bb.1:
	s_load_dword s13, s[4:5], 0x198
	s_mov_b64 s[2:3], 0
	s_mov_b64 s[8:9], s[0:1]
	s_waitcnt lgkmcnt(0)
	s_cmp_lt_i32 s13, 2
	s_cbranch_scc1 .LBB63_9
; %bb.2:
	s_mov_b32 s14, 0
	s_add_i32 s2, s13, -1
	s_mov_b32 s3, s14
	s_add_i32 s7, s13, 1
	s_lshl_b64 s[2:3], s[2:3], 3
	s_add_u32 s2, s4, s2
	s_addc_u32 s3, s5, s3
	s_add_u32 s16, s2, 8
	s_addc_u32 s17, s3, 0
	s_mov_b64 s[2:3], 0
	s_mov_b64 s[18:19], s[0:1]
.LBB63_3:                               ; =>This Inner Loop Header: Depth=1
	s_load_dwordx2 s[20:21], s[16:17], 0x0
	s_waitcnt lgkmcnt(0)
	s_or_b64 s[8:9], s[18:19], s[20:21]
	s_mov_b32 s15, s9
	s_cmp_lg_u64 s[14:15], 0
	s_cbranch_scc0 .LBB63_8
; %bb.4:                                ;   in Loop: Header=BB63_3 Depth=1
	s_ashr_i32 s8, s21, 31
	s_add_u32 s22, s20, s8
	s_mov_b32 s9, s8
	s_addc_u32 s23, s21, s8
	s_xor_b64 s[22:23], s[22:23], s[8:9]
	v_cvt_f32_u32_e32 v1, s22
	v_cvt_f32_u32_e32 v2, s23
	s_sub_u32 s13, 0, s22
	s_subb_u32 s15, 0, s23
	v_mac_f32_e32 v1, 0x4f800000, v2
	v_rcp_f32_e32 v1, v1
	v_mul_f32_e32 v1, 0x5f7ffffc, v1
	v_mul_f32_e32 v2, 0x2f800000, v1
	v_trunc_f32_e32 v2, v2
	v_mac_f32_e32 v1, 0xcf800000, v2
	v_cvt_u32_f32_e32 v2, v2
	v_cvt_u32_f32_e32 v1, v1
	v_readfirstlane_b32 s33, v2
	v_readfirstlane_b32 s28, v1
	s_mul_i32 s29, s13, s33
	s_mul_hi_u32 s35, s13, s28
	s_mul_i32 s34, s15, s28
	s_add_i32 s29, s35, s29
	s_add_i32 s29, s29, s34
	s_mul_i32 s36, s13, s28
	s_mul_i32 s35, s28, s29
	s_mul_hi_u32 s37, s28, s36
	s_mul_hi_u32 s34, s28, s29
	s_add_u32 s35, s37, s35
	s_addc_u32 s34, 0, s34
	s_mul_hi_u32 s38, s33, s36
	s_mul_i32 s36, s33, s36
	s_add_u32 s35, s35, s36
	s_mul_hi_u32 s37, s33, s29
	s_addc_u32 s34, s34, s38
	s_addc_u32 s35, s37, 0
	s_mul_i32 s29, s33, s29
	s_add_u32 s29, s34, s29
	s_addc_u32 s34, 0, s35
	s_add_u32 s35, s28, s29
	s_cselect_b64 s[28:29], -1, 0
	s_cmp_lg_u64 s[28:29], 0
	s_addc_u32 s33, s33, s34
	s_mul_i32 s28, s13, s33
	s_mul_hi_u32 s29, s13, s35
	s_add_i32 s28, s29, s28
	s_mul_i32 s15, s15, s35
	s_add_i32 s28, s28, s15
	s_mul_i32 s13, s13, s35
	s_mul_hi_u32 s29, s33, s13
	s_mul_i32 s34, s33, s13
	s_mul_i32 s37, s35, s28
	s_mul_hi_u32 s13, s35, s13
	s_mul_hi_u32 s36, s35, s28
	s_add_u32 s13, s13, s37
	s_addc_u32 s36, 0, s36
	s_add_u32 s13, s13, s34
	s_mul_hi_u32 s15, s33, s28
	s_addc_u32 s13, s36, s29
	s_addc_u32 s15, s15, 0
	s_mul_i32 s28, s33, s28
	s_add_u32 s13, s13, s28
	s_addc_u32 s15, 0, s15
	s_add_u32 s13, s35, s13
	s_cselect_b64 s[28:29], -1, 0
	s_cmp_lg_u64 s[28:29], 0
	s_addc_u32 s15, s33, s15
	s_ashr_i32 s28, s19, 31
	s_add_u32 s34, s18, s28
	s_mov_b32 s29, s28
	s_addc_u32 s35, s19, s28
	s_xor_b64 s[34:35], s[34:35], s[28:29]
	s_mul_i32 s36, s34, s15
	s_mul_hi_u32 s37, s34, s13
	s_mul_hi_u32 s33, s34, s15
	s_add_u32 s36, s37, s36
	s_addc_u32 s33, 0, s33
	s_mul_hi_u32 s38, s35, s13
	s_mul_i32 s13, s35, s13
	s_add_u32 s13, s36, s13
	s_mul_hi_u32 s37, s35, s15
	s_addc_u32 s13, s33, s38
	s_addc_u32 s33, s37, 0
	s_mul_i32 s15, s35, s15
	s_add_u32 s13, s13, s15
	s_addc_u32 s15, 0, s33
	s_mul_i32 s33, s22, s15
	s_mul_hi_u32 s36, s22, s13
	s_add_i32 s33, s36, s33
	s_mul_i32 s36, s23, s13
	s_add_i32 s33, s33, s36
	s_sub_i32 s38, s35, s33
	s_mul_i32 s36, s22, s13
	s_sub_u32 s34, s34, s36
	s_cselect_b64 s[36:37], -1, 0
	s_cmp_lg_u64 s[36:37], 0
	s_subb_u32 s40, s38, s23
	s_sub_u32 s41, s34, s22
	s_cselect_b64 s[38:39], -1, 0
	s_cmp_lg_u64 s[38:39], 0
	s_subb_u32 s38, s40, 0
	s_cmp_ge_u32 s38, s23
	s_cselect_b32 s39, -1, 0
	s_cmp_ge_u32 s41, s22
	s_cselect_b32 s40, -1, 0
	s_cmp_eq_u32 s38, s23
	s_cselect_b32 s38, s40, s39
	s_add_u32 s39, s13, 1
	s_addc_u32 s40, s15, 0
	s_add_u32 s41, s13, 2
	s_addc_u32 s42, s15, 0
	s_cmp_lg_u32 s38, 0
	s_cselect_b32 s38, s41, s39
	s_cselect_b32 s39, s42, s40
	s_cmp_lg_u64 s[36:37], 0
	s_subb_u32 s33, s35, s33
	s_cmp_ge_u32 s33, s23
	s_cselect_b32 s35, -1, 0
	s_cmp_ge_u32 s34, s22
	s_cselect_b32 s22, -1, 0
	s_cmp_eq_u32 s33, s23
	s_cselect_b32 s22, s22, s35
	s_cmp_lg_u32 s22, 0
	s_cselect_b32 s23, s39, s15
	s_cselect_b32 s22, s38, s13
	s_xor_b64 s[8:9], s[28:29], s[8:9]
	s_xor_b64 s[22:23], s[22:23], s[8:9]
	s_sub_u32 s8, s22, s8
	s_subb_u32 s9, s23, s9
	s_cbranch_execnz .LBB63_6
.LBB63_5:                               ;   in Loop: Header=BB63_3 Depth=1
	v_cvt_f32_u32_e32 v1, s20
	s_sub_i32 s8, 0, s20
	v_rcp_iflag_f32_e32 v1, v1
	v_mul_f32_e32 v1, 0x4f7ffffe, v1
	v_cvt_u32_f32_e32 v1, v1
	v_readfirstlane_b32 s9, v1
	s_mul_i32 s8, s8, s9
	s_mul_hi_u32 s8, s9, s8
	s_add_i32 s9, s9, s8
	s_mul_hi_u32 s8, s18, s9
	s_mul_i32 s13, s8, s20
	s_sub_i32 s13, s18, s13
	s_add_i32 s9, s8, 1
	s_sub_i32 s15, s13, s20
	s_cmp_ge_u32 s13, s20
	s_cselect_b32 s8, s9, s8
	s_cselect_b32 s13, s15, s13
	s_add_i32 s9, s8, 1
	s_cmp_ge_u32 s13, s20
	s_cselect_b32 s8, s9, s8
	s_mov_b32 s9, s14
.LBB63_6:                               ;   in Loop: Header=BB63_3 Depth=1
	s_mul_i32 s13, s8, s21
	s_mul_hi_u32 s15, s8, s20
	s_load_dwordx2 s[22:23], s[16:17], 0xc8
	s_add_i32 s13, s15, s13
	s_mul_i32 s15, s9, s20
	s_add_i32 s13, s13, s15
	s_mul_i32 s15, s8, s20
	s_sub_u32 s15, s18, s15
	s_subb_u32 s13, s19, s13
	s_waitcnt lgkmcnt(0)
	s_mul_i32 s13, s22, s13
	s_mul_hi_u32 s18, s22, s15
	s_add_i32 s13, s18, s13
	s_mul_i32 s18, s23, s15
	s_add_i32 s13, s13, s18
	s_mul_i32 s15, s22, s15
	s_add_u32 s2, s15, s2
	s_addc_u32 s3, s13, s3
	s_add_i32 s7, s7, -1
	s_add_u32 s16, s16, -8
	s_addc_u32 s17, s17, -1
	s_cmp_gt_u32 s7, 2
	s_cbranch_scc0 .LBB63_9
; %bb.7:                                ;   in Loop: Header=BB63_3 Depth=1
	s_mov_b64 s[18:19], s[8:9]
	s_branch .LBB63_3
.LBB63_8:                               ;   in Loop: Header=BB63_3 Depth=1
                                        ; implicit-def: $sgpr8_sgpr9
	s_branch .LBB63_5
.LBB63_9:
	s_load_dword s13, s[4:5], 0x358
	s_load_dwordx2 s[14:15], s[4:5], 0xd0
	s_add_u32 s16, s4, 0x1c0
	s_addc_u32 s17, s5, 0
	s_mov_b64 s[22:23], 0
	s_waitcnt lgkmcnt(0)
	s_cmp_lt_i32 s13, 2
	s_mov_b64 s[28:29], s[0:1]
	s_cbranch_scc1 .LBB63_17
; %bb.10:
	s_mov_b32 s18, 0
	s_add_i32 s20, s13, -1
	s_mov_b32 s21, s18
	s_add_i32 s7, s13, 1
	s_lshl_b64 s[20:21], s[20:21], 3
	s_add_u32 s13, s16, s20
	s_addc_u32 s19, s17, s21
	s_add_u32 s20, s13, 8
	s_addc_u32 s21, s19, 0
	s_mov_b64 s[34:35], s[0:1]
.LBB63_11:                              ; =>This Inner Loop Header: Depth=1
	s_load_dwordx2 s[36:37], s[20:21], 0x0
	s_waitcnt lgkmcnt(0)
	s_or_b64 s[28:29], s[34:35], s[36:37]
	s_mov_b32 s19, s29
	s_cmp_lg_u64 s[18:19], 0
	s_cbranch_scc0 .LBB63_16
; %bb.12:                               ;   in Loop: Header=BB63_11 Depth=1
	s_ashr_i32 s28, s37, 31
	s_add_u32 s38, s36, s28
	s_mov_b32 s29, s28
	s_addc_u32 s39, s37, s28
	s_xor_b64 s[38:39], s[38:39], s[28:29]
	v_cvt_f32_u32_e32 v1, s38
	v_cvt_f32_u32_e32 v2, s39
	s_sub_u32 s13, 0, s38
	s_subb_u32 s19, 0, s39
	v_mac_f32_e32 v1, 0x4f800000, v2
	v_rcp_f32_e32 v1, v1
	v_mul_f32_e32 v1, 0x5f7ffffc, v1
	v_mul_f32_e32 v2, 0x2f800000, v1
	v_trunc_f32_e32 v2, v2
	v_mac_f32_e32 v1, 0xcf800000, v2
	v_cvt_u32_f32_e32 v2, v2
	v_cvt_u32_f32_e32 v1, v1
	v_readfirstlane_b32 s33, v2
	v_readfirstlane_b32 s40, v1
	s_mul_i32 s41, s13, s33
	s_mul_hi_u32 s43, s13, s40
	s_mul_i32 s42, s19, s40
	s_add_i32 s41, s43, s41
	s_add_i32 s41, s41, s42
	s_mul_i32 s44, s13, s40
	s_mul_i32 s43, s40, s41
	s_mul_hi_u32 s45, s40, s44
	s_mul_hi_u32 s42, s40, s41
	s_add_u32 s43, s45, s43
	s_addc_u32 s42, 0, s42
	s_mul_hi_u32 s46, s33, s44
	s_mul_i32 s44, s33, s44
	s_add_u32 s43, s43, s44
	s_mul_hi_u32 s45, s33, s41
	s_addc_u32 s42, s42, s46
	s_addc_u32 s43, s45, 0
	s_mul_i32 s41, s33, s41
	s_add_u32 s41, s42, s41
	s_addc_u32 s42, 0, s43
	s_add_u32 s43, s40, s41
	s_cselect_b64 s[40:41], -1, 0
	s_cmp_lg_u64 s[40:41], 0
	s_addc_u32 s33, s33, s42
	s_mul_i32 s40, s13, s33
	s_mul_hi_u32 s41, s13, s43
	s_add_i32 s40, s41, s40
	s_mul_i32 s19, s19, s43
	s_add_i32 s40, s40, s19
	s_mul_i32 s13, s13, s43
	s_mul_hi_u32 s41, s33, s13
	s_mul_i32 s42, s33, s13
	s_mul_i32 s45, s43, s40
	s_mul_hi_u32 s13, s43, s13
	s_mul_hi_u32 s44, s43, s40
	s_add_u32 s13, s13, s45
	s_addc_u32 s44, 0, s44
	s_add_u32 s13, s13, s42
	s_mul_hi_u32 s19, s33, s40
	s_addc_u32 s13, s44, s41
	s_addc_u32 s19, s19, 0
	s_mul_i32 s40, s33, s40
	s_add_u32 s13, s13, s40
	s_addc_u32 s19, 0, s19
	s_add_u32 s13, s43, s13
	s_cselect_b64 s[40:41], -1, 0
	s_cmp_lg_u64 s[40:41], 0
	s_addc_u32 s19, s33, s19
	s_ashr_i32 s40, s35, 31
	s_add_u32 s42, s34, s40
	s_mov_b32 s41, s40
	s_addc_u32 s43, s35, s40
	s_xor_b64 s[42:43], s[42:43], s[40:41]
	s_mul_i32 s44, s42, s19
	s_mul_hi_u32 s45, s42, s13
	s_mul_hi_u32 s33, s42, s19
	s_add_u32 s44, s45, s44
	s_addc_u32 s33, 0, s33
	s_mul_hi_u32 s46, s43, s13
	s_mul_i32 s13, s43, s13
	s_add_u32 s13, s44, s13
	s_mul_hi_u32 s45, s43, s19
	s_addc_u32 s13, s33, s46
	s_addc_u32 s33, s45, 0
	s_mul_i32 s19, s43, s19
	s_add_u32 s13, s13, s19
	s_addc_u32 s19, 0, s33
	s_mul_i32 s33, s38, s19
	s_mul_hi_u32 s44, s38, s13
	s_add_i32 s33, s44, s33
	s_mul_i32 s44, s39, s13
	s_add_i32 s33, s33, s44
	s_sub_i32 s46, s43, s33
	s_mul_i32 s44, s38, s13
	s_sub_u32 s42, s42, s44
	s_cselect_b64 s[44:45], -1, 0
	s_cmp_lg_u64 s[44:45], 0
	s_subb_u32 s48, s46, s39
	s_sub_u32 s49, s42, s38
	s_cselect_b64 s[46:47], -1, 0
	s_cmp_lg_u64 s[46:47], 0
	s_subb_u32 s46, s48, 0
	s_cmp_ge_u32 s46, s39
	s_cselect_b32 s47, -1, 0
	s_cmp_ge_u32 s49, s38
	s_cselect_b32 s48, -1, 0
	s_cmp_eq_u32 s46, s39
	s_cselect_b32 s46, s48, s47
	s_add_u32 s47, s13, 1
	s_addc_u32 s48, s19, 0
	s_add_u32 s49, s13, 2
	s_addc_u32 s50, s19, 0
	s_cmp_lg_u32 s46, 0
	s_cselect_b32 s46, s49, s47
	s_cselect_b32 s47, s50, s48
	s_cmp_lg_u64 s[44:45], 0
	s_subb_u32 s33, s43, s33
	s_cmp_ge_u32 s33, s39
	s_cselect_b32 s43, -1, 0
	s_cmp_ge_u32 s42, s38
	s_cselect_b32 s38, -1, 0
	s_cmp_eq_u32 s33, s39
	s_cselect_b32 s33, s38, s43
	s_cmp_lg_u32 s33, 0
	s_cselect_b32 s39, s47, s19
	s_cselect_b32 s38, s46, s13
	s_xor_b64 s[28:29], s[40:41], s[28:29]
	s_xor_b64 s[38:39], s[38:39], s[28:29]
	s_sub_u32 s28, s38, s28
	s_subb_u32 s29, s39, s29
	s_cbranch_execnz .LBB63_14
.LBB63_13:                              ;   in Loop: Header=BB63_11 Depth=1
	v_cvt_f32_u32_e32 v1, s36
	s_sub_i32 s13, 0, s36
	v_rcp_iflag_f32_e32 v1, v1
	v_mul_f32_e32 v1, 0x4f7ffffe, v1
	v_cvt_u32_f32_e32 v1, v1
	v_readfirstlane_b32 s19, v1
	s_mul_i32 s13, s13, s19
	s_mul_hi_u32 s13, s19, s13
	s_add_i32 s19, s19, s13
	s_mul_hi_u32 s13, s34, s19
	s_mul_i32 s28, s13, s36
	s_sub_i32 s28, s34, s28
	s_add_i32 s19, s13, 1
	s_sub_i32 s29, s28, s36
	s_cmp_ge_u32 s28, s36
	s_cselect_b32 s13, s19, s13
	s_cselect_b32 s28, s29, s28
	s_add_i32 s19, s13, 1
	s_cmp_ge_u32 s28, s36
	s_cselect_b32 s28, s19, s13
	s_mov_b32 s29, s18
.LBB63_14:                              ;   in Loop: Header=BB63_11 Depth=1
	s_mul_i32 s13, s28, s37
	s_mul_hi_u32 s19, s28, s36
	s_load_dwordx2 s[38:39], s[20:21], 0xc8
	s_add_i32 s13, s19, s13
	s_mul_i32 s19, s29, s36
	s_add_i32 s13, s13, s19
	s_mul_i32 s19, s28, s36
	s_sub_u32 s19, s34, s19
	s_subb_u32 s13, s35, s13
	s_waitcnt lgkmcnt(0)
	s_mul_i32 s13, s38, s13
	s_mul_hi_u32 s33, s38, s19
	s_add_i32 s13, s33, s13
	s_mul_i32 s33, s39, s19
	s_add_i32 s13, s13, s33
	s_mul_i32 s19, s38, s19
	s_add_u32 s22, s19, s22
	s_addc_u32 s23, s13, s23
	s_add_i32 s7, s7, -1
	s_add_u32 s20, s20, -8
	s_addc_u32 s21, s21, -1
	s_cmp_gt_u32 s7, 2
	s_cbranch_scc0 .LBB63_17
; %bb.15:                               ;   in Loop: Header=BB63_11 Depth=1
	s_mov_b64 s[34:35], s[28:29]
	s_branch .LBB63_11
.LBB63_16:                              ;   in Loop: Header=BB63_11 Depth=1
                                        ; implicit-def: $sgpr28_sgpr29
	s_branch .LBB63_13
.LBB63_17:
	s_load_dword s18, s[4:5], 0x4f8
	s_load_dwordx2 s[20:21], s[16:17], 0xd0
                                        ; implicit-def: $vgpr63 : SGPR spill to VGPR lane
	s_add_u32 s13, s4, 0x360
                                        ; kill: killed $sgpr16 killed $sgpr17
	s_addc_u32 s17, s5, 0
	s_mov_b64 s[34:35], 0
	s_waitcnt lgkmcnt(0)
	s_cmp_lt_i32 s18, 2
	v_writelane_b32 v63, s20, 0
	v_writelane_b32 v63, s21, 1
	s_cbranch_scc1 .LBB63_25
; %bb.18:
	s_mov_b32 s16, 0
	s_add_i32 s7, s18, 1
	s_add_i32 s18, s18, -1
	s_mov_b32 s19, s16
	s_lshl_b64 s[18:19], s[18:19], 3
	s_add_u32 s13, s13, s18
	s_addc_u32 s17, s17, s19
	s_add_u32 s18, s13, 8
	s_addc_u32 s19, s17, 0
.LBB63_19:                              ; =>This Inner Loop Header: Depth=1
	s_load_dwordx2 s[20:21], s[18:19], 0x0
	s_waitcnt lgkmcnt(0)
	s_or_b64 s[36:37], s[0:1], s[20:21]
	s_mov_b32 s17, s37
	s_cmp_lg_u64 s[16:17], 0
	s_cbranch_scc0 .LBB63_24
; %bb.20:                               ;   in Loop: Header=BB63_19 Depth=1
	s_ashr_i32 s36, s21, 31
	s_add_u32 s38, s20, s36
	s_mov_b32 s37, s36
	s_addc_u32 s39, s21, s36
	s_xor_b64 s[38:39], s[38:39], s[36:37]
	v_cvt_f32_u32_e32 v1, s38
	v_cvt_f32_u32_e32 v2, s39
	s_sub_u32 s13, 0, s38
	s_subb_u32 s17, 0, s39
	v_mac_f32_e32 v1, 0x4f800000, v2
	v_rcp_f32_e32 v1, v1
	v_mul_f32_e32 v1, 0x5f7ffffc, v1
	v_mul_f32_e32 v2, 0x2f800000, v1
	v_trunc_f32_e32 v2, v2
	v_mac_f32_e32 v1, 0xcf800000, v2
	v_cvt_u32_f32_e32 v2, v2
	v_cvt_u32_f32_e32 v1, v1
	v_readfirstlane_b32 s33, v2
	v_readfirstlane_b32 s40, v1
	s_mul_i32 s41, s13, s33
	s_mul_hi_u32 s43, s13, s40
	s_mul_i32 s42, s17, s40
	s_add_i32 s41, s43, s41
	s_add_i32 s41, s41, s42
	s_mul_i32 s44, s13, s40
	s_mul_i32 s43, s40, s41
	s_mul_hi_u32 s45, s40, s44
	s_mul_hi_u32 s42, s40, s41
	s_add_u32 s43, s45, s43
	s_addc_u32 s42, 0, s42
	s_mul_hi_u32 s46, s33, s44
	s_mul_i32 s44, s33, s44
	s_add_u32 s43, s43, s44
	s_mul_hi_u32 s45, s33, s41
	s_addc_u32 s42, s42, s46
	s_addc_u32 s43, s45, 0
	s_mul_i32 s41, s33, s41
	s_add_u32 s41, s42, s41
	s_addc_u32 s42, 0, s43
	s_add_u32 s43, s40, s41
	s_cselect_b64 s[40:41], -1, 0
	s_cmp_lg_u64 s[40:41], 0
	s_addc_u32 s33, s33, s42
	s_mul_i32 s40, s13, s33
	s_mul_hi_u32 s41, s13, s43
	s_add_i32 s40, s41, s40
	s_mul_i32 s17, s17, s43
	s_add_i32 s40, s40, s17
	s_mul_i32 s13, s13, s43
	s_mul_hi_u32 s41, s33, s13
	s_mul_i32 s42, s33, s13
	s_mul_i32 s45, s43, s40
	s_mul_hi_u32 s13, s43, s13
	s_mul_hi_u32 s44, s43, s40
	s_add_u32 s13, s13, s45
	s_addc_u32 s44, 0, s44
	s_add_u32 s13, s13, s42
	s_mul_hi_u32 s17, s33, s40
	s_addc_u32 s13, s44, s41
	s_addc_u32 s17, s17, 0
	s_mul_i32 s40, s33, s40
	s_add_u32 s13, s13, s40
	s_addc_u32 s17, 0, s17
	s_add_u32 s13, s43, s13
	s_cselect_b64 s[40:41], -1, 0
	s_cmp_lg_u64 s[40:41], 0
	s_addc_u32 s17, s33, s17
	s_ashr_i32 s40, s1, 31
	s_add_u32 s42, s0, s40
	s_mov_b32 s41, s40
	s_addc_u32 s43, s1, s40
	s_xor_b64 s[42:43], s[42:43], s[40:41]
	s_mul_i32 s44, s42, s17
	s_mul_hi_u32 s45, s42, s13
	s_mul_hi_u32 s33, s42, s17
	s_add_u32 s44, s45, s44
	s_addc_u32 s33, 0, s33
	s_mul_hi_u32 s46, s43, s13
	s_mul_i32 s13, s43, s13
	s_add_u32 s13, s44, s13
	s_mul_hi_u32 s45, s43, s17
	s_addc_u32 s13, s33, s46
	s_addc_u32 s33, s45, 0
	s_mul_i32 s17, s43, s17
	s_add_u32 s13, s13, s17
	s_addc_u32 s17, 0, s33
	s_mul_i32 s33, s38, s17
	s_mul_hi_u32 s44, s38, s13
	s_add_i32 s33, s44, s33
	s_mul_i32 s44, s39, s13
	s_add_i32 s33, s33, s44
	s_sub_i32 s46, s43, s33
	s_mul_i32 s44, s38, s13
	s_sub_u32 s42, s42, s44
	s_cselect_b64 s[44:45], -1, 0
	s_cmp_lg_u64 s[44:45], 0
	s_subb_u32 s48, s46, s39
	s_sub_u32 s49, s42, s38
	s_cselect_b64 s[46:47], -1, 0
	s_cmp_lg_u64 s[46:47], 0
	s_subb_u32 s46, s48, 0
	s_cmp_ge_u32 s46, s39
	s_cselect_b32 s47, -1, 0
	s_cmp_ge_u32 s49, s38
	s_cselect_b32 s48, -1, 0
	s_cmp_eq_u32 s46, s39
	s_cselect_b32 s46, s48, s47
	s_add_u32 s47, s13, 1
	s_addc_u32 s48, s17, 0
	s_add_u32 s49, s13, 2
	s_addc_u32 s50, s17, 0
	s_cmp_lg_u32 s46, 0
	s_cselect_b32 s46, s49, s47
	s_cselect_b32 s47, s50, s48
	s_cmp_lg_u64 s[44:45], 0
	s_subb_u32 s33, s43, s33
	s_cmp_ge_u32 s33, s39
	s_cselect_b32 s43, -1, 0
	s_cmp_ge_u32 s42, s38
	s_cselect_b32 s38, -1, 0
	s_cmp_eq_u32 s33, s39
	s_cselect_b32 s33, s38, s43
	s_cmp_lg_u32 s33, 0
	s_cselect_b32 s39, s47, s17
	s_cselect_b32 s38, s46, s13
	s_xor_b64 s[36:37], s[40:41], s[36:37]
	s_xor_b64 s[38:39], s[38:39], s[36:37]
	s_sub_u32 s38, s38, s36
	s_subb_u32 s39, s39, s37
	s_cbranch_execnz .LBB63_22
.LBB63_21:                              ;   in Loop: Header=BB63_19 Depth=1
	v_cvt_f32_u32_e32 v1, s20
	s_sub_i32 s13, 0, s20
	s_mov_b32 s39, s16
	v_rcp_iflag_f32_e32 v1, v1
	v_mul_f32_e32 v1, 0x4f7ffffe, v1
	v_cvt_u32_f32_e32 v1, v1
	v_readfirstlane_b32 s17, v1
	s_mul_i32 s13, s13, s17
	s_mul_hi_u32 s13, s17, s13
	s_add_i32 s17, s17, s13
	s_mul_hi_u32 s13, s0, s17
	s_mul_i32 s33, s13, s20
	s_sub_i32 s33, s0, s33
	s_add_i32 s17, s13, 1
	s_sub_i32 s36, s33, s20
	s_cmp_ge_u32 s33, s20
	s_cselect_b32 s13, s17, s13
	s_cselect_b32 s33, s36, s33
	s_add_i32 s17, s13, 1
	s_cmp_ge_u32 s33, s20
	s_cselect_b32 s38, s17, s13
.LBB63_22:                              ;   in Loop: Header=BB63_19 Depth=1
	s_mul_i32 s13, s38, s21
	s_mul_hi_u32 s17, s38, s20
	s_load_dwordx2 s[36:37], s[18:19], 0xc8
	s_add_i32 s13, s17, s13
	s_mul_i32 s17, s39, s20
	s_add_i32 s13, s13, s17
	s_mul_i32 s17, s38, s20
	s_sub_u32 s0, s0, s17
	s_subb_u32 s1, s1, s13
	s_waitcnt lgkmcnt(0)
	s_mul_i32 s1, s36, s1
	s_mul_hi_u32 s13, s36, s0
	s_add_i32 s1, s13, s1
	s_mul_i32 s13, s37, s0
	s_add_i32 s1, s1, s13
	s_mul_i32 s0, s36, s0
	s_add_u32 s34, s0, s34
	s_addc_u32 s35, s1, s35
	s_add_i32 s7, s7, -1
	s_add_u32 s18, s18, -8
	s_addc_u32 s19, s19, -1
	s_cmp_gt_u32 s7, 2
	s_cbranch_scc0 .LBB63_26
; %bb.23:                               ;   in Loop: Header=BB63_19 Depth=1
	s_mov_b64 s[0:1], s[38:39]
	s_branch .LBB63_19
.LBB63_24:                              ;   in Loop: Header=BB63_19 Depth=1
                                        ; implicit-def: $sgpr38_sgpr39
	s_branch .LBB63_21
.LBB63_25:
	s_mov_b64 s[38:39], s[0:1]
.LBB63_26:
	s_load_dwordx2 s[0:1], s[4:5], 0x430
	s_mov_b32 s47, 0
                                        ; kill: killed $sgpr4 killed $sgpr5
	s_waitcnt lgkmcnt(0)
	v_writelane_b32 v63, s0, 2
	v_writelane_b32 v63, s1, 3
	s_load_dwordx2 s[18:19], s[4:5], 0x0
	s_load_dwordx2 s[0:1], s[4:5], 0x1c0
	s_waitcnt lgkmcnt(0)
	v_writelane_b32 v63, s0, 4
	v_writelane_b32 v63, s1, 5
	s_load_dwordx2 s[0:1], s[4:5], 0x360
	v_cmp_eq_u32_e64 s[4:5], 0, v0
	s_waitcnt lgkmcnt(0)
	v_writelane_b32 v63, s0, 6
	v_writelane_b32 v63, s1, 7
	s_mov_b64 s[0:1], exec
	v_writelane_b32 v63, s4, 8
	v_writelane_b32 v63, s5, 9
	s_and_b64 s[4:5], s[0:1], s[4:5]
	s_mov_b64 exec, s[4:5]
	s_cbranch_execz .LBB63_28
; %bb.27:
	v_mov_b32_e32 v1, 0
	v_mov_b32_e32 v3, s24
	;; [unrolled: 1-line block ×4, first 2 shown]
	ds_write_b32 v1, v1 offset:5136
	ds_write_b128 v1, v[1:4] offset:5120
.LBB63_28:
	s_or_b64 exec, exec, s[0:1]
	s_mul_i32 s0, s14, s9
	s_mul_hi_u32 s1, s14, s8
	s_add_i32 s0, s1, s0
	s_mul_i32 s1, s15, s8
	s_add_i32 s1, s0, s1
	s_mul_i32 s0, s14, s8
	s_lshl_b64 s[14:15], s[0:1], 1
	s_add_u32 s20, s18, s14
	v_mbcnt_lo_u32_b32 v1, -1, 0
	s_addc_u32 s21, s19, s15
	s_lshl_b64 s[48:49], s[2:3], 1
	v_mbcnt_hi_u32_b32 v41, -1, v1
	s_add_u32 s8, s20, s48
	v_cmp_gt_u32_e32 vcc, 64, v0
	v_cmp_gt_i32_e64 s[2:3], 4, v41
	v_mad_u64_u32 v[6:7], s[0:1], s30, v0, 0
	s_addc_u32 s9, s21, s49
	s_and_b64 s[0:1], vcc, s[2:3]
	v_writelane_b32 v63, s0, 10
	v_writelane_b32 v63, s1, 11
	v_cmp_gt_u32_e64 s[0:1], 2, v0
	v_writelane_b32 v63, s0, 12
	v_mov_b32_e32 v1, v7
	v_mov_b32_e32 v7, 0x600
	v_writelane_b32 v63, s1, 13
	v_mad_u64_u32 v[4:5], s[0:1], s31, v0, v[1:2]
	v_mov_b32_e32 v8, 0
	v_cmp_gt_i64_e64 s[0:1], s[24:25], v[7:8]
	s_waitcnt lgkmcnt(0)
	v_writelane_b32 v63, s0, 14
	s_barrier
	v_mov_b32_e32 v3, 0
	v_writelane_b32 v63, s1, 15
	s_load_dword s0, s[10:11], 0xc
	v_mov_b32_e32 v1, v3
	v_cmp_gt_i64_e64 s[2:3], s[24:25], v[0:1]
	v_mov_b32_e32 v7, v4
	v_lshlrev_b64 v[4:5], 1, v[6:7]
	v_writelane_b32 v63, s2, 16
	v_writelane_b32 v63, s3, 17
	s_waitcnt lgkmcnt(0)
	s_and_b32 s33, s0, 0xffff
	s_bfe_u32 s2, s0, 0xa0006
	v_mov_b32_e32 v2, s9
	v_add_co_u32_e32 v14, vcc, s8, v4
	s_cmp_gt_u32 s33, 63
	v_addc_co_u32_e32 v15, vcc, v2, v5, vcc
	s_cselect_b64 s[0:1], -1, 0
	v_add_u32_e32 v2, 2, v0
	v_writelane_b32 v63, s0, 18
	s_add_u32 s65, s33, -1
	v_cmp_gt_i64_e32 vcc, s[24:25], v[2:3]
	v_writelane_b32 v63, s1, 19
	s_addc_u32 s0, 0, -1
	v_mov_b32_e32 v9, s25
	s_add_u32 s1, s65, s24
	v_cndmask_b32_e32 v10, 0, v9, vcc
	v_mov_b32_e32 v9, s24
	s_addc_u32 s57, s0, s25
	v_cndmask_b32_e32 v2, v2, v9, vcc
	v_not_b32_e32 v9, v0
	v_writelane_b32 v63, s1, 20
	s_cmp_lt_u32 s6, s12
	v_add_co_u32_e32 v9, vcc, v2, v9
	v_writelane_b32 v63, s0, 21
	s_cselect_b32 s0, 12, 18
	v_addc_co_u32_e32 v10, vcc, -1, v10, vcc
	s_add_u32 s58, s10, s0
	v_cmp_lt_u64_e64 s[0:1], 1, v[9:10]
	v_and_b32_e32 v18, -2, v9
	v_writelane_b32 v63, s0, 22
	v_mov_b32_e32 v19, v10
	v_writelane_b32 v63, s1, 23
	v_cmp_ne_u64_e64 s[0:1], v[9:10], v[18:19]
	s_addc_u32 s59, s11, 0
	v_writelane_b32 v63, s0, 24
	v_writelane_b32 v63, s1, 25
	s_add_i32 s0, s2, -1
	v_lshlrev_b32_e32 v42, 3, v0
	v_mov_b32_e32 v9, s20
	s_bfe_u32 s3, s33, 0x30006
	s_and_b32 s0, s0, 0xffff
	v_or_b32_e32 v11, 6, v42
	v_mov_b32_e32 v10, s21
	s_cmp_gt_u32 s0, 6
	v_mad_u64_u32 v[20:21], s[0:1], s30, v11, v[9:10]
	s_cselect_b64 s[0:1], -1, 0
	v_writelane_b32 v63, s0, 26
	v_mov_b32_e32 v2, v21
	v_writelane_b32 v63, s1, 27
	v_mad_u64_u32 v[11:12], s[0:1], s31, v11, v[2:3]
	v_or_b32_e32 v12, 4, v42
	v_mad_u64_u32 v[22:23], s[0:1], s30, v12, v[9:10]
	s_and_b32 s55, s2, 0x3f8
	s_cmp_lg_u32 s3, 0
	v_writelane_b32 v63, s3, 28
	s_cselect_b64 s[0:1], -1, 0
	v_writelane_b32 v63, s0, 29
	v_mov_b32_e32 v2, v23
	v_writelane_b32 v63, s1, 30
	v_mov_b32_e32 v21, v11
	v_mad_u64_u32 v[11:12], s[0:1], s31, v12, v[2:3]
	v_or_b32_e32 v12, 2, v42
	v_mad_u64_u32 v[24:25], s[0:1], s30, v12, v[9:10]
	s_add_u32 s2, s14, s48
	s_addc_u32 s3, s15, s49
	s_add_u32 s2, s18, s2
	v_mov_b32_e32 v2, v25
	s_addc_u32 s3, s19, s3
	v_mad_u64_u32 v[9:10], s[0:1], s31, v12, v[2:3]
	v_writelane_b32 v63, s2, 31
	v_writelane_b32 v63, s3, 32
	s_lshl_b64 s[0:1], s[30:31], 3
	s_lshl_b64 s[66:67], s[30:31], 1
	v_writelane_b32 v63, s0, 33
	v_writelane_b32 v63, s1, 34
	v_lshlrev_b64 v[6:7], 3, v[6:7]
	s_add_u32 s0, s18, s48
	s_addc_u32 s1, s19, s49
	v_mov_b32_e32 v2, s21
	v_add_co_u32_e32 v26, vcc, s20, v6
	s_add_u32 s0, s0, s14
	v_addc_co_u32_e32 v27, vcc, v2, v7, vcc
	s_addc_u32 s1, s1, s15
	v_mov_b32_e32 v2, s1
	v_add_co_u32_e32 v12, vcc, s0, v4
	v_addc_co_u32_e32 v13, vcc, v2, v5, vcc
	v_lshrrev_b32_e32 v2, 1, v0
	v_and_b32_e32 v2, 0x1e0, v2
	v_lshlrev_b64 v[4:5], v41, -1
	v_or_b32_e32 v46, 0xc00, v2
	v_mov_b32_e32 v2, s25
	v_add_co_u32_e32 v47, vcc, s24, v0
	s_mul_i32 s0, s31, s33
	s_mul_hi_u32 s1, s30, s33
	v_lshlrev_b32_e32 v8, 2, v41
	v_addc_co_u32_e32 v48, vcc, 0, v2, vcc
	v_mov_b32_e32 v2, 0xc00
	s_add_i32 s1, s1, s0
	s_mul_i32 s0, s30, s33
	v_lshlrev_b32_e32 v51, 1, v0
	v_mov_b32_e32 v30, s27
	v_cmp_eq_u32_e64 s[4:5], 0, v41
	v_lshlrev_b32_e32 v16, 2, v0
	v_mov_b32_e32 v17, v3
	v_mov_b32_e32 v23, v11
	;; [unrolled: 1-line block ×3, first 2 shown]
	v_and_b32_e32 v43, 0x100, v8
	v_not_b32_e32 v44, v5
	v_not_b32_e32 v45, v4
	s_mov_b32 s16, s30
	s_mov_b32 s17, s31
	v_lshl_or_b32 v49, v41, 3, v2
	s_lshl_b64 s[50:51], s[0:1], 1
	s_lshl_b32 s68, s33, 1
	s_mov_b32 s54, 14
	s_mov_b64 s[70:71], 0
	s_movk_i32 s69, 0x3c00
	s_mov_b32 s52, 0
	v_add_u32_e32 v52, 0xc00, v51
	v_mov_b32_e32 v53, 0xffff
	v_mov_b32_e32 v54, 0x8000
	v_mov_b32_e32 v55, -1
	v_mov_b32_e32 v56, 0x5040100
	v_mov_b32_e32 v58, 0
	;; [unrolled: 1-line block ×4, first 2 shown]
	v_add_co_u32_e32 v28, vcc, v18, v0
	v_mov_b32_e32 v29, s26
                                        ; implicit-def: $sgpr72_sgpr73
                                        ; implicit-def: $sgpr76_sgpr77
                                        ; implicit-def: $sgpr74_sgpr75
                                        ; implicit-def: $sgpr80_sgpr81
                                        ; implicit-def: $sgpr82_sgpr83
                                        ; implicit-def: $sgpr78_sgpr79
	s_branch .LBB63_32
.LBB63_29:                              ;   in Loop: Header=BB63_32 Depth=1
	s_or_b64 exec, exec, s[12:13]
	s_and_b64 s[2:3], s[2:3], exec
	s_andn2_b64 s[86:87], s[86:87], exec
	s_andn2_b64 s[6:7], s[6:7], exec
	s_orn2_b64 s[20:21], s[10:11], exec
.LBB63_30:                              ;   in Loop: Header=BB63_32 Depth=1
	s_or_b64 exec, exec, s[0:1]
	s_andn2_b64 s[0:1], s[78:79], exec
	s_and_b64 s[2:3], s[2:3], exec
	s_or_b64 s[78:79], s[0:1], s[2:3]
	s_andn2_b64 s[0:1], s[82:83], exec
	s_and_b64 s[2:3], s[86:87], exec
	s_or_b64 s[82:83], s[0:1], s[2:3]
	;; [unrolled: 3-line block ×3, first 2 shown]
	s_orn2_b64 s[6:7], s[20:21], exec
.LBB63_31:                              ;   in Loop: Header=BB63_32 Depth=1
	s_or_b64 exec, exec, s[18:19]
	s_and_b64 s[0:1], exec, s[6:7]
	s_or_b64 s[70:71], s[0:1], s[70:71]
	s_andn2_b64 s[0:1], s[74:75], exec
	s_and_b64 s[2:3], s[78:79], exec
	s_or_b64 s[74:75], s[0:1], s[2:3]
	s_andn2_b64 s[0:1], s[76:77], exec
	s_and_b64 s[2:3], s[82:83], exec
	;; [unrolled: 3-line block ×3, first 2 shown]
	v_mov_b32_e32 v30, v9
	s_or_b64 s[72:73], s[0:1], s[2:3]
	v_mov_b32_e32 v29, v8
	s_andn2_b64 exec, exec, s[70:71]
	s_cbranch_execz .LBB63_303
.LBB63_32:                              ; =>This Loop Header: Depth=1
                                        ;     Child Loop BB63_37 Depth 2
                                        ;     Child Loop BB63_51 Depth 2
	;; [unrolled: 1-line block ×17, first 2 shown]
	ds_read_b128 v[4:7], v3 offset:5120
	s_waitcnt lgkmcnt(0)
	v_readfirstlane_b32 s27, v5
	v_readfirstlane_b32 s26, v4
	v_cmp_gt_i64_e64 s[0:1], s[26:27], 0
	s_and_b64 vcc, exec, s[0:1]
	s_cbranch_vccnz .LBB63_64
; %bb.33:                               ;   in Loop: Header=BB63_32 Depth=1
	v_readlane_b32 s0, v63, 14
	v_readlane_b32 s1, v63, 15
	s_and_b64 vcc, exec, s[0:1]
	s_cbranch_vccz .LBB63_45
; %bb.34:                               ;   in Loop: Header=BB63_32 Depth=1
	s_mov_b64 s[0:1], 0x601
	v_cmp_gt_i64_e32 vcc, s[0:1], v[6:7]
	s_mov_b64 s[10:11], 0
	s_mov_b64 s[0:1], 0
	s_cbranch_vccz .LBB63_46
; %bb.35:                               ;   in Loop: Header=BB63_32 Depth=1
	global_load_ushort v6, v3, s[58:59]
	global_load_ushort v2, v[14:15], off
	v_readlane_b32 s0, v63, 31
	v_readlane_b32 s1, v63, 32
	v_mov_b32_e32 v5, s1
	v_mov_b32_e32 v4, s0
	s_mov_b64 s[12:13], 0
	s_waitcnt vmcnt(1)
	v_and_b32_e32 v8, 0xffff, v6
	v_readfirstlane_b32 s2, v6
	v_add_co_u32_e32 v6, vcc, v0, v8
	v_addc_co_u32_e64 v7, s[0:1], 0, 0, vcc
	v_mul_lo_u32 v7, s66, v7
	v_mul_lo_u32 v9, s67, v6
	v_mad_u64_u32 v[4:5], s[0:1], s66, v6, v[4:5]
	s_and_b32 s2, 0xffff, s2
	s_mul_i32 s0, s67, s2
	s_mul_hi_u32 s1, s66, s2
	v_add3_u32 v5, v9, v5, v7
	v_mov_b32_e32 v7, v1
	s_mul_i32 s20, s66, s2
	s_add_i32 s21, s1, s0
	v_mov_b32_e32 v6, v0
	s_branch .LBB63_37
.LBB63_36:                              ;   in Loop: Header=BB63_37 Depth=2
	s_or_b64 exec, exec, s[0:1]
	v_mov_b32_e32 v2, s21
	v_add_co_u32_e32 v4, vcc, s20, v4
	v_addc_co_u32_e32 v5, vcc, v5, v2, vcc
	v_mov_b32_e32 v2, v9
	s_andn2_b64 exec, exec, s[12:13]
	s_cbranch_execz .LBB63_98
.LBB63_37:                              ;   Parent Loop BB63_32 Depth=1
                                        ; =>  This Inner Loop Header: Depth=2
	v_add_co_u32_e32 v6, vcc, v6, v8
	v_addc_co_u32_e32 v7, vcc, 0, v7, vcc
	v_cmp_gt_i64_e64 s[6:7], s[24:25], v[6:7]
	v_cmp_le_i64_e32 vcc, s[24:25], v[6:7]
	s_waitcnt lgkmcnt(0)
	v_mov_b32_e32 v10, 0
	v_mov_b32_e32 v9, 0
	s_and_saveexec_b64 s[0:1], s[6:7]
	s_cbranch_execz .LBB63_39
; %bb.38:                               ;   in Loop: Header=BB63_37 Depth=2
	global_load_ushort v9, v[4:5], off
.LBB63_39:                              ;   in Loop: Header=BB63_37 Depth=2
	s_or_b64 exec, exec, s[0:1]
	s_waitcnt vmcnt(0)
	v_cmp_lt_i16_e64 s[6:7], -1, v2
	v_cndmask_b32_e64 v11, v53, v54, s[6:7]
	v_xor_b32_sdwa v11, v11, v2 dst_sel:DWORD dst_unused:UNUSED_PAD src0_sel:DWORD src1_sel:WORD_0
	v_cmp_o_f16_e64 s[6:7], v2, v2
	v_cndmask_b32_e64 v11, v53, v11, s[6:7]
	v_and_b32_e32 v11, v11, v57
	v_cmp_eq_u32_e64 s[14:15], v11, v50
	s_cmp_lg_u64 s[14:15], 0
	s_cselect_b64 s[0:1], -1, 0
	s_and_b64 s[2:3], s[4:5], s[0:1]
	s_and_saveexec_b64 s[0:1], s[2:3]
	s_cbranch_execz .LBB63_43
; %bb.40:                               ;   in Loop: Header=BB63_37 Depth=2
	s_mov_b64 s[18:19], exec
	v_mbcnt_lo_u32_b32 v10, s18, 0
	v_mbcnt_hi_u32_b32 v10, s19, v10
	s_bcnt1_i32_b64 s27, s[14:15]
	v_cmp_eq_u32_e64 s[6:7], 0, v10
                                        ; implicit-def: $vgpr11
	s_and_saveexec_b64 s[2:3], s[6:7]
; %bb.41:                               ;   in Loop: Header=BB63_37 Depth=2
	s_bcnt1_i32_b64 s6, s[18:19]
	s_mul_i32 s6, s27, s6
	v_mov_b32_e32 v11, s6
	ds_add_rtn_u32 v11, v3, v11 offset:5136
; %bb.42:                               ;   in Loop: Header=BB63_37 Depth=2
	s_or_b64 exec, exec, s[2:3]
	s_waitcnt lgkmcnt(0)
	v_readfirstlane_b32 s2, v11
	v_mov_b32_e32 v11, s2
	v_mad_u32_u24 v10, s27, v10, v11
.LBB63_43:                              ;   in Loop: Header=BB63_37 Depth=2
	s_or_b64 exec, exec, s[0:1]
	ds_bpermute_b32 v10, v43, v10
	s_and_b64 s[0:1], exec, vcc
	s_or_b64 s[12:13], s[0:1], s[12:13]
	s_and_saveexec_b64 s[0:1], s[14:15]
	s_cbranch_execz .LBB63_36
; %bb.44:                               ;   in Loop: Header=BB63_37 Depth=2
	v_and_b32_e32 v31, s14, v45
	v_and_b32_e32 v11, s15, v44
	v_bcnt_u32_b32 v31, v31, 0
	v_bcnt_u32_b32 v11, v11, v31
	v_lshlrev_b32_e32 v11, 1, v11
	s_waitcnt lgkmcnt(0)
	v_lshl_add_u32 v10, v10, 1, v11
	ds_write_b16 v10, v2
	s_branch .LBB63_36
.LBB63_45:                              ;   in Loop: Header=BB63_32 Depth=1
	s_mov_b64 s[10:11], -1
	s_mov_b64 s[0:1], 0
.LBB63_46:                              ;   in Loop: Header=BB63_32 Depth=1
	s_and_b64 vcc, exec, s[10:11]
	s_cbranch_vccz .LBB63_62
.LBB63_47:                              ;   in Loop: Header=BB63_32 Depth=1
	s_mov_b64 s[10:11], exec
	v_readlane_b32 s0, v63, 16
	v_readlane_b32 s1, v63, 17
	s_and_b64 s[0:1], s[10:11], s[0:1]
	s_mov_b64 exec, s[0:1]
	s_cbranch_execz .LBB63_59
; %bb.48:                               ;   in Loop: Header=BB63_32 Depth=1
	global_load_ushort v2, v3, s[58:59]
	global_load_ushort v11, v[14:15], off
	v_mov_b32_e32 v6, v0
	s_waitcnt vmcnt(1)
	v_readfirstlane_b32 s0, v2
	v_add_u32_sdwa v2, v2, v0 dst_sel:DWORD dst_unused:UNUSED_PAD src0_sel:WORD_0 src1_sel:DWORD
	v_cmp_gt_i64_e32 vcc, s[24:25], v[2:3]
	s_and_saveexec_b64 s[12:13], vcc
	s_cbranch_execz .LBB63_58
; %bb.49:                               ;   in Loop: Header=BB63_32 Depth=1
	s_and_b32 s14, s0, 0xffff
	s_cmp_eq_u32 s14, 1
	v_readlane_b32 s2, v63, 22
                                        ; implicit-def: $vgpr6_vgpr7
	s_cselect_b64 s[0:1], -1, 0
	v_readlane_b32 s3, v63, 23
	v_mov_b32_e32 v8, v1
	v_mov_b32_e32 v5, v3
	s_and_b64 s[0:1], s[2:3], s[0:1]
	s_mov_b64 s[2:3], -1
	v_mov_b32_e32 v7, v0
	v_mov_b32_e32 v4, v2
	s_and_saveexec_b64 s[6:7], s[0:1]
	s_cbranch_execz .LBB63_53
; %bb.50:                               ;   in Loop: Header=BB63_32 Depth=1
	v_add_co_u32_e32 v4, vcc, 1, v2
	v_addc_co_u32_e64 v5, s[0:1], 0, 0, vcc
	v_mov_b32_e32 v8, v18
	v_mov_b32_e32 v7, v5
	s_waitcnt vmcnt(0)
	v_lshlrev_b32_e32 v31, 16, v11
	s_mov_b64 s[0:1], 0
	v_mov_b32_e32 v9, v19
	v_mov_b32_e32 v10, v51
	;; [unrolled: 1-line block ×5, first 2 shown]
.LBB63_51:                              ;   Parent Loop BB63_32 Depth=1
                                        ; =>  This Inner Loop Header: Depth=2
	v_mul_lo_u32 v37, v5, s16
	v_mul_lo_u32 v38, v4, s17
	v_mad_u64_u32 v[34:35], s[2:3], v4, s16, 0
	v_mul_lo_u32 v11, v7, s30
	v_mul_lo_u32 v36, v6, s31
	v_mad_u64_u32 v[32:33], s[2:3], v6, s30, 0
	v_add3_u32 v35, v35, v38, v37
	v_lshlrev_b64 v[34:35], 1, v[34:35]
	v_add3_u32 v33, v33, v36, v11
	v_mov_b32_e32 v39, s9
	v_lshlrev_b64 v[32:33], 1, v[32:33]
	v_add_co_u32_e32 v34, vcc, s8, v34
	v_addc_co_u32_e32 v35, vcc, v39, v35, vcc
	v_add_co_u32_e32 v32, vcc, s8, v32
	v_addc_co_u32_e32 v33, vcc, v39, v33, vcc
	global_load_ushort v34, v[34:35], off
	s_nop 0
	global_load_ushort v11, v[32:33], off
	v_add_co_u32_e32 v6, vcc, 2, v6
	v_addc_co_u32_e32 v7, vcc, 0, v7, vcc
	v_add_co_u32_e32 v4, vcc, 2, v4
	v_addc_co_u32_e32 v5, vcc, 0, v5, vcc
	v_add_co_u32_e32 v8, vcc, -2, v8
	v_addc_co_u32_e32 v9, vcc, -1, v9, vcc
	s_mov_b32 s2, 0x5040100
	v_cmp_eq_u64_e32 vcc, 0, v[8:9]
	s_or_b64 s[0:1], vcc, s[0:1]
	s_waitcnt vmcnt(1)
	v_alignbit_b32 v31, v34, v31, 16
	s_waitcnt vmcnt(0)
	v_perm_b32 v32, v11, v34, s2
	ds_write_b32 v10, v31
	v_add_u32_e32 v10, 4, v10
	v_mov_b32_e32 v31, v32
	s_andn2_b64 exec, exec, s[0:1]
	s_cbranch_execnz .LBB63_51
; %bb.52:                               ;   in Loop: Header=BB63_32 Depth=1
	s_or_b64 exec, exec, s[0:1]
	v_readlane_b32 s0, v63, 24
	v_add_co_u32_e32 v4, vcc, v2, v18
	v_readlane_b32 s1, v63, 25
	v_addc_co_u32_e32 v5, vcc, 0, v19, vcc
	v_add_co_u32_e32 v6, vcc, -1, v4
	s_orn2_b64 s[2:3], s[0:1], exec
	v_mov_b32_e32 v7, v28
	v_mov_b32_e32 v8, v29
.LBB63_53:                              ;   in Loop: Header=BB63_32 Depth=1
	s_or_b64 exec, exec, s[6:7]
	s_and_saveexec_b64 s[0:1], s[2:3]
	s_cbranch_execz .LBB63_57
; %bb.54:                               ;   in Loop: Header=BB63_32 Depth=1
	v_readlane_b32 s2, v63, 31
	v_readlane_b32 s3, v63, 32
	v_mov_b32_e32 v9, s3
	v_mov_b32_e32 v8, s2
	v_mad_u64_u32 v[9:10], s[2:3], s66, v4, v[8:9]
	v_mul_lo_u32 v2, s66, v5
	v_mul_lo_u32 v6, s67, v4
	s_mul_i32 s6, s67, s14
	s_mul_hi_u32 s7, s66, s14
	s_mov_b64 s[2:3], 0
	s_sub_u32 s15, 0, s14
	v_add3_u32 v10, v6, v10, v2
	s_add_i32 s18, s7, s6
	s_mul_i32 s19, s66, s14
.LBB63_55:                              ;   Parent Loop BB63_32 Depth=1
                                        ; =>  This Inner Loop Header: Depth=2
	s_waitcnt vmcnt(0)
	v_mov_b32_e32 v2, v11
	global_load_ushort v11, v[9:10], off
	v_mov_b32_e32 v32, v5
	v_mov_b32_e32 v31, v4
	v_lshlrev_b32_e32 v4, 1, v7
	ds_write_b16 v4, v2
	v_add_co_u32_e32 v4, vcc, s14, v31
	v_addc_co_u32_e32 v5, vcc, 0, v32, vcc
	v_mov_b32_e32 v2, s18
	v_add_co_u32_e32 v9, vcc, s19, v9
	v_addc_co_u32_e32 v10, vcc, v10, v2, vcc
	v_cmp_le_i64_e32 vcc, s[24:25], v[4:5]
	v_add_co_u32_e64 v6, s[6:7], s15, v4
	s_or_b64 s[2:3], vcc, s[2:3]
	v_mov_b32_e32 v7, v31
	v_mov_b32_e32 v8, v32
	s_andn2_b64 exec, exec, s[2:3]
	s_cbranch_execnz .LBB63_55
; %bb.56:                               ;   in Loop: Header=BB63_32 Depth=1
	s_or_b64 exec, exec, s[2:3]
.LBB63_57:                              ;   in Loop: Header=BB63_32 Depth=1
	s_or_b64 exec, exec, s[0:1]
.LBB63_58:                              ;   in Loop: Header=BB63_32 Depth=1
	s_or_b64 exec, exec, s[12:13]
	v_lshlrev_b32_e32 v2, 1, v6
	s_waitcnt vmcnt(0)
	ds_write_b16 v2, v11
.LBB63_59:                              ;   in Loop: Header=BB63_32 Depth=1
	s_or_b64 exec, exec, s[10:11]
	s_waitcnt lgkmcnt(0)
	s_barrier
	s_mov_b64 s[0:1], exec
	v_readlane_b32 s2, v63, 8
	v_readlane_b32 s3, v63, 9
	s_and_b64 s[2:3], s[0:1], s[2:3]
	s_mov_b64 exec, s[2:3]
; %bb.60:                               ;   in Loop: Header=BB63_32 Depth=1
	v_mov_b32_e32 v4, s24
	v_mov_b32_e32 v5, s25
	ds_write_b64 v3, v[4:5] offset:5120
; %bb.61:                               ;   in Loop: Header=BB63_32 Depth=1
	s_or_b64 exec, exec, s[0:1]
	s_waitcnt lgkmcnt(0)
	s_barrier
	s_mov_b64 s[0:1], -1
.LBB63_62:                              ;   in Loop: Header=BB63_32 Depth=1
	s_and_b64 vcc, exec, s[0:1]
	s_cbranch_vccz .LBB63_64
; %bb.63:                               ;   in Loop: Header=BB63_32 Depth=1
	ds_read_b64 v[4:5], v3 offset:5120
	s_waitcnt lgkmcnt(0)
	v_readfirstlane_b32 s26, v4
.LBB63_64:                              ;   in Loop: Header=BB63_32 Depth=1
	s_cmp_lt_i32 s26, 1
	s_mov_b64 s[0:1], -1
                                        ; implicit-def: $vgpr4_vgpr5
                                        ; implicit-def: $vgpr8_vgpr9
	s_cbranch_scc1 .LBB63_74
; %bb.65:                               ;   in Loop: Header=BB63_32 Depth=1
	s_and_b64 vcc, exec, s[0:1]
	s_cbranch_vccnz .LBB63_88
.LBB63_66:                              ;   in Loop: Header=BB63_32 Depth=1
	s_lshl_b32 s2, s52, 6
	s_and_saveexec_b64 s[0:1], s[4:5]
	s_cbranch_execz .LBB63_68
.LBB63_67:                              ;   in Loop: Header=BB63_32 Depth=1
	v_lshl_add_u32 v2, s2, 3, v46
	ds_write_b128 v2, v[4:7]
	ds_write_b128 v2, v[8:11] offset:16
.LBB63_68:                              ;   in Loop: Header=BB63_32 Depth=1
	s_or_b64 exec, exec, s[0:1]
	s_waitcnt lgkmcnt(0)
	s_barrier
	s_mov_b64 s[6:7], exec
	v_readlane_b32 s0, v63, 10
	v_readlane_b32 s1, v63, 11
	s_and_b64 s[0:1], s[6:7], s[0:1]
	s_mov_b64 exec, s[0:1]
	s_cbranch_execz .LBB63_106
; %bb.69:                               ;   in Loop: Header=BB63_32 Depth=1
	v_readlane_b32 s0, v63, 18
	v_mov_b32_e32 v4, 0
	v_readlane_b32 s1, v63, 19
	v_mov_b32_e32 v5, 0
	s_andn2_b64 vcc, exec, s[0:1]
	s_cbranch_vccnz .LBB63_105
; %bb.70:                               ;   in Loop: Header=BB63_32 Depth=1
	v_readlane_b32 s0, v63, 26
	v_readlane_b32 s1, v63, 27
	s_andn2_b64 vcc, exec, s[0:1]
	s_cbranch_vccnz .LBB63_101
; %bb.71:                               ;   in Loop: Header=BB63_32 Depth=1
	v_mov_b32_e32 v4, 0
	v_lshl_add_u32 v2, s52, 9, v49
	v_mov_b32_e32 v5, 0
	s_mov_b32 s0, 0
.LBB63_72:                              ;   Parent Loop BB63_32 Depth=1
                                        ; =>  This Inner Loop Header: Depth=2
	ds_read2_b64 v[6:9], v2 offset1:4
	ds_read2_b64 v[31:34], v2 offset0:8 offset1:12
	ds_read2_b64 v[35:38], v2 offset0:16 offset1:20
	ds_read2_b64 v[59:62], v2 offset0:24 offset1:28
	s_add_i32 s0, s0, 8
	s_waitcnt lgkmcnt(3)
	v_add_co_u32_e32 v4, vcc, v6, v4
	v_addc_co_u32_e32 v5, vcc, v7, v5, vcc
	v_add_co_u32_e32 v4, vcc, v8, v4
	v_addc_co_u32_e32 v5, vcc, v9, v5, vcc
	s_waitcnt lgkmcnt(2)
	v_add_co_u32_e32 v4, vcc, v31, v4
	v_addc_co_u32_e32 v5, vcc, v32, v5, vcc
	v_add_co_u32_e32 v4, vcc, v33, v4
	v_addc_co_u32_e32 v5, vcc, v34, v5, vcc
	;; [unrolled: 5-line block ×3, first 2 shown]
	s_waitcnt lgkmcnt(0)
	v_add_co_u32_e32 v4, vcc, v59, v4
	v_addc_co_u32_e32 v5, vcc, v60, v5, vcc
	v_add_co_u32_e32 v4, vcc, v61, v4
	v_add_u32_e32 v2, 0x100, v2
	s_cmp_eq_u32 s55, s0
	v_addc_co_u32_e32 v5, vcc, v62, v5, vcc
	s_cbranch_scc0 .LBB63_72
; %bb.73:                               ;   in Loop: Header=BB63_32 Depth=1
	s_mov_b32 s0, s55
	s_branch .LBB63_102
.LBB63_74:                              ;   in Loop: Header=BB63_32 Depth=1
	global_load_ushort v2, v3, s[58:59]
	s_mov_b32 s0, s47
	s_waitcnt vmcnt(0)
	v_readfirstlane_b32 s1, v2
	s_and_b32 s12, s1, 0xffff
	s_lshl_b32 s2, s12, 2
	s_mov_b32 s1, s25
	s_cmp_lg_u64 s[0:1], 0
	s_cbranch_scc0 .LBB63_97
; %bb.75:                               ;   in Loop: Header=BB63_32 Depth=1
	s_add_u32 s0, s2, 0
	s_addc_u32 s1, 0, 0
	s_xor_b64 s[6:7], s[0:1], 0
	v_cvt_f32_u32_e32 v2, s6
	v_cvt_f32_u32_e32 v4, s7
	s_sub_u32 s3, 0, s6
	s_subb_u32 s10, 0, s7
	v_mac_f32_e32 v2, 0x4f800000, v4
	v_rcp_f32_e32 v2, v2
	v_mul_f32_e32 v2, 0x5f7ffffc, v2
	v_mul_f32_e32 v4, 0x2f800000, v2
	v_trunc_f32_e32 v4, v4
	v_mac_f32_e32 v2, 0xcf800000, v4
	v_cvt_u32_f32_e32 v4, v4
	v_cvt_u32_f32_e32 v2, v2
	v_readfirstlane_b32 s11, v4
	v_readfirstlane_b32 s0, v2
	s_mul_i32 s1, s3, s11
	s_mul_hi_u32 s14, s3, s0
	s_mul_i32 s13, s10, s0
	s_add_i32 s1, s14, s1
	s_mul_i32 s15, s3, s0
	s_add_i32 s1, s1, s13
	s_mul_i32 s14, s0, s1
	s_mul_hi_u32 s18, s0, s15
	s_mul_hi_u32 s13, s0, s1
	s_add_u32 s14, s18, s14
	s_addc_u32 s13, 0, s13
	s_mul_hi_u32 s19, s11, s15
	s_mul_i32 s15, s11, s15
	s_add_u32 s14, s14, s15
	s_mul_hi_u32 s18, s11, s1
	s_addc_u32 s13, s13, s19
	s_addc_u32 s14, s18, 0
	s_mul_i32 s1, s11, s1
	s_add_u32 s1, s13, s1
	s_addc_u32 s13, 0, s14
	s_add_u32 s14, s0, s1
	s_cselect_b64 s[0:1], -1, 0
	s_cmp_lg_u64 s[0:1], 0
	s_addc_u32 s11, s11, s13
	s_mul_i32 s0, s3, s11
	s_mul_hi_u32 s1, s3, s14
	s_add_i32 s0, s1, s0
	s_mul_i32 s10, s10, s14
	s_add_i32 s0, s0, s10
	s_mul_i32 s3, s3, s14
	s_mul_hi_u32 s10, s11, s3
	s_mul_i32 s13, s11, s3
	s_mul_i32 s18, s14, s0
	s_mul_hi_u32 s3, s14, s3
	s_mul_hi_u32 s15, s14, s0
	s_add_u32 s3, s3, s18
	s_addc_u32 s15, 0, s15
	s_add_u32 s3, s3, s13
	s_mul_hi_u32 s1, s11, s0
	s_addc_u32 s3, s15, s10
	s_addc_u32 s1, s1, 0
	s_mul_i32 s0, s11, s0
	s_add_u32 s0, s3, s0
	s_addc_u32 s3, 0, s1
	s_add_u32 s13, s14, s0
	s_cselect_b64 s[0:1], -1, 0
	s_cmp_lg_u64 s[0:1], 0
	s_addc_u32 s3, s11, s3
	s_ashr_i32 s0, s25, 31
	s_add_u32 s10, s24, s0
	s_mov_b32 s1, s0
	s_addc_u32 s11, s25, s0
	s_xor_b64 s[10:11], s[10:11], s[0:1]
	s_mul_i32 s15, s10, s3
	s_mul_hi_u32 s18, s10, s13
	s_mul_hi_u32 s14, s10, s3
	s_add_u32 s15, s18, s15
	s_addc_u32 s14, 0, s14
	s_mul_hi_u32 s19, s11, s13
	s_mul_i32 s13, s11, s13
	s_add_u32 s13, s15, s13
	s_mul_hi_u32 s18, s11, s3
	s_addc_u32 s13, s14, s19
	s_addc_u32 s14, s18, 0
	s_mul_i32 s3, s11, s3
	s_add_u32 s3, s13, s3
	s_addc_u32 s13, 0, s14
	s_mul_i32 s13, s6, s13
	s_mul_hi_u32 s14, s6, s3
	s_add_i32 s13, s14, s13
	s_mul_i32 s14, s7, s3
	s_add_i32 s13, s13, s14
	s_sub_i32 s18, s11, s13
	s_mul_i32 s3, s6, s3
	s_sub_u32 s3, s10, s3
	s_cselect_b64 s[14:15], -1, 0
	s_cmp_lg_u64 s[14:15], 0
	s_subb_u32 s10, s18, s7
	s_sub_u32 s20, s3, s6
	s_cselect_b64 s[18:19], -1, 0
	s_cmp_lg_u64 s[18:19], 0
	s_subb_u32 s21, s10, 0
	s_cmp_ge_u32 s21, s7
	s_cselect_b32 s27, -1, 0
	s_cmp_ge_u32 s20, s6
	s_cselect_b32 s36, -1, 0
	s_cmp_eq_u32 s21, s7
	s_cselect_b32 s27, s36, s27
	s_cmp_lg_u64 s[18:19], 0
	s_subb_u32 s10, s10, s7
	s_sub_u32 s36, s20, s6
	s_cselect_b64 s[18:19], -1, 0
	s_cmp_lg_u64 s[18:19], 0
	s_subb_u32 s10, s10, 0
	s_cmp_lg_u32 s27, 0
	s_cselect_b32 s18, s36, s20
	s_cselect_b32 s10, s10, s21
	s_cmp_lg_u64 s[14:15], 0
	s_subb_u32 s11, s11, s13
	s_cmp_ge_u32 s11, s7
	s_cselect_b32 s13, -1, 0
	s_cmp_ge_u32 s3, s6
	s_cselect_b32 s6, -1, 0
	s_cmp_eq_u32 s11, s7
	s_cselect_b32 s6, s6, s13
	s_cmp_lg_u32 s6, 0
	s_cselect_b32 s7, s10, s11
	s_cselect_b32 s6, s18, s3
	s_xor_b64 s[6:7], s[6:7], s[0:1]
	s_sub_u32 s84, s6, s0
	s_subb_u32 s85, s7, s0
	s_cbranch_execnz .LBB63_77
.LBB63_76:                              ;   in Loop: Header=BB63_32 Depth=1
	v_cvt_f32_u32_e32 v2, s2
	s_sub_i32 s0, 0, s2
	v_rcp_iflag_f32_e32 v2, v2
	v_mul_f32_e32 v2, 0x4f7ffffe, v2
	v_cvt_u32_f32_e32 v2, v2
	v_readfirstlane_b32 s1, v2
	s_mul_i32 s0, s0, s1
	s_mul_hi_u32 s0, s1, s0
	s_add_i32 s1, s1, s0
	s_mul_hi_u32 s0, s24, s1
	s_mul_i32 s0, s0, s2
	s_sub_i32 s0, s24, s0
	s_sub_i32 s1, s0, s2
	s_cmp_ge_u32 s0, s2
	s_cselect_b32 s0, s1, s0
	s_sub_i32 s1, s0, s2
	s_cmp_ge_u32 s0, s2
	s_cselect_b32 s46, s1, s0
	s_mov_b64 s[84:85], s[46:47]
.LBB63_77:                              ;   in Loop: Header=BB63_32 Depth=1
	s_sub_u32 s86, s24, s84
	s_subb_u32 s87, s25, s85
	v_cmp_gt_i64_e32 vcc, s[86:87], v[16:17]
	v_mov_b32_e32 v4, 0
	v_mov_b32_e32 v6, 0
	;; [unrolled: 1-line block ×8, first 2 shown]
	s_and_saveexec_b64 s[88:89], vcc
	s_cbranch_execz .LBB63_81
; %bb.78:                               ;   in Loop: Header=BB63_32 Depth=1
	v_readlane_b32 s6, v63, 33
	v_readlane_b32 s7, v63, 34
	s_mul_i32 s0, s7, s12
	s_mul_hi_u32 s1, s6, s12
	v_mov_b32_e32 v32, v27
	v_mov_b32_e32 v34, v25
	;; [unrolled: 1-line block ×5, first 2 shown]
	s_add_i32 s0, s1, s0
	s_mul_i32 s1, s6, s12
	s_mov_b64 s[90:91], 0
	v_mov_b32_e32 v31, v26
	v_mov_b32_e32 v33, v24
	;; [unrolled: 1-line block ×4, first 2 shown]
	s_mov_b64 s[92:93], 0
	s_mov_b64 s[94:95], 0
	;; [unrolled: 1-line block ×4, first 2 shown]
	v_mov_b32_e32 v39, v16
.LBB63_79:                              ;   Parent Loop BB63_32 Depth=1
                                        ; =>  This Inner Loop Header: Depth=2
	v_add_co_u32_e32 v4, vcc, s48, v31
	v_mov_b32_e32 v2, s49
	v_addc_co_u32_e32 v5, vcc, v32, v2, vcc
	global_load_ushort v6, v[4:5], off
	v_add_co_u32_e32 v4, vcc, s48, v33
	v_addc_co_u32_e32 v5, vcc, v34, v2, vcc
	global_load_ushort v7, v[4:5], off
	v_add_co_u32_e32 v4, vcc, s48, v35
	;; [unrolled: 3-line block ×3, first 2 shown]
	v_addc_co_u32_e32 v5, vcc, v38, v2, vcc
	global_load_ushort v2, v[4:5], off
	s_waitcnt vmcnt(3)
	v_cmp_lt_i16_e32 vcc, -1, v6
	v_cndmask_b32_e32 v4, v53, v54, vcc
	v_cmp_o_f16_e32 vcc, v6, v6
	v_xor_b32_sdwa v4, v4, v6 dst_sel:DWORD dst_unused:UNUSED_PAD src0_sel:DWORD src1_sel:WORD_0
	v_cndmask_b32_e32 v4, v53, v4, vcc
	s_waitcnt vmcnt(2)
	v_cmp_lt_i16_e32 vcc, -1, v7
	v_cndmask_b32_e32 v5, v53, v54, vcc
	v_cmp_o_f16_e32 vcc, v7, v7
	v_xor_b32_sdwa v5, v5, v7 dst_sel:DWORD dst_unused:UNUSED_PAD src0_sel:DWORD src1_sel:WORD_0
	v_cndmask_b32_e32 v5, v53, v5, vcc
	;; [unrolled: 6-line block ×3, first 2 shown]
	s_waitcnt vmcnt(0)
	v_cmp_lt_i16_e32 vcc, -1, v2
	v_cndmask_b32_e32 v7, v53, v54, vcc
	v_cmp_o_f16_e32 vcc, v2, v2
	v_xor_b32_sdwa v2, v7, v2 dst_sel:DWORD dst_unused:UNUSED_PAD src0_sel:DWORD src1_sel:WORD_0
	v_and_b32_e32 v7, v4, v57
	v_bfe_u32 v4, v4, s54, 2
	v_cndmask_b32_e32 v2, v53, v2, vcc
	v_cmp_eq_u32_e32 vcc, v7, v50
	v_and_b32_e32 v7, v5, v57
	v_bfe_u32 v5, v5, s54, 2
	v_cmp_eq_u32_e64 s[20:21], 0, v4
	v_cmp_eq_u32_e64 s[6:7], v7, v50
	v_and_b32_e32 v7, v6, v57
	v_bfe_u32 v6, v6, s54, 2
	s_and_b64 s[10:11], vcc, s[20:21]
	v_cmp_eq_u32_e64 s[20:21], 0, v5
	v_cmp_eq_u32_e64 s[14:15], v7, v50
	v_and_b32_e32 v7, v2, v57
	v_bfe_u32 v2, v2, s54, 2
	s_and_b64 s[36:37], s[6:7], s[20:21]
	v_cmp_eq_u32_e64 s[20:21], 0, v6
	v_cmp_eq_u32_e64 s[18:19], v7, v50
	s_and_b64 s[44:45], s[14:15], s[20:21]
	v_cmp_eq_u32_e64 s[20:21], 0, v2
	v_cndmask_b32_e64 v7, 0, 1, s[10:11]
	s_and_b64 s[60:61], s[18:19], s[20:21]
	v_cmp_ne_u32_e64 s[20:21], 0, v7
	v_cndmask_b32_e64 v7, 0, 1, s[36:37]
	s_bcnt1_i32_b64 s3, s[20:21]
	v_cmp_ne_u32_e64 s[20:21], 0, v7
	v_cndmask_b32_e64 v7, 0, 1, s[44:45]
	s_bcnt1_i32_b64 s10, s[20:21]
	;; [unrolled: 3-line block ×3, first 2 shown]
	v_cmp_ne_u32_e64 s[20:21], 0, v7
	s_bcnt1_i32_b64 s13, s[20:21]
	s_add_u32 s3, s3, s42
	s_addc_u32 s20, 0, s43
	s_add_u32 s3, s3, s10
	s_addc_u32 s10, s20, 0
	;; [unrolled: 2-line block ×3, first 2 shown]
	s_add_u32 s42, s3, s13
	v_cmp_eq_u32_e64 s[20:21], 1, v4
	s_addc_u32 s43, s10, 0
	s_and_b64 s[10:11], vcc, s[20:21]
	v_cmp_eq_u32_e64 s[20:21], 1, v5
	s_and_b64 s[36:37], s[6:7], s[20:21]
	v_cmp_eq_u32_e64 s[20:21], 1, v6
	s_and_b64 s[44:45], s[14:15], s[20:21]
	v_cmp_eq_u32_e64 s[20:21], 1, v2
	v_cndmask_b32_e64 v7, 0, 1, s[10:11]
	s_and_b64 s[60:61], s[18:19], s[20:21]
	v_cmp_ne_u32_e64 s[20:21], 0, v7
	v_cndmask_b32_e64 v7, 0, 1, s[36:37]
	s_bcnt1_i32_b64 s3, s[20:21]
	v_cmp_ne_u32_e64 s[20:21], 0, v7
	v_cndmask_b32_e64 v7, 0, 1, s[44:45]
	s_bcnt1_i32_b64 s10, s[20:21]
	v_cmp_ne_u32_e64 s[20:21], 0, v7
	v_cndmask_b32_e64 v7, 0, 1, s[60:61]
	s_bcnt1_i32_b64 s11, s[20:21]
	v_cmp_ne_u32_e64 s[20:21], 0, v7
	s_bcnt1_i32_b64 s13, s[20:21]
	s_add_u32 s3, s3, s40
	s_addc_u32 s20, 0, s41
	s_add_u32 s3, s3, s10
	s_addc_u32 s10, s20, 0
	;; [unrolled: 2-line block ×3, first 2 shown]
	s_add_u32 s40, s3, s13
	v_cmp_eq_u32_e64 s[20:21], 2, v4
	s_addc_u32 s41, s10, 0
	s_and_b64 s[10:11], vcc, s[20:21]
	v_cmp_eq_u32_e64 s[20:21], 2, v5
	s_and_b64 s[36:37], s[6:7], s[20:21]
	v_cmp_eq_u32_e64 s[20:21], 2, v6
	s_and_b64 s[44:45], s[14:15], s[20:21]
	v_cmp_eq_u32_e64 s[20:21], 2, v2
	v_cndmask_b32_e64 v7, 0, 1, s[10:11]
	s_and_b64 s[60:61], s[18:19], s[20:21]
	v_cmp_ne_u32_e64 s[20:21], 0, v7
	v_cndmask_b32_e64 v7, 0, 1, s[36:37]
	s_bcnt1_i32_b64 s3, s[20:21]
	v_cmp_ne_u32_e64 s[20:21], 0, v7
	v_cndmask_b32_e64 v7, 0, 1, s[44:45]
	s_bcnt1_i32_b64 s10, s[20:21]
	;; [unrolled: 3-line block ×3, first 2 shown]
	v_cmp_ne_u32_e64 s[20:21], 0, v7
	s_bcnt1_i32_b64 s13, s[20:21]
	s_add_u32 s3, s3, s94
	s_addc_u32 s20, 0, s95
	s_add_u32 s3, s3, s10
	s_addc_u32 s10, s20, 0
	;; [unrolled: 2-line block ×3, first 2 shown]
	s_add_u32 s94, s3, s13
	v_cmp_eq_u32_e64 s[20:21], 3, v4
	s_addc_u32 s95, s10, 0
	s_and_b64 s[10:11], vcc, s[20:21]
	v_cmp_eq_u32_e32 vcc, 3, v5
	s_and_b64 s[6:7], s[6:7], vcc
	v_cmp_eq_u32_e32 vcc, 3, v6
	s_and_b64 s[14:15], s[14:15], vcc
	v_cmp_eq_u32_e32 vcc, 3, v2
	v_cndmask_b32_e64 v2, 0, 1, s[10:11]
	s_and_b64 s[18:19], s[18:19], vcc
	v_cmp_ne_u32_e32 vcc, 0, v2
	v_cndmask_b32_e64 v2, 0, 1, s[6:7]
	s_bcnt1_i32_b64 s3, vcc
	v_cmp_ne_u32_e32 vcc, 0, v2
	v_cndmask_b32_e64 v2, 0, 1, s[14:15]
	s_bcnt1_i32_b64 s6, vcc
	;; [unrolled: 3-line block ×3, first 2 shown]
	v_cmp_ne_u32_e32 vcc, 0, v2
	s_bcnt1_i32_b64 s10, vcc
	v_add_co_u32_e32 v39, vcc, s2, v39
	v_addc_co_u32_e32 v40, vcc, 0, v40, vcc
	v_add_co_u32_e32 v37, vcc, s1, v37
	v_mov_b32_e32 v2, s0
	v_addc_co_u32_e32 v38, vcc, v38, v2, vcc
	s_add_u32 s3, s3, s92
	v_add_co_u32_e32 v35, vcc, s1, v35
	s_addc_u32 s11, 0, s93
	v_addc_co_u32_e32 v36, vcc, v36, v2, vcc
	s_add_u32 s3, s3, s6
	v_add_co_u32_e32 v33, vcc, s1, v33
	s_addc_u32 s6, s11, 0
	v_addc_co_u32_e32 v34, vcc, v34, v2, vcc
	s_add_u32 s3, s3, s7
	v_add_co_u32_e32 v31, vcc, s1, v31
	s_addc_u32 s6, s6, 0
	v_addc_co_u32_e32 v32, vcc, v32, v2, vcc
	s_add_u32 s92, s3, s10
	v_cmp_le_i64_e32 vcc, s[86:87], v[39:40]
	s_addc_u32 s93, s6, 0
	v_mov_b32_e32 v4, s42
	v_mov_b32_e32 v6, s40
	;; [unrolled: 1-line block ×4, first 2 shown]
	s_or_b64 s[90:91], vcc, s[90:91]
	v_mov_b32_e32 v5, s43
	v_mov_b32_e32 v7, s41
	v_mov_b32_e32 v9, s95
	v_mov_b32_e32 v11, s93
	s_andn2_b64 exec, exec, s[90:91]
	s_cbranch_execnz .LBB63_79
; %bb.80:                               ;   in Loop: Header=BB63_32 Depth=1
	s_or_b64 exec, exec, s[90:91]
.LBB63_81:                              ;   in Loop: Header=BB63_32 Depth=1
	s_or_b64 exec, exec, s[88:89]
	v_mov_b32_e32 v2, s87
	v_add_co_u32_e32 v31, vcc, s86, v0
	v_addc_co_u32_e32 v32, vcc, 0, v2, vcc
	v_cmp_gt_i64_e32 vcc, s[24:25], v[31:32]
	s_and_saveexec_b64 s[10:11], vcc
	s_cbranch_execz .LBB63_87
; %bb.82:                               ;   in Loop: Header=BB63_32 Depth=1
	v_mul_lo_u32 v2, v32, s30
	v_mul_lo_u32 v35, v31, s31
	v_mad_u64_u32 v[33:34], s[0:1], v31, s30, 0
	v_readlane_b32 s0, v63, 31
	v_readlane_b32 s1, v63, 32
	v_add3_u32 v34, v34, v35, v2
	v_lshlrev_b64 v[33:34], 1, v[33:34]
	v_mov_b32_e32 v2, s9
	v_add_co_u32_e32 v33, vcc, s8, v33
	v_addc_co_u32_e32 v34, vcc, v2, v34, vcc
	global_load_ushort v2, v[33:34], off
	v_add_co_u32_e32 v33, vcc, s12, v47
	v_addc_co_u32_e32 v34, vcc, 0, v48, vcc
	v_mov_b32_e32 v35, s85
	v_subrev_co_u32_e32 v36, vcc, s84, v33
	v_subb_co_u32_e32 v33, vcc, v34, v35, vcc
	v_mul_lo_u32 v35, s66, v33
	v_mov_b32_e32 v34, s1
	v_mov_b32_e32 v33, s0
	v_mul_lo_u32 v37, s67, v36
	v_mad_u64_u32 v[33:34], s[0:1], s66, v36, v[33:34]
	s_mul_i32 s0, s67, s12
	s_mul_hi_u32 s1, s66, s12
	v_add3_u32 v34, v37, v34, v35
	s_add_i32 s13, s1, s0
	s_mul_i32 s14, s66, s12
	s_mov_b64 s[2:3], 0
	s_branch .LBB63_84
.LBB63_83:                              ;   in Loop: Header=BB63_84 Depth=2
	s_or_b64 exec, exec, s[0:1]
	s_and_b64 s[0:1], exec, vcc
	s_waitcnt vmcnt(0)
	v_cmp_lt_i16_e32 vcc, -1, v2
	v_cndmask_b32_e32 v36, v53, v54, vcc
	v_xor_b32_sdwa v36, v36, v2 dst_sel:DWORD dst_unused:UNUSED_PAD src0_sel:DWORD src1_sel:WORD_0
	v_cmp_o_f16_e32 vcc, v2, v2
	v_cndmask_b32_e32 v2, v53, v36, vcc
	v_and_b32_e32 v36, v2, v57
	v_bfe_u32 v2, v2, s54, 2
	s_or_b64 s[2:3], s[0:1], s[2:3]
	v_cmp_eq_u32_e32 vcc, v36, v50
	v_cmp_eq_u32_e64 s[6:7], 0, v2
	s_and_b64 s[0:1], vcc, s[6:7]
	v_cndmask_b32_e64 v36, 0, 1, s[0:1]
	v_cmp_ne_u32_e64 s[6:7], 0, v36
	s_bcnt1_i32_b64 s0, s[6:7]
	v_add_co_u32_e64 v4, s[6:7], s0, v4
	v_addc_co_u32_e64 v5, s[6:7], 0, v5, s[6:7]
	v_cmp_eq_u32_e64 s[6:7], 1, v2
	s_and_b64 s[0:1], vcc, s[6:7]
	v_cndmask_b32_e64 v36, 0, 1, s[0:1]
	v_cmp_ne_u32_e64 s[6:7], 0, v36
	s_bcnt1_i32_b64 s0, s[6:7]
	v_add_co_u32_e64 v6, s[6:7], s0, v6
	v_addc_co_u32_e64 v7, s[6:7], 0, v7, s[6:7]
	;; [unrolled: 7-line block ×3, first 2 shown]
	v_cmp_eq_u32_e64 s[6:7], 3, v2
	s_and_b64 s[0:1], vcc, s[6:7]
	v_cndmask_b32_e64 v2, 0, 1, s[0:1]
	v_cmp_ne_u32_e32 vcc, 0, v2
	s_bcnt1_i32_b64 s0, vcc
	v_add_co_u32_e32 v10, vcc, s0, v10
	v_addc_co_u32_e32 v11, vcc, 0, v11, vcc
	v_mov_b32_e32 v2, s13
	v_add_co_u32_e32 v33, vcc, s14, v33
	v_addc_co_u32_e32 v34, vcc, v34, v2, vcc
	v_mov_b32_e32 v2, v35
	s_andn2_b64 exec, exec, s[2:3]
	s_cbranch_execz .LBB63_86
.LBB63_84:                              ;   Parent Loop BB63_32 Depth=1
                                        ; =>  This Inner Loop Header: Depth=2
	v_add_co_u32_e32 v31, vcc, s12, v31
	v_addc_co_u32_e32 v32, vcc, 0, v32, vcc
	v_cmp_gt_i64_e64 s[6:7], s[24:25], v[31:32]
	v_cmp_le_i64_e32 vcc, s[24:25], v[31:32]
	v_mov_b32_e32 v35, 0
	s_and_saveexec_b64 s[0:1], s[6:7]
	s_cbranch_execz .LBB63_83
; %bb.85:                               ;   in Loop: Header=BB63_84 Depth=2
	global_load_ushort v35, v[33:34], off
	s_branch .LBB63_83
.LBB63_86:                              ;   in Loop: Header=BB63_32 Depth=1
	s_or_b64 exec, exec, s[2:3]
.LBB63_87:                              ;   in Loop: Header=BB63_32 Depth=1
	s_or_b64 exec, exec, s[10:11]
	s_branch .LBB63_66
.LBB63_88:                              ;   in Loop: Header=BB63_32 Depth=1
	global_load_ushort v2, v3, s[58:59]
	v_mov_b32_e32 v8, 0
	v_mov_b32_e32 v9, 0
	s_waitcnt vmcnt(0)
	v_readfirstlane_b32 s0, v2
	s_and_b32 s0, 0xffff, s0
	s_lshl_b32 s1, s0, 2
	v_cvt_f32_u32_e32 v4, s1
	s_sub_i32 s2, 0, s1
	v_rcp_iflag_f32_e32 v6, v4
	v_mov_b32_e32 v4, 0
	v_mov_b32_e32 v5, 0
	v_mul_f32_e32 v6, 0x4f7ffffe, v6
	v_cvt_u32_f32_e32 v10, v6
	v_mov_b32_e32 v6, 0
	v_mov_b32_e32 v7, 0
	v_readfirstlane_b32 s3, v10
	s_mul_i32 s2, s2, s3
	s_mul_hi_u32 s2, s3, s2
	s_add_i32 s3, s3, s2
	s_mul_hi_u32 s2, s26, s3
	s_mul_i32 s3, s2, s1
	s_sub_i32 s3, s26, s3
	s_add_i32 s6, s2, 1
	s_sub_i32 s7, s3, s1
	s_cmp_ge_u32 s3, s1
	s_cselect_b32 s2, s6, s2
	s_cselect_b32 s3, s7, s3
	s_add_i32 s6, s2, 1
	s_cmp_ge_u32 s3, s1
	s_cselect_b32 s2, s6, s2
	s_mul_hi_u32 s41, s0, s2
	s_mul_i32 s40, s0, s2
	s_lshl_b64 s[42:43], s[40:41], 2
	v_cmp_gt_u64_e32 vcc, s[42:43], v[16:17]
	v_mov_b32_e32 v10, 0
	v_mov_b32_e32 v11, 0
	s_and_saveexec_b64 s[84:85], vcc
	s_cbranch_execz .LBB63_92
; %bb.89:                               ;   in Loop: Header=BB63_32 Depth=1
	v_mov_b32_e32 v32, v17
	s_lshl_b32 s2, s0, 3
	s_mov_b64 s[86:87], 0
	v_mov_b32_e32 v33, v42
	s_mov_b64 s[88:89], 0
	s_mov_b64 s[90:91], 0
	;; [unrolled: 1-line block ×4, first 2 shown]
	v_mov_b32_e32 v31, v16
.LBB63_90:                              ;   Parent Loop BB63_32 Depth=1
                                        ; =>  This Inner Loop Header: Depth=2
	ds_read_b64 v[4:5], v33
	v_add_u32_e32 v33, s2, v33
	s_waitcnt lgkmcnt(0)
	v_cmp_lt_i16_e32 vcc, -1, v4
	v_cndmask_b32_e32 v6, v53, v54, vcc
	v_cmp_o_f16_e32 vcc, v4, v4
	v_xor_b32_sdwa v6, v6, v4 dst_sel:DWORD dst_unused:UNUSED_PAD src0_sel:DWORD src1_sel:WORD_0
	v_cndmask_b32_e32 v6, v53, v6, vcc
	v_cmp_gt_i16_sdwa vcc, v4, v55 src0_sel:WORD_1 src1_sel:DWORD
	v_cndmask_b32_e32 v7, v53, v54, vcc
	v_cmp_o_f16_sdwa vcc, v4, v4 src0_sel:WORD_1 src1_sel:WORD_1
	v_xor_b32_sdwa v4, v7, v4 dst_sel:DWORD dst_unused:UNUSED_PAD src0_sel:DWORD src1_sel:WORD_1
	v_cndmask_b32_e32 v4, v53, v4, vcc
	v_cmp_lt_i16_e32 vcc, -1, v5
	v_cndmask_b32_e32 v7, v53, v54, vcc
	v_cmp_o_f16_e32 vcc, v5, v5
	v_xor_b32_sdwa v7, v7, v5 dst_sel:DWORD dst_unused:UNUSED_PAD src0_sel:DWORD src1_sel:WORD_0
	v_cndmask_b32_e32 v7, v53, v7, vcc
	v_cmp_gt_i16_sdwa vcc, v5, v55 src0_sel:WORD_1 src1_sel:DWORD
	v_cndmask_b32_e32 v8, v53, v54, vcc
	v_cmp_o_f16_sdwa vcc, v5, v5 src0_sel:WORD_1 src1_sel:WORD_1
	v_xor_b32_sdwa v5, v8, v5 dst_sel:DWORD dst_unused:UNUSED_PAD src0_sel:DWORD src1_sel:WORD_1
	v_and_b32_e32 v8, v6, v57
	v_bfe_u32 v6, v6, s54, 2
	v_cndmask_b32_e32 v5, v53, v5, vcc
	v_cmp_eq_u32_e32 vcc, v8, v50
	v_and_b32_e32 v8, v4, v57
	v_bfe_u32 v4, v4, s54, 2
	v_cmp_eq_u32_e64 s[20:21], 0, v6
	v_cmp_eq_u32_e64 s[6:7], v8, v50
	v_and_b32_e32 v8, v7, v57
	v_bfe_u32 v7, v7, s54, 2
	s_and_b64 s[10:11], vcc, s[20:21]
	v_cmp_eq_u32_e64 s[20:21], 0, v4
	v_cmp_eq_u32_e64 s[14:15], v8, v50
	v_and_b32_e32 v8, v5, v57
	v_bfe_u32 v5, v5, s54, 2
	s_and_b64 s[12:13], s[6:7], s[20:21]
	v_cmp_eq_u32_e64 s[20:21], 0, v7
	v_cmp_eq_u32_e64 s[18:19], v8, v50
	s_and_b64 s[36:37], s[14:15], s[20:21]
	v_cmp_eq_u32_e64 s[20:21], 0, v5
	v_cndmask_b32_e64 v8, 0, 1, s[10:11]
	s_and_b64 s[44:45], s[18:19], s[20:21]
	v_cmp_ne_u32_e64 s[20:21], 0, v8
	v_cndmask_b32_e64 v8, 0, 1, s[12:13]
	s_bcnt1_i32_b64 s3, s[20:21]
	v_cmp_ne_u32_e64 s[20:21], 0, v8
	v_cndmask_b32_e64 v8, 0, 1, s[36:37]
	s_bcnt1_i32_b64 s10, s[20:21]
	;; [unrolled: 3-line block ×3, first 2 shown]
	v_cmp_ne_u32_e64 s[20:21], 0, v8
	s_bcnt1_i32_b64 s12, s[20:21]
	s_add_u32 s3, s3, s94
	s_addc_u32 s13, 0, s95
	s_add_u32 s3, s3, s10
	s_addc_u32 s10, s13, 0
	;; [unrolled: 2-line block ×3, first 2 shown]
	s_add_u32 s94, s3, s12
	v_cmp_eq_u32_e64 s[20:21], 1, v6
	s_addc_u32 s95, s10, 0
	s_and_b64 s[10:11], vcc, s[20:21]
	v_cmp_eq_u32_e64 s[20:21], 1, v4
	s_and_b64 s[12:13], s[6:7], s[20:21]
	v_cmp_eq_u32_e64 s[20:21], 1, v7
	s_and_b64 s[36:37], s[14:15], s[20:21]
	v_cmp_eq_u32_e64 s[20:21], 1, v5
	v_cndmask_b32_e64 v8, 0, 1, s[10:11]
	s_and_b64 s[44:45], s[18:19], s[20:21]
	v_cmp_ne_u32_e64 s[20:21], 0, v8
	v_cndmask_b32_e64 v8, 0, 1, s[12:13]
	s_bcnt1_i32_b64 s3, s[20:21]
	v_cmp_ne_u32_e64 s[20:21], 0, v8
	v_cndmask_b32_e64 v8, 0, 1, s[36:37]
	s_bcnt1_i32_b64 s10, s[20:21]
	;; [unrolled: 3-line block ×3, first 2 shown]
	v_cmp_ne_u32_e64 s[20:21], 0, v8
	s_bcnt1_i32_b64 s12, s[20:21]
	s_add_u32 s3, s3, s92
	s_addc_u32 s13, 0, s93
	s_add_u32 s3, s3, s10
	s_addc_u32 s10, s13, 0
	;; [unrolled: 2-line block ×3, first 2 shown]
	s_add_u32 s92, s3, s12
	v_cmp_eq_u32_e64 s[20:21], 2, v6
	s_addc_u32 s93, s10, 0
	s_and_b64 s[10:11], vcc, s[20:21]
	v_cmp_eq_u32_e64 s[20:21], 2, v4
	s_and_b64 s[12:13], s[6:7], s[20:21]
	v_cmp_eq_u32_e64 s[20:21], 2, v7
	s_and_b64 s[36:37], s[14:15], s[20:21]
	v_cmp_eq_u32_e64 s[20:21], 2, v5
	v_cndmask_b32_e64 v8, 0, 1, s[10:11]
	s_and_b64 s[44:45], s[18:19], s[20:21]
	v_cmp_ne_u32_e64 s[20:21], 0, v8
	v_cndmask_b32_e64 v8, 0, 1, s[12:13]
	s_bcnt1_i32_b64 s3, s[20:21]
	v_cmp_ne_u32_e64 s[20:21], 0, v8
	v_cndmask_b32_e64 v8, 0, 1, s[36:37]
	s_bcnt1_i32_b64 s10, s[20:21]
	;; [unrolled: 3-line block ×3, first 2 shown]
	v_cmp_ne_u32_e64 s[20:21], 0, v8
	s_bcnt1_i32_b64 s12, s[20:21]
	s_add_u32 s3, s3, s90
	s_addc_u32 s13, 0, s91
	s_add_u32 s3, s3, s10
	s_addc_u32 s10, s13, 0
	;; [unrolled: 2-line block ×3, first 2 shown]
	s_add_u32 s90, s3, s12
	v_cmp_eq_u32_e64 s[20:21], 3, v6
	s_addc_u32 s91, s10, 0
	s_and_b64 s[10:11], vcc, s[20:21]
	v_cmp_eq_u32_e32 vcc, 3, v4
	s_and_b64 s[6:7], s[6:7], vcc
	v_cmp_eq_u32_e32 vcc, 3, v7
	s_and_b64 s[12:13], s[14:15], vcc
	v_cmp_eq_u32_e32 vcc, 3, v5
	v_cndmask_b32_e64 v4, 0, 1, s[10:11]
	s_and_b64 s[14:15], s[18:19], vcc
	v_cmp_ne_u32_e32 vcc, 0, v4
	v_cndmask_b32_e64 v4, 0, 1, s[6:7]
	s_bcnt1_i32_b64 s3, vcc
	v_cmp_ne_u32_e32 vcc, 0, v4
	v_cndmask_b32_e64 v4, 0, 1, s[12:13]
	s_bcnt1_i32_b64 s6, vcc
	;; [unrolled: 3-line block ×3, first 2 shown]
	v_cmp_ne_u32_e32 vcc, 0, v4
	s_bcnt1_i32_b64 s10, vcc
	s_add_u32 s3, s3, s88
	s_addc_u32 s11, 0, s89
	s_add_u32 s3, s3, s6
	s_addc_u32 s6, s11, 0
	s_add_u32 s3, s3, s7
	v_add_co_u32_e32 v31, vcc, s1, v31
	s_addc_u32 s6, s6, 0
	v_addc_co_u32_e32 v32, vcc, 0, v32, vcc
	s_add_u32 s88, s3, s10
	v_cmp_le_u64_e32 vcc, s[42:43], v[31:32]
	s_addc_u32 s89, s6, 0
	v_mov_b32_e32 v4, s94
	v_mov_b32_e32 v6, s92
	;; [unrolled: 1-line block ×4, first 2 shown]
	s_or_b64 s[86:87], vcc, s[86:87]
	v_mov_b32_e32 v5, s95
	v_mov_b32_e32 v7, s93
	;; [unrolled: 1-line block ×4, first 2 shown]
	s_andn2_b64 exec, exec, s[86:87]
	s_cbranch_execnz .LBB63_90
; %bb.91:                               ;   in Loop: Header=BB63_32 Depth=1
	s_or_b64 exec, exec, s[86:87]
.LBB63_92:                              ;   in Loop: Header=BB63_32 Depth=1
	s_or_b64 exec, exec, s[84:85]
	v_mov_b32_e32 v32, s43
	v_add_co_u32_e32 v31, vcc, s42, v0
	s_and_b32 s46, s26, 0x7fffffff
	v_addc_co_u32_e32 v32, vcc, 0, v32, vcc
	v_cmp_gt_u64_e32 vcc, s[46:47], v[31:32]
	s_and_saveexec_b64 s[10:11], vcc
	s_cbranch_execz .LBB63_96
; %bb.93:                               ;   in Loop: Header=BB63_32 Depth=1
	v_lshl_add_u32 v33, s40, 3, v51
	s_lshl_b32 s0, s0, 1
	s_mov_b64 s[12:13], 0
.LBB63_94:                              ;   Parent Loop BB63_32 Depth=1
                                        ; =>  This Inner Loop Header: Depth=2
	ds_read_u16 v34, v33
	v_add_u32_e32 v33, s0, v33
	s_waitcnt lgkmcnt(0)
	v_cmp_lt_i16_e32 vcc, -1, v34
	v_cndmask_b32_e32 v35, v53, v54, vcc
	v_cmp_o_f16_e32 vcc, v34, v34
	v_xor_b32_sdwa v34, v35, v34 dst_sel:DWORD dst_unused:UNUSED_PAD src0_sel:DWORD src1_sel:WORD_0
	v_cndmask_b32_e32 v34, v53, v34, vcc
	v_and_b32_e32 v35, v34, v57
	v_bfe_u32 v34, v34, s54, 2
	v_cmp_eq_u32_e32 vcc, v35, v50
	v_cmp_eq_u32_e64 s[6:7], 0, v34
	s_and_b64 s[2:3], vcc, s[6:7]
	v_cndmask_b32_e64 v35, 0, 1, s[2:3]
	v_cmp_ne_u32_e64 s[6:7], 0, v35
	s_bcnt1_i32_b64 s1, s[6:7]
	v_add_co_u32_e64 v4, s[6:7], s1, v4
	v_addc_co_u32_e64 v5, s[6:7], 0, v5, s[6:7]
	v_cmp_eq_u32_e64 s[6:7], 1, v34
	s_and_b64 s[2:3], vcc, s[6:7]
	v_cndmask_b32_e64 v35, 0, 1, s[2:3]
	v_cmp_ne_u32_e64 s[6:7], 0, v35
	s_bcnt1_i32_b64 s1, s[6:7]
	v_add_co_u32_e64 v6, s[6:7], s1, v6
	v_addc_co_u32_e64 v7, s[6:7], 0, v7, s[6:7]
	;; [unrolled: 7-line block ×3, first 2 shown]
	v_cmp_eq_u32_e64 s[6:7], 3, v34
	s_and_b64 s[2:3], vcc, s[6:7]
	v_cndmask_b32_e64 v34, 0, 1, s[2:3]
	v_cmp_ne_u32_e32 vcc, 0, v34
	s_bcnt1_i32_b64 s1, vcc
	v_add_co_u32_e32 v10, vcc, s1, v10
	v_addc_co_u32_e32 v11, vcc, 0, v11, vcc
	v_add_co_u32_sdwa v31, vcc, v31, v2 dst_sel:DWORD dst_unused:UNUSED_PAD src0_sel:DWORD src1_sel:WORD_0
	v_addc_co_u32_e32 v32, vcc, 0, v32, vcc
	v_cmp_le_u64_e32 vcc, s[46:47], v[31:32]
	s_or_b64 s[12:13], vcc, s[12:13]
	s_andn2_b64 exec, exec, s[12:13]
	s_cbranch_execnz .LBB63_94
; %bb.95:                               ;   in Loop: Header=BB63_32 Depth=1
	s_or_b64 exec, exec, s[12:13]
.LBB63_96:                              ;   in Loop: Header=BB63_32 Depth=1
	s_or_b64 exec, exec, s[10:11]
	s_lshl_b32 s2, s52, 6
	s_and_saveexec_b64 s[0:1], s[4:5]
	s_cbranch_execnz .LBB63_67
	s_branch .LBB63_68
.LBB63_97:                              ;   in Loop: Header=BB63_32 Depth=1
                                        ; implicit-def: $sgpr84_sgpr85
	s_branch .LBB63_76
.LBB63_98:                              ;   in Loop: Header=BB63_32 Depth=1
	s_or_b64 exec, exec, s[12:13]
	s_waitcnt lgkmcnt(0)
	s_barrier
	s_mov_b64 s[0:1], exec
	v_readlane_b32 s2, v63, 8
	v_readlane_b32 s3, v63, 9
	s_and_b64 s[2:3], s[0:1], s[2:3]
	s_mov_b64 exec, s[2:3]
	s_cbranch_execz .LBB63_100
; %bb.99:                               ;   in Loop: Header=BB63_32 Depth=1
	ds_read_b32 v4, v3 offset:5136
	s_waitcnt lgkmcnt(0)
	v_ashrrev_i32_e32 v5, 31, v4
	ds_write_b64 v3, v[4:5] offset:5120
.LBB63_100:                             ;   in Loop: Header=BB63_32 Depth=1
	s_or_b64 exec, exec, s[0:1]
	s_waitcnt lgkmcnt(0)
	s_barrier
	s_mov_b64 s[0:1], -1
	s_and_b64 vcc, exec, s[10:11]
	s_cbranch_vccnz .LBB63_47
	s_branch .LBB63_62
.LBB63_101:                             ;   in Loop: Header=BB63_32 Depth=1
	v_mov_b32_e32 v4, 0
	v_mov_b32_e32 v5, 0
	s_mov_b32 s0, 0
.LBB63_102:                             ;   in Loop: Header=BB63_32 Depth=1
	v_readlane_b32 s10, v63, 29
	v_readlane_b32 s11, v63, 30
	s_andn2_b64 vcc, exec, s[10:11]
	s_cbranch_vccnz .LBB63_105
; %bb.103:                              ;   in Loop: Header=BB63_32 Depth=1
	s_lshl_b32 s1, s52, 9
	s_lshl_b32 s0, s0, 5
	s_add_i32 s1, s1, s0
	v_add_u32_e32 v2, s1, v49
	v_readlane_b32 s0, v63, 28
.LBB63_104:                             ;   Parent Loop BB63_32 Depth=1
                                        ; =>  This Inner Loop Header: Depth=2
	ds_read_b64 v[6:7], v2
	s_add_i32 s0, s0, -1
	v_add_u32_e32 v2, 32, v2
	s_cmp_lg_u32 s0, 0
	s_waitcnt lgkmcnt(0)
	v_add_co_u32_e32 v4, vcc, v6, v4
	v_addc_co_u32_e32 v5, vcc, v7, v5, vcc
	s_cbranch_scc1 .LBB63_104
.LBB63_105:                             ;   in Loop: Header=BB63_32 Depth=1
	v_add_lshl_u32 v2, s2, v41, 3
	ds_write_b64 v2, v[4:5] offset:3072
.LBB63_106:                             ;   in Loop: Header=BB63_32 Depth=1
	s_or_b64 exec, exec, s[6:7]
	s_lshl_b32 s0, s2, 3
	v_mov_b32_e32 v2, s0
	s_waitcnt lgkmcnt(0)
	s_barrier
	ds_read_b128 v[8:11], v2 offset:3088
	ds_read_b128 v[4:7], v2 offset:3072
	v_cmp_eq_u64_e64 s[6:7], 1, v[29:30]
	s_lshl_b32 s53, 3, s54
	s_not_b32 s64, s53
	s_waitcnt lgkmcnt(1)
	v_readfirstlane_b32 s84, v8
	s_waitcnt lgkmcnt(0)
	v_cmp_eq_u64_e32 vcc, 1, v[4:5]
	v_readfirstlane_b32 s85, v9
	v_readfirstlane_b32 s14, v10
	;; [unrolled: 1-line block ×3, first 2 shown]
	s_and_b64 s[20:21], vcc, s[6:7]
	s_mov_b64 s[6:7], -1
	s_mov_b64 s[0:1], -1
                                        ; implicit-def: $sgpr12_sgpr13
                                        ; implicit-def: $sgpr10_sgpr11
	s_and_saveexec_b64 s[18:19], s[20:21]
	s_cbranch_execz .LBB63_140
; %bb.107:                              ;   in Loop: Header=BB63_32 Depth=1
	ds_read_b64 v[8:9], v3 offset:5120
	s_waitcnt lgkmcnt(0)
	s_barrier
	v_readfirstlane_b32 s26, v8
	v_readfirstlane_b32 s27, v9
	s_mov_b64 s[0:1], exec
	v_readlane_b32 s2, v63, 12
	v_readlane_b32 s3, v63, 13
	s_and_b64 s[2:3], s[0:1], s[2:3]
	s_mov_b64 exec, s[2:3]
; %bb.108:                              ;   in Loop: Header=BB63_32 Depth=1
	ds_write_b16 v52, v3
; %bb.109:                              ;   in Loop: Header=BB63_32 Depth=1
	s_or_b64 exec, exec, s[0:1]
	v_cmp_lt_i64_e64 s[0:1], s[26:27], 1
	v_and_b32_e32 v50, s64, v50
	v_or_b32_e32 v57, s53, v57
	s_mov_b64 s[10:11], -1
	s_mov_b64 s[12:13], 0
	s_and_b64 vcc, exec, s[0:1]
	s_mov_b64 s[36:37], 0
	s_mov_b64 s[40:41], -1
	s_waitcnt lgkmcnt(0)
	s_barrier
                                        ; implicit-def: $vgpr58
	s_cbranch_vccz .LBB63_124
; %bb.110:                              ;   in Loop: Header=BB63_32 Depth=1
	s_mov_b32 s56, s47
	s_cmp_lg_u64 s[56:57], 0
	s_cbranch_scc0 .LBB63_167
; %bb.111:                              ;   in Loop: Header=BB63_32 Depth=1
	s_add_u32 s0, s33, 0
	s_addc_u32 s1, 0, 0
	s_xor_b64 s[36:37], s[0:1], 0
	v_cvt_f32_u32_e32 v2, s36
	v_cvt_f32_u32_e32 v8, s37
	s_sub_u32 s2, 0, s36
	s_subb_u32 s3, 0, s37
	v_mac_f32_e32 v2, 0x4f800000, v8
	v_rcp_f32_e32 v2, v2
	v_mul_f32_e32 v2, 0x5f7ffffc, v2
	v_mul_f32_e32 v8, 0x2f800000, v2
	v_trunc_f32_e32 v8, v8
	v_mac_f32_e32 v2, 0xcf800000, v8
	v_cvt_u32_f32_e32 v8, v8
	v_cvt_u32_f32_e32 v2, v2
	v_readfirstlane_b32 s40, v8
	v_readfirstlane_b32 s0, v2
	s_mul_i32 s1, s2, s40
	s_mul_hi_u32 s42, s2, s0
	s_mul_i32 s41, s3, s0
	s_add_i32 s1, s42, s1
	s_mul_i32 s43, s2, s0
	s_add_i32 s1, s1, s41
	s_mul_i32 s42, s0, s1
	s_mul_hi_u32 s44, s0, s43
	s_mul_hi_u32 s41, s0, s1
	s_add_u32 s42, s44, s42
	s_addc_u32 s41, 0, s41
	s_mul_hi_u32 s45, s40, s43
	s_mul_i32 s43, s40, s43
	s_add_u32 s42, s42, s43
	s_mul_hi_u32 s44, s40, s1
	s_addc_u32 s41, s41, s45
	s_addc_u32 s42, s44, 0
	s_mul_i32 s1, s40, s1
	s_add_u32 s1, s41, s1
	s_addc_u32 s41, 0, s42
	s_add_u32 s42, s0, s1
	s_cselect_b64 s[0:1], -1, 0
	s_cmp_lg_u64 s[0:1], 0
	s_addc_u32 s40, s40, s41
	s_mul_i32 s0, s2, s40
	s_mul_hi_u32 s1, s2, s42
	s_add_i32 s0, s1, s0
	s_mul_i32 s3, s3, s42
	s_add_i32 s0, s0, s3
	s_mul_i32 s2, s2, s42
	s_mul_hi_u32 s3, s40, s2
	s_mul_i32 s41, s40, s2
	s_mul_i32 s44, s42, s0
	s_mul_hi_u32 s2, s42, s2
	s_mul_hi_u32 s43, s42, s0
	s_add_u32 s2, s2, s44
	s_addc_u32 s43, 0, s43
	s_add_u32 s2, s2, s41
	s_mul_hi_u32 s1, s40, s0
	s_addc_u32 s2, s43, s3
	s_addc_u32 s1, s1, 0
	s_mul_i32 s0, s40, s0
	s_add_u32 s0, s2, s0
	s_addc_u32 s2, 0, s1
	s_add_u32 s41, s42, s0
	s_cselect_b64 s[0:1], -1, 0
	s_cmp_lg_u64 s[0:1], 0
	s_addc_u32 s40, s40, s2
	s_ashr_i32 s2, s57, 31
	v_readlane_b32 s0, v63, 20
	s_add_u32 s0, s0, s2
	s_mov_b32 s3, s2
	s_addc_u32 s1, s57, s2
	s_xor_b64 s[0:1], s[0:1], s[2:3]
	s_mul_i32 s43, s0, s40
	s_mul_hi_u32 s44, s0, s41
	s_mul_hi_u32 s42, s0, s40
	s_add_u32 s43, s44, s43
	s_addc_u32 s42, 0, s42
	s_mul_hi_u32 s45, s1, s41
	s_mul_i32 s41, s1, s41
	s_add_u32 s41, s43, s41
	s_mul_hi_u32 s44, s1, s40
	s_addc_u32 s41, s42, s45
	s_addc_u32 s42, s44, 0
	s_mul_i32 s40, s1, s40
	s_add_u32 s40, s41, s40
	s_addc_u32 s41, 0, s42
	s_mul_i32 s41, s36, s41
	s_mul_hi_u32 s42, s36, s40
	s_add_i32 s41, s42, s41
	s_mul_i32 s42, s37, s40
	s_add_i32 s44, s41, s42
	s_sub_i32 s42, s1, s44
	s_mul_i32 s40, s36, s40
	s_sub_u32 s0, s0, s40
	s_cselect_b64 s[40:41], -1, 0
	s_cmp_lg_u64 s[40:41], 0
	s_subb_u32 s45, s42, s37
	s_sub_u32 s46, s0, s36
	s_cselect_b64 s[42:43], -1, 0
	s_cmp_lg_u64 s[42:43], 0
	s_subb_u32 s56, s45, 0
	s_cmp_ge_u32 s56, s37
	s_cselect_b32 s60, -1, 0
	s_cmp_ge_u32 s46, s36
	s_cselect_b32 s61, -1, 0
	s_cmp_eq_u32 s56, s37
	s_cselect_b32 s60, s61, s60
	s_cmp_lg_u64 s[42:43], 0
	s_subb_u32 s45, s45, s37
	s_sub_u32 s61, s46, s36
	s_cselect_b64 s[42:43], -1, 0
	s_cmp_lg_u64 s[42:43], 0
	s_subb_u32 s42, s45, 0
	s_cmp_lg_u32 s60, 0
	s_cselect_b32 s43, s61, s46
	s_cselect_b32 s42, s42, s56
	s_cmp_lg_u64 s[40:41], 0
	s_subb_u32 s1, s1, s44
	s_cmp_ge_u32 s1, s37
	s_cselect_b32 s40, -1, 0
	s_cmp_ge_u32 s0, s36
	s_cselect_b32 s36, -1, 0
	s_cmp_eq_u32 s1, s37
	s_cselect_b32 s36, s36, s40
	s_cmp_lg_u32 s36, 0
	s_cselect_b32 s1, s42, s1
	s_cselect_b32 s0, s43, s0
	s_xor_b64 s[0:1], s[0:1], s[2:3]
	s_sub_u32 s0, s0, s2
	s_subb_u32 s1, s1, s2
	s_cbranch_execnz .LBB63_113
.LBB63_112:                             ;   in Loop: Header=BB63_32 Depth=1
	v_cvt_f32_u32_e32 v2, s33
	s_sub_i32 s0, 0, s33
	v_readlane_b32 s2, v63, 20
	v_rcp_iflag_f32_e32 v2, v2
	v_mul_f32_e32 v2, 0x4f7ffffe, v2
	v_cvt_u32_f32_e32 v2, v2
	v_readfirstlane_b32 s1, v2
	s_mul_i32 s0, s0, s1
	s_mul_hi_u32 s0, s1, s0
	s_add_i32 s1, s1, s0
	s_mul_hi_u32 s0, s2, s1
	s_mul_i32 s0, s0, s33
	s_sub_i32 s0, s2, s0
	s_sub_i32 s1, s0, s33
	s_cmp_ge_u32 s0, s33
	s_cselect_b32 s0, s1, s0
	s_sub_i32 s1, s0, s33
	s_cmp_ge_u32 s0, s33
	s_cselect_b32 s46, s1, s0
	s_mov_b64 s[0:1], s[46:47]
.LBB63_113:                             ;   in Loop: Header=BB63_32 Depth=1
	v_readlane_b32 s2, v63, 20
	s_sub_u32 s42, s2, s0
	s_subb_u32 s43, s57, s1
	v_cmp_gt_i64_e32 vcc, s[42:43], v[0:1]
	s_mov_b64 s[40:41], 0
	s_mov_b64 s[36:37], 0
                                        ; implicit-def: $vgpr58
	s_and_saveexec_b64 s[2:3], vcc
	s_cbranch_execz .LBB63_123
; %bb.114:                              ;   in Loop: Header=BB63_32 Depth=1
	v_mov_b32_e32 v8, v12
	v_mov_b32_e32 v11, v1
	;; [unrolled: 1-line block ×4, first 2 shown]
                                        ; implicit-def: $sgpr0_sgpr1
	s_branch .LBB63_118
.LBB63_115:                             ;   in Loop: Header=BB63_118 Depth=2
	s_or_b64 exec, exec, s[44:45]
	s_waitcnt lgkmcnt(0)
	s_barrier
	ds_read_b32 v2, v3 offset:3072
	s_waitcnt lgkmcnt(0)
	s_barrier
	v_cmp_neq_f16_e32 vcc, 0, v2
	s_cbranch_vccnz .LBB63_121
; %bb.116:                              ;   in Loop: Header=BB63_118 Depth=2
	v_add_co_u32_e32 v10, vcc, s33, v10
	v_addc_co_u32_e32 v11, vcc, 0, v11, vcc
	v_mov_b32_e32 v31, s51
	v_add_co_u32_e32 v8, vcc, s50, v8
	v_addc_co_u32_e32 v9, vcc, v9, v31, vcc
	v_cmp_le_i64_e32 vcc, s[42:43], v[10:11]
	s_mov_b64 s[44:45], 0
	s_orn2_b64 s[60:61], vcc, exec
.LBB63_117:                             ;   in Loop: Header=BB63_118 Depth=2
	s_and_b64 s[60:61], exec, s[60:61]
	s_or_b64 s[36:37], s[60:61], s[36:37]
	s_andn2_b64 s[0:1], s[0:1], exec
	s_and_b64 s[44:45], s[44:45], exec
	s_or_b64 s[0:1], s[0:1], s[44:45]
	s_andn2_b64 exec, exec, s[36:37]
	s_cbranch_execz .LBB63_122
.LBB63_118:                             ;   Parent Loop BB63_32 Depth=1
                                        ; =>  This Inner Loop Header: Depth=2
	v_cmp_gt_i64_e32 vcc, s[24:25], v[10:11]
	s_and_saveexec_b64 s[44:45], vcc
	s_cbranch_execz .LBB63_115
; %bb.119:                              ;   in Loop: Header=BB63_118 Depth=2
	global_load_ushort v2, v[8:9], off
	s_waitcnt vmcnt(0)
	v_cmp_lt_i16_e32 vcc, -1, v2
	v_cndmask_b32_e32 v31, v53, v54, vcc
	v_xor_b32_sdwa v31, v31, v2 dst_sel:DWORD dst_unused:UNUSED_PAD src0_sel:DWORD src1_sel:WORD_0
	v_cmp_o_f16_e32 vcc, v2, v2
	v_cndmask_b32_e32 v31, v53, v31, vcc
	v_and_b32_e32 v31, v31, v57
	v_cmp_eq_u32_e32 vcc, v31, v50
	s_and_b64 exec, exec, vcc
	s_cbranch_execz .LBB63_115
; %bb.120:                              ;   in Loop: Header=BB63_118 Depth=2
	v_perm_b32 v2, v2, s69, v56
	ds_write_b32 v3, v2 offset:3072
	s_branch .LBB63_115
.LBB63_121:                             ;   in Loop: Header=BB63_118 Depth=2
	s_mov_b64 s[60:61], -1
                                        ; implicit-def: $vgpr10_vgpr11
                                        ; implicit-def: $vgpr8_vgpr9
	s_mov_b64 s[44:45], -1
	s_branch .LBB63_117
.LBB63_122:                             ;   in Loop: Header=BB63_32 Depth=1
	s_or_b64 exec, exec, s[36:37]
	v_lshrrev_b32_e32 v58, 16, v2
	s_and_b64 s[36:37], s[0:1], exec
.LBB63_123:                             ;   in Loop: Header=BB63_32 Depth=1
	s_or_b64 exec, exec, s[2:3]
.LBB63_124:                             ;   in Loop: Header=BB63_32 Depth=1
	s_and_b64 vcc, exec, s[40:41]
	s_cbranch_vccz .LBB63_139
; %bb.125:                              ;   in Loop: Header=BB63_32 Depth=1
	s_add_u32 s40, s26, s65
	v_readlane_b32 s0, v63, 21
	s_addc_u32 s11, s27, s0
	s_mov_b32 s10, s47
	s_cmp_lg_u64 s[10:11], 0
	s_cbranch_scc0 .LBB63_168
; %bb.126:                              ;   in Loop: Header=BB63_32 Depth=1
	s_add_u32 s0, s33, 0
	s_addc_u32 s1, 0, 0
	s_xor_b64 s[12:13], s[0:1], 0
	v_cvt_f32_u32_e32 v2, s12
	v_cvt_f32_u32_e32 v8, s13
	s_sub_u32 s2, 0, s12
	s_subb_u32 s3, 0, s13
	v_mac_f32_e32 v2, 0x4f800000, v8
	v_rcp_f32_e32 v2, v2
	v_mul_f32_e32 v2, 0x5f7ffffc, v2
	v_mul_f32_e32 v8, 0x2f800000, v2
	v_trunc_f32_e32 v8, v8
	v_mac_f32_e32 v2, 0xcf800000, v8
	v_cvt_u32_f32_e32 v8, v8
	v_cvt_u32_f32_e32 v2, v2
	v_readfirstlane_b32 s10, v8
	v_readfirstlane_b32 s0, v2
	s_mul_i32 s1, s2, s10
	s_mul_hi_u32 s42, s2, s0
	s_mul_i32 s41, s3, s0
	s_add_i32 s1, s42, s1
	s_mul_i32 s43, s2, s0
	s_add_i32 s1, s1, s41
	s_mul_i32 s42, s0, s1
	s_mul_hi_u32 s44, s0, s43
	s_mul_hi_u32 s41, s0, s1
	s_add_u32 s42, s44, s42
	s_addc_u32 s41, 0, s41
	s_mul_hi_u32 s45, s10, s43
	s_mul_i32 s43, s10, s43
	s_add_u32 s42, s42, s43
	s_mul_hi_u32 s44, s10, s1
	s_addc_u32 s41, s41, s45
	s_addc_u32 s42, s44, 0
	s_mul_i32 s1, s10, s1
	s_add_u32 s1, s41, s1
	s_addc_u32 s41, 0, s42
	s_add_u32 s42, s0, s1
	s_cselect_b64 s[0:1], -1, 0
	s_cmp_lg_u64 s[0:1], 0
	s_addc_u32 s10, s10, s41
	s_mul_i32 s0, s2, s10
	s_mul_hi_u32 s1, s2, s42
	s_add_i32 s0, s1, s0
	s_mul_i32 s3, s3, s42
	s_add_i32 s0, s0, s3
	s_mul_i32 s2, s2, s42
	s_mul_hi_u32 s3, s10, s2
	s_mul_i32 s41, s10, s2
	s_mul_i32 s44, s42, s0
	s_mul_hi_u32 s2, s42, s2
	s_mul_hi_u32 s43, s42, s0
	s_add_u32 s2, s2, s44
	s_addc_u32 s43, 0, s43
	s_add_u32 s2, s2, s41
	s_mul_hi_u32 s1, s10, s0
	s_addc_u32 s2, s43, s3
	s_addc_u32 s1, s1, 0
	s_mul_i32 s0, s10, s0
	s_add_u32 s0, s2, s0
	s_addc_u32 s2, 0, s1
	s_add_u32 s41, s42, s0
	s_cselect_b64 s[0:1], -1, 0
	s_cmp_lg_u64 s[0:1], 0
	s_addc_u32 s10, s10, s2
	s_ashr_i32 s2, s11, 31
	s_add_u32 s0, s40, s2
	s_mov_b32 s3, s2
	s_addc_u32 s1, s11, s2
	s_xor_b64 s[0:1], s[0:1], s[2:3]
	s_mul_i32 s43, s0, s10
	s_mul_hi_u32 s44, s0, s41
	s_mul_hi_u32 s42, s0, s10
	s_add_u32 s43, s44, s43
	s_addc_u32 s42, 0, s42
	s_mul_hi_u32 s45, s1, s41
	s_mul_i32 s41, s1, s41
	s_add_u32 s41, s43, s41
	s_mul_hi_u32 s44, s1, s10
	s_addc_u32 s41, s42, s45
	s_addc_u32 s42, s44, 0
	s_mul_i32 s10, s1, s10
	s_add_u32 s10, s41, s10
	s_addc_u32 s41, 0, s42
	s_mul_i32 s41, s12, s41
	s_mul_hi_u32 s42, s12, s10
	s_add_i32 s41, s42, s41
	s_mul_i32 s42, s13, s10
	s_add_i32 s41, s41, s42
	s_sub_i32 s44, s1, s41
	s_mul_i32 s10, s12, s10
	s_sub_u32 s0, s0, s10
	s_cselect_b64 s[42:43], -1, 0
	s_cmp_lg_u64 s[42:43], 0
	s_subb_u32 s10, s44, s13
	s_sub_u32 s46, s0, s12
	s_cselect_b64 s[44:45], -1, 0
	s_cmp_lg_u64 s[44:45], 0
	s_subb_u32 s56, s10, 0
	s_cmp_ge_u32 s56, s13
	s_cselect_b32 s60, -1, 0
	s_cmp_ge_u32 s46, s12
	s_cselect_b32 s61, -1, 0
	s_cmp_eq_u32 s56, s13
	s_cselect_b32 s60, s61, s60
	s_cmp_lg_u64 s[44:45], 0
	s_subb_u32 s10, s10, s13
	s_sub_u32 s61, s46, s12
	s_cselect_b64 s[44:45], -1, 0
	s_cmp_lg_u64 s[44:45], 0
	s_subb_u32 s10, s10, 0
	s_cmp_lg_u32 s60, 0
	s_cselect_b32 s44, s61, s46
	s_cselect_b32 s10, s10, s56
	s_cmp_lg_u64 s[42:43], 0
	s_subb_u32 s1, s1, s41
	s_cmp_ge_u32 s1, s13
	s_cselect_b32 s41, -1, 0
	s_cmp_ge_u32 s0, s12
	s_cselect_b32 s12, -1, 0
	s_cmp_eq_u32 s1, s13
	s_cselect_b32 s12, s12, s41
	s_cmp_lg_u32 s12, 0
	s_cselect_b32 s1, s10, s1
	s_cselect_b32 s0, s44, s0
	s_xor_b64 s[0:1], s[0:1], s[2:3]
	s_sub_u32 s0, s0, s2
	s_subb_u32 s1, s1, s2
	s_cbranch_execnz .LBB63_128
.LBB63_127:                             ;   in Loop: Header=BB63_32 Depth=1
	v_cvt_f32_u32_e32 v2, s33
	s_sub_i32 s0, 0, s33
	v_rcp_iflag_f32_e32 v2, v2
	v_mul_f32_e32 v2, 0x4f7ffffe, v2
	v_cvt_u32_f32_e32 v2, v2
	v_readfirstlane_b32 s1, v2
	s_mul_i32 s0, s0, s1
	s_mul_hi_u32 s0, s1, s0
	s_add_i32 s1, s1, s0
	s_mul_hi_u32 s0, s40, s1
	s_mul_i32 s0, s0, s33
	s_sub_i32 s0, s40, s0
	s_sub_i32 s1, s0, s33
	s_cmp_ge_u32 s0, s33
	s_cselect_b32 s0, s1, s0
	s_sub_i32 s1, s0, s33
	s_cmp_ge_u32 s0, s33
	s_cselect_b32 s46, s1, s0
	s_mov_b64 s[0:1], s[46:47]
.LBB63_128:                             ;   in Loop: Header=BB63_32 Depth=1
	s_sub_u32 s10, s40, s0
	s_subb_u32 s11, s11, s1
	v_cmp_gt_i64_e32 vcc, s[10:11], v[0:1]
                                        ; implicit-def: $vgpr58
	s_and_saveexec_b64 s[2:3], vcc
	s_cbranch_execz .LBB63_138
; %bb.129:                              ;   in Loop: Header=BB63_32 Depth=1
	v_mov_b32_e32 v9, v1
	s_mov_b64 s[0:1], 0
	v_mov_b32_e32 v2, v51
	v_mov_b32_e32 v8, v0
                                        ; implicit-def: $sgpr12_sgpr13
	s_branch .LBB63_133
.LBB63_130:                             ;   in Loop: Header=BB63_133 Depth=2
	s_or_b64 exec, exec, s[40:41]
	s_waitcnt lgkmcnt(0)
	s_barrier
	ds_read_b32 v10, v3 offset:3072
	s_waitcnt lgkmcnt(0)
	s_barrier
	v_cmp_neq_f16_e32 vcc, 0, v10
	s_cbranch_vccnz .LBB63_136
; %bb.131:                              ;   in Loop: Header=BB63_133 Depth=2
	v_add_co_u32_e32 v8, vcc, s33, v8
	v_addc_co_u32_e32 v9, vcc, 0, v9, vcc
	v_cmp_le_i64_e32 vcc, s[10:11], v[8:9]
	v_add_u32_e32 v2, s68, v2
	s_mov_b64 s[40:41], 0
	s_orn2_b64 s[42:43], vcc, exec
.LBB63_132:                             ;   in Loop: Header=BB63_133 Depth=2
	s_and_b64 s[42:43], exec, s[42:43]
	s_or_b64 s[0:1], s[42:43], s[0:1]
	s_andn2_b64 s[12:13], s[12:13], exec
	s_and_b64 s[40:41], s[40:41], exec
	s_or_b64 s[12:13], s[12:13], s[40:41]
	s_andn2_b64 exec, exec, s[0:1]
	s_cbranch_execz .LBB63_137
.LBB63_133:                             ;   Parent Loop BB63_32 Depth=1
                                        ; =>  This Inner Loop Header: Depth=2
	v_cmp_gt_u64_e32 vcc, s[26:27], v[8:9]
	s_and_saveexec_b64 s[40:41], vcc
	s_cbranch_execz .LBB63_130
; %bb.134:                              ;   in Loop: Header=BB63_133 Depth=2
	ds_read_u16 v10, v2
	s_waitcnt lgkmcnt(0)
	v_cmp_lt_i16_e32 vcc, -1, v10
	v_cndmask_b32_e32 v11, v53, v54, vcc
	v_xor_b32_sdwa v11, v11, v10 dst_sel:DWORD dst_unused:UNUSED_PAD src0_sel:DWORD src1_sel:WORD_0
	v_cmp_o_f16_e32 vcc, v10, v10
	v_cndmask_b32_e32 v11, v53, v11, vcc
	v_and_b32_e32 v11, v11, v57
	v_cmp_eq_u32_e32 vcc, v11, v50
	s_and_b64 exec, exec, vcc
	s_cbranch_execz .LBB63_130
; %bb.135:                              ;   in Loop: Header=BB63_133 Depth=2
	v_perm_b32 v10, v10, s69, v56
	ds_write_b32 v3, v10 offset:3072
	s_branch .LBB63_130
.LBB63_136:                             ;   in Loop: Header=BB63_133 Depth=2
	s_mov_b64 s[42:43], -1
                                        ; implicit-def: $vgpr8_vgpr9
                                        ; implicit-def: $vgpr2
	s_mov_b64 s[40:41], -1
	s_branch .LBB63_132
.LBB63_137:                             ;   in Loop: Header=BB63_32 Depth=1
	s_or_b64 exec, exec, s[0:1]
	s_andn2_b64 s[0:1], s[36:37], exec
	s_and_b64 s[10:11], s[12:13], exec
	v_lshrrev_b32_e32 v58, 16, v10
	s_or_b64 s[36:37], s[0:1], s[10:11]
.LBB63_138:                             ;   in Loop: Header=BB63_32 Depth=1
	s_or_b64 exec, exec, s[2:3]
	s_mov_b64 s[10:11], 0
	s_mov_b64 s[12:13], -1
.LBB63_139:                             ;   in Loop: Header=BB63_32 Depth=1
	s_orn2_b64 s[0:1], s[36:37], exec
.LBB63_140:                             ;   in Loop: Header=BB63_32 Depth=1
	s_or_b64 exec, exec, s[18:19]
	s_andn2_b64 s[2:3], s[82:83], exec
	s_and_b64 s[12:13], s[12:13], exec
	s_or_b64 s[82:83], s[2:3], s[12:13]
	s_andn2_b64 s[2:3], s[80:81], exec
	s_and_b64 s[10:11], s[10:11], exec
	s_andn2_b64 s[78:79], s[78:79], exec
	s_or_b64 s[80:81], s[2:3], s[10:11]
                                        ; implicit-def: $vgpr8_vgpr9
	s_and_saveexec_b64 s[18:19], s[0:1]
	s_cbranch_execz .LBB63_31
; %bb.141:                              ;   in Loop: Header=BB63_32 Depth=1
	v_mov_b32_e32 v8, 1
	s_xor_b64 s[0:1], s[20:21], -1
	v_mov_b32_e32 v2, 1
	v_mov_b32_e32 v9, 0
	s_mov_b64 s[2:3], 0
	s_and_saveexec_b64 s[6:7], s[0:1]
	s_cbranch_execz .LBB63_150
; %bb.142:                              ;   in Loop: Header=BB63_32 Depth=1
	v_cmp_le_i64_e32 vcc, v[29:30], v[4:5]
	s_and_saveexec_b64 s[0:1], vcc
	s_xor_b64 s[0:1], exec, s[0:1]
	s_cbranch_execz .LBB63_147
; %bb.143:                              ;   in Loop: Header=BB63_32 Depth=1
	ds_read_b64 v[8:9], v3 offset:5120
	v_and_b32_e32 v50, s64, v50
	v_or_b32_e32 v57, s53, v57
	s_waitcnt lgkmcnt(0)
	v_cmp_ne_u64_e32 vcc, 0, v[8:9]
	s_cbranch_vccnz .LBB63_147
; %bb.144:                              ;   in Loop: Header=BB63_32 Depth=1
	s_mov_b64 s[2:3], exec
	v_readlane_b32 s10, v63, 8
	v_readlane_b32 s11, v63, 9
	s_and_b64 s[10:11], s[2:3], s[10:11]
	s_mov_b64 exec, s[10:11]
; %bb.145:                              ;   in Loop: Header=BB63_32 Depth=1
	ds_write_b64 v3, v[4:5] offset:5128
; %bb.146:                              ;   in Loop: Header=BB63_32 Depth=1
	s_or_b64 exec, exec, s[2:3]
	s_waitcnt lgkmcnt(0)
	s_barrier
.LBB63_147:                             ;   in Loop: Header=BB63_32 Depth=1
	s_or_saveexec_b64 s[0:1], s[0:1]
	s_mov_b64 s[2:3], 0
	v_mov_b32_e32 v2, 8
	s_xor_b64 exec, exec, s[0:1]
; %bb.148:                              ;   in Loop: Header=BB63_32 Depth=1
	v_sub_co_u32_e32 v29, vcc, v29, v4
	v_subb_co_u32_e32 v30, vcc, v30, v5, vcc
	v_mov_b32_e32 v2, 0
	s_mov_b64 s[2:3], exec
; %bb.149:                              ;   in Loop: Header=BB63_32 Depth=1
	s_or_b64 exec, exec, s[0:1]
	v_mov_b32_e32 v8, v29
	s_and_b64 s[2:3], s[2:3], exec
	v_mov_b32_e32 v9, v30
.LBB63_150:                             ;   in Loop: Header=BB63_32 Depth=1
	s_or_b64 exec, exec, s[6:7]
	s_mov_b64 s[20:21], -1
	s_mov_b64 s[0:1], -1
                                        ; implicit-def: $sgpr6_sgpr7
                                        ; implicit-def: $sgpr86_sgpr87
	s_and_saveexec_b64 s[10:11], s[2:3]
	s_xor_b64 s[26:27], exec, s[10:11]
	s_cbranch_execz .LBB63_298
; %bb.151:                              ;   in Loop: Header=BB63_32 Depth=1
	v_cmp_eq_u64_e32 vcc, 1, v[6:7]
	v_cmp_eq_u64_e64 s[6:7], 1, v[8:9]
                                        ; implicit-def: $sgpr86_sgpr87
	s_and_b64 s[40:41], vcc, s[6:7]
                                        ; implicit-def: $sgpr6_sgpr7
	s_and_saveexec_b64 s[42:43], s[40:41]
	s_cbranch_execz .LBB63_187
; %bb.152:                              ;   in Loop: Header=BB63_32 Depth=1
	ds_read_b64 v[4:5], v3 offset:5120
	s_waitcnt lgkmcnt(0)
	s_barrier
	v_readfirstlane_b32 s36, v4
	v_readfirstlane_b32 s37, v5
	s_mov_b64 s[0:1], exec
	v_readlane_b32 s2, v63, 12
	v_readlane_b32 s3, v63, 13
	s_and_b64 s[2:3], s[0:1], s[2:3]
	s_mov_b64 exec, s[2:3]
; %bb.153:                              ;   in Loop: Header=BB63_32 Depth=1
	ds_write_b16 v52, v3
; %bb.154:                              ;   in Loop: Header=BB63_32 Depth=1
	s_or_b64 exec, exec, s[0:1]
	v_cmp_gt_i64_e64 s[0:1], s[36:37], 0
	v_and_b32_e32 v4, s64, v50
	v_lshl_or_b32 v50, 1, s54, v4
	v_or_b32_e32 v57, s53, v57
	s_mov_b64 s[6:7], -1
	s_mov_b64 s[86:87], 0
	s_and_b64 vcc, exec, s[0:1]
	s_mov_b64 s[10:11], 0
	s_mov_b64 s[12:13], -1
	s_waitcnt lgkmcnt(0)
	s_barrier
                                        ; implicit-def: $vgpr58
	s_cbranch_vccnz .LBB63_171
; %bb.155:                              ;   in Loop: Header=BB63_32 Depth=1
	s_mov_b32 s56, s47
	s_cmp_lg_u64 s[56:57], 0
	s_cbranch_scc0 .LBB63_215
; %bb.156:                              ;   in Loop: Header=BB63_32 Depth=1
	s_add_u32 s0, s33, 0
	s_addc_u32 s1, 0, 0
	s_xor_b64 s[10:11], s[0:1], 0
	v_cvt_f32_u32_e32 v4, s10
	v_cvt_f32_u32_e32 v5, s11
	s_sub_u32 s2, 0, s10
	s_subb_u32 s3, 0, s11
	v_mac_f32_e32 v4, 0x4f800000, v5
	v_rcp_f32_e32 v4, v4
	v_mul_f32_e32 v4, 0x5f7ffffc, v4
	v_mul_f32_e32 v5, 0x2f800000, v4
	v_trunc_f32_e32 v5, v5
	v_mac_f32_e32 v4, 0xcf800000, v5
	v_cvt_u32_f32_e32 v5, v5
	v_cvt_u32_f32_e32 v4, v4
	v_readfirstlane_b32 s12, v5
	v_readfirstlane_b32 s0, v4
	s_mul_i32 s1, s2, s12
	s_mul_hi_u32 s44, s2, s0
	s_mul_i32 s13, s3, s0
	s_add_i32 s1, s44, s1
	s_mul_i32 s45, s2, s0
	s_add_i32 s1, s1, s13
	s_mul_i32 s44, s0, s1
	s_mul_hi_u32 s46, s0, s45
	s_mul_hi_u32 s13, s0, s1
	s_add_u32 s44, s46, s44
	s_addc_u32 s13, 0, s13
	s_mul_hi_u32 s56, s12, s45
	s_mul_i32 s45, s12, s45
	s_add_u32 s44, s44, s45
	s_mul_hi_u32 s46, s12, s1
	s_addc_u32 s13, s13, s56
	s_addc_u32 s44, s46, 0
	s_mul_i32 s1, s12, s1
	s_add_u32 s1, s13, s1
	s_addc_u32 s13, 0, s44
	s_add_u32 s44, s0, s1
	s_cselect_b64 s[0:1], -1, 0
	s_cmp_lg_u64 s[0:1], 0
	s_addc_u32 s12, s12, s13
	s_mul_i32 s0, s2, s12
	s_mul_hi_u32 s1, s2, s44
	s_add_i32 s0, s1, s0
	s_mul_i32 s3, s3, s44
	s_add_i32 s0, s0, s3
	s_mul_i32 s2, s2, s44
	s_mul_hi_u32 s3, s12, s2
	s_mul_i32 s13, s12, s2
	s_mul_i32 s46, s44, s0
	s_mul_hi_u32 s2, s44, s2
	s_mul_hi_u32 s45, s44, s0
	s_add_u32 s2, s2, s46
	s_addc_u32 s45, 0, s45
	s_add_u32 s2, s2, s13
	s_mul_hi_u32 s1, s12, s0
	s_addc_u32 s2, s45, s3
	s_addc_u32 s1, s1, 0
	s_mul_i32 s0, s12, s0
	s_add_u32 s0, s2, s0
	s_addc_u32 s2, 0, s1
	s_add_u32 s13, s44, s0
	s_cselect_b64 s[0:1], -1, 0
	s_cmp_lg_u64 s[0:1], 0
	s_addc_u32 s12, s12, s2
	s_ashr_i32 s2, s57, 31
	v_readlane_b32 s0, v63, 20
	s_add_u32 s0, s0, s2
	s_mov_b32 s3, s2
	s_addc_u32 s1, s57, s2
	s_xor_b64 s[0:1], s[0:1], s[2:3]
	s_mul_i32 s45, s0, s12
	s_mul_hi_u32 s46, s0, s13
	s_mul_hi_u32 s44, s0, s12
	s_add_u32 s45, s46, s45
	s_addc_u32 s44, 0, s44
	s_mul_hi_u32 s56, s1, s13
	s_mul_i32 s13, s1, s13
	s_add_u32 s13, s45, s13
	s_mul_hi_u32 s46, s1, s12
	s_addc_u32 s13, s44, s56
	s_addc_u32 s44, s46, 0
	s_mul_i32 s12, s1, s12
	s_add_u32 s12, s13, s12
	s_addc_u32 s13, 0, s44
	s_mul_i32 s13, s10, s13
	s_mul_hi_u32 s44, s10, s12
	s_add_i32 s13, s44, s13
	s_mul_i32 s44, s11, s12
	s_add_i32 s46, s13, s44
	s_sub_i32 s44, s1, s46
	s_mul_i32 s12, s10, s12
	s_sub_u32 s0, s0, s12
	s_cselect_b64 s[12:13], -1, 0
	s_cmp_lg_u64 s[12:13], 0
	s_subb_u32 s56, s44, s11
	s_sub_u32 s60, s0, s10
	s_cselect_b64 s[44:45], -1, 0
	s_cmp_lg_u64 s[44:45], 0
	s_subb_u32 s61, s56, 0
	s_cmp_ge_u32 s61, s11
	s_cselect_b32 s62, -1, 0
	s_cmp_ge_u32 s60, s10
	s_cselect_b32 s63, -1, 0
	s_cmp_eq_u32 s61, s11
	s_cselect_b32 s62, s63, s62
	s_cmp_lg_u64 s[44:45], 0
	s_subb_u32 s56, s56, s11
	s_sub_u32 s63, s60, s10
	s_cselect_b64 s[44:45], -1, 0
	s_cmp_lg_u64 s[44:45], 0
	s_subb_u32 s44, s56, 0
	s_cmp_lg_u32 s62, 0
	s_cselect_b32 s45, s63, s60
	s_cselect_b32 s44, s44, s61
	s_cmp_lg_u64 s[12:13], 0
	s_subb_u32 s1, s1, s46
	s_cmp_ge_u32 s1, s11
	s_cselect_b32 s12, -1, 0
	s_cmp_ge_u32 s0, s10
	s_cselect_b32 s10, -1, 0
	s_cmp_eq_u32 s1, s11
	s_cselect_b32 s10, s10, s12
	s_cmp_lg_u32 s10, 0
	s_cselect_b32 s1, s44, s1
	s_cselect_b32 s0, s45, s0
	s_xor_b64 s[0:1], s[0:1], s[2:3]
	s_sub_u32 s0, s0, s2
	s_subb_u32 s1, s1, s2
	s_cbranch_execnz .LBB63_158
.LBB63_157:                             ;   in Loop: Header=BB63_32 Depth=1
	v_cvt_f32_u32_e32 v4, s33
	s_sub_i32 s0, 0, s33
	v_readlane_b32 s2, v63, 20
	v_rcp_iflag_f32_e32 v4, v4
	v_mul_f32_e32 v4, 0x4f7ffffe, v4
	v_cvt_u32_f32_e32 v4, v4
	v_readfirstlane_b32 s1, v4
	s_mul_i32 s0, s0, s1
	s_mul_hi_u32 s0, s1, s0
	s_add_i32 s1, s1, s0
	s_mul_hi_u32 s0, s2, s1
	s_mul_i32 s0, s0, s33
	s_sub_i32 s0, s2, s0
	s_sub_i32 s1, s0, s33
	s_cmp_ge_u32 s0, s33
	s_cselect_b32 s0, s1, s0
	s_sub_i32 s1, s0, s33
	s_cmp_ge_u32 s0, s33
	s_cselect_b32 s46, s1, s0
	s_mov_b64 s[0:1], s[46:47]
.LBB63_158:                             ;   in Loop: Header=BB63_32 Depth=1
	v_readlane_b32 s2, v63, 20
	s_sub_u32 s2, s2, s0
	s_subb_u32 s3, s57, s1
	v_cmp_gt_i64_e32 vcc, s[2:3], v[0:1]
	s_mov_b64 s[12:13], 0
	s_mov_b64 s[10:11], 0
                                        ; implicit-def: $vgpr58
	s_and_saveexec_b64 s[44:45], vcc
	s_cbranch_execz .LBB63_170
; %bb.159:                              ;   in Loop: Header=BB63_32 Depth=1
	v_mov_b32_e32 v4, v12
	v_mov_b32_e32 v11, v1
	;; [unrolled: 1-line block ×4, first 2 shown]
                                        ; implicit-def: $sgpr60_sgpr61
	s_branch .LBB63_163
.LBB63_160:                             ;   in Loop: Header=BB63_163 Depth=2
	s_or_b64 exec, exec, s[0:1]
	s_waitcnt lgkmcnt(0)
	s_barrier
	ds_read_b32 v29, v3 offset:3072
	s_waitcnt lgkmcnt(0)
	s_barrier
	v_cmp_neq_f16_e32 vcc, 0, v29
	s_cbranch_vccnz .LBB63_166
; %bb.161:                              ;   in Loop: Header=BB63_163 Depth=2
	v_add_co_u32_e32 v10, vcc, s33, v10
	v_addc_co_u32_e32 v11, vcc, 0, v11, vcc
	v_mov_b32_e32 v30, s51
	v_add_co_u32_e32 v4, vcc, s50, v4
	v_addc_co_u32_e32 v5, vcc, v5, v30, vcc
	v_cmp_le_i64_e32 vcc, s[2:3], v[10:11]
	s_mov_b64 s[0:1], 0
	s_orn2_b64 s[62:63], vcc, exec
.LBB63_162:                             ;   in Loop: Header=BB63_163 Depth=2
	s_and_b64 s[62:63], exec, s[62:63]
	s_or_b64 s[10:11], s[62:63], s[10:11]
	s_andn2_b64 s[60:61], s[60:61], exec
	s_and_b64 s[0:1], s[0:1], exec
	s_or_b64 s[60:61], s[60:61], s[0:1]
	s_andn2_b64 exec, exec, s[10:11]
	s_cbranch_execz .LBB63_169
.LBB63_163:                             ;   Parent Loop BB63_32 Depth=1
                                        ; =>  This Inner Loop Header: Depth=2
	v_cmp_gt_i64_e32 vcc, s[24:25], v[10:11]
	s_and_saveexec_b64 s[0:1], vcc
	s_cbranch_execz .LBB63_160
; %bb.164:                              ;   in Loop: Header=BB63_163 Depth=2
	global_load_ushort v29, v[4:5], off
	s_waitcnt vmcnt(0)
	v_cmp_lt_i16_e32 vcc, -1, v29
	v_cndmask_b32_e32 v30, v53, v54, vcc
	v_xor_b32_sdwa v30, v30, v29 dst_sel:DWORD dst_unused:UNUSED_PAD src0_sel:DWORD src1_sel:WORD_0
	v_cmp_o_f16_e32 vcc, v29, v29
	v_cndmask_b32_e32 v30, v53, v30, vcc
	v_and_b32_e32 v30, v30, v57
	v_cmp_eq_u32_e32 vcc, v30, v50
	s_and_b64 exec, exec, vcc
	s_cbranch_execz .LBB63_160
; %bb.165:                              ;   in Loop: Header=BB63_163 Depth=2
	v_perm_b32 v29, v29, s69, v56
	ds_write_b32 v3, v29 offset:3072
	s_branch .LBB63_160
.LBB63_166:                             ;   in Loop: Header=BB63_163 Depth=2
	s_mov_b64 s[62:63], -1
                                        ; implicit-def: $vgpr10_vgpr11
                                        ; implicit-def: $vgpr4_vgpr5
	s_mov_b64 s[0:1], -1
	s_branch .LBB63_162
.LBB63_167:                             ;   in Loop: Header=BB63_32 Depth=1
                                        ; implicit-def: $sgpr0_sgpr1
	s_branch .LBB63_112
.LBB63_168:                             ;   in Loop: Header=BB63_32 Depth=1
                                        ; implicit-def: $sgpr0_sgpr1
	s_branch .LBB63_127
.LBB63_169:                             ;   in Loop: Header=BB63_32 Depth=1
	s_or_b64 exec, exec, s[10:11]
	v_lshrrev_b32_e32 v58, 16, v29
	s_and_b64 s[10:11], s[60:61], exec
.LBB63_170:                             ;   in Loop: Header=BB63_32 Depth=1
	s_or_b64 exec, exec, s[44:45]
.LBB63_171:                             ;   in Loop: Header=BB63_32 Depth=1
	s_and_b64 vcc, exec, s[12:13]
	s_cbranch_vccz .LBB63_186
; %bb.172:                              ;   in Loop: Header=BB63_32 Depth=1
	s_add_u32 s44, s36, s65
	v_readlane_b32 s0, v63, 21
	s_addc_u32 s7, s37, s0
	s_mov_b32 s6, s47
	s_mov_b32 s87, s65
	s_cmp_lg_u64 s[6:7], 0
	s_cbranch_scc0 .LBB63_216
; %bb.173:                              ;   in Loop: Header=BB63_32 Depth=1
	s_add_u32 s0, s33, 0
	s_addc_u32 s1, 0, 0
	s_xor_b64 s[12:13], s[0:1], 0
	v_cvt_f32_u32_e32 v4, s12
	v_cvt_f32_u32_e32 v5, s13
	s_sub_u32 s2, 0, s12
	s_subb_u32 s3, 0, s13
	v_mac_f32_e32 v4, 0x4f800000, v5
	v_rcp_f32_e32 v4, v4
	v_mul_f32_e32 v4, 0x5f7ffffc, v4
	v_mul_f32_e32 v5, 0x2f800000, v4
	v_trunc_f32_e32 v5, v5
	v_mac_f32_e32 v4, 0xcf800000, v5
	v_cvt_u32_f32_e32 v5, v5
	v_cvt_u32_f32_e32 v4, v4
	v_readfirstlane_b32 s6, v5
	v_readfirstlane_b32 s0, v4
	s_mul_i32 s1, s2, s6
	s_mul_hi_u32 s46, s2, s0
	s_mul_i32 s45, s3, s0
	s_add_i32 s1, s46, s1
	s_mul_i32 s56, s2, s0
	s_add_i32 s1, s1, s45
	s_mul_i32 s46, s0, s1
	s_mul_hi_u32 s60, s0, s56
	s_mul_hi_u32 s45, s0, s1
	s_add_u32 s46, s60, s46
	s_addc_u32 s45, 0, s45
	s_mul_hi_u32 s61, s6, s56
	s_mul_i32 s56, s6, s56
	s_add_u32 s46, s46, s56
	s_mul_hi_u32 s60, s6, s1
	s_addc_u32 s45, s45, s61
	s_addc_u32 s46, s60, 0
	s_mul_i32 s1, s6, s1
	s_add_u32 s1, s45, s1
	s_addc_u32 s45, 0, s46
	s_add_u32 s46, s0, s1
	s_cselect_b64 s[0:1], -1, 0
	s_cmp_lg_u64 s[0:1], 0
	s_addc_u32 s6, s6, s45
	s_mul_i32 s0, s2, s6
	s_mul_hi_u32 s1, s2, s46
	s_add_i32 s0, s1, s0
	s_mul_i32 s3, s3, s46
	s_add_i32 s0, s0, s3
	s_mul_i32 s2, s2, s46
	s_mul_hi_u32 s3, s6, s2
	s_mul_i32 s45, s6, s2
	s_mul_i32 s60, s46, s0
	s_mul_hi_u32 s2, s46, s2
	s_mul_hi_u32 s56, s46, s0
	s_add_u32 s2, s2, s60
	s_addc_u32 s56, 0, s56
	s_add_u32 s2, s2, s45
	s_mul_hi_u32 s1, s6, s0
	s_addc_u32 s2, s56, s3
	s_addc_u32 s1, s1, 0
	s_mul_i32 s0, s6, s0
	s_add_u32 s0, s2, s0
	s_addc_u32 s2, 0, s1
	s_add_u32 s45, s46, s0
	s_cselect_b64 s[0:1], -1, 0
	s_cmp_lg_u64 s[0:1], 0
	s_addc_u32 s6, s6, s2
	s_ashr_i32 s2, s7, 31
	s_add_u32 s0, s44, s2
	s_mov_b32 s3, s2
	s_addc_u32 s1, s7, s2
	s_xor_b64 s[0:1], s[0:1], s[2:3]
	s_mul_i32 s56, s0, s6
	s_mul_hi_u32 s60, s0, s45
	s_mul_hi_u32 s46, s0, s6
	s_add_u32 s56, s60, s56
	s_addc_u32 s46, 0, s46
	s_mul_hi_u32 s61, s1, s45
	s_mul_i32 s45, s1, s45
	s_add_u32 s45, s56, s45
	s_mul_hi_u32 s60, s1, s6
	s_addc_u32 s45, s46, s61
	s_addc_u32 s46, s60, 0
	s_mul_i32 s6, s1, s6
	s_add_u32 s6, s45, s6
	s_addc_u32 s45, 0, s46
	s_mul_i32 s45, s12, s45
	s_mul_hi_u32 s46, s12, s6
	s_add_i32 s45, s46, s45
	s_mul_i32 s46, s13, s6
	s_add_i32 s45, s45, s46
	s_sub_i32 s46, s1, s45
	s_mul_i32 s6, s12, s6
	s_sub_u32 s0, s0, s6
	s_cselect_b64 s[60:61], -1, 0
	s_cmp_lg_u64 s[60:61], 0
	s_subb_u32 s6, s46, s13
	s_sub_u32 s46, s0, s12
	s_cselect_b64 s[62:63], -1, 0
	s_cmp_lg_u64 s[62:63], 0
	s_subb_u32 s56, s6, 0
	s_cmp_ge_u32 s56, s13
	s_cselect_b32 s65, -1, 0
	s_cmp_ge_u32 s46, s12
	s_cselect_b32 s86, -1, 0
	s_cmp_eq_u32 s56, s13
	s_cselect_b32 s65, s86, s65
	s_cmp_lg_u64 s[62:63], 0
	s_subb_u32 s6, s6, s13
	s_sub_u32 s86, s46, s12
	s_cselect_b64 s[62:63], -1, 0
	s_cmp_lg_u64 s[62:63], 0
	s_subb_u32 s6, s6, 0
	s_cmp_lg_u32 s65, 0
	s_cselect_b32 s46, s86, s46
	s_cselect_b32 s6, s6, s56
	s_cmp_lg_u64 s[60:61], 0
	s_subb_u32 s1, s1, s45
	s_cmp_ge_u32 s1, s13
	s_cselect_b32 s45, -1, 0
	s_cmp_ge_u32 s0, s12
	s_cselect_b32 s12, -1, 0
	s_cmp_eq_u32 s1, s13
	s_cselect_b32 s12, s12, s45
	s_cmp_lg_u32 s12, 0
	s_cselect_b32 s1, s6, s1
	s_cselect_b32 s0, s46, s0
	s_xor_b64 s[0:1], s[0:1], s[2:3]
	s_sub_u32 s0, s0, s2
	s_subb_u32 s1, s1, s2
	s_cbranch_execnz .LBB63_175
.LBB63_174:                             ;   in Loop: Header=BB63_32 Depth=1
	v_cvt_f32_u32_e32 v4, s33
	s_sub_i32 s0, 0, s33
	v_rcp_iflag_f32_e32 v4, v4
	v_mul_f32_e32 v4, 0x4f7ffffe, v4
	v_cvt_u32_f32_e32 v4, v4
	v_readfirstlane_b32 s1, v4
	s_mul_i32 s0, s0, s1
	s_mul_hi_u32 s0, s1, s0
	s_add_i32 s1, s1, s0
	s_mul_hi_u32 s0, s44, s1
	s_mul_i32 s0, s0, s33
	s_sub_i32 s0, s44, s0
	s_sub_i32 s1, s0, s33
	s_cmp_ge_u32 s0, s33
	s_cselect_b32 s0, s1, s0
	s_sub_i32 s1, s0, s33
	s_cmp_ge_u32 s0, s33
	s_cselect_b32 s46, s1, s0
	s_mov_b64 s[0:1], s[46:47]
.LBB63_175:                             ;   in Loop: Header=BB63_32 Depth=1
	s_sub_u32 s6, s44, s0
	s_subb_u32 s7, s7, s1
	v_cmp_gt_i64_e32 vcc, s[6:7], v[0:1]
                                        ; implicit-def: $vgpr58
	s_and_saveexec_b64 s[2:3], vcc
	s_mov_b32 s65, s87
	s_cbranch_execz .LBB63_185
; %bb.176:                              ;   in Loop: Header=BB63_32 Depth=1
	v_mov_b32_e32 v5, v1
	s_mov_b64 s[0:1], 0
	v_mov_b32_e32 v10, v51
	v_mov_b32_e32 v4, v0
                                        ; implicit-def: $sgpr12_sgpr13
	s_branch .LBB63_180
.LBB63_177:                             ;   in Loop: Header=BB63_180 Depth=2
	s_or_b64 exec, exec, s[44:45]
	s_waitcnt lgkmcnt(0)
	s_barrier
	ds_read_b32 v11, v3 offset:3072
	s_waitcnt lgkmcnt(0)
	s_barrier
	v_cmp_eq_f16_e32 vcc, 0, v11
	s_cbranch_vccz .LBB63_183
; %bb.178:                              ;   in Loop: Header=BB63_180 Depth=2
	v_add_co_u32_e32 v4, vcc, s33, v4
	v_addc_co_u32_e32 v5, vcc, 0, v5, vcc
	v_cmp_le_i64_e32 vcc, s[6:7], v[4:5]
	v_add_u32_e32 v10, s68, v10
	s_mov_b64 s[44:45], 0
	s_orn2_b64 s[60:61], vcc, exec
.LBB63_179:                             ;   in Loop: Header=BB63_180 Depth=2
	s_and_b64 s[60:61], exec, s[60:61]
	s_or_b64 s[0:1], s[60:61], s[0:1]
	s_andn2_b64 s[12:13], s[12:13], exec
	s_and_b64 s[44:45], s[44:45], exec
	s_or_b64 s[12:13], s[12:13], s[44:45]
	s_andn2_b64 exec, exec, s[0:1]
	s_cbranch_execz .LBB63_184
.LBB63_180:                             ;   Parent Loop BB63_32 Depth=1
                                        ; =>  This Inner Loop Header: Depth=2
	v_cmp_gt_u64_e32 vcc, s[36:37], v[4:5]
	s_and_saveexec_b64 s[44:45], vcc
	s_cbranch_execz .LBB63_177
; %bb.181:                              ;   in Loop: Header=BB63_180 Depth=2
	ds_read_u16 v11, v10
	s_waitcnt lgkmcnt(0)
	v_cmp_lt_i16_e32 vcc, -1, v11
	v_cndmask_b32_e32 v29, v53, v54, vcc
	v_xor_b32_sdwa v29, v29, v11 dst_sel:DWORD dst_unused:UNUSED_PAD src0_sel:DWORD src1_sel:WORD_0
	v_cmp_o_f16_e32 vcc, v11, v11
	v_cndmask_b32_e32 v29, v53, v29, vcc
	v_and_b32_e32 v29, v29, v57
	v_cmp_eq_u32_e32 vcc, v29, v50
	s_and_b64 exec, exec, vcc
	s_cbranch_execz .LBB63_177
; %bb.182:                              ;   in Loop: Header=BB63_180 Depth=2
	v_perm_b32 v11, v11, s69, v56
	ds_write_b32 v3, v11 offset:3072
	s_branch .LBB63_177
.LBB63_183:                             ;   in Loop: Header=BB63_180 Depth=2
	s_mov_b64 s[60:61], -1
                                        ; implicit-def: $vgpr4_vgpr5
                                        ; implicit-def: $vgpr10
	s_mov_b64 s[44:45], -1
	s_branch .LBB63_179
.LBB63_184:                             ;   in Loop: Header=BB63_32 Depth=1
	s_or_b64 exec, exec, s[0:1]
	s_andn2_b64 s[0:1], s[10:11], exec
	s_and_b64 s[6:7], s[12:13], exec
	v_lshrrev_b32_e32 v58, 16, v11
	s_or_b64 s[10:11], s[0:1], s[6:7]
.LBB63_185:                             ;   in Loop: Header=BB63_32 Depth=1
	s_or_b64 exec, exec, s[2:3]
	s_mov_b64 s[6:7], 0
	s_mov_b64 s[86:87], -1
.LBB63_186:                             ;   in Loop: Header=BB63_32 Depth=1
	s_orn2_b64 s[0:1], s[10:11], exec
.LBB63_187:                             ;   in Loop: Header=BB63_32 Depth=1
	s_or_b64 exec, exec, s[42:43]
	s_mov_b64 s[2:3], 0
	s_and_saveexec_b64 s[88:89], s[0:1]
	s_cbranch_execz .LBB63_297
; %bb.188:                              ;   in Loop: Header=BB63_32 Depth=1
	v_mov_b32_e32 v4, 1
	s_xor_b64 s[0:1], s[40:41], -1
	v_mov_b32_e32 v2, 1
	v_mov_b32_e32 v5, 0
	s_and_saveexec_b64 s[10:11], s[0:1]
	s_cbranch_execz .LBB63_198
; %bb.189:                              ;   in Loop: Header=BB63_32 Depth=1
	v_cmp_le_i64_e32 vcc, v[8:9], v[6:7]
	s_and_saveexec_b64 s[0:1], vcc
	s_xor_b64 s[0:1], exec, s[0:1]
	s_cbranch_execz .LBB63_195
; %bb.190:                              ;   in Loop: Header=BB63_32 Depth=1
	ds_read_b64 v[4:5], v3 offset:5120
	v_and_b32_e32 v2, s64, v50
	v_lshl_or_b32 v50, 1, s54, v2
	v_or_b32_e32 v57, s53, v57
	s_waitcnt lgkmcnt(0)
	v_cmp_ne_u64_e32 vcc, 0, v[4:5]
	s_cbranch_vccnz .LBB63_194
; %bb.191:                              ;   in Loop: Header=BB63_32 Depth=1
	s_mov_b64 s[2:3], exec
	v_readlane_b32 s12, v63, 8
	v_readlane_b32 s13, v63, 9
	s_and_b64 s[12:13], s[2:3], s[12:13]
	s_mov_b64 exec, s[12:13]
; %bb.192:                              ;   in Loop: Header=BB63_32 Depth=1
	ds_write_b64 v3, v[6:7] offset:5128
; %bb.193:                              ;   in Loop: Header=BB63_32 Depth=1
	s_or_b64 exec, exec, s[2:3]
	s_waitcnt lgkmcnt(0)
	s_barrier
.LBB63_194:                             ;   in Loop: Header=BB63_32 Depth=1
                                        ; implicit-def: $vgpr4_vgpr5_vgpr6_vgpr7
.LBB63_195:                             ;   in Loop: Header=BB63_32 Depth=1
	s_or_saveexec_b64 s[0:1], s[0:1]
	s_mov_b64 s[2:3], 0
	v_mov_b32_e32 v2, 8
	s_xor_b64 exec, exec, s[0:1]
; %bb.196:                              ;   in Loop: Header=BB63_32 Depth=1
	v_sub_co_u32_e32 v8, vcc, v8, v6
	v_subb_co_u32_e32 v9, vcc, v9, v7, vcc
	v_mov_b32_e32 v2, 0
	s_mov_b64 s[2:3], exec
; %bb.197:                              ;   in Loop: Header=BB63_32 Depth=1
	s_or_b64 exec, exec, s[0:1]
	v_mov_b32_e32 v4, v8
	s_and_b64 s[2:3], s[2:3], exec
	v_mov_b32_e32 v5, v9
.LBB63_198:                             ;   in Loop: Header=BB63_32 Depth=1
	s_or_b64 exec, exec, s[10:11]
	s_mov_b64 s[0:1], -1
                                        ; implicit-def: $sgpr92_sgpr93
                                        ; implicit-def: $sgpr94_sgpr95
	s_and_saveexec_b64 s[90:91], s[2:3]
	s_cbranch_execz .LBB63_296
; %bb.199:                              ;   in Loop: Header=BB63_32 Depth=1
	s_cmp_eq_u64 s[84:85], 1
	v_cmp_eq_u64_e32 vcc, 1, v[4:5]
	s_cselect_b64 s[0:1], -1, 0
	s_and_b64 s[42:43], s[0:1], vcc
	s_mov_b64 s[0:1], -1
                                        ; implicit-def: $sgpr94_sgpr95
                                        ; implicit-def: $sgpr92_sgpr93
	s_and_saveexec_b64 s[40:41], s[42:43]
	s_cbranch_execz .LBB63_235
; %bb.200:                              ;   in Loop: Header=BB63_32 Depth=1
	ds_read_b64 v[6:7], v3 offset:5120
	s_waitcnt lgkmcnt(0)
	s_barrier
	v_readfirstlane_b32 s36, v6
	v_readfirstlane_b32 s37, v7
	s_mov_b64 s[0:1], exec
	v_readlane_b32 s2, v63, 12
	v_readlane_b32 s3, v63, 13
	s_and_b64 s[2:3], s[0:1], s[2:3]
	s_mov_b64 exec, s[2:3]
; %bb.201:                              ;   in Loop: Header=BB63_32 Depth=1
	ds_write_b16 v52, v3
; %bb.202:                              ;   in Loop: Header=BB63_32 Depth=1
	s_or_b64 exec, exec, s[0:1]
	v_cmp_gt_i64_e64 s[0:1], s[36:37], 0
	v_and_b32_e32 v6, s64, v50
	v_lshl_or_b32 v50, 2, s54, v6
	v_or_b32_e32 v57, s53, v57
	s_mov_b64 s[92:93], -1
	s_mov_b64 s[94:95], 0
	s_and_b64 vcc, exec, s[0:1]
	s_mov_b64 s[10:11], 0
	s_mov_b64 s[12:13], -1
	s_waitcnt lgkmcnt(0)
	s_barrier
                                        ; implicit-def: $vgpr58
	s_cbranch_vccnz .LBB63_219
; %bb.203:                              ;   in Loop: Header=BB63_32 Depth=1
	s_mov_b32 s56, s47
	s_cmp_lg_u64 s[56:57], 0
	s_cbranch_scc0 .LBB63_262
; %bb.204:                              ;   in Loop: Header=BB63_32 Depth=1
	s_add_u32 s0, s33, 0
	s_addc_u32 s1, 0, 0
	s_xor_b64 s[10:11], s[0:1], 0
	v_cvt_f32_u32_e32 v6, s10
	v_cvt_f32_u32_e32 v7, s11
	s_sub_u32 s2, 0, s10
	s_subb_u32 s3, 0, s11
	v_mac_f32_e32 v6, 0x4f800000, v7
	v_rcp_f32_e32 v6, v6
	v_mul_f32_e32 v6, 0x5f7ffffc, v6
	v_mul_f32_e32 v7, 0x2f800000, v6
	v_trunc_f32_e32 v7, v7
	v_mac_f32_e32 v6, 0xcf800000, v7
	v_cvt_u32_f32_e32 v7, v7
	v_cvt_u32_f32_e32 v6, v6
	v_readfirstlane_b32 s12, v7
	v_readfirstlane_b32 s0, v6
	s_mul_i32 s1, s2, s12
	s_mul_hi_u32 s44, s2, s0
	s_mul_i32 s13, s3, s0
	s_add_i32 s1, s44, s1
	s_mul_i32 s45, s2, s0
	s_add_i32 s1, s1, s13
	s_mul_i32 s44, s0, s1
	s_mul_hi_u32 s46, s0, s45
	s_mul_hi_u32 s13, s0, s1
	s_add_u32 s44, s46, s44
	s_addc_u32 s13, 0, s13
	s_mul_hi_u32 s56, s12, s45
	s_mul_i32 s45, s12, s45
	s_add_u32 s44, s44, s45
	s_mul_hi_u32 s46, s12, s1
	s_addc_u32 s13, s13, s56
	s_addc_u32 s44, s46, 0
	s_mul_i32 s1, s12, s1
	s_add_u32 s1, s13, s1
	s_addc_u32 s13, 0, s44
	s_add_u32 s44, s0, s1
	s_cselect_b64 s[0:1], -1, 0
	s_cmp_lg_u64 s[0:1], 0
	s_addc_u32 s12, s12, s13
	s_mul_i32 s0, s2, s12
	s_mul_hi_u32 s1, s2, s44
	s_add_i32 s0, s1, s0
	s_mul_i32 s3, s3, s44
	s_add_i32 s0, s0, s3
	s_mul_i32 s2, s2, s44
	s_mul_hi_u32 s3, s12, s2
	s_mul_i32 s13, s12, s2
	s_mul_i32 s46, s44, s0
	s_mul_hi_u32 s2, s44, s2
	s_mul_hi_u32 s45, s44, s0
	s_add_u32 s2, s2, s46
	s_addc_u32 s45, 0, s45
	s_add_u32 s2, s2, s13
	s_mul_hi_u32 s1, s12, s0
	s_addc_u32 s2, s45, s3
	s_addc_u32 s1, s1, 0
	s_mul_i32 s0, s12, s0
	s_add_u32 s0, s2, s0
	s_addc_u32 s2, 0, s1
	s_add_u32 s13, s44, s0
	s_cselect_b64 s[0:1], -1, 0
	s_cmp_lg_u64 s[0:1], 0
	s_addc_u32 s12, s12, s2
	s_ashr_i32 s2, s57, 31
	v_readlane_b32 s0, v63, 20
	s_add_u32 s0, s0, s2
	s_mov_b32 s3, s2
	s_addc_u32 s1, s57, s2
	s_xor_b64 s[0:1], s[0:1], s[2:3]
	s_mul_i32 s45, s0, s12
	s_mul_hi_u32 s46, s0, s13
	s_mul_hi_u32 s44, s0, s12
	s_add_u32 s45, s46, s45
	s_addc_u32 s44, 0, s44
	s_mul_hi_u32 s56, s1, s13
	s_mul_i32 s13, s1, s13
	s_add_u32 s13, s45, s13
	s_mul_hi_u32 s46, s1, s12
	s_addc_u32 s13, s44, s56
	s_addc_u32 s44, s46, 0
	s_mul_i32 s12, s1, s12
	s_add_u32 s12, s13, s12
	s_addc_u32 s13, 0, s44
	s_mul_i32 s13, s10, s13
	s_mul_hi_u32 s44, s10, s12
	s_add_i32 s13, s44, s13
	s_mul_i32 s44, s11, s12
	s_add_i32 s46, s13, s44
	s_sub_i32 s44, s1, s46
	s_mul_i32 s12, s10, s12
	s_sub_u32 s0, s0, s12
	s_cselect_b64 s[12:13], -1, 0
	s_cmp_lg_u64 s[12:13], 0
	s_subb_u32 s56, s44, s11
	s_sub_u32 s60, s0, s10
	s_cselect_b64 s[44:45], -1, 0
	s_cmp_lg_u64 s[44:45], 0
	s_subb_u32 s61, s56, 0
	s_cmp_ge_u32 s61, s11
	s_cselect_b32 s62, -1, 0
	s_cmp_ge_u32 s60, s10
	s_cselect_b32 s63, -1, 0
	s_cmp_eq_u32 s61, s11
	s_cselect_b32 s62, s63, s62
	s_cmp_lg_u64 s[44:45], 0
	s_subb_u32 s56, s56, s11
	s_sub_u32 s63, s60, s10
	s_cselect_b64 s[44:45], -1, 0
	s_cmp_lg_u64 s[44:45], 0
	s_subb_u32 s44, s56, 0
	s_cmp_lg_u32 s62, 0
	s_cselect_b32 s45, s63, s60
	s_cselect_b32 s44, s44, s61
	s_cmp_lg_u64 s[12:13], 0
	s_subb_u32 s1, s1, s46
	s_cmp_ge_u32 s1, s11
	s_cselect_b32 s12, -1, 0
	s_cmp_ge_u32 s0, s10
	s_cselect_b32 s10, -1, 0
	s_cmp_eq_u32 s1, s11
	s_cselect_b32 s10, s10, s12
	s_cmp_lg_u32 s10, 0
	s_cselect_b32 s1, s44, s1
	s_cselect_b32 s0, s45, s0
	s_xor_b64 s[0:1], s[0:1], s[2:3]
	s_sub_u32 s0, s0, s2
	s_subb_u32 s1, s1, s2
	s_cbranch_execnz .LBB63_206
.LBB63_205:                             ;   in Loop: Header=BB63_32 Depth=1
	v_cvt_f32_u32_e32 v6, s33
	s_sub_i32 s0, 0, s33
	v_readlane_b32 s2, v63, 20
	v_rcp_iflag_f32_e32 v6, v6
	v_mul_f32_e32 v6, 0x4f7ffffe, v6
	v_cvt_u32_f32_e32 v6, v6
	v_readfirstlane_b32 s1, v6
	s_mul_i32 s0, s0, s1
	s_mul_hi_u32 s0, s1, s0
	s_add_i32 s1, s1, s0
	s_mul_hi_u32 s0, s2, s1
	s_mul_i32 s0, s0, s33
	s_sub_i32 s0, s2, s0
	s_sub_i32 s1, s0, s33
	s_cmp_ge_u32 s0, s33
	s_cselect_b32 s0, s1, s0
	s_sub_i32 s1, s0, s33
	s_cmp_ge_u32 s0, s33
	s_cselect_b32 s46, s1, s0
	s_mov_b64 s[0:1], s[46:47]
.LBB63_206:                             ;   in Loop: Header=BB63_32 Depth=1
	v_readlane_b32 s2, v63, 20
	s_sub_u32 s2, s2, s0
	s_subb_u32 s3, s57, s1
	v_cmp_gt_i64_e32 vcc, s[2:3], v[0:1]
	s_mov_b64 s[12:13], 0
	s_mov_b64 s[10:11], 0
                                        ; implicit-def: $vgpr58
	s_and_saveexec_b64 s[44:45], vcc
	s_cbranch_execz .LBB63_218
; %bb.207:                              ;   in Loop: Header=BB63_32 Depth=1
	v_mov_b32_e32 v6, v12
	v_mov_b32_e32 v9, v1
	;; [unrolled: 1-line block ×4, first 2 shown]
                                        ; implicit-def: $sgpr60_sgpr61
	s_branch .LBB63_211
.LBB63_208:                             ;   in Loop: Header=BB63_211 Depth=2
	s_or_b64 exec, exec, s[0:1]
	s_waitcnt lgkmcnt(0)
	s_barrier
	ds_read_b32 v10, v3 offset:3072
	s_waitcnt lgkmcnt(0)
	s_barrier
	v_cmp_neq_f16_e32 vcc, 0, v10
	s_cbranch_vccnz .LBB63_214
; %bb.209:                              ;   in Loop: Header=BB63_211 Depth=2
	v_add_co_u32_e32 v8, vcc, s33, v8
	v_addc_co_u32_e32 v9, vcc, 0, v9, vcc
	v_mov_b32_e32 v11, s51
	v_add_co_u32_e32 v6, vcc, s50, v6
	v_addc_co_u32_e32 v7, vcc, v7, v11, vcc
	v_cmp_le_i64_e32 vcc, s[2:3], v[8:9]
	s_mov_b64 s[0:1], 0
	s_orn2_b64 s[62:63], vcc, exec
.LBB63_210:                             ;   in Loop: Header=BB63_211 Depth=2
	s_and_b64 s[62:63], exec, s[62:63]
	s_or_b64 s[10:11], s[62:63], s[10:11]
	s_andn2_b64 s[60:61], s[60:61], exec
	s_and_b64 s[0:1], s[0:1], exec
	s_or_b64 s[60:61], s[60:61], s[0:1]
	s_andn2_b64 exec, exec, s[10:11]
	s_cbranch_execz .LBB63_217
.LBB63_211:                             ;   Parent Loop BB63_32 Depth=1
                                        ; =>  This Inner Loop Header: Depth=2
	v_cmp_gt_i64_e32 vcc, s[24:25], v[8:9]
	s_and_saveexec_b64 s[0:1], vcc
	s_cbranch_execz .LBB63_208
; %bb.212:                              ;   in Loop: Header=BB63_211 Depth=2
	global_load_ushort v10, v[6:7], off
	s_waitcnt vmcnt(0)
	v_cmp_lt_i16_e32 vcc, -1, v10
	v_cndmask_b32_e32 v11, v53, v54, vcc
	v_xor_b32_sdwa v11, v11, v10 dst_sel:DWORD dst_unused:UNUSED_PAD src0_sel:DWORD src1_sel:WORD_0
	v_cmp_o_f16_e32 vcc, v10, v10
	v_cndmask_b32_e32 v11, v53, v11, vcc
	v_and_b32_e32 v11, v11, v57
	v_cmp_eq_u32_e32 vcc, v11, v50
	s_and_b64 exec, exec, vcc
	s_cbranch_execz .LBB63_208
; %bb.213:                              ;   in Loop: Header=BB63_211 Depth=2
	v_perm_b32 v10, v10, s69, v56
	ds_write_b32 v3, v10 offset:3072
	s_branch .LBB63_208
.LBB63_214:                             ;   in Loop: Header=BB63_211 Depth=2
	s_mov_b64 s[62:63], -1
                                        ; implicit-def: $vgpr8_vgpr9
                                        ; implicit-def: $vgpr6_vgpr7
	s_mov_b64 s[0:1], -1
	s_branch .LBB63_210
.LBB63_215:                             ;   in Loop: Header=BB63_32 Depth=1
                                        ; implicit-def: $sgpr0_sgpr1
	s_branch .LBB63_157
.LBB63_216:                             ;   in Loop: Header=BB63_32 Depth=1
                                        ; implicit-def: $sgpr0_sgpr1
	s_branch .LBB63_174
.LBB63_217:                             ;   in Loop: Header=BB63_32 Depth=1
	s_or_b64 exec, exec, s[10:11]
	v_lshrrev_b32_e32 v58, 16, v10
	s_and_b64 s[10:11], s[60:61], exec
.LBB63_218:                             ;   in Loop: Header=BB63_32 Depth=1
	s_or_b64 exec, exec, s[44:45]
.LBB63_219:                             ;   in Loop: Header=BB63_32 Depth=1
	s_and_b64 vcc, exec, s[12:13]
	s_cbranch_vccz .LBB63_234
; %bb.220:                              ;   in Loop: Header=BB63_32 Depth=1
	s_add_u32 s56, s36, s65
	v_readlane_b32 s0, v63, 21
	s_addc_u32 s13, s37, s0
	s_mov_b32 s12, s47
	s_mov_b32 s95, s65
	s_cmp_lg_u64 s[12:13], 0
	s_cbranch_scc0 .LBB63_263
; %bb.221:                              ;   in Loop: Header=BB63_32 Depth=1
	s_add_u32 s0, s33, 0
	s_addc_u32 s1, 0, 0
	s_xor_b64 s[44:45], s[0:1], 0
	v_cvt_f32_u32_e32 v6, s44
	v_cvt_f32_u32_e32 v7, s45
	s_sub_u32 s2, 0, s44
	s_subb_u32 s3, 0, s45
	v_mac_f32_e32 v6, 0x4f800000, v7
	v_rcp_f32_e32 v6, v6
	v_mul_f32_e32 v6, 0x5f7ffffc, v6
	v_mul_f32_e32 v7, 0x2f800000, v6
	v_trunc_f32_e32 v7, v7
	v_mac_f32_e32 v6, 0xcf800000, v7
	v_cvt_u32_f32_e32 v7, v7
	v_cvt_u32_f32_e32 v6, v6
	v_readfirstlane_b32 s12, v7
	v_readfirstlane_b32 s0, v6
	s_mul_i32 s1, s2, s12
	s_mul_hi_u32 s60, s2, s0
	s_mul_i32 s46, s3, s0
	s_add_i32 s1, s60, s1
	s_mul_i32 s61, s2, s0
	s_add_i32 s1, s1, s46
	s_mul_i32 s60, s0, s1
	s_mul_hi_u32 s62, s0, s61
	s_mul_hi_u32 s46, s0, s1
	s_add_u32 s60, s62, s60
	s_addc_u32 s46, 0, s46
	s_mul_hi_u32 s63, s12, s61
	s_mul_i32 s61, s12, s61
	s_add_u32 s60, s60, s61
	s_mul_hi_u32 s62, s12, s1
	s_addc_u32 s46, s46, s63
	s_addc_u32 s60, s62, 0
	s_mul_i32 s1, s12, s1
	s_add_u32 s1, s46, s1
	s_addc_u32 s46, 0, s60
	s_add_u32 s60, s0, s1
	s_cselect_b64 s[0:1], -1, 0
	s_cmp_lg_u64 s[0:1], 0
	s_addc_u32 s12, s12, s46
	s_mul_i32 s0, s2, s12
	s_mul_hi_u32 s1, s2, s60
	s_add_i32 s0, s1, s0
	s_mul_i32 s3, s3, s60
	s_add_i32 s0, s0, s3
	s_mul_i32 s2, s2, s60
	s_mul_hi_u32 s3, s12, s2
	s_mul_i32 s46, s12, s2
	s_mul_i32 s62, s60, s0
	s_mul_hi_u32 s2, s60, s2
	s_mul_hi_u32 s61, s60, s0
	s_add_u32 s2, s2, s62
	s_addc_u32 s61, 0, s61
	s_add_u32 s2, s2, s46
	s_mul_hi_u32 s1, s12, s0
	s_addc_u32 s2, s61, s3
	s_addc_u32 s1, s1, 0
	s_mul_i32 s0, s12, s0
	s_add_u32 s0, s2, s0
	s_addc_u32 s2, 0, s1
	s_add_u32 s46, s60, s0
	s_cselect_b64 s[0:1], -1, 0
	s_cmp_lg_u64 s[0:1], 0
	s_addc_u32 s12, s12, s2
	s_ashr_i32 s2, s13, 31
	s_add_u32 s0, s56, s2
	s_mov_b32 s3, s2
	s_addc_u32 s1, s13, s2
	s_xor_b64 s[0:1], s[0:1], s[2:3]
	s_mul_i32 s61, s0, s12
	s_mul_hi_u32 s62, s0, s46
	s_mul_hi_u32 s60, s0, s12
	s_add_u32 s61, s62, s61
	s_addc_u32 s60, 0, s60
	s_mul_hi_u32 s63, s1, s46
	s_mul_i32 s46, s1, s46
	s_add_u32 s46, s61, s46
	s_mul_hi_u32 s62, s1, s12
	s_addc_u32 s46, s60, s63
	s_addc_u32 s60, s62, 0
	s_mul_i32 s12, s1, s12
	s_add_u32 s12, s46, s12
	s_addc_u32 s46, 0, s60
	s_mul_i32 s46, s44, s46
	s_mul_hi_u32 s60, s44, s12
	s_add_i32 s46, s60, s46
	s_mul_i32 s60, s45, s12
	s_add_i32 s46, s46, s60
	s_sub_i32 s62, s1, s46
	s_mul_i32 s12, s44, s12
	s_sub_u32 s0, s0, s12
	s_cselect_b64 s[60:61], -1, 0
	s_cmp_lg_u64 s[60:61], 0
	s_subb_u32 s12, s62, s45
	s_sub_u32 s65, s0, s44
	s_cselect_b64 s[62:63], -1, 0
	s_cmp_lg_u64 s[62:63], 0
	s_subb_u32 s92, s12, 0
	s_cmp_ge_u32 s92, s45
	s_cselect_b32 s93, -1, 0
	s_cmp_ge_u32 s65, s44
	s_cselect_b32 s94, -1, 0
	s_cmp_eq_u32 s92, s45
	s_cselect_b32 s93, s94, s93
	s_cmp_lg_u64 s[62:63], 0
	s_subb_u32 s12, s12, s45
	s_sub_u32 s94, s65, s44
	s_cselect_b64 s[62:63], -1, 0
	s_cmp_lg_u64 s[62:63], 0
	s_subb_u32 s12, s12, 0
	s_cmp_lg_u32 s93, 0
	s_cselect_b32 s62, s94, s65
	s_cselect_b32 s12, s12, s92
	s_cmp_lg_u64 s[60:61], 0
	s_subb_u32 s1, s1, s46
	s_cmp_ge_u32 s1, s45
	s_cselect_b32 s46, -1, 0
	s_cmp_ge_u32 s0, s44
	s_cselect_b32 s44, -1, 0
	s_cmp_eq_u32 s1, s45
	s_cselect_b32 s44, s44, s46
	s_cmp_lg_u32 s44, 0
	s_cselect_b32 s1, s12, s1
	s_cselect_b32 s0, s62, s0
	s_xor_b64 s[0:1], s[0:1], s[2:3]
	s_sub_u32 s0, s0, s2
	s_subb_u32 s1, s1, s2
	s_cbranch_execnz .LBB63_223
.LBB63_222:                             ;   in Loop: Header=BB63_32 Depth=1
	v_cvt_f32_u32_e32 v6, s33
	s_sub_i32 s0, 0, s33
	v_rcp_iflag_f32_e32 v6, v6
	v_mul_f32_e32 v6, 0x4f7ffffe, v6
	v_cvt_u32_f32_e32 v6, v6
	v_readfirstlane_b32 s1, v6
	s_mul_i32 s0, s0, s1
	s_mul_hi_u32 s0, s1, s0
	s_add_i32 s1, s1, s0
	s_mul_hi_u32 s0, s56, s1
	s_mul_i32 s0, s0, s33
	s_sub_i32 s0, s56, s0
	s_sub_i32 s1, s0, s33
	s_cmp_ge_u32 s0, s33
	s_cselect_b32 s0, s1, s0
	s_sub_i32 s1, s0, s33
	s_cmp_ge_u32 s0, s33
	s_cselect_b32 s46, s1, s0
	s_mov_b64 s[0:1], s[46:47]
.LBB63_223:                             ;   in Loop: Header=BB63_32 Depth=1
	s_sub_u32 s12, s56, s0
	s_subb_u32 s13, s13, s1
	v_cmp_gt_i64_e32 vcc, s[12:13], v[0:1]
                                        ; implicit-def: $vgpr58
	s_and_saveexec_b64 s[2:3], vcc
	s_mov_b32 s65, s95
	s_cbranch_execz .LBB63_233
; %bb.224:                              ;   in Loop: Header=BB63_32 Depth=1
	v_mov_b32_e32 v7, v1
	s_mov_b64 s[0:1], 0
	v_mov_b32_e32 v8, v51
	v_mov_b32_e32 v6, v0
                                        ; implicit-def: $sgpr44_sgpr45
	s_branch .LBB63_228
.LBB63_225:                             ;   in Loop: Header=BB63_228 Depth=2
	s_or_b64 exec, exec, s[60:61]
	s_waitcnt lgkmcnt(0)
	s_barrier
	ds_read_b32 v9, v3 offset:3072
	s_waitcnt lgkmcnt(0)
	s_barrier
	v_cmp_eq_f16_e32 vcc, 0, v9
	s_cbranch_vccz .LBB63_231
; %bb.226:                              ;   in Loop: Header=BB63_228 Depth=2
	v_add_co_u32_e32 v6, vcc, s33, v6
	v_addc_co_u32_e32 v7, vcc, 0, v7, vcc
	v_cmp_le_i64_e32 vcc, s[12:13], v[6:7]
	v_add_u32_e32 v8, s68, v8
	s_mov_b64 s[60:61], 0
	s_orn2_b64 s[62:63], vcc, exec
.LBB63_227:                             ;   in Loop: Header=BB63_228 Depth=2
	s_and_b64 s[62:63], exec, s[62:63]
	s_or_b64 s[0:1], s[62:63], s[0:1]
	s_andn2_b64 s[44:45], s[44:45], exec
	s_and_b64 s[60:61], s[60:61], exec
	s_or_b64 s[44:45], s[44:45], s[60:61]
	s_andn2_b64 exec, exec, s[0:1]
	s_cbranch_execz .LBB63_232
.LBB63_228:                             ;   Parent Loop BB63_32 Depth=1
                                        ; =>  This Inner Loop Header: Depth=2
	v_cmp_gt_u64_e32 vcc, s[36:37], v[6:7]
	s_and_saveexec_b64 s[60:61], vcc
	s_cbranch_execz .LBB63_225
; %bb.229:                              ;   in Loop: Header=BB63_228 Depth=2
	ds_read_u16 v9, v8
	s_waitcnt lgkmcnt(0)
	v_cmp_lt_i16_e32 vcc, -1, v9
	v_cndmask_b32_e32 v10, v53, v54, vcc
	v_xor_b32_sdwa v10, v10, v9 dst_sel:DWORD dst_unused:UNUSED_PAD src0_sel:DWORD src1_sel:WORD_0
	v_cmp_o_f16_e32 vcc, v9, v9
	v_cndmask_b32_e32 v10, v53, v10, vcc
	v_and_b32_e32 v10, v10, v57
	v_cmp_eq_u32_e32 vcc, v10, v50
	s_and_b64 exec, exec, vcc
	s_cbranch_execz .LBB63_225
; %bb.230:                              ;   in Loop: Header=BB63_228 Depth=2
	v_perm_b32 v9, v9, s69, v56
	ds_write_b32 v3, v9 offset:3072
	s_branch .LBB63_225
.LBB63_231:                             ;   in Loop: Header=BB63_228 Depth=2
	s_mov_b64 s[62:63], -1
                                        ; implicit-def: $vgpr6_vgpr7
                                        ; implicit-def: $vgpr8
	s_mov_b64 s[60:61], -1
	s_branch .LBB63_227
.LBB63_232:                             ;   in Loop: Header=BB63_32 Depth=1
	s_or_b64 exec, exec, s[0:1]
	s_andn2_b64 s[0:1], s[10:11], exec
	s_and_b64 s[10:11], s[44:45], exec
	v_lshrrev_b32_e32 v58, 16, v9
	s_or_b64 s[10:11], s[0:1], s[10:11]
.LBB63_233:                             ;   in Loop: Header=BB63_32 Depth=1
	s_or_b64 exec, exec, s[2:3]
	s_mov_b64 s[92:93], 0
	s_mov_b64 s[94:95], -1
.LBB63_234:                             ;   in Loop: Header=BB63_32 Depth=1
	s_orn2_b64 s[0:1], s[10:11], exec
.LBB63_235:                             ;   in Loop: Header=BB63_32 Depth=1
	s_or_b64 exec, exec, s[40:41]
	s_mov_b64 s[2:3], 0
	s_and_saveexec_b64 s[40:41], s[0:1]
	s_cbranch_execz .LBB63_295
; %bb.236:                              ;   in Loop: Header=BB63_32 Depth=1
	v_mov_b32_e32 v6, 1
	s_xor_b64 s[0:1], s[42:43], -1
	v_mov_b32_e32 v2, 1
	v_mov_b32_e32 v7, 0
	s_and_saveexec_b64 s[10:11], s[0:1]
	s_cbranch_execz .LBB63_245
; %bb.237:                              ;   in Loop: Header=BB63_32 Depth=1
	v_cmp_ge_i64_e32 vcc, s[84:85], v[4:5]
	s_and_saveexec_b64 s[0:1], vcc
	s_xor_b64 s[0:1], exec, s[0:1]
	s_cbranch_execz .LBB63_242
; %bb.238:                              ;   in Loop: Header=BB63_32 Depth=1
	ds_read_b64 v[6:7], v3 offset:5120
	v_and_b32_e32 v2, s64, v50
	v_lshl_or_b32 v50, 2, s54, v2
	v_or_b32_e32 v57, s53, v57
	s_waitcnt lgkmcnt(0)
	v_cmp_ne_u64_e32 vcc, 0, v[6:7]
	s_cbranch_vccnz .LBB63_242
; %bb.239:                              ;   in Loop: Header=BB63_32 Depth=1
	s_mov_b64 s[2:3], exec
	v_readlane_b32 s12, v63, 8
	v_readlane_b32 s13, v63, 9
	s_and_b64 s[12:13], s[2:3], s[12:13]
	s_mov_b64 exec, s[12:13]
; %bb.240:                              ;   in Loop: Header=BB63_32 Depth=1
	v_mov_b32_e32 v6, s84
	v_mov_b32_e32 v7, s85
	ds_write_b64 v3, v[6:7] offset:5128
; %bb.241:                              ;   in Loop: Header=BB63_32 Depth=1
	s_or_b64 exec, exec, s[2:3]
	s_waitcnt lgkmcnt(0)
	s_barrier
.LBB63_242:                             ;   in Loop: Header=BB63_32 Depth=1
	s_or_saveexec_b64 s[0:1], s[0:1]
	s_mov_b64 s[2:3], 0
	v_mov_b32_e32 v2, 8
	s_xor_b64 exec, exec, s[0:1]
; %bb.243:                              ;   in Loop: Header=BB63_32 Depth=1
	v_subrev_co_u32_e32 v4, vcc, s84, v4
	v_mov_b32_e32 v2, s85
	v_subb_co_u32_e32 v5, vcc, v5, v2, vcc
	v_mov_b32_e32 v2, 0
	s_mov_b64 s[2:3], exec
; %bb.244:                              ;   in Loop: Header=BB63_32 Depth=1
	s_or_b64 exec, exec, s[0:1]
	v_mov_b32_e32 v7, v5
	s_and_b64 s[2:3], s[2:3], exec
	v_mov_b32_e32 v6, v4
.LBB63_245:                             ;   in Loop: Header=BB63_32 Depth=1
	s_or_b64 exec, exec, s[10:11]
	s_mov_b64 s[0:1], -1
                                        ; implicit-def: $sgpr10_sgpr11
                                        ; implicit-def: $sgpr12_sgpr13
	s_and_saveexec_b64 s[42:43], s[2:3]
	s_cbranch_execz .LBB63_294
; %bb.246:                              ;   in Loop: Header=BB63_32 Depth=1
	s_cmp_eq_u64 s[14:15], 1
	v_cmp_eq_u64_e32 vcc, 1, v[6:7]
	s_cselect_b64 s[0:1], -1, 0
	s_and_b64 s[2:3], s[0:1], vcc
	s_mov_b64 s[0:1], -1
                                        ; implicit-def: $sgpr10_sgpr11
                                        ; implicit-def: $sgpr12_sgpr13
	s_mov_b64 s[36:37], exec
	v_writelane_b32 v63, s2, 35
	v_writelane_b32 v63, s3, 36
	s_and_b64 s[2:3], s[36:37], s[2:3]
	s_mov_b64 exec, s[2:3]
	s_cbranch_execz .LBB63_282
; %bb.247:                              ;   in Loop: Header=BB63_32 Depth=1
	ds_read_b64 v[4:5], v3 offset:5120
	s_waitcnt lgkmcnt(0)
	s_barrier
	v_readfirstlane_b32 s44, v4
	v_readfirstlane_b32 s45, v5
	s_mov_b64 s[0:1], exec
	v_readlane_b32 s2, v63, 12
	v_readlane_b32 s3, v63, 13
	s_and_b64 s[2:3], s[0:1], s[2:3]
	s_mov_b64 exec, s[2:3]
; %bb.248:                              ;   in Loop: Header=BB63_32 Depth=1
	ds_write_b16 v52, v3
; %bb.249:                              ;   in Loop: Header=BB63_32 Depth=1
	s_or_b64 exec, exec, s[0:1]
	v_cmp_gt_i64_e64 s[0:1], s[44:45], 0
	v_or_b32_e32 v50, s53, v50
	v_or_b32_e32 v57, s53, v57
	s_mov_b64 s[12:13], -1
	s_mov_b64 s[10:11], 0
	s_and_b64 vcc, exec, s[0:1]
	s_mov_b64 s[60:61], 0
	s_mov_b64 s[62:63], -1
	v_writelane_b32 v63, s65, 37
	s_waitcnt lgkmcnt(0)
	s_barrier
                                        ; implicit-def: $vgpr58
	s_cbranch_vccnz .LBB63_266
; %bb.250:                              ;   in Loop: Header=BB63_32 Depth=1
	s_mov_b32 s56, s47
	s_cmp_lg_u64 s[56:57], 0
	s_cbranch_scc0 .LBB63_301
; %bb.251:                              ;   in Loop: Header=BB63_32 Depth=1
	s_add_u32 s0, s33, 0
	s_addc_u32 s1, 0, 0
	s_xor_b64 s[60:61], s[0:1], 0
	v_cvt_f32_u32_e32 v4, s60
	v_cvt_f32_u32_e32 v5, s61
	s_sub_u32 s2, 0, s60
	s_subb_u32 s3, 0, s61
	v_mac_f32_e32 v4, 0x4f800000, v5
	v_rcp_f32_e32 v4, v4
	v_mul_f32_e32 v4, 0x5f7ffffc, v4
	v_mul_f32_e32 v5, 0x2f800000, v4
	v_trunc_f32_e32 v5, v5
	v_mac_f32_e32 v4, 0xcf800000, v5
	v_cvt_u32_f32_e32 v5, v5
	v_cvt_u32_f32_e32 v4, v4
	v_readfirstlane_b32 s46, v5
	v_readfirstlane_b32 s0, v4
	s_mul_i32 s1, s2, s46
	s_mul_hi_u32 s62, s2, s0
	s_mul_i32 s56, s3, s0
	s_add_i32 s1, s62, s1
	s_mul_i32 s63, s2, s0
	s_add_i32 s1, s1, s56
	s_mul_i32 s62, s0, s1
	s_mul_hi_u32 s64, s0, s63
	s_mul_hi_u32 s56, s0, s1
	s_add_u32 s62, s64, s62
	s_addc_u32 s56, 0, s56
	s_mul_hi_u32 s65, s46, s63
	s_mul_i32 s63, s46, s63
	s_add_u32 s62, s62, s63
	s_mul_hi_u32 s64, s46, s1
	s_addc_u32 s56, s56, s65
	s_addc_u32 s62, s64, 0
	s_mul_i32 s1, s46, s1
	s_add_u32 s1, s56, s1
	s_addc_u32 s56, 0, s62
	s_add_u32 s62, s0, s1
	s_cselect_b64 s[0:1], -1, 0
	s_cmp_lg_u64 s[0:1], 0
	s_addc_u32 s46, s46, s56
	s_mul_i32 s0, s2, s46
	s_mul_hi_u32 s1, s2, s62
	s_add_i32 s0, s1, s0
	s_mul_i32 s3, s3, s62
	s_add_i32 s0, s0, s3
	s_mul_i32 s2, s2, s62
	s_mul_hi_u32 s3, s46, s2
	s_mul_i32 s56, s46, s2
	s_mul_i32 s64, s62, s0
	s_mul_hi_u32 s2, s62, s2
	s_mul_hi_u32 s63, s62, s0
	s_add_u32 s2, s2, s64
	s_addc_u32 s63, 0, s63
	s_add_u32 s2, s2, s56
	s_mul_hi_u32 s1, s46, s0
	s_addc_u32 s2, s63, s3
	s_addc_u32 s1, s1, 0
	s_mul_i32 s0, s46, s0
	s_add_u32 s0, s2, s0
	s_addc_u32 s2, 0, s1
	s_add_u32 s56, s62, s0
	s_cselect_b64 s[0:1], -1, 0
	s_cmp_lg_u64 s[0:1], 0
	s_addc_u32 s46, s46, s2
	s_ashr_i32 s2, s57, 31
	v_readlane_b32 s0, v63, 20
	s_add_u32 s0, s0, s2
	s_mov_b32 s3, s2
	s_addc_u32 s1, s57, s2
	s_xor_b64 s[0:1], s[0:1], s[2:3]
	s_mul_i32 s63, s0, s46
	s_mul_hi_u32 s64, s0, s56
	s_mul_hi_u32 s62, s0, s46
	s_add_u32 s63, s64, s63
	s_addc_u32 s62, 0, s62
	s_mul_hi_u32 s65, s1, s56
	s_mul_i32 s56, s1, s56
	s_add_u32 s56, s63, s56
	s_mul_hi_u32 s64, s1, s46
	s_addc_u32 s56, s62, s65
	s_addc_u32 s62, s64, 0
	s_mul_i32 s46, s1, s46
	s_add_u32 s46, s56, s46
	s_addc_u32 s56, 0, s62
	s_mul_i32 s56, s60, s56
	s_mul_hi_u32 s62, s60, s46
	s_add_i32 s56, s62, s56
	s_mul_i32 s62, s61, s46
	s_add_i32 s56, s56, s62
	s_sub_i32 s64, s1, s56
	s_mul_i32 s46, s60, s46
	s_sub_u32 s0, s0, s46
	s_cselect_b64 s[62:63], -1, 0
	s_cmp_lg_u64 s[62:63], 0
	s_subb_u32 s46, s64, s61
	s_sub_u32 s84, s0, s60
	s_cselect_b64 s[64:65], -1, 0
	s_cmp_lg_u64 s[64:65], 0
	s_subb_u32 s85, s46, 0
	s_cmp_ge_u32 s85, s61
	s_cselect_b32 vcc_lo, -1, 0
	s_cmp_ge_u32 s84, s60
	s_cselect_b32 vcc_hi, -1, 0
	s_cmp_eq_u32 s85, s61
	s_cselect_b32 vcc_lo, vcc_hi, vcc_lo
	s_cmp_lg_u64 s[64:65], 0
	s_subb_u32 s46, s46, s61
	s_sub_u32 vcc_hi, s84, s60
	s_cselect_b64 s[64:65], -1, 0
	s_cmp_lg_u64 s[64:65], 0
	s_subb_u32 s46, s46, 0
	s_cmp_lg_u32 vcc_lo, 0
	s_cselect_b32 s64, vcc_hi, s84
	s_cselect_b32 s46, s46, s85
	s_cmp_lg_u64 s[62:63], 0
	s_subb_u32 s1, s1, s56
	s_cmp_ge_u32 s1, s61
	s_cselect_b32 s56, -1, 0
	s_cmp_ge_u32 s0, s60
	s_cselect_b32 s60, -1, 0
	s_cmp_eq_u32 s1, s61
	s_cselect_b32 s56, s60, s56
	s_cmp_lg_u32 s56, 0
	s_cselect_b32 s1, s46, s1
	s_cselect_b32 s0, s64, s0
	s_xor_b64 s[0:1], s[0:1], s[2:3]
	s_sub_u32 s0, s0, s2
	s_subb_u32 s1, s1, s2
	s_cbranch_execnz .LBB63_253
.LBB63_252:                             ;   in Loop: Header=BB63_32 Depth=1
	v_cvt_f32_u32_e32 v4, s33
	s_sub_i32 s0, 0, s33
	v_readlane_b32 s2, v63, 20
	v_rcp_iflag_f32_e32 v4, v4
	v_mul_f32_e32 v4, 0x4f7ffffe, v4
	v_cvt_u32_f32_e32 v4, v4
	v_readfirstlane_b32 s1, v4
	s_mul_i32 s0, s0, s1
	s_mul_hi_u32 s0, s1, s0
	s_add_i32 s1, s1, s0
	s_mul_hi_u32 s0, s2, s1
	s_mul_i32 s0, s0, s33
	s_sub_i32 s0, s2, s0
	s_sub_i32 s1, s0, s33
	s_cmp_ge_u32 s0, s33
	s_cselect_b32 s0, s1, s0
	s_sub_i32 s1, s0, s33
	s_cmp_ge_u32 s0, s33
	s_cselect_b32 s46, s1, s0
	s_mov_b64 s[0:1], s[46:47]
.LBB63_253:                             ;   in Loop: Header=BB63_32 Depth=1
	v_readlane_b32 s2, v63, 20
	s_sub_u32 s84, s2, s0
	s_subb_u32 s85, s57, s1
	v_cmp_gt_i64_e32 vcc, s[84:85], v[0:1]
	s_mov_b64 s[62:63], 0
	s_mov_b64 s[60:61], 0
                                        ; implicit-def: $vgpr58
	s_and_saveexec_b64 s[2:3], vcc
	s_cbranch_execz .LBB63_265
; %bb.254:                              ;   in Loop: Header=BB63_32 Depth=1
	v_mov_b32_e32 v4, v12
	v_mov_b32_e32 v9, v1
	;; [unrolled: 1-line block ×4, first 2 shown]
                                        ; implicit-def: $sgpr0_sgpr1
	s_branch .LBB63_258
.LBB63_255:                             ;   in Loop: Header=BB63_258 Depth=2
	s_or_b64 exec, exec, s[64:65]
	s_waitcnt lgkmcnt(0)
	s_barrier
	ds_read_b32 v10, v3 offset:3072
	s_waitcnt lgkmcnt(0)
	s_barrier
	v_cmp_neq_f16_e32 vcc, 0, v10
	s_cbranch_vccnz .LBB63_261
; %bb.256:                              ;   in Loop: Header=BB63_258 Depth=2
	v_add_co_u32_e32 v8, vcc, s33, v8
	v_addc_co_u32_e32 v9, vcc, 0, v9, vcc
	v_mov_b32_e32 v11, s51
	v_add_co_u32_e32 v4, vcc, s50, v4
	v_addc_co_u32_e32 v5, vcc, v5, v11, vcc
	v_cmp_le_i64_e32 vcc, s[84:85], v[8:9]
	s_mov_b64 s[64:65], 0
	s_orn2_b64 vcc, vcc, exec
.LBB63_257:                             ;   in Loop: Header=BB63_258 Depth=2
	s_and_b64 vcc, exec, vcc
	s_or_b64 s[60:61], vcc, s[60:61]
	s_andn2_b64 s[0:1], s[0:1], exec
	s_and_b64 s[64:65], s[64:65], exec
	s_or_b64 s[0:1], s[0:1], s[64:65]
	s_andn2_b64 exec, exec, s[60:61]
	s_cbranch_execz .LBB63_264
.LBB63_258:                             ;   Parent Loop BB63_32 Depth=1
                                        ; =>  This Inner Loop Header: Depth=2
	v_cmp_gt_i64_e32 vcc, s[24:25], v[8:9]
	s_and_saveexec_b64 s[64:65], vcc
	s_cbranch_execz .LBB63_255
; %bb.259:                              ;   in Loop: Header=BB63_258 Depth=2
	global_load_ushort v10, v[4:5], off
	s_waitcnt vmcnt(0)
	v_cmp_lt_i16_e32 vcc, -1, v10
	v_cndmask_b32_e32 v11, v53, v54, vcc
	v_xor_b32_sdwa v11, v11, v10 dst_sel:DWORD dst_unused:UNUSED_PAD src0_sel:DWORD src1_sel:WORD_0
	v_cmp_o_f16_e32 vcc, v10, v10
	v_cndmask_b32_e32 v11, v53, v11, vcc
	v_and_b32_e32 v11, v11, v57
	v_cmp_eq_u32_e32 vcc, v11, v50
	s_and_b64 exec, exec, vcc
	s_cbranch_execz .LBB63_255
; %bb.260:                              ;   in Loop: Header=BB63_258 Depth=2
	v_perm_b32 v10, v10, s69, v56
	ds_write_b32 v3, v10 offset:3072
	s_branch .LBB63_255
.LBB63_261:                             ;   in Loop: Header=BB63_258 Depth=2
	s_mov_b64 vcc, -1
                                        ; implicit-def: $vgpr8_vgpr9
                                        ; implicit-def: $vgpr4_vgpr5
	s_mov_b64 s[64:65], -1
	s_branch .LBB63_257
.LBB63_262:                             ;   in Loop: Header=BB63_32 Depth=1
                                        ; implicit-def: $sgpr0_sgpr1
	s_branch .LBB63_205
.LBB63_263:                             ;   in Loop: Header=BB63_32 Depth=1
                                        ; implicit-def: $sgpr0_sgpr1
	s_branch .LBB63_222
.LBB63_264:                             ;   in Loop: Header=BB63_32 Depth=1
	s_or_b64 exec, exec, s[60:61]
	v_lshrrev_b32_e32 v58, 16, v10
	s_and_b64 s[60:61], s[0:1], exec
.LBB63_265:                             ;   in Loop: Header=BB63_32 Depth=1
	s_or_b64 exec, exec, s[2:3]
	v_readlane_b32 s65, v63, 37
.LBB63_266:                             ;   in Loop: Header=BB63_32 Depth=1
	s_and_b64 vcc, exec, s[62:63]
	s_cbranch_vccz .LBB63_281
; %bb.267:                              ;   in Loop: Header=BB63_32 Depth=1
	s_add_u32 s56, s44, s65
	v_readlane_b32 s0, v63, 21
	s_addc_u32 s11, s45, s0
	s_mov_b32 s10, s47
	s_cmp_lg_u64 s[10:11], 0
	s_cbranch_scc0 .LBB63_302
; %bb.268:                              ;   in Loop: Header=BB63_32 Depth=1
	s_add_u32 s0, s33, 0
	s_addc_u32 s1, 0, 0
	s_xor_b64 s[12:13], s[0:1], 0
	v_cvt_f32_u32_e32 v4, s12
	v_cvt_f32_u32_e32 v5, s13
	s_sub_u32 s2, 0, s12
	s_subb_u32 s3, 0, s13
	v_mac_f32_e32 v4, 0x4f800000, v5
	v_rcp_f32_e32 v4, v4
	v_mul_f32_e32 v4, 0x5f7ffffc, v4
	v_mul_f32_e32 v5, 0x2f800000, v4
	v_trunc_f32_e32 v5, v5
	v_mac_f32_e32 v4, 0xcf800000, v5
	v_cvt_u32_f32_e32 v5, v5
	v_cvt_u32_f32_e32 v4, v4
	v_readfirstlane_b32 s10, v5
	v_readfirstlane_b32 s0, v4
	s_mul_i32 s1, s2, s10
	s_mul_hi_u32 s62, s2, s0
	s_mul_i32 s46, s3, s0
	s_add_i32 s1, s62, s1
	s_mul_i32 s63, s2, s0
	s_add_i32 s1, s1, s46
	s_mul_i32 s62, s0, s1
	s_mul_hi_u32 s64, s0, s63
	s_mul_hi_u32 s46, s0, s1
	s_add_u32 s62, s64, s62
	s_addc_u32 s46, 0, s46
	s_mul_hi_u32 s65, s10, s63
	s_mul_i32 s63, s10, s63
	s_add_u32 s62, s62, s63
	s_mul_hi_u32 s64, s10, s1
	s_addc_u32 s46, s46, s65
	s_addc_u32 s62, s64, 0
	s_mul_i32 s1, s10, s1
	s_add_u32 s1, s46, s1
	s_addc_u32 s46, 0, s62
	s_add_u32 s62, s0, s1
	s_cselect_b64 s[0:1], -1, 0
	s_cmp_lg_u64 s[0:1], 0
	s_addc_u32 s10, s10, s46
	s_mul_i32 s0, s2, s10
	s_mul_hi_u32 s1, s2, s62
	s_add_i32 s0, s1, s0
	s_mul_i32 s3, s3, s62
	s_add_i32 s0, s0, s3
	s_mul_i32 s2, s2, s62
	s_mul_hi_u32 s3, s10, s2
	s_mul_i32 s46, s10, s2
	s_mul_i32 s64, s62, s0
	s_mul_hi_u32 s2, s62, s2
	s_mul_hi_u32 s63, s62, s0
	s_add_u32 s2, s2, s64
	s_addc_u32 s63, 0, s63
	s_add_u32 s2, s2, s46
	s_mul_hi_u32 s1, s10, s0
	s_addc_u32 s2, s63, s3
	s_addc_u32 s1, s1, 0
	s_mul_i32 s0, s10, s0
	s_add_u32 s0, s2, s0
	s_addc_u32 s2, 0, s1
	s_add_u32 s46, s62, s0
	s_cselect_b64 s[0:1], -1, 0
	s_cmp_lg_u64 s[0:1], 0
	s_addc_u32 s10, s10, s2
	s_ashr_i32 s2, s11, 31
	s_add_u32 s0, s56, s2
	s_mov_b32 s3, s2
	s_addc_u32 s1, s11, s2
	s_xor_b64 s[0:1], s[0:1], s[2:3]
	s_mul_i32 s63, s0, s10
	s_mul_hi_u32 s64, s0, s46
	s_mul_hi_u32 s62, s0, s10
	s_add_u32 s63, s64, s63
	s_addc_u32 s62, 0, s62
	s_mul_hi_u32 s65, s1, s46
	s_mul_i32 s46, s1, s46
	s_add_u32 s46, s63, s46
	s_mul_hi_u32 s64, s1, s10
	s_addc_u32 s46, s62, s65
	s_addc_u32 s62, s64, 0
	s_mul_i32 s10, s1, s10
	s_add_u32 s10, s46, s10
	s_addc_u32 s46, 0, s62
	s_mul_i32 s46, s12, s46
	s_mul_hi_u32 s62, s12, s10
	s_add_i32 s46, s62, s46
	s_mul_i32 s62, s13, s10
	s_add_i32 s46, s46, s62
	s_sub_i32 s64, s1, s46
	s_mul_i32 s10, s12, s10
	s_sub_u32 s0, s0, s10
	s_cselect_b64 s[62:63], -1, 0
	s_cmp_lg_u64 s[62:63], 0
	s_subb_u32 s10, s64, s13
	s_sub_u32 s84, s0, s12
	s_cselect_b64 s[64:65], -1, 0
	s_cmp_lg_u64 s[64:65], 0
	s_subb_u32 s85, s10, 0
	s_cmp_ge_u32 s85, s13
	s_cselect_b32 vcc_lo, -1, 0
	s_cmp_ge_u32 s84, s12
	s_cselect_b32 vcc_hi, -1, 0
	s_cmp_eq_u32 s85, s13
	s_cselect_b32 vcc_lo, vcc_hi, vcc_lo
	s_cmp_lg_u64 s[64:65], 0
	s_subb_u32 s10, s10, s13
	s_sub_u32 vcc_hi, s84, s12
	s_cselect_b64 s[64:65], -1, 0
	s_cmp_lg_u64 s[64:65], 0
	s_subb_u32 s10, s10, 0
	s_cmp_lg_u32 vcc_lo, 0
	s_cselect_b32 s64, vcc_hi, s84
	s_cselect_b32 s10, s10, s85
	s_cmp_lg_u64 s[62:63], 0
	s_subb_u32 s1, s1, s46
	s_cmp_ge_u32 s1, s13
	s_cselect_b32 s46, -1, 0
	s_cmp_ge_u32 s0, s12
	s_cselect_b32 s12, -1, 0
	s_cmp_eq_u32 s1, s13
	s_cselect_b32 s12, s12, s46
	s_cmp_lg_u32 s12, 0
	s_cselect_b32 s1, s10, s1
	s_cselect_b32 s0, s64, s0
	s_xor_b64 s[0:1], s[0:1], s[2:3]
	s_sub_u32 s0, s0, s2
	s_subb_u32 s1, s1, s2
	s_cbranch_execnz .LBB63_270
.LBB63_269:                             ;   in Loop: Header=BB63_32 Depth=1
	v_cvt_f32_u32_e32 v4, s33
	s_sub_i32 s0, 0, s33
	v_rcp_iflag_f32_e32 v4, v4
	v_mul_f32_e32 v4, 0x4f7ffffe, v4
	v_cvt_u32_f32_e32 v4, v4
	v_readfirstlane_b32 s1, v4
	s_mul_i32 s0, s0, s1
	s_mul_hi_u32 s0, s1, s0
	s_add_i32 s1, s1, s0
	s_mul_hi_u32 s0, s56, s1
	s_mul_i32 s0, s0, s33
	s_sub_i32 s0, s56, s0
	s_sub_i32 s1, s0, s33
	s_cmp_ge_u32 s0, s33
	s_cselect_b32 s0, s1, s0
	s_sub_i32 s1, s0, s33
	s_cmp_ge_u32 s0, s33
	s_cselect_b32 s46, s1, s0
	s_mov_b64 s[0:1], s[46:47]
.LBB63_270:                             ;   in Loop: Header=BB63_32 Depth=1
	s_sub_u32 s10, s56, s0
	s_subb_u32 s11, s11, s1
	v_cmp_gt_i64_e32 vcc, s[10:11], v[0:1]
                                        ; implicit-def: $vgpr58
	s_and_saveexec_b64 s[2:3], vcc
	s_cbranch_execz .LBB63_280
; %bb.271:                              ;   in Loop: Header=BB63_32 Depth=1
	v_mov_b32_e32 v5, v1
	s_mov_b64 s[0:1], 0
	v_mov_b32_e32 v8, v51
	v_mov_b32_e32 v4, v0
                                        ; implicit-def: $sgpr12_sgpr13
	s_branch .LBB63_275
.LBB63_272:                             ;   in Loop: Header=BB63_275 Depth=2
	s_or_b64 exec, exec, s[62:63]
	s_waitcnt lgkmcnt(0)
	s_barrier
	ds_read_b32 v9, v3 offset:3072
	s_waitcnt lgkmcnt(0)
	s_barrier
	v_cmp_eq_f16_e32 vcc, 0, v9
	s_cbranch_vccz .LBB63_278
; %bb.273:                              ;   in Loop: Header=BB63_275 Depth=2
	v_add_co_u32_e32 v4, vcc, s33, v4
	v_addc_co_u32_e32 v5, vcc, 0, v5, vcc
	v_cmp_le_i64_e32 vcc, s[10:11], v[4:5]
	v_add_u32_e32 v8, s68, v8
	s_mov_b64 s[62:63], 0
	s_orn2_b64 s[64:65], vcc, exec
.LBB63_274:                             ;   in Loop: Header=BB63_275 Depth=2
	s_and_b64 s[64:65], exec, s[64:65]
	s_or_b64 s[0:1], s[64:65], s[0:1]
	s_andn2_b64 s[12:13], s[12:13], exec
	s_and_b64 s[62:63], s[62:63], exec
	s_or_b64 s[12:13], s[12:13], s[62:63]
	s_andn2_b64 exec, exec, s[0:1]
	s_cbranch_execz .LBB63_279
.LBB63_275:                             ;   Parent Loop BB63_32 Depth=1
                                        ; =>  This Inner Loop Header: Depth=2
	v_cmp_gt_u64_e32 vcc, s[44:45], v[4:5]
	s_and_saveexec_b64 s[62:63], vcc
	s_cbranch_execz .LBB63_272
; %bb.276:                              ;   in Loop: Header=BB63_275 Depth=2
	ds_read_u16 v9, v8
	s_waitcnt lgkmcnt(0)
	v_cmp_lt_i16_e32 vcc, -1, v9
	v_cndmask_b32_e32 v10, v53, v54, vcc
	v_xor_b32_sdwa v10, v10, v9 dst_sel:DWORD dst_unused:UNUSED_PAD src0_sel:DWORD src1_sel:WORD_0
	v_cmp_o_f16_e32 vcc, v9, v9
	v_cndmask_b32_e32 v10, v53, v10, vcc
	v_and_b32_e32 v10, v10, v57
	v_cmp_eq_u32_e32 vcc, v10, v50
	s_and_b64 exec, exec, vcc
	s_cbranch_execz .LBB63_272
; %bb.277:                              ;   in Loop: Header=BB63_275 Depth=2
	v_perm_b32 v9, v9, s69, v56
	ds_write_b32 v3, v9 offset:3072
	s_branch .LBB63_272
.LBB63_278:                             ;   in Loop: Header=BB63_275 Depth=2
	s_mov_b64 s[64:65], -1
                                        ; implicit-def: $vgpr4_vgpr5
                                        ; implicit-def: $vgpr8
	s_mov_b64 s[62:63], -1
	s_branch .LBB63_274
.LBB63_279:                             ;   in Loop: Header=BB63_32 Depth=1
	s_or_b64 exec, exec, s[0:1]
	s_andn2_b64 s[0:1], s[60:61], exec
	s_and_b64 s[10:11], s[12:13], exec
	v_lshrrev_b32_e32 v58, 16, v9
	s_or_b64 s[60:61], s[0:1], s[10:11]
.LBB63_280:                             ;   in Loop: Header=BB63_32 Depth=1
	s_or_b64 exec, exec, s[2:3]
	s_mov_b64 s[12:13], 0
	s_mov_b64 s[10:11], -1
	v_readlane_b32 s65, v63, 37
.LBB63_281:                             ;   in Loop: Header=BB63_32 Depth=1
	s_orn2_b64 s[0:1], s[60:61], exec
.LBB63_282:                             ;   in Loop: Header=BB63_32 Depth=1
	s_or_b64 exec, exec, s[36:37]
	s_mov_b64 s[2:3], 0
	s_and_saveexec_b64 s[36:37], s[0:1]
	s_cbranch_execz .LBB63_293
; %bb.283:                              ;   in Loop: Header=BB63_32 Depth=1
	v_readlane_b32 s0, v63, 35
	v_readlane_b32 s1, v63, 36
	v_mov_b32_e32 v4, 1
	s_xor_b64 s[0:1], s[0:1], -1
	v_mov_b32_e32 v5, 0
	v_mov_b32_e32 v2, 1
	s_and_saveexec_b64 s[2:3], s[0:1]
	s_cbranch_execz .LBB63_292
; %bb.284:                              ;   in Loop: Header=BB63_32 Depth=1
	v_cmp_ge_i64_e32 vcc, s[14:15], v[6:7]
	s_and_saveexec_b64 s[0:1], vcc
	s_xor_b64 s[0:1], exec, s[0:1]
	s_cbranch_execz .LBB63_289
; %bb.285:                              ;   in Loop: Header=BB63_32 Depth=1
	ds_read_b64 v[4:5], v3 offset:5120
	v_or_b32_e32 v50, s53, v50
	v_or_b32_e32 v57, s53, v57
	s_waitcnt lgkmcnt(0)
	v_cmp_ne_u64_e32 vcc, 0, v[4:5]
	s_cbranch_vccnz .LBB63_289
; %bb.286:                              ;   in Loop: Header=BB63_32 Depth=1
	s_mov_b64 s[44:45], exec
	v_readlane_b32 s60, v63, 8
	v_readlane_b32 s61, v63, 9
	s_and_b64 s[60:61], s[44:45], s[60:61]
	s_mov_b64 exec, s[60:61]
; %bb.287:                              ;   in Loop: Header=BB63_32 Depth=1
	v_mov_b32_e32 v4, s14
	v_mov_b32_e32 v5, s15
	ds_write_b64 v3, v[4:5] offset:5128
; %bb.288:                              ;   in Loop: Header=BB63_32 Depth=1
	s_or_b64 exec, exec, s[44:45]
	s_waitcnt lgkmcnt(0)
	s_barrier
.LBB63_289:                             ;   in Loop: Header=BB63_32 Depth=1
	s_andn2_saveexec_b64 s[0:1], s[0:1]
; %bb.290:                              ;   in Loop: Header=BB63_32 Depth=1
	v_mov_b32_e32 v2, s15
	v_subrev_co_u32_e32 v6, vcc, s14, v6
	v_subb_co_u32_e32 v7, vcc, v7, v2, vcc
; %bb.291:                              ;   in Loop: Header=BB63_32 Depth=1
	s_or_b64 exec, exec, s[0:1]
	v_mov_b32_e32 v4, v6
	v_mov_b32_e32 v2, 8
	;; [unrolled: 1-line block ×3, first 2 shown]
.LBB63_292:                             ;   in Loop: Header=BB63_32 Depth=1
	s_or_b64 exec, exec, s[2:3]
	v_mov_b32_e32 v7, v5
	s_mov_b64 s[2:3], exec
	v_mov_b32_e32 v6, v4
.LBB63_293:                             ;   in Loop: Header=BB63_32 Depth=1
	s_or_b64 exec, exec, s[36:37]
	s_orn2_b64 s[0:1], s[2:3], exec
.LBB63_294:                             ;   in Loop: Header=BB63_32 Depth=1
	s_or_b64 exec, exec, s[42:43]
	s_andn2_b64 s[2:3], s[94:95], exec
	s_and_b64 s[10:11], s[10:11], exec
	s_or_b64 s[94:95], s[2:3], s[10:11]
	s_andn2_b64 s[2:3], s[92:93], exec
	s_and_b64 s[10:11], s[12:13], exec
	v_mov_b32_e32 v4, v6
	s_or_b64 s[92:93], s[2:3], s[10:11]
	s_and_b64 s[2:3], s[0:1], exec
	v_mov_b32_e32 v5, v7
.LBB63_295:                             ;   in Loop: Header=BB63_32 Depth=1
	s_or_b64 exec, exec, s[40:41]
	s_orn2_b64 s[0:1], s[2:3], exec
.LBB63_296:                             ;   in Loop: Header=BB63_32 Depth=1
	s_or_b64 exec, exec, s[90:91]
	s_andn2_b64 s[2:3], s[86:87], exec
	s_and_b64 s[10:11], s[94:95], exec
	s_or_b64 s[86:87], s[2:3], s[10:11]
	s_andn2_b64 s[2:3], s[6:7], exec
	s_and_b64 s[6:7], s[92:93], exec
	v_mov_b32_e32 v9, v5
	s_or_b64 s[6:7], s[2:3], s[6:7]
	s_and_b64 s[2:3], s[0:1], exec
	v_mov_b32_e32 v8, v4
.LBB63_297:                             ;   in Loop: Header=BB63_32 Depth=1
	s_or_b64 exec, exec, s[88:89]
	s_orn2_b64 s[0:1], s[2:3], exec
.LBB63_298:                             ;   in Loop: Header=BB63_32 Depth=1
	s_or_b64 exec, exec, s[26:27]
	s_mov_b64 s[2:3], 0
	s_and_saveexec_b64 s[10:11], s[0:1]
	s_xor_b64 s[0:1], exec, s[10:11]
	s_cbranch_execz .LBB63_30
; %bb.299:                              ;   in Loop: Header=BB63_32 Depth=1
	v_and_b32_e32 v2, 7, v2
	v_cmp_eq_u32_e32 vcc, 0, v2
	s_mov_b64 s[10:11], -1
	s_mov_b64 s[2:3], -1
	s_and_saveexec_b64 s[12:13], vcc
	s_cbranch_execz .LBB63_29
; %bb.300:                              ;   in Loop: Header=BB63_32 Depth=1
	s_xor_b32 s52, s52, 1
	s_add_i32 s14, s54, -2
	s_cmp_eq_u32 s54, 0
	s_cselect_b64 s[10:11], -1, 0
	s_xor_b64 s[2:3], exec, -1
	s_orn2_b64 s[10:11], s[10:11], exec
	s_mov_b32 s54, s14
	s_branch .LBB63_29
.LBB63_301:                             ;   in Loop: Header=BB63_32 Depth=1
                                        ; implicit-def: $sgpr0_sgpr1
	s_branch .LBB63_252
.LBB63_302:                             ;   in Loop: Header=BB63_32 Depth=1
                                        ; implicit-def: $sgpr0_sgpr1
	s_branch .LBB63_269
.LBB63_303:
	s_or_b64 exec, exec, s[70:71]
	s_xor_b64 s[6:7], s[76:77], -1
	s_xor_b64 s[4:5], s[72:73], -1
	;; [unrolled: 1-line block ×3, first 2 shown]
	s_mov_b64 s[0:1], 0
	s_and_saveexec_b64 s[8:9], s[4:5]
	s_xor_b64 s[4:5], exec, s[8:9]
	s_cbranch_execnz .LBB63_308
; %bb.304:
	s_andn2_saveexec_b64 s[2:3], s[4:5]
	s_cbranch_execnz .LBB63_330
.LBB63_305:
	s_or_b64 exec, exec, s[2:3]
	s_and_saveexec_b64 s[2:3], s[0:1]
.LBB63_306:
	; divergent unreachable
.LBB63_307:
	s_endpgm
.LBB63_308:
	s_and_saveexec_b64 s[0:1], s[6:7]
	s_xor_b64 s[6:7], exec, s[0:1]
	s_cbranch_execz .LBB63_328
; %bb.309:
	s_and_saveexec_b64 s[0:1], s[2:3]
	s_xor_b64 s[0:1], exec, s[0:1]
; %bb.310:
	v_and_b32_e32 v2, 0x8000, v50
	v_mov_b32_e32 v3, 0x8000
	v_mov_b32_e32 v4, 0xffff
	v_cmp_eq_u32_e32 vcc, 0, v2
	v_cndmask_b32_e32 v2, v3, v4, vcc
	v_xor_b32_e32 v58, v2, v50
; %bb.311:
	s_or_b64 exec, exec, s[0:1]
	s_mov_b64 s[0:1], exec
	v_readlane_b32 s2, v63, 8
	v_readlane_b32 s3, v63, 9
	s_and_b64 s[2:3], s[0:1], s[2:3]
	s_mov_b64 exec, s[2:3]
; %bb.312:
	v_mov_b32_e32 v2, 0
	v_mov_b32_e32 v3, s24
	ds_write_b32 v2, v3 offset:5140
; %bb.313:
	s_or_b64 exec, exec, s[0:1]
	s_waitcnt lgkmcnt(0)
	s_barrier
	s_mov_b64 s[8:9], exec
	v_readlane_b32 s0, v63, 16
	v_readlane_b32 s1, v63, 17
	s_and_b64 s[0:1], s[8:9], s[0:1]
	s_mov_b64 exec, s[0:1]
	s_cbranch_execz .LBB63_325
; %bb.314:
	v_mov_b32_e32 v2, 0
	ds_read_b32 v4, v2 offset:5140
	v_cmp_u_f16_e32 vcc, v58, v58
	s_mov_b64 s[10:11], 0
	s_xor_b64 s[12:13], vcc, -1
                                        ; implicit-def: $sgpr14_sgpr15
                                        ; implicit-def: $sgpr16_sgpr17
                                        ; implicit-def: $sgpr18_sgpr19
	s_waitcnt lgkmcnt(0)
	v_ashrrev_i32_e32 v5, 31, v4
	s_branch .LBB63_317
.LBB63_315:                             ;   in Loop: Header=BB63_317 Depth=1
	s_or_b64 exec, exec, s[30:31]
	s_andn2_b64 s[2:3], s[18:19], exec
	s_and_b64 s[18:19], s[20:21], exec
	s_or_b64 s[18:19], s[2:3], s[18:19]
	s_andn2_b64 s[2:3], s[16:17], exec
	s_and_b64 s[16:17], s[26:27], exec
	s_or_b64 s[16:17], s[2:3], s[16:17]
.LBB63_316:                             ;   in Loop: Header=BB63_317 Depth=1
	s_or_b64 exec, exec, s[0:1]
	s_and_b64 s[0:1], exec, s[16:17]
	s_or_b64 s[10:11], s[0:1], s[10:11]
	s_andn2_b64 s[0:1], s[14:15], exec
	s_and_b64 s[2:3], s[18:19], exec
	s_or_b64 s[14:15], s[0:1], s[2:3]
	s_andn2_b64 exec, exec, s[10:11]
	s_cbranch_execz .LBB63_320
.LBB63_317:                             ; =>This Inner Loop Header: Depth=1
	v_mov_b32_e32 v3, v1
	v_mov_b32_e32 v2, v0
	v_cmp_lt_i64_e32 vcc, v[2:3], v[4:5]
	s_or_b64 s[18:19], s[18:19], exec
	s_or_b64 s[16:17], s[16:17], exec
                                        ; implicit-def: $vgpr0_vgpr1
	s_and_saveexec_b64 s[0:1], vcc
	s_cbranch_execz .LBB63_316
; %bb.318:                              ;   in Loop: Header=BB63_317 Depth=1
	global_load_ushort v0, v[12:13], off
	s_mov_b64 s[26:27], -1
	s_mov_b64 s[20:21], 0
	s_waitcnt vmcnt(0)
	v_cmp_o_f16_e64 s[2:3], v0, v0
	v_cmp_neq_f16_e32 vcc, v0, v58
	s_or_b64 s[2:3], s[12:13], s[2:3]
	s_and_b64 s[2:3], vcc, s[2:3]
                                        ; implicit-def: $vgpr0_vgpr1
	s_and_saveexec_b64 s[30:31], s[2:3]
	s_cbranch_execz .LBB63_315
; %bb.319:                              ;   in Loop: Header=BB63_317 Depth=1
	v_add_co_u32_e32 v0, vcc, s33, v2
	v_addc_co_u32_e32 v1, vcc, 0, v3, vcc
	v_cmp_le_i64_e32 vcc, s[24:25], v[0:1]
	v_mov_b32_e32 v3, s51
	v_add_co_u32_e64 v12, s[2:3], s50, v12
	s_mov_b64 s[20:21], exec
	v_addc_co_u32_e64 v13, s[2:3], v13, v3, s[2:3]
	s_orn2_b64 s[26:27], vcc, exec
	s_branch .LBB63_315
.LBB63_320:
	s_or_b64 exec, exec, s[10:11]
	s_xor_b64 s[0:1], s[14:15], -1
	s_and_saveexec_b64 s[2:3], s[0:1]
	s_xor_b64 s[2:3], exec, s[2:3]
	s_cbranch_execz .LBB63_325
; %bb.321:
	s_mov_b64 s[0:1], exec
	s_brev_b32 s2, -2
.LBB63_322:                             ; =>This Inner Loop Header: Depth=1
	s_ff1_i32_b64 s3, s[0:1]
	v_readlane_b32 s12, v2, s3
	s_lshl_b64 s[10:11], 1, s3
	s_min_i32 s2, s2, s12
	s_andn2_b64 s[0:1], s[0:1], s[10:11]
	s_cmp_lg_u64 s[0:1], 0
	s_cbranch_scc1 .LBB63_322
; %bb.323:
	v_mbcnt_lo_u32_b32 v0, exec_lo, 0
	v_mbcnt_hi_u32_b32 v0, exec_hi, v0
	v_cmp_eq_u32_e32 vcc, 0, v0
	s_and_saveexec_b64 s[0:1], vcc
	s_xor_b64 s[0:1], exec, s[0:1]
; %bb.324:
	v_mov_b32_e32 v0, 0
	v_mov_b32_e32 v1, s2
	ds_min_i32 v0, v1 offset:5140
.LBB63_325:
	s_or_b64 exec, exec, s[8:9]
	s_waitcnt lgkmcnt(0)
	s_barrier
	s_mov_b64 s[0:1], exec
	v_readlane_b32 s2, v63, 8
	v_readlane_b32 s3, v63, 9
	s_and_b64 s[2:3], s[0:1], s[2:3]
	s_mov_b64 exec, s[2:3]
	s_cbranch_execz .LBB63_327
; %bb.326:
	v_readlane_b32 s8, v63, 0
	v_readlane_b32 s9, v63, 1
	s_mul_i32 s2, s8, s29
	s_mul_hi_u32 s3, s8, s28
	s_add_i32 s2, s3, s2
	s_mul_i32 s3, s9, s28
	v_readlane_b32 s10, v63, 2
	s_add_i32 s3, s2, s3
	s_mul_i32 s2, s8, s28
	v_readlane_b32 s11, v63, 3
	s_mul_i32 s8, s10, s39
	s_mul_hi_u32 s9, s10, s38
	s_add_i32 s8, s9, s8
	s_mul_i32 s9, s11, s38
	s_add_i32 s9, s8, s9
	s_mul_i32 s8, s10, s38
	s_lshl_b64 s[2:3], s[2:3], 1
	v_readlane_b32 s10, v63, 4
	v_readlane_b32 s11, v63, 5
	s_add_u32 s10, s10, s2
	s_addc_u32 s11, s11, s3
	s_lshl_b64 s[2:3], s[22:23], 1
	v_mov_b32_e32 v2, 0
	s_add_u32 s2, s10, s2
	ds_read_b32 v0, v2 offset:5140
	s_addc_u32 s3, s11, s3
	s_lshl_b64 s[8:9], s[8:9], 3
	v_readlane_b32 s10, v63, 6
	v_readlane_b32 s11, v63, 7
	s_add_u32 s10, s10, s8
	s_addc_u32 s11, s11, s9
	s_lshl_b64 s[8:9], s[34:35], 3
	s_add_u32 s8, s10, s8
	s_addc_u32 s9, s11, s9
	s_waitcnt lgkmcnt(0)
	v_ashrrev_i32_e32 v1, 31, v0
	global_store_dwordx2 v2, v[0:1], s[8:9]
	global_store_short v2, v58, s[2:3]
.LBB63_327:
	s_or_b64 exec, exec, s[0:1]
.LBB63_328:
	s_or_saveexec_b64 s[0:1], s[6:7]
	s_mov_b64 s[2:3], 0
	s_xor_b64 exec, exec, s[0:1]
	s_cbranch_execnz .LBB63_331
.LBB63_329:
	s_or_b64 exec, exec, s[0:1]
	s_and_b64 s[0:1], s[2:3], exec
	s_andn2_saveexec_b64 s[2:3], s[4:5]
	s_cbranch_execz .LBB63_305
.LBB63_330:
	s_or_b64 s[0:1], s[0:1], exec
	s_trap 2
	s_or_b64 exec, exec, s[2:3]
	s_and_saveexec_b64 s[2:3], s[0:1]
	s_cbranch_execnz .LBB63_306
	s_branch .LBB63_307
.LBB63_331:
	s_mov_b64 s[2:3], exec
	s_trap 2
	s_branch .LBB63_329
	.section	.rodata,"a",@progbits
	.p2align	6, 0x0
	.amdhsa_kernel _ZN2at6native12_GLOBAL__N_114gatherKthValueIN3c104HalfElLin1EEEvNS_4cuda6detail10TensorInfoIKT_T0_EESA_SA_SA_SA_NS7_IS8_SA_EENS7_IlSA_EE
		.amdhsa_group_segment_fixed_size 5144
		.amdhsa_private_segment_fixed_size 0
		.amdhsa_kernarg_size 1536
		.amdhsa_user_sgpr_count 6
		.amdhsa_user_sgpr_private_segment_buffer 1
		.amdhsa_user_sgpr_dispatch_ptr 0
		.amdhsa_user_sgpr_queue_ptr 0
		.amdhsa_user_sgpr_kernarg_segment_ptr 1
		.amdhsa_user_sgpr_dispatch_id 0
		.amdhsa_user_sgpr_flat_scratch_init 0
		.amdhsa_user_sgpr_private_segment_size 0
		.amdhsa_uses_dynamic_stack 0
		.amdhsa_system_sgpr_private_segment_wavefront_offset 0
		.amdhsa_system_sgpr_workgroup_id_x 1
		.amdhsa_system_sgpr_workgroup_id_y 1
		.amdhsa_system_sgpr_workgroup_id_z 1
		.amdhsa_system_sgpr_workgroup_info 0
		.amdhsa_system_vgpr_workitem_id 0
		.amdhsa_next_free_vgpr 64
		.amdhsa_next_free_sgpr 96
		.amdhsa_reserve_vcc 1
		.amdhsa_reserve_flat_scratch 0
		.amdhsa_float_round_mode_32 0
		.amdhsa_float_round_mode_16_64 0
		.amdhsa_float_denorm_mode_32 3
		.amdhsa_float_denorm_mode_16_64 3
		.amdhsa_dx10_clamp 1
		.amdhsa_ieee_mode 1
		.amdhsa_fp16_overflow 0
		.amdhsa_exception_fp_ieee_invalid_op 0
		.amdhsa_exception_fp_denorm_src 0
		.amdhsa_exception_fp_ieee_div_zero 0
		.amdhsa_exception_fp_ieee_overflow 0
		.amdhsa_exception_fp_ieee_underflow 0
		.amdhsa_exception_fp_ieee_inexact 0
		.amdhsa_exception_int_div_zero 0
	.end_amdhsa_kernel
	.section	.text._ZN2at6native12_GLOBAL__N_114gatherKthValueIN3c104HalfElLin1EEEvNS_4cuda6detail10TensorInfoIKT_T0_EESA_SA_SA_SA_NS7_IS8_SA_EENS7_IlSA_EE,"axG",@progbits,_ZN2at6native12_GLOBAL__N_114gatherKthValueIN3c104HalfElLin1EEEvNS_4cuda6detail10TensorInfoIKT_T0_EESA_SA_SA_SA_NS7_IS8_SA_EENS7_IlSA_EE,comdat
.Lfunc_end63:
	.size	_ZN2at6native12_GLOBAL__N_114gatherKthValueIN3c104HalfElLin1EEEvNS_4cuda6detail10TensorInfoIKT_T0_EESA_SA_SA_SA_NS7_IS8_SA_EENS7_IlSA_EE, .Lfunc_end63-_ZN2at6native12_GLOBAL__N_114gatherKthValueIN3c104HalfElLin1EEEvNS_4cuda6detail10TensorInfoIKT_T0_EESA_SA_SA_SA_NS7_IS8_SA_EENS7_IlSA_EE
                                        ; -- End function
	.set _ZN2at6native12_GLOBAL__N_114gatherKthValueIN3c104HalfElLin1EEEvNS_4cuda6detail10TensorInfoIKT_T0_EESA_SA_SA_SA_NS7_IS8_SA_EENS7_IlSA_EE.num_vgpr, 64
	.set _ZN2at6native12_GLOBAL__N_114gatherKthValueIN3c104HalfElLin1EEEvNS_4cuda6detail10TensorInfoIKT_T0_EESA_SA_SA_SA_NS7_IS8_SA_EENS7_IlSA_EE.num_agpr, 0
	.set _ZN2at6native12_GLOBAL__N_114gatherKthValueIN3c104HalfElLin1EEEvNS_4cuda6detail10TensorInfoIKT_T0_EESA_SA_SA_SA_NS7_IS8_SA_EENS7_IlSA_EE.numbered_sgpr, 96
	.set _ZN2at6native12_GLOBAL__N_114gatherKthValueIN3c104HalfElLin1EEEvNS_4cuda6detail10TensorInfoIKT_T0_EESA_SA_SA_SA_NS7_IS8_SA_EENS7_IlSA_EE.num_named_barrier, 0
	.set _ZN2at6native12_GLOBAL__N_114gatherKthValueIN3c104HalfElLin1EEEvNS_4cuda6detail10TensorInfoIKT_T0_EESA_SA_SA_SA_NS7_IS8_SA_EENS7_IlSA_EE.private_seg_size, 0
	.set _ZN2at6native12_GLOBAL__N_114gatherKthValueIN3c104HalfElLin1EEEvNS_4cuda6detail10TensorInfoIKT_T0_EESA_SA_SA_SA_NS7_IS8_SA_EENS7_IlSA_EE.uses_vcc, 1
	.set _ZN2at6native12_GLOBAL__N_114gatherKthValueIN3c104HalfElLin1EEEvNS_4cuda6detail10TensorInfoIKT_T0_EESA_SA_SA_SA_NS7_IS8_SA_EENS7_IlSA_EE.uses_flat_scratch, 0
	.set _ZN2at6native12_GLOBAL__N_114gatherKthValueIN3c104HalfElLin1EEEvNS_4cuda6detail10TensorInfoIKT_T0_EESA_SA_SA_SA_NS7_IS8_SA_EENS7_IlSA_EE.has_dyn_sized_stack, 0
	.set _ZN2at6native12_GLOBAL__N_114gatherKthValueIN3c104HalfElLin1EEEvNS_4cuda6detail10TensorInfoIKT_T0_EESA_SA_SA_SA_NS7_IS8_SA_EENS7_IlSA_EE.has_recursion, 0
	.set _ZN2at6native12_GLOBAL__N_114gatherKthValueIN3c104HalfElLin1EEEvNS_4cuda6detail10TensorInfoIKT_T0_EESA_SA_SA_SA_NS7_IS8_SA_EENS7_IlSA_EE.has_indirect_call, 0
	.section	.AMDGPU.csdata,"",@progbits
; Kernel info:
; codeLenInByte = 19212
; TotalNumSgprs: 100
; NumVgprs: 64
; ScratchSize: 0
; MemoryBound: 0
; FloatMode: 240
; IeeeMode: 1
; LDSByteSize: 5144 bytes/workgroup (compile time only)
; SGPRBlocks: 12
; VGPRBlocks: 15
; NumSGPRsForWavesPerEU: 100
; NumVGPRsForWavesPerEU: 64
; Occupancy: 4
; WaveLimiterHint : 1
; COMPUTE_PGM_RSRC2:SCRATCH_EN: 0
; COMPUTE_PGM_RSRC2:USER_SGPR: 6
; COMPUTE_PGM_RSRC2:TRAP_HANDLER: 0
; COMPUTE_PGM_RSRC2:TGID_X_EN: 1
; COMPUTE_PGM_RSRC2:TGID_Y_EN: 1
; COMPUTE_PGM_RSRC2:TGID_Z_EN: 1
; COMPUTE_PGM_RSRC2:TIDIG_COMP_CNT: 0
	.section	.text._ZN2at6native12_GLOBAL__N_114gatherKthValueIN3c108BFloat16EiLi1EEEvNS_4cuda6detail10TensorInfoIKT_T0_EESA_SA_SA_SA_NS7_IS8_SA_EENS7_IlSA_EE,"axG",@progbits,_ZN2at6native12_GLOBAL__N_114gatherKthValueIN3c108BFloat16EiLi1EEEvNS_4cuda6detail10TensorInfoIKT_T0_EESA_SA_SA_SA_NS7_IS8_SA_EENS7_IlSA_EE,comdat
	.globl	_ZN2at6native12_GLOBAL__N_114gatherKthValueIN3c108BFloat16EiLi1EEEvNS_4cuda6detail10TensorInfoIKT_T0_EESA_SA_SA_SA_NS7_IS8_SA_EENS7_IlSA_EE ; -- Begin function _ZN2at6native12_GLOBAL__N_114gatherKthValueIN3c108BFloat16EiLi1EEEvNS_4cuda6detail10TensorInfoIKT_T0_EESA_SA_SA_SA_NS7_IS8_SA_EENS7_IlSA_EE
	.p2align	8
	.type	_ZN2at6native12_GLOBAL__N_114gatherKthValueIN3c108BFloat16EiLi1EEEvNS_4cuda6detail10TensorInfoIKT_T0_EESA_SA_SA_SA_NS7_IS8_SA_EENS7_IlSA_EE,@function
_ZN2at6native12_GLOBAL__N_114gatherKthValueIN3c108BFloat16EiLi1EEEvNS_4cuda6detail10TensorInfoIKT_T0_EESA_SA_SA_SA_NS7_IS8_SA_EENS7_IlSA_EE: ; @_ZN2at6native12_GLOBAL__N_114gatherKthValueIN3c108BFloat16EiLi1EEEvNS_4cuda6detail10TensorInfoIKT_T0_EESA_SA_SA_SA_NS7_IS8_SA_EENS7_IlSA_EE
; %bb.0:
	s_load_dwordx2 s[12:13], s[4:5], 0x298
	s_load_dwordx4 s[28:31], s[4:5], 0xd8
	s_add_u32 s10, s4, 0x298
	s_addc_u32 s11, s5, 0
	s_waitcnt lgkmcnt(0)
	s_mul_i32 s0, s13, s8
	s_add_i32 s0, s0, s7
	s_mul_i32 s0, s0, s12
	s_add_i32 s94, s0, s6
	s_cmp_ge_i32 s94, s30
	s_cbranch_scc1 .LBB64_234
; %bb.1:
	s_load_dwordx2 s[0:1], s[4:5], 0x1c0
	s_load_dwordx2 s[92:93], s[4:5], 0xe8
	s_load_dword s7, s[4:5], 0x6c
	s_load_dwordx2 s[2:3], s[4:5], 0x0
                                        ; implicit-def: $vgpr44 : SGPR spill to VGPR lane
	s_mov_b32 s18, 0
	s_waitcnt lgkmcnt(0)
	v_writelane_b32 v44, s0, 0
	v_writelane_b32 v44, s1, 1
	v_cmp_eq_u32_e64 s[0:1], 0, v0
	s_and_saveexec_b64 s[8:9], s[0:1]
; %bb.2:
	v_mov_b32_e32 v1, 0
	v_mov_b32_e32 v2, s28
	;; [unrolled: 1-line block ×3, first 2 shown]
	ds_write_b96 v1, v[1:3] offset:4096
; %bb.3:
	s_or_b64 exec, exec, s[8:9]
	v_mul_lo_u32 v5, s31, v0
	s_load_dword s95, s[4:5], 0x22c
	s_load_dword s8, s[4:5], 0x154
                                        ; kill: killed $sgpr4 killed $sgpr5
	s_mul_i32 s4, s7, s94
	s_waitcnt lgkmcnt(0)
	s_barrier
	s_load_dword s7, s[10:11], 0xc
	s_ashr_i32 s5, s4, 31
	v_mov_b32_e32 v7, 0
	s_lshl_b64 s[4:5], s[4:5], 1
	v_mbcnt_lo_u32_b32 v1, -1, 0
	v_mov_b32_e32 v6, v7
	s_add_u32 s30, s2, s4
	v_mbcnt_hi_u32_b32 v15, -1, v1
	v_lshlrev_b64 v[1:2], 1, v[5:6]
	s_addc_u32 s35, s3, s5
	v_cmp_gt_u32_e32 vcc, 64, v0
	v_cmp_gt_i32_e64 s[4:5], 4, v15
	s_and_b64 s[38:39], vcc, s[4:5]
	v_mov_b32_e32 v18, s35
	v_add_co_u32_e32 v8, vcc, s30, v1
	s_waitcnt lgkmcnt(0)
	s_and_b32 s34, s7, 0xffff
	v_addc_co_u32_e32 v9, vcc, v18, v2, vcc
	v_lshlrev_b64 v[2:3], v15, -1
	s_add_i32 s33, s34, -1
	s_lshl_b32 s37, s34, 2
	s_bfe_u32 s7, s7, 0xa0006
	s_add_i32 s47, s33, s28
	v_not_b32_e32 v21, v2
	v_lshrrev_b32_e32 v2, 2, v0
	v_writelane_b32 v44, s8, 2
	s_cmpk_gt_i32 s28, 0x600
	v_cmp_gt_u32_e64 s[8:9], s28, v0
	v_and_b32_e32 v2, 0xf0, v2
	s_cselect_b64 s[40:41], -1, 0
	v_writelane_b32 v44, s8, 3
	s_cmp_gt_u32 s34, 63
	v_or_b32_e32 v22, 0xc00, v2
	v_cvt_f32_u32_e32 v2, s37
	v_writelane_b32 v44, s9, 4
	v_cmp_gt_i32_e64 s[8:9], s28, v0
	s_cselect_b64 s[42:43], -1, 0
	s_cmp_lt_u32 s6, s12
	v_writelane_b32 v44, s8, 5
	s_cselect_b32 s6, 12, 18
	v_writelane_b32 v44, s9, 6
	s_add_u32 s8, s10, s6
	s_addc_u32 s9, s11, 0
	v_rcp_iflag_f32_e32 v2, v2
	v_writelane_b32 v44, s8, 7
	s_add_i32 s6, s7, -1
	v_writelane_b32 v44, s9, 8
	s_bfe_u32 s8, s34, 0x30006
	s_and_b32 s6, s6, 0xffff
	s_cmp_gt_u32 s6, 6
	s_cselect_b64 s[10:11], -1, 0
	v_mul_f32_e32 v2, 0x4f7ffffe, v2
	v_writelane_b32 v44, s10, 9
	s_and_b32 s19, s7, 0x3f8
	v_cvt_u32_f32_e32 v2, v2
	v_writelane_b32 v44, s11, 10
	s_cmp_lg_u32 s8, 0
	v_writelane_b32 v44, s8, 11
	s_cselect_b64 s[6:7], -1, 0
	v_writelane_b32 v44, s6, 12
	v_writelane_b32 v44, s7, 13
	s_sub_i32 s6, 0, s37
	v_readfirstlane_b32 s7, v2
	s_mul_i32 s6, s6, s7
	s_mul_hi_u32 s6, s7, s6
	s_add_i32 s8, s7, s6
	s_mul_hi_u32 s6, s28, s8
	s_mul_i32 s6, s6, s37
	s_sub_i32 s6, s28, s6
	s_sub_i32 s7, s6, s37
	s_cmp_ge_u32 s6, s37
	s_cselect_b32 s6, s7, s6
	s_sub_i32 s7, s6, s37
	s_cmp_ge_u32 s6, s37
	s_cselect_b32 s6, s7, s6
	s_sub_i32 s9, s28, s6
	v_add_u32_e32 v23, s9, v0
	v_cvt_f32_u32_e32 v4, s34
	v_mul_lo_u32 v2, v23, s31
	v_not_b32_e32 v20, v3
	s_sub_i32 s17, 0, s34
	v_rcp_iflag_f32_e32 v4, v4
	v_ashrrev_i32_e32 v3, 31, v2
	v_lshlrev_b64 v[2:3], 1, v[2:3]
	s_abs_i32 s16, s47
	v_add_co_u32_e32 v10, vcc, s30, v2
	v_mul_f32_e32 v2, 0x4f7ffffe, v4
	v_cvt_u32_f32_e32 v2, v2
	s_ashr_i32 s7, s47, 31
	v_lshlrev_b32_e32 v14, 2, v0
	v_lshlrev_b32_e32 v16, 1, v0
	v_readfirstlane_b32 s20, v2
	s_mul_i32 s17, s17, s20
	s_mul_hi_u32 s17, s20, s17
	s_add_i32 s46, s20, s17
	s_mul_hi_u32 s17, s16, s46
	s_mul_i32 s17, s17, s34
	s_sub_i32 s16, s16, s17
	s_sub_i32 s17, s16, s34
	s_cmp_ge_u32 s16, s34
	s_cselect_b32 s16, s17, s16
	s_sub_i32 s17, s16, s34
	v_mul_lo_u32 v2, s31, v14
	s_cmp_ge_u32 s16, s34
	s_cselect_b32 s16, s17, s16
	s_xor_b32 s16, s16, s7
	s_sub_i32 s7, s7, s16
	v_add_u32_e32 v24, s31, v2
	v_or_b32_e32 v2, 2, v14
	s_add_i32 s47, s47, s7
	v_mul_lo_u32 v25, s31, v2
	v_or_b32_e32 v2, 3, v14
	s_add_i32 s7, s34, s28
	v_mul_lo_u32 v26, s31, v2
	v_add_u32_e32 v2, s7, v0
	v_subrev_u32_e32 v2, s6, v2
	v_mul_lo_u32 v29, s31, v2
	v_lshlrev_b32_e32 v1, 2, v15
	v_mov_b32_e32 v6, s35
	v_cmp_gt_i32_e64 s[16:17], s47, v0
	s_mul_i32 s36, s31, s34
	v_cmp_eq_u32_e64 s[2:3], 0, v15
	v_cmp_gt_u32_e64 s[4:5], 2, v0
	v_add_u32_e32 v17, 0xc00, v16
	v_and_b32_e32 v19, 0x100, v1
	v_cmp_gt_i32_e64 s[10:11], s9, v14
	v_cmp_gt_u32_e64 s[12:13], s28, v23
	v_addc_co_u32_e32 v11, vcc, v6, v3, vcc
	v_cmp_gt_i32_e64 s[14:15], s28, v23
	v_writelane_b32 v44, s16, 14
	s_lshl_b32 s48, s36, 2
	v_lshlrev_b32_e32 v27, 2, v5
	v_lshlrev_b32_e32 v30, 3, v0
	s_lshl_b32 s49, s34, 3
	s_lshl_b32 s44, s34, 1
	v_or_b32_e32 v31, 0xc00, v1
	s_mov_b64 s[50:51], 0
	v_mov_b32_e32 v32, 14
	v_mov_b32_e32 v39, s29
	s_movk_i32 s29, 0x3f80
	v_mov_b32_e32 v33, 0xffff
	v_mov_b32_e32 v34, 0x8000
	v_mov_b32_e32 v35, -1
	v_mov_b32_e32 v36, 0x5040100
	v_mov_b32_e32 v38, 0
	;; [unrolled: 1-line block ×4, first 2 shown]
	v_writelane_b32 v44, s17, 15
                                        ; implicit-def: $sgpr52_sgpr53
                                        ; implicit-def: $sgpr56_sgpr57
                                        ; implicit-def: $sgpr54_sgpr55
                                        ; implicit-def: $sgpr60_sgpr61
                                        ; implicit-def: $sgpr62_sgpr63
                                        ; implicit-def: $sgpr58_sgpr59
	s_branch .LBB64_7
.LBB64_4:                               ;   in Loop: Header=BB64_7 Depth=1
	s_or_b64 exec, exec, s[66:67]
	s_and_b64 s[66:67], s[64:65], exec
	s_andn2_b64 s[26:27], s[26:27], exec
	s_andn2_b64 s[24:25], s[24:25], exec
	s_orn2_b64 s[20:21], s[20:21], exec
.LBB64_5:                               ;   in Loop: Header=BB64_7 Depth=1
	s_or_b64 exec, exec, s[22:23]
	s_andn2_b64 s[22:23], s[58:59], exec
	s_and_b64 s[58:59], s[66:67], exec
	s_or_b64 s[58:59], s[22:23], s[58:59]
	s_andn2_b64 s[22:23], s[62:63], exec
	s_and_b64 s[26:27], s[26:27], exec
	s_or_b64 s[62:63], s[22:23], s[26:27]
	;; [unrolled: 3-line block ×3, first 2 shown]
	s_orn2_b64 s[20:21], s[20:21], exec
.LBB64_6:                               ;   in Loop: Header=BB64_7 Depth=1
	s_or_b64 exec, exec, s[6:7]
	s_and_b64 s[6:7], exec, s[20:21]
	s_or_b64 s[50:51], s[6:7], s[50:51]
	s_andn2_b64 s[6:7], s[54:55], exec
	s_and_b64 s[20:21], s[58:59], exec
	s_or_b64 s[54:55], s[6:7], s[20:21]
	s_andn2_b64 s[6:7], s[56:57], exec
	s_and_b64 s[20:21], s[62:63], exec
	;; [unrolled: 3-line block ×3, first 2 shown]
	s_or_b64 s[52:53], s[6:7], s[20:21]
	s_mov_b32 s18, s16
	v_mov_b32_e32 v39, v12
	s_andn2_b64 exec, exec, s[50:51]
	s_cbranch_execz .LBB64_230
.LBB64_7:                               ; =>This Loop Header: Depth=1
                                        ;     Child Loop BB64_12 Depth 2
                                        ;     Child Loop BB64_27 Depth 2
	;; [unrolled: 1-line block ×16, first 2 shown]
	ds_read_b64 v[1:2], v7 offset:4096
	s_waitcnt lgkmcnt(0)
	v_readfirstlane_b32 s45, v1
	s_cmp_gt_i32 s45, 0
	s_cbranch_scc1 .LBB64_34
; %bb.8:                                ;   in Loop: Header=BB64_7 Depth=1
	s_and_b64 vcc, exec, s[40:41]
	s_cbranch_vccz .LBB64_20
; %bb.9:                                ;   in Loop: Header=BB64_7 Depth=1
	s_movk_i32 s6, 0x601
	v_cmp_gt_i32_e32 vcc, s6, v2
	s_mov_b64 s[20:21], 0
	s_mov_b64 s[6:7], 0
	s_cbranch_vccz .LBB64_21
; %bb.10:                               ;   in Loop: Header=BB64_7 Depth=1
	v_readlane_b32 s6, v44, 7
	v_readlane_b32 s7, v44, 8
	s_nop 4
	global_load_ushort v1, v7, s[6:7]
	global_load_ushort v4, v[8:9], off
	s_mov_b64 s[22:23], 0
	v_mov_b32_e32 v3, v0
	s_waitcnt vmcnt(1)
	v_add_u32_e32 v2, v0, v1
	v_mul_lo_u32 v6, s31, v2
	v_mul_lo_u32 v2, s31, v1
	s_branch .LBB64_12
.LBB64_11:                              ;   in Loop: Header=BB64_12 Depth=2
	s_or_b64 exec, exec, s[6:7]
	v_cmp_le_i32_e32 vcc, s28, v3
	v_add_u32_e32 v6, v6, v2
	s_or_b64 s[22:23], vcc, s[22:23]
	v_mov_b32_e32 v4, v12
	s_andn2_b64 exec, exec, s[22:23]
	s_cbranch_execz .LBB64_66
.LBB64_12:                              ;   Parent Loop BB64_7 Depth=1
                                        ; =>  This Inner Loop Header: Depth=2
	v_add_u32_e32 v3, v3, v1
	v_cmp_gt_u32_e32 vcc, s28, v3
	s_waitcnt lgkmcnt(0)
	v_mov_b32_e32 v13, 0
	v_mov_b32_e32 v12, 0
	s_and_saveexec_b64 s[6:7], vcc
	s_cbranch_execz .LBB64_14
; %bb.13:                               ;   in Loop: Header=BB64_12 Depth=2
	v_lshlrev_b64 v[40:41], 1, v[6:7]
	v_add_co_u32_e32 v40, vcc, s30, v40
	v_addc_co_u32_e32 v41, vcc, v18, v41, vcc
	global_load_ushort v12, v[40:41], off
.LBB64_14:                              ;   in Loop: Header=BB64_12 Depth=2
	s_or_b64 exec, exec, s[6:7]
	s_waitcnt vmcnt(0)
	v_cmp_lt_i16_e32 vcc, -1, v4
	v_cndmask_b32_e32 v40, v33, v34, vcc
	v_lshlrev_b32_e32 v41, 16, v4
	v_xor_b32_sdwa v40, v40, v4 dst_sel:DWORD dst_unused:UNUSED_PAD src0_sel:DWORD src1_sel:WORD_0
	v_cmp_o_f32_e32 vcc, v41, v41
	v_cndmask_b32_e32 v40, v33, v40, vcc
	v_and_b32_e32 v40, v40, v37
	v_cmp_eq_u32_e32 vcc, v40, v28
	s_cmp_lg_u64 vcc, 0
	s_cselect_b64 s[6:7], -1, 0
	s_and_b64 s[6:7], s[2:3], s[6:7]
	s_and_saveexec_b64 s[24:25], s[6:7]
	s_cbranch_execz .LBB64_18
; %bb.15:                               ;   in Loop: Header=BB64_12 Depth=2
	s_mov_b64 s[64:65], exec
	v_mbcnt_lo_u32_b32 v13, s64, 0
	v_mbcnt_hi_u32_b32 v13, s65, v13
	s_bcnt1_i32_b64 s16, vcc
	v_cmp_eq_u32_e64 s[6:7], 0, v13
                                        ; implicit-def: $vgpr40
	s_and_saveexec_b64 s[26:27], s[6:7]
; %bb.16:                               ;   in Loop: Header=BB64_12 Depth=2
	s_bcnt1_i32_b64 s6, s[64:65]
	s_mul_i32 s6, s16, s6
	v_mov_b32_e32 v40, s6
	ds_add_rtn_u32 v40, v7, v40 offset:4104
; %bb.17:                               ;   in Loop: Header=BB64_12 Depth=2
	s_or_b64 exec, exec, s[26:27]
	s_waitcnt lgkmcnt(0)
	v_readfirstlane_b32 s6, v40
	v_mov_b32_e32 v40, s6
	v_mad_u32_u24 v13, s16, v13, v40
.LBB64_18:                              ;   in Loop: Header=BB64_12 Depth=2
	s_or_b64 exec, exec, s[24:25]
	ds_bpermute_b32 v13, v19, v13
	s_and_saveexec_b64 s[6:7], vcc
	s_cbranch_execz .LBB64_11
; %bb.19:                               ;   in Loop: Header=BB64_12 Depth=2
	v_and_b32_e32 v41, vcc_lo, v21
	v_and_b32_e32 v40, vcc_hi, v20
	v_bcnt_u32_b32 v41, v41, 0
	v_bcnt_u32_b32 v40, v40, v41
	v_lshlrev_b32_e32 v40, 1, v40
	s_waitcnt lgkmcnt(0)
	v_lshl_add_u32 v13, v13, 1, v40
	ds_write_b16 v13, v4
	s_branch .LBB64_11
.LBB64_20:                              ;   in Loop: Header=BB64_7 Depth=1
	s_mov_b64 s[20:21], -1
	s_mov_b64 s[6:7], 0
.LBB64_21:                              ;   in Loop: Header=BB64_7 Depth=1
	s_and_b64 vcc, exec, s[20:21]
	s_cbranch_vccz .LBB64_32
.LBB64_22:                              ;   in Loop: Header=BB64_7 Depth=1
	v_mov_b32_e32 v1, 0
	s_mov_b64 s[6:7], exec
	v_readlane_b32 s16, v44, 3
	v_readlane_b32 s17, v44, 4
	s_and_b64 s[16:17], s[6:7], s[16:17]
	s_mov_b64 exec, s[16:17]
	s_cbranch_execz .LBB64_24
; %bb.23:                               ;   in Loop: Header=BB64_7 Depth=1
	global_load_ushort v1, v[8:9], off
.LBB64_24:                              ;   in Loop: Header=BB64_7 Depth=1
	s_or_b64 exec, exec, s[6:7]
	s_mov_b64 s[6:7], exec
	v_readlane_b32 s16, v44, 5
	v_readlane_b32 s17, v44, 6
	s_and_b64 s[16:17], s[6:7], s[16:17]
	s_mov_b64 exec, s[16:17]
	s_cbranch_execz .LBB64_29
; %bb.25:                               ;   in Loop: Header=BB64_7 Depth=1
	v_readlane_b32 s16, v44, 7
	v_readlane_b32 s17, v44, 8
	s_mov_b64 s[20:21], 0
	v_mov_b32_e32 v12, v16
	v_mov_b32_e32 v13, v0
	s_nop 1
	global_load_ushort v2, v7, s[16:17]
	s_waitcnt vmcnt(0)
	v_add_u32_e32 v4, v0, v2
	v_mul_lo_u32 v6, s31, v4
	v_mul_lo_u32 v4, s31, v2
	v_lshlrev_b32_e32 v3, 1, v2
	s_branch .LBB64_27
.LBB64_26:                              ;   in Loop: Header=BB64_27 Depth=2
	s_or_b64 exec, exec, s[22:23]
	v_cmp_le_i32_e32 vcc, s28, v13
	ds_write_b16 v12, v1
	v_add_u32_e32 v12, v12, v3
	v_add_u32_e32 v6, v6, v4
	s_or_b64 s[20:21], vcc, s[20:21]
	s_waitcnt vmcnt(0)
	v_mov_b32_e32 v1, v40
	s_andn2_b64 exec, exec, s[20:21]
	s_cbranch_execz .LBB64_29
.LBB64_27:                              ;   Parent Loop BB64_7 Depth=1
                                        ; =>  This Inner Loop Header: Depth=2
	v_add_u32_e32 v13, v13, v2
	v_cmp_gt_u32_e32 vcc, s28, v13
	v_mov_b32_e32 v40, 0
	s_and_saveexec_b64 s[22:23], vcc
	s_cbranch_execz .LBB64_26
; %bb.28:                               ;   in Loop: Header=BB64_27 Depth=2
	v_lshlrev_b64 v[40:41], 1, v[6:7]
	v_mov_b32_e32 v42, s35
	v_add_co_u32_e32 v40, vcc, s30, v40
	v_addc_co_u32_e32 v41, vcc, v42, v41, vcc
	global_load_ushort v40, v[40:41], off
	s_branch .LBB64_26
.LBB64_29:                              ;   in Loop: Header=BB64_7 Depth=1
	s_or_b64 exec, exec, s[6:7]
	s_waitcnt vmcnt(0) lgkmcnt(0)
	s_barrier
	s_and_saveexec_b64 s[6:7], s[0:1]
; %bb.30:                               ;   in Loop: Header=BB64_7 Depth=1
	v_mov_b32_e32 v1, s28
	ds_write_b32 v7, v1 offset:4096
; %bb.31:                               ;   in Loop: Header=BB64_7 Depth=1
	s_or_b64 exec, exec, s[6:7]
	s_mov_b64 s[6:7], -1
	s_waitcnt lgkmcnt(0)
	s_barrier
.LBB64_32:                              ;   in Loop: Header=BB64_7 Depth=1
	s_and_b64 vcc, exec, s[6:7]
	s_cbranch_vccz .LBB64_34
; %bb.33:                               ;   in Loop: Header=BB64_7 Depth=1
	ds_read_b32 v1, v7 offset:4096
	s_waitcnt lgkmcnt(0)
	v_readfirstlane_b32 s45, v1
.LBB64_34:                              ;   in Loop: Header=BB64_7 Depth=1
	s_cmp_lt_i32 s45, 1
	s_mov_b64 s[6:7], -1
                                        ; implicit-def: $vgpr1
	s_cbranch_scc1 .LBB64_44
; %bb.35:                               ;   in Loop: Header=BB64_7 Depth=1
	s_and_b64 vcc, exec, s[6:7]
	s_cbranch_vccnz .LBB64_57
.LBB64_36:                              ;   in Loop: Header=BB64_7 Depth=1
	s_lshl_b32 s16, s18, 6
	s_and_saveexec_b64 s[6:7], s[2:3]
.LBB64_37:                              ;   in Loop: Header=BB64_7 Depth=1
	v_lshl_add_u32 v6, s16, 2, v22
	ds_write_b128 v6, v[1:4]
.LBB64_38:                              ;   in Loop: Header=BB64_7 Depth=1
	s_or_b64 exec, exec, s[6:7]
	s_waitcnt vmcnt(0) lgkmcnt(0)
	s_barrier
	s_and_saveexec_b64 s[6:7], s[38:39]
	s_cbranch_execz .LBB64_74
; %bb.39:                               ;   in Loop: Header=BB64_7 Depth=1
	s_andn2_b64 vcc, exec, s[42:43]
	v_mov_b32_e32 v1, 0
	s_cbranch_vccnz .LBB64_73
; %bb.40:                               ;   in Loop: Header=BB64_7 Depth=1
	v_readlane_b32 s20, v44, 9
	v_readlane_b32 s21, v44, 10
	s_andn2_b64 vcc, exec, s[20:21]
	s_cbranch_vccnz .LBB64_69
; %bb.41:                               ;   in Loop: Header=BB64_7 Depth=1
	v_lshl_add_u32 v2, s18, 8, v31
	s_mov_b32 s17, 0
	v_mov_b32_e32 v1, 0
.LBB64_42:                              ;   Parent Loop BB64_7 Depth=1
                                        ; =>  This Inner Loop Header: Depth=2
	ds_read2_b32 v[3:4], v2 offset1:4
	ds_read2_b32 v[12:13], v2 offset0:8 offset1:12
	ds_read2_b32 v[40:41], v2 offset0:16 offset1:20
	;; [unrolled: 1-line block ×3, first 2 shown]
	s_add_i32 s17, s17, 8
	s_waitcnt lgkmcnt(3)
	v_add3_u32 v1, v3, v1, v4
	s_waitcnt lgkmcnt(2)
	v_add3_u32 v1, v12, v1, v13
	;; [unrolled: 2-line block ×3, first 2 shown]
	v_add_u32_e32 v2, 0x80, v2
	s_cmp_eq_u32 s19, s17
	s_waitcnt lgkmcnt(0)
	v_add3_u32 v1, v42, v1, v43
	s_cbranch_scc0 .LBB64_42
; %bb.43:                               ;   in Loop: Header=BB64_7 Depth=1
	s_mov_b32 s17, s19
	s_branch .LBB64_70
.LBB64_44:                              ;   in Loop: Header=BB64_7 Depth=1
	v_mov_b32_e32 v1, 0
	v_mov_b32_e32 v2, 0
	;; [unrolled: 1-line block ×4, first 2 shown]
	s_and_saveexec_b64 s[26:27], s[10:11]
	s_cbranch_execnz .LBB64_47
; %bb.45:                               ;   in Loop: Header=BB64_7 Depth=1
	s_or_b64 exec, exec, s[26:27]
	v_mov_b32_e32 v40, 0
	s_and_saveexec_b64 s[6:7], s[12:13]
	s_cbranch_execnz .LBB64_50
.LBB64_46:                              ;   in Loop: Header=BB64_7 Depth=1
	s_or_b64 exec, exec, s[6:7]
	s_and_saveexec_b64 s[20:21], s[14:15]
	s_cbranch_execnz .LBB64_51
	s_branch .LBB64_56
.LBB64_47:                              ;   in Loop: Header=BB64_7 Depth=1
	s_mov_b32 s66, 0
	s_mov_b64 s[64:65], 0
	s_mov_b32 s67, 0
	s_mov_b32 s68, 0
	;; [unrolled: 1-line block ×4, first 2 shown]
	v_mov_b32_e32 v6, v14
.LBB64_48:                              ;   Parent Loop BB64_7 Depth=1
                                        ; =>  This Inner Loop Header: Depth=2
	v_add_u32_e32 v1, s66, v27
	v_ashrrev_i32_e32 v2, 31, v1
	v_lshlrev_b64 v[1:2], 1, v[1:2]
	v_mov_b32_e32 v3, s35
	v_add_co_u32_e32 v1, vcc, s30, v1
	v_addc_co_u32_e32 v2, vcc, v3, v2, vcc
	global_load_ushort v4, v[1:2], off
	v_add_u32_e32 v1, s66, v24
	v_ashrrev_i32_e32 v2, 31, v1
	v_lshlrev_b64 v[1:2], 1, v[1:2]
	v_add_u32_e32 v6, s37, v6
	v_add_co_u32_e32 v1, vcc, s30, v1
	v_addc_co_u32_e32 v2, vcc, v3, v2, vcc
	global_load_ushort v12, v[1:2], off
	v_add_u32_e32 v1, s66, v25
	v_ashrrev_i32_e32 v2, 31, v1
	v_lshlrev_b64 v[1:2], 1, v[1:2]
	v_add_co_u32_e32 v1, vcc, s30, v1
	v_addc_co_u32_e32 v2, vcc, v3, v2, vcc
	global_load_ushort v13, v[1:2], off
	v_add_u32_e32 v1, s66, v26
	v_ashrrev_i32_e32 v2, 31, v1
	v_lshlrev_b64 v[1:2], 1, v[1:2]
	s_add_i32 s66, s66, s48
	v_add_co_u32_e32 v1, vcc, s30, v1
	v_addc_co_u32_e32 v2, vcc, v3, v2, vcc
	global_load_ushort v1, v[1:2], off
	s_waitcnt vmcnt(3)
	v_cmp_lt_i16_e32 vcc, -1, v4
	v_cndmask_b32_e32 v2, v33, v34, vcc
	v_lshlrev_b32_e32 v3, 16, v4
	v_cmp_o_f32_e32 vcc, v3, v3
	v_xor_b32_sdwa v2, v2, v4 dst_sel:DWORD dst_unused:UNUSED_PAD src0_sel:DWORD src1_sel:WORD_0
	v_cndmask_b32_e32 v2, v33, v2, vcc
	s_waitcnt vmcnt(2)
	v_cmp_lt_i16_e32 vcc, -1, v12
	v_cndmask_b32_e32 v3, v33, v34, vcc
	v_lshlrev_b32_e32 v4, 16, v12
	v_cmp_o_f32_e32 vcc, v4, v4
	v_xor_b32_sdwa v3, v3, v12 dst_sel:DWORD dst_unused:UNUSED_PAD src0_sel:DWORD src1_sel:WORD_0
	v_cndmask_b32_e32 v3, v33, v3, vcc
	;; [unrolled: 7-line block ×3, first 2 shown]
	s_waitcnt vmcnt(0)
	v_cmp_lt_i16_e32 vcc, -1, v1
	v_cndmask_b32_e32 v12, v33, v34, vcc
	v_lshlrev_b32_e32 v13, 16, v1
	v_cmp_o_f32_e32 vcc, v13, v13
	v_xor_b32_sdwa v1, v12, v1 dst_sel:DWORD dst_unused:UNUSED_PAD src0_sel:DWORD src1_sel:WORD_0
	v_and_b32_e32 v12, v2, v37
	v_bfe_u32 v2, v2, v32, 2
	v_cndmask_b32_e32 v1, v33, v1, vcc
	v_cmp_eq_u32_e32 vcc, v12, v28
	v_and_b32_e32 v12, v3, v37
	v_bfe_u32 v3, v3, v32, 2
	v_cmp_eq_u32_e64 s[24:25], 0, v2
	v_cmp_eq_u32_e64 s[6:7], v12, v28
	v_and_b32_e32 v12, v4, v37
	v_bfe_u32 v4, v4, v32, 2
	s_and_b64 s[16:17], vcc, s[24:25]
	v_cmp_eq_u32_e64 s[24:25], 0, v3
	v_cmp_eq_u32_e64 s[20:21], v12, v28
	v_and_b32_e32 v12, v1, v37
	v_bfe_u32 v1, v1, v32, 2
	s_and_b64 s[72:73], s[6:7], s[24:25]
	v_cmp_eq_u32_e64 s[24:25], 0, v4
	v_cmp_eq_u32_e64 s[22:23], v12, v28
	s_and_b64 s[74:75], s[20:21], s[24:25]
	v_cmp_eq_u32_e64 s[24:25], 0, v1
	v_cndmask_b32_e64 v12, 0, 1, s[16:17]
	s_and_b64 s[76:77], s[22:23], s[24:25]
	v_cmp_ne_u32_e64 s[24:25], 0, v12
	v_cndmask_b32_e64 v12, 0, 1, s[72:73]
	s_bcnt1_i32_b64 s16, s[24:25]
	v_cmp_ne_u32_e64 s[24:25], 0, v12
	v_cndmask_b32_e64 v12, 0, 1, s[74:75]
	s_bcnt1_i32_b64 s17, s[24:25]
	v_cmp_ne_u32_e64 s[24:25], 0, v12
	v_cndmask_b32_e64 v12, 0, 1, s[76:77]
	s_add_i32 s16, s70, s16
	s_bcnt1_i32_b64 s71, s[24:25]
	v_cmp_ne_u32_e64 s[24:25], 0, v12
	s_add_i32 s16, s16, s17
	s_bcnt1_i32_b64 s24, s[24:25]
	s_add_i32 s16, s16, s71
	s_add_i32 s70, s16, s24
	v_cmp_eq_u32_e64 s[24:25], 1, v2
	s_and_b64 s[16:17], vcc, s[24:25]
	v_cmp_eq_u32_e64 s[24:25], 1, v3
	s_and_b64 s[72:73], s[6:7], s[24:25]
	v_cmp_eq_u32_e64 s[24:25], 1, v4
	s_and_b64 s[74:75], s[20:21], s[24:25]
	v_cmp_eq_u32_e64 s[24:25], 1, v1
	v_cndmask_b32_e64 v12, 0, 1, s[16:17]
	s_and_b64 s[76:77], s[22:23], s[24:25]
	v_cmp_ne_u32_e64 s[24:25], 0, v12
	v_cndmask_b32_e64 v12, 0, 1, s[72:73]
	s_bcnt1_i32_b64 s16, s[24:25]
	v_cmp_ne_u32_e64 s[24:25], 0, v12
	v_cndmask_b32_e64 v12, 0, 1, s[74:75]
	s_bcnt1_i32_b64 s17, s[24:25]
	v_cmp_ne_u32_e64 s[24:25], 0, v12
	v_cndmask_b32_e64 v12, 0, 1, s[76:77]
	s_add_i32 s16, s69, s16
	s_bcnt1_i32_b64 s71, s[24:25]
	v_cmp_ne_u32_e64 s[24:25], 0, v12
	s_add_i32 s16, s16, s17
	s_bcnt1_i32_b64 s24, s[24:25]
	s_add_i32 s16, s16, s71
	s_add_i32 s69, s16, s24
	v_cmp_eq_u32_e64 s[24:25], 2, v2
	s_and_b64 s[16:17], vcc, s[24:25]
	v_cmp_eq_u32_e64 s[24:25], 2, v3
	s_and_b64 s[72:73], s[6:7], s[24:25]
	v_cmp_eq_u32_e64 s[24:25], 2, v4
	s_and_b64 s[74:75], s[20:21], s[24:25]
	v_cmp_eq_u32_e64 s[24:25], 2, v1
	v_cndmask_b32_e64 v12, 0, 1, s[16:17]
	s_and_b64 s[76:77], s[22:23], s[24:25]
	v_cmp_ne_u32_e64 s[24:25], 0, v12
	v_cndmask_b32_e64 v12, 0, 1, s[72:73]
	s_bcnt1_i32_b64 s16, s[24:25]
	v_cmp_ne_u32_e64 s[24:25], 0, v12
	v_cndmask_b32_e64 v12, 0, 1, s[74:75]
	s_bcnt1_i32_b64 s17, s[24:25]
	v_cmp_ne_u32_e64 s[24:25], 0, v12
	v_cndmask_b32_e64 v12, 0, 1, s[76:77]
	s_add_i32 s16, s68, s16
	s_bcnt1_i32_b64 s71, s[24:25]
	v_cmp_ne_u32_e64 s[24:25], 0, v12
	s_add_i32 s16, s16, s17
	s_bcnt1_i32_b64 s24, s[24:25]
	s_add_i32 s16, s16, s71
	s_add_i32 s68, s16, s24
	v_cmp_eq_u32_e64 s[24:25], 3, v2
	s_and_b64 s[16:17], vcc, s[24:25]
	v_cmp_eq_u32_e32 vcc, 3, v3
	s_and_b64 s[6:7], s[6:7], vcc
	v_cmp_eq_u32_e32 vcc, 3, v4
	s_and_b64 s[20:21], s[20:21], vcc
	v_cmp_eq_u32_e32 vcc, 3, v1
	v_cndmask_b32_e64 v1, 0, 1, s[16:17]
	s_and_b64 s[22:23], s[22:23], vcc
	v_cmp_ne_u32_e32 vcc, 0, v1
	v_cndmask_b32_e64 v1, 0, 1, s[6:7]
	s_bcnt1_i32_b64 s16, vcc
	v_cmp_ne_u32_e32 vcc, 0, v1
	v_cndmask_b32_e64 v1, 0, 1, s[20:21]
	s_bcnt1_i32_b64 s6, vcc
	v_cmp_ne_u32_e32 vcc, 0, v1
	v_cndmask_b32_e64 v1, 0, 1, s[22:23]
	s_add_i32 s16, s67, s16
	s_bcnt1_i32_b64 s7, vcc
	v_cmp_ne_u32_e32 vcc, 0, v1
	s_add_i32 s6, s16, s6
	s_bcnt1_i32_b64 s17, vcc
	s_add_i32 s6, s6, s7
	s_add_i32 s67, s6, s17
	v_cmp_le_i32_e32 vcc, s9, v6
	s_or_b64 s[64:65], vcc, s[64:65]
	v_mov_b32_e32 v1, s70
	v_mov_b32_e32 v2, s69
	;; [unrolled: 1-line block ×4, first 2 shown]
	s_andn2_b64 exec, exec, s[64:65]
	s_cbranch_execnz .LBB64_48
; %bb.49:                               ;   in Loop: Header=BB64_7 Depth=1
	s_or_b64 exec, exec, s[64:65]
	s_or_b64 exec, exec, s[26:27]
	v_mov_b32_e32 v40, 0
	s_and_saveexec_b64 s[6:7], s[12:13]
	s_cbranch_execz .LBB64_46
.LBB64_50:                              ;   in Loop: Header=BB64_7 Depth=1
	global_load_ushort v40, v[10:11], off
	s_or_b64 exec, exec, s[6:7]
	s_and_saveexec_b64 s[20:21], s[14:15]
	s_cbranch_execz .LBB64_56
.LBB64_51:                              ;   in Loop: Header=BB64_7 Depth=1
	s_mov_b64 s[22:23], 0
	v_mov_b32_e32 v12, v29
	v_mov_b32_e32 v6, v23
	s_branch .LBB64_53
.LBB64_52:                              ;   in Loop: Header=BB64_53 Depth=2
	s_or_b64 exec, exec, s[6:7]
	s_waitcnt vmcnt(0)
	v_cmp_lt_i16_e32 vcc, -1, v40
	v_cndmask_b32_e32 v41, v33, v34, vcc
	v_lshlrev_b32_e32 v42, 16, v40
	v_xor_b32_sdwa v40, v41, v40 dst_sel:DWORD dst_unused:UNUSED_PAD src0_sel:DWORD src1_sel:WORD_0
	v_cmp_o_f32_e32 vcc, v42, v42
	v_cndmask_b32_e32 v40, v33, v40, vcc
	v_and_b32_e32 v41, v40, v37
	v_bfe_u32 v40, v40, v32, 2
	v_cmp_eq_u32_e32 vcc, v41, v28
	v_cmp_eq_u32_e64 s[6:7], 0, v40
	s_and_b64 s[6:7], vcc, s[6:7]
	v_cndmask_b32_e64 v41, 0, 1, s[6:7]
	v_cmp_ne_u32_e64 s[6:7], 0, v41
	s_bcnt1_i32_b64 s6, s[6:7]
	v_add_u32_e32 v1, s6, v1
	v_cmp_eq_u32_e64 s[6:7], 1, v40
	s_and_b64 s[6:7], vcc, s[6:7]
	v_cndmask_b32_e64 v41, 0, 1, s[6:7]
	v_cmp_ne_u32_e64 s[6:7], 0, v41
	s_bcnt1_i32_b64 s6, s[6:7]
	v_add_u32_e32 v2, s6, v2
	;; [unrolled: 6-line block ×3, first 2 shown]
	v_cmp_eq_u32_e64 s[6:7], 3, v40
	s_and_b64 s[6:7], vcc, s[6:7]
	v_cndmask_b32_e64 v40, 0, 1, s[6:7]
	v_cmp_ne_u32_e32 vcc, 0, v40
	s_bcnt1_i32_b64 s6, vcc
	v_cmp_le_i32_e32 vcc, s28, v6
	v_add_u32_e32 v4, s6, v4
	v_add_u32_e32 v12, s36, v12
	s_or_b64 s[22:23], vcc, s[22:23]
	v_mov_b32_e32 v40, v13
	s_andn2_b64 exec, exec, s[22:23]
	s_cbranch_execz .LBB64_55
.LBB64_53:                              ;   Parent Loop BB64_7 Depth=1
                                        ; =>  This Inner Loop Header: Depth=2
	v_add_u32_e32 v6, s34, v6
	v_cmp_gt_u32_e32 vcc, s28, v6
	v_mov_b32_e32 v13, 0
	s_and_saveexec_b64 s[6:7], vcc
	s_cbranch_execz .LBB64_52
; %bb.54:                               ;   in Loop: Header=BB64_53 Depth=2
	v_ashrrev_i32_e32 v13, 31, v12
	v_lshlrev_b64 v[41:42], 1, v[12:13]
	v_mov_b32_e32 v13, s35
	v_add_co_u32_e32 v41, vcc, s30, v41
	v_addc_co_u32_e32 v42, vcc, v13, v42, vcc
	global_load_ushort v13, v[41:42], off
	s_branch .LBB64_52
.LBB64_55:                              ;   in Loop: Header=BB64_7 Depth=1
	s_or_b64 exec, exec, s[22:23]
.LBB64_56:                              ;   in Loop: Header=BB64_7 Depth=1
	s_or_b64 exec, exec, s[20:21]
	s_branch .LBB64_36
.LBB64_57:                              ;   in Loop: Header=BB64_7 Depth=1
	s_mul_hi_u32 s6, s45, s8
	s_mul_i32 s6, s6, s37
	s_sub_i32 s6, s45, s6
	s_sub_i32 s7, s6, s37
	s_cmp_ge_u32 s6, s37
	s_cselect_b32 s6, s7, s6
	s_sub_i32 s7, s6, s37
	s_cmp_ge_u32 s6, s37
	s_cselect_b32 s6, s7, s6
	s_sub_i32 s66, s45, s6
	v_cmp_gt_u32_e32 vcc, s66, v14
	v_mov_b32_e32 v1, 0
	v_mov_b32_e32 v2, 0
	;; [unrolled: 1-line block ×4, first 2 shown]
	s_and_saveexec_b64 s[26:27], vcc
	s_cbranch_execz .LBB64_61
; %bb.58:                               ;   in Loop: Header=BB64_7 Depth=1
	s_mov_b32 s67, 0
	s_mov_b64 s[64:65], 0
	v_mov_b32_e32 v6, v30
	s_mov_b32 s68, 0
	s_mov_b32 s69, 0
	;; [unrolled: 1-line block ×3, first 2 shown]
	v_mov_b32_e32 v12, v14
.LBB64_59:                              ;   Parent Loop BB64_7 Depth=1
                                        ; =>  This Inner Loop Header: Depth=2
	ds_read_b64 v[1:2], v6
	v_add_u32_e32 v12, s37, v12
	v_add_u32_e32 v6, s49, v6
	s_waitcnt lgkmcnt(0)
	v_cmp_lt_i16_e32 vcc, -1, v1
	v_cndmask_b32_e32 v3, v33, v34, vcc
	v_lshlrev_b32_e32 v4, 16, v1
	v_cmp_o_f32_e32 vcc, v4, v4
	v_xor_b32_sdwa v3, v3, v1 dst_sel:DWORD dst_unused:UNUSED_PAD src0_sel:DWORD src1_sel:WORD_0
	v_cndmask_b32_e32 v3, v33, v3, vcc
	v_cmp_gt_i16_sdwa vcc, v1, v35 src0_sel:WORD_1 src1_sel:DWORD
	v_cndmask_b32_e32 v4, v33, v34, vcc
	v_and_b32_e32 v13, 0xffff0000, v1
	v_cmp_o_f32_e32 vcc, v13, v13
	v_xor_b32_sdwa v1, v4, v1 dst_sel:DWORD dst_unused:UNUSED_PAD src0_sel:DWORD src1_sel:WORD_1
	v_cndmask_b32_e32 v1, v33, v1, vcc
	v_cmp_lt_i16_e32 vcc, -1, v2
	v_cndmask_b32_e32 v4, v33, v34, vcc
	v_lshlrev_b32_e32 v13, 16, v2
	v_cmp_o_f32_e32 vcc, v13, v13
	v_xor_b32_sdwa v4, v4, v2 dst_sel:DWORD dst_unused:UNUSED_PAD src0_sel:DWORD src1_sel:WORD_0
	v_cndmask_b32_e32 v4, v33, v4, vcc
	v_cmp_gt_i16_sdwa vcc, v2, v35 src0_sel:WORD_1 src1_sel:DWORD
	v_cndmask_b32_e32 v13, v33, v34, vcc
	s_waitcnt vmcnt(0)
	v_and_b32_e32 v40, 0xffff0000, v2
	v_cmp_o_f32_e32 vcc, v40, v40
	v_xor_b32_sdwa v2, v13, v2 dst_sel:DWORD dst_unused:UNUSED_PAD src0_sel:DWORD src1_sel:WORD_1
	v_and_b32_e32 v13, v3, v37
	v_bfe_u32 v3, v3, v32, 2
	v_cndmask_b32_e32 v2, v33, v2, vcc
	v_cmp_eq_u32_e32 vcc, v13, v28
	v_and_b32_e32 v13, v1, v37
	v_bfe_u32 v1, v1, v32, 2
	v_cmp_eq_u32_e64 s[24:25], 0, v3
	v_cmp_eq_u32_e64 s[6:7], v13, v28
	v_and_b32_e32 v13, v4, v37
	v_bfe_u32 v4, v4, v32, 2
	s_and_b64 s[16:17], vcc, s[24:25]
	v_cmp_eq_u32_e64 s[24:25], 0, v1
	v_cmp_eq_u32_e64 s[20:21], v13, v28
	v_and_b32_e32 v13, v2, v37
	v_bfe_u32 v2, v2, v32, 2
	s_and_b64 s[72:73], s[6:7], s[24:25]
	v_cmp_eq_u32_e64 s[24:25], 0, v4
	v_cmp_eq_u32_e64 s[22:23], v13, v28
	s_and_b64 s[74:75], s[20:21], s[24:25]
	v_cmp_eq_u32_e64 s[24:25], 0, v2
	v_cndmask_b32_e64 v13, 0, 1, s[16:17]
	s_and_b64 s[76:77], s[22:23], s[24:25]
	v_cmp_ne_u32_e64 s[24:25], 0, v13
	v_cndmask_b32_e64 v13, 0, 1, s[72:73]
	s_bcnt1_i32_b64 s16, s[24:25]
	v_cmp_ne_u32_e64 s[24:25], 0, v13
	v_cndmask_b32_e64 v13, 0, 1, s[74:75]
	s_bcnt1_i32_b64 s17, s[24:25]
	v_cmp_ne_u32_e64 s[24:25], 0, v13
	v_cndmask_b32_e64 v13, 0, 1, s[76:77]
	s_add_i32 s16, s70, s16
	s_bcnt1_i32_b64 s71, s[24:25]
	v_cmp_ne_u32_e64 s[24:25], 0, v13
	s_add_i32 s16, s16, s17
	s_bcnt1_i32_b64 s24, s[24:25]
	s_add_i32 s16, s16, s71
	s_add_i32 s70, s16, s24
	v_cmp_eq_u32_e64 s[24:25], 1, v3
	s_and_b64 s[16:17], vcc, s[24:25]
	v_cmp_eq_u32_e64 s[24:25], 1, v1
	s_and_b64 s[72:73], s[6:7], s[24:25]
	v_cmp_eq_u32_e64 s[24:25], 1, v4
	s_and_b64 s[74:75], s[20:21], s[24:25]
	v_cmp_eq_u32_e64 s[24:25], 1, v2
	v_cndmask_b32_e64 v13, 0, 1, s[16:17]
	s_and_b64 s[76:77], s[22:23], s[24:25]
	v_cmp_ne_u32_e64 s[24:25], 0, v13
	v_cndmask_b32_e64 v13, 0, 1, s[72:73]
	s_bcnt1_i32_b64 s16, s[24:25]
	v_cmp_ne_u32_e64 s[24:25], 0, v13
	v_cndmask_b32_e64 v13, 0, 1, s[74:75]
	s_bcnt1_i32_b64 s17, s[24:25]
	v_cmp_ne_u32_e64 s[24:25], 0, v13
	v_cndmask_b32_e64 v13, 0, 1, s[76:77]
	s_add_i32 s16, s69, s16
	s_bcnt1_i32_b64 s71, s[24:25]
	v_cmp_ne_u32_e64 s[24:25], 0, v13
	s_add_i32 s16, s16, s17
	s_bcnt1_i32_b64 s24, s[24:25]
	s_add_i32 s16, s16, s71
	s_add_i32 s69, s16, s24
	v_cmp_eq_u32_e64 s[24:25], 2, v3
	s_and_b64 s[16:17], vcc, s[24:25]
	v_cmp_eq_u32_e64 s[24:25], 2, v1
	s_and_b64 s[72:73], s[6:7], s[24:25]
	v_cmp_eq_u32_e64 s[24:25], 2, v4
	s_and_b64 s[74:75], s[20:21], s[24:25]
	v_cmp_eq_u32_e64 s[24:25], 2, v2
	v_cndmask_b32_e64 v13, 0, 1, s[16:17]
	s_and_b64 s[76:77], s[22:23], s[24:25]
	v_cmp_ne_u32_e64 s[24:25], 0, v13
	v_cndmask_b32_e64 v13, 0, 1, s[72:73]
	s_bcnt1_i32_b64 s16, s[24:25]
	v_cmp_ne_u32_e64 s[24:25], 0, v13
	v_cndmask_b32_e64 v13, 0, 1, s[74:75]
	s_bcnt1_i32_b64 s17, s[24:25]
	v_cmp_ne_u32_e64 s[24:25], 0, v13
	v_cndmask_b32_e64 v13, 0, 1, s[76:77]
	s_add_i32 s16, s68, s16
	s_bcnt1_i32_b64 s71, s[24:25]
	v_cmp_ne_u32_e64 s[24:25], 0, v13
	s_add_i32 s16, s16, s17
	s_bcnt1_i32_b64 s24, s[24:25]
	s_add_i32 s16, s16, s71
	s_add_i32 s68, s16, s24
	v_cmp_eq_u32_e64 s[24:25], 3, v3
	s_and_b64 s[16:17], vcc, s[24:25]
	v_cmp_eq_u32_e32 vcc, 3, v1
	s_and_b64 s[6:7], s[6:7], vcc
	v_cmp_eq_u32_e32 vcc, 3, v4
	s_and_b64 s[20:21], s[20:21], vcc
	v_cmp_eq_u32_e32 vcc, 3, v2
	v_cndmask_b32_e64 v1, 0, 1, s[16:17]
	s_and_b64 s[22:23], s[22:23], vcc
	v_cmp_ne_u32_e32 vcc, 0, v1
	v_cndmask_b32_e64 v1, 0, 1, s[6:7]
	s_bcnt1_i32_b64 s16, vcc
	v_cmp_ne_u32_e32 vcc, 0, v1
	v_cndmask_b32_e64 v1, 0, 1, s[20:21]
	s_bcnt1_i32_b64 s6, vcc
	v_cmp_ne_u32_e32 vcc, 0, v1
	v_cndmask_b32_e64 v1, 0, 1, s[22:23]
	s_add_i32 s16, s67, s16
	s_bcnt1_i32_b64 s7, vcc
	v_cmp_ne_u32_e32 vcc, 0, v1
	s_add_i32 s6, s16, s6
	s_bcnt1_i32_b64 s17, vcc
	s_add_i32 s6, s6, s7
	s_add_i32 s67, s6, s17
	v_cmp_le_i32_e32 vcc, s66, v12
	s_or_b64 s[64:65], vcc, s[64:65]
	v_mov_b32_e32 v1, s70
	v_mov_b32_e32 v2, s69
	;; [unrolled: 1-line block ×4, first 2 shown]
	s_andn2_b64 exec, exec, s[64:65]
	s_cbranch_execnz .LBB64_59
; %bb.60:                               ;   in Loop: Header=BB64_7 Depth=1
	s_or_b64 exec, exec, s[64:65]
.LBB64_61:                              ;   in Loop: Header=BB64_7 Depth=1
	s_or_b64 exec, exec, s[26:27]
	v_add_u32_e32 v6, s66, v0
	v_cmp_gt_i32_e32 vcc, s45, v6
	s_and_saveexec_b64 s[64:65], vcc
	s_cbranch_execz .LBB64_65
; %bb.62:                               ;   in Loop: Header=BB64_7 Depth=1
	v_lshlrev_b32_e32 v12, 1, v6
	s_mov_b64 s[66:67], 0
.LBB64_63:                              ;   Parent Loop BB64_7 Depth=1
                                        ; =>  This Inner Loop Header: Depth=2
	ds_read_u16 v13, v12
	v_add_u32_e32 v6, s34, v6
	v_cmp_le_i32_e32 vcc, s45, v6
	v_add_u32_e32 v12, s44, v12
	s_waitcnt lgkmcnt(0)
	v_cmp_lt_i16_e64 s[6:7], -1, v13
	s_waitcnt vmcnt(0)
	v_cndmask_b32_e64 v40, v33, v34, s[6:7]
	v_lshlrev_b32_e32 v41, 16, v13
	v_xor_b32_sdwa v13, v40, v13 dst_sel:DWORD dst_unused:UNUSED_PAD src0_sel:DWORD src1_sel:WORD_0
	v_cmp_o_f32_e64 s[6:7], v41, v41
	v_cndmask_b32_e64 v13, v33, v13, s[6:7]
	v_and_b32_e32 v40, v13, v37
	v_bfe_u32 v13, v13, v32, 2
	v_cmp_eq_u32_e64 s[6:7], v40, v28
	v_cmp_eq_u32_e64 s[20:21], 0, v13
	;; [unrolled: 1-line block ×3, first 2 shown]
	s_and_b64 s[16:17], s[6:7], s[20:21]
	v_cmp_eq_u32_e64 s[24:25], 2, v13
	v_cmp_eq_u32_e64 s[26:27], 3, v13
	v_cndmask_b32_e64 v13, 0, 1, s[16:17]
	s_and_b64 s[16:17], s[6:7], s[22:23]
	v_cndmask_b32_e64 v40, 0, 1, s[16:17]
	s_and_b64 s[16:17], s[6:7], s[24:25]
	s_and_b64 s[6:7], s[6:7], s[26:27]
	v_cndmask_b32_e64 v41, 0, 1, s[16:17]
	v_cndmask_b32_e64 v42, 0, 1, s[6:7]
	v_cmp_ne_u32_e64 s[6:7], 0, v13
	v_cmp_ne_u32_e64 s[20:21], 0, v40
	;; [unrolled: 1-line block ×4, first 2 shown]
	s_bcnt1_i32_b64 s6, s[6:7]
	s_bcnt1_i32_b64 s7, s[20:21]
	s_bcnt1_i32_b64 s16, s[22:23]
	s_bcnt1_i32_b64 s17, s[24:25]
	v_add_u32_e32 v1, s6, v1
	v_add_u32_e32 v2, s7, v2
	;; [unrolled: 1-line block ×3, first 2 shown]
	s_or_b64 s[66:67], vcc, s[66:67]
	v_add_u32_e32 v4, s17, v4
	s_andn2_b64 exec, exec, s[66:67]
	s_cbranch_execnz .LBB64_63
; %bb.64:                               ;   in Loop: Header=BB64_7 Depth=1
	s_or_b64 exec, exec, s[66:67]
.LBB64_65:                              ;   in Loop: Header=BB64_7 Depth=1
	s_or_b64 exec, exec, s[64:65]
	s_lshl_b32 s16, s18, 6
	s_and_saveexec_b64 s[6:7], s[2:3]
	s_cbranch_execnz .LBB64_37
	s_branch .LBB64_38
.LBB64_66:                              ;   in Loop: Header=BB64_7 Depth=1
	s_or_b64 exec, exec, s[22:23]
	s_waitcnt lgkmcnt(0)
	s_barrier
	s_and_saveexec_b64 s[6:7], s[0:1]
	s_cbranch_execz .LBB64_68
; %bb.67:                               ;   in Loop: Header=BB64_7 Depth=1
	ds_read_b32 v1, v7 offset:4104
	s_waitcnt lgkmcnt(0)
	ds_write_b32 v7, v1 offset:4096
.LBB64_68:                              ;   in Loop: Header=BB64_7 Depth=1
	s_or_b64 exec, exec, s[6:7]
	s_waitcnt lgkmcnt(0)
	s_barrier
	s_mov_b64 s[6:7], -1
	s_and_b64 vcc, exec, s[20:21]
	s_cbranch_vccnz .LBB64_22
	s_branch .LBB64_32
.LBB64_69:                              ;   in Loop: Header=BB64_7 Depth=1
	v_mov_b32_e32 v1, 0
	s_mov_b32 s17, 0
.LBB64_70:                              ;   in Loop: Header=BB64_7 Depth=1
	v_readlane_b32 s20, v44, 12
	v_readlane_b32 s21, v44, 13
	s_andn2_b64 vcc, exec, s[20:21]
	s_cbranch_vccnz .LBB64_73
; %bb.71:                               ;   in Loop: Header=BB64_7 Depth=1
	s_lshl_b32 s20, s18, 8
	s_lshl_b32 s17, s17, 4
	s_add_i32 s20, s20, s17
	v_add_u32_e32 v2, s20, v31
	v_readlane_b32 s17, v44, 11
.LBB64_72:                              ;   Parent Loop BB64_7 Depth=1
                                        ; =>  This Inner Loop Header: Depth=2
	ds_read_b32 v3, v2
	s_add_i32 s17, s17, -1
	v_add_u32_e32 v2, 16, v2
	s_cmp_lg_u32 s17, 0
	s_waitcnt lgkmcnt(0)
	v_add_u32_e32 v1, v3, v1
	s_cbranch_scc1 .LBB64_72
.LBB64_73:                              ;   in Loop: Header=BB64_7 Depth=1
	v_add_lshl_u32 v2, s16, v15, 2
	ds_write_b32 v2, v1 offset:3072
.LBB64_74:                              ;   in Loop: Header=BB64_7 Depth=1
	s_or_b64 exec, exec, s[6:7]
	s_lshl_b32 s6, s16, 2
	v_mov_b32_e32 v1, s6
	s_waitcnt lgkmcnt(0)
	s_barrier
	ds_read_b128 v[1:4], v1 offset:3072
	v_cmp_eq_u32_e32 vcc, 1, v39
	s_mov_b64 s[20:21], -1
	s_mov_b64 s[64:65], -1
                                        ; implicit-def: $sgpr26_sgpr27
                                        ; implicit-def: $sgpr24_sgpr25
	s_waitcnt lgkmcnt(0)
	v_readfirstlane_b32 s76, v1
	s_cmp_eq_u32 s76, 1
	v_readfirstlane_b32 s88, v3
	v_lshlrev_b32_e64 v3, v32, 3
	s_cselect_b64 s[6:7], -1, 0
	v_readfirstlane_b32 s80, v2
	v_readfirstlane_b32 s45, v4
	v_not_b32_e32 v6, v3
	s_and_b64 s[22:23], s[6:7], vcc
	s_and_saveexec_b64 s[6:7], s[22:23]
	s_cbranch_execz .LBB64_100
; %bb.75:                               ;   in Loop: Header=BB64_7 Depth=1
	ds_read_b32 v1, v7 offset:4096
	s_waitcnt lgkmcnt(0)
	s_barrier
	v_readfirstlane_b32 s16, v1
	s_and_saveexec_b64 s[24:25], s[4:5]
; %bb.76:                               ;   in Loop: Header=BB64_7 Depth=1
	ds_write_b16 v17, v7
; %bb.77:                               ;   in Loop: Header=BB64_7 Depth=1
	s_or_b64 exec, exec, s[24:25]
	v_and_b32_e32 v28, v28, v6
	v_or_b32_e32 v37, v37, v3
	s_mov_b64 s[24:25], -1
	s_mov_b64 s[26:27], 0
	s_cmp_lt_i32 s16, 1
	s_mov_b64 s[64:65], 0
	s_mov_b64 s[66:67], -1
	s_waitcnt lgkmcnt(0)
	s_barrier
                                        ; implicit-def: $vgpr38
	s_cbranch_scc0 .LBB64_88
; %bb.78:                               ;   in Loop: Header=BB64_7 Depth=1
	s_mov_b64 s[66:67], 0
                                        ; implicit-def: $vgpr38
	s_mov_b64 s[68:69], exec
	v_readlane_b32 s70, v44, 14
	v_readlane_b32 s71, v44, 15
	s_and_b64 s[70:71], s[68:69], s[70:71]
	s_mov_b64 exec, s[70:71]
	s_cbranch_execz .LBB64_87
; %bb.79:                               ;   in Loop: Header=BB64_7 Depth=1
	v_mov_b32_e32 v1, v5
	v_mov_b32_e32 v4, v0
                                        ; implicit-def: $sgpr70_sgpr71
	s_branch .LBB64_82
.LBB64_80:                              ;   in Loop: Header=BB64_82 Depth=2
	s_or_b64 exec, exec, s[72:73]
	s_waitcnt lgkmcnt(0)
	s_barrier
	ds_read_b32 v2, v7 offset:3072
	s_mov_b64 s[72:73], -1
	s_mov_b64 s[74:75], -1
	s_waitcnt lgkmcnt(0)
	s_barrier
	v_and_b32_e32 v12, 0x7fff, v2
	v_cmp_ne_u32_e32 vcc, 0, v12
	s_cbranch_vccz .LBB64_85
.LBB64_81:                              ;   in Loop: Header=BB64_82 Depth=2
	s_and_b64 s[72:73], exec, s[72:73]
	s_or_b64 s[64:65], s[72:73], s[64:65]
	s_andn2_b64 s[70:71], s[70:71], exec
	s_and_b64 s[72:73], s[74:75], exec
	s_or_b64 s[70:71], s[70:71], s[72:73]
	s_andn2_b64 exec, exec, s[64:65]
	s_cbranch_execz .LBB64_86
.LBB64_82:                              ;   Parent Loop BB64_7 Depth=1
                                        ; =>  This Inner Loop Header: Depth=2
	v_cmp_gt_i32_e32 vcc, s28, v4
	s_and_saveexec_b64 s[72:73], vcc
	s_cbranch_execz .LBB64_80
; %bb.83:                               ;   in Loop: Header=BB64_82 Depth=2
	v_ashrrev_i32_e32 v2, 31, v1
	v_lshlrev_b64 v[12:13], 1, v[1:2]
	v_mov_b32_e32 v2, s35
	v_add_co_u32_e32 v12, vcc, s30, v12
	v_addc_co_u32_e32 v13, vcc, v2, v13, vcc
	global_load_ushort v2, v[12:13], off
	s_waitcnt vmcnt(0)
	v_cmp_lt_i16_e32 vcc, -1, v2
	v_cndmask_b32_e32 v12, v33, v34, vcc
	v_lshlrev_b32_e32 v13, 16, v2
	v_xor_b32_sdwa v12, v12, v2 dst_sel:DWORD dst_unused:UNUSED_PAD src0_sel:DWORD src1_sel:WORD_0
	v_cmp_o_f32_e32 vcc, v13, v13
	v_cndmask_b32_e32 v12, v33, v12, vcc
	v_and_b32_e32 v12, v12, v37
	v_cmp_eq_u32_e32 vcc, v12, v28
	s_and_b64 exec, exec, vcc
	s_cbranch_execz .LBB64_80
; %bb.84:                               ;   in Loop: Header=BB64_82 Depth=2
	v_perm_b32 v2, v2, s29, v36
	ds_write_b32 v7, v2 offset:3072
	s_branch .LBB64_80
.LBB64_85:                              ;   in Loop: Header=BB64_82 Depth=2
	v_add_u32_e32 v4, s34, v4
	v_cmp_le_i32_e32 vcc, s47, v4
	v_add_u32_e32 v1, s36, v1
	s_mov_b64 s[74:75], 0
	s_orn2_b64 s[72:73], vcc, exec
	s_branch .LBB64_81
.LBB64_86:                              ;   in Loop: Header=BB64_7 Depth=1
	s_or_b64 exec, exec, s[64:65]
	v_lshrrev_b32_e32 v38, 16, v2
	s_and_b64 s[64:65], s[70:71], exec
.LBB64_87:                              ;   in Loop: Header=BB64_7 Depth=1
	s_or_b64 exec, exec, s[68:69]
.LBB64_88:                              ;   in Loop: Header=BB64_7 Depth=1
	s_and_b64 vcc, exec, s[66:67]
	s_cbranch_vccz .LBB64_99
; %bb.89:                               ;   in Loop: Header=BB64_7 Depth=1
	s_add_i32 s17, s16, s33
	s_abs_i32 s25, s17
	s_mul_hi_u32 s26, s25, s46
	s_mul_i32 s26, s26, s34
	s_sub_i32 s25, s25, s26
	s_ashr_i32 s24, s17, 31
	s_sub_i32 s26, s25, s34
	s_cmp_ge_u32 s25, s34
	s_cselect_b32 s25, s26, s25
	s_sub_i32 s26, s25, s34
	s_cmp_ge_u32 s25, s34
	s_cselect_b32 s25, s26, s25
	s_xor_b32 s25, s25, s24
	s_sub_i32 s24, s24, s25
	s_add_i32 s17, s17, s24
	v_cmp_gt_i32_e32 vcc, s17, v0
                                        ; implicit-def: $vgpr38
	s_and_saveexec_b64 s[24:25], vcc
	s_cbranch_execz .LBB64_98
; %bb.90:                               ;   in Loop: Header=BB64_7 Depth=1
	s_mov_b64 s[26:27], 0
	v_mov_b32_e32 v1, v16
	v_mov_b32_e32 v2, v0
                                        ; implicit-def: $sgpr66_sgpr67
	s_branch .LBB64_93
.LBB64_91:                              ;   in Loop: Header=BB64_93 Depth=2
	s_or_b64 exec, exec, s[68:69]
	s_waitcnt lgkmcnt(0)
	s_barrier
	ds_read_b32 v4, v7 offset:3072
	s_mov_b64 s[68:69], -1
	s_mov_b64 s[70:71], -1
	s_waitcnt lgkmcnt(0)
	s_barrier
	v_and_b32_e32 v12, 0x7fff, v4
	v_cmp_ne_u32_e32 vcc, 0, v12
	s_cbranch_vccz .LBB64_96
.LBB64_92:                              ;   in Loop: Header=BB64_93 Depth=2
	s_and_b64 s[68:69], exec, s[68:69]
	s_or_b64 s[26:27], s[68:69], s[26:27]
	s_andn2_b64 s[66:67], s[66:67], exec
	s_and_b64 s[68:69], s[70:71], exec
	s_or_b64 s[66:67], s[66:67], s[68:69]
	s_andn2_b64 exec, exec, s[26:27]
	s_cbranch_execz .LBB64_97
.LBB64_93:                              ;   Parent Loop BB64_7 Depth=1
                                        ; =>  This Inner Loop Header: Depth=2
	v_cmp_gt_i32_e32 vcc, s16, v2
	s_and_saveexec_b64 s[68:69], vcc
	s_cbranch_execz .LBB64_91
; %bb.94:                               ;   in Loop: Header=BB64_93 Depth=2
	ds_read_u16 v4, v1
	s_waitcnt lgkmcnt(0)
	v_cmp_lt_i16_e32 vcc, -1, v4
	v_cndmask_b32_e32 v12, v33, v34, vcc
	v_lshlrev_b32_e32 v13, 16, v4
	v_xor_b32_sdwa v12, v12, v4 dst_sel:DWORD dst_unused:UNUSED_PAD src0_sel:DWORD src1_sel:WORD_0
	v_cmp_o_f32_e32 vcc, v13, v13
	v_cndmask_b32_e32 v12, v33, v12, vcc
	v_and_b32_e32 v12, v12, v37
	v_cmp_eq_u32_e32 vcc, v12, v28
	s_and_b64 exec, exec, vcc
	s_cbranch_execz .LBB64_91
; %bb.95:                               ;   in Loop: Header=BB64_93 Depth=2
	v_perm_b32 v4, v4, s29, v36
	ds_write_b32 v7, v4 offset:3072
	s_branch .LBB64_91
.LBB64_96:                              ;   in Loop: Header=BB64_93 Depth=2
	v_add_u32_e32 v2, s34, v2
	v_cmp_le_i32_e32 vcc, s17, v2
	v_add_u32_e32 v1, s44, v1
	s_mov_b64 s[70:71], 0
	s_orn2_b64 s[68:69], vcc, exec
	s_branch .LBB64_92
.LBB64_97:                              ;   in Loop: Header=BB64_7 Depth=1
	s_or_b64 exec, exec, s[26:27]
	s_andn2_b64 s[16:17], s[64:65], exec
	s_and_b64 s[26:27], s[66:67], exec
	v_lshrrev_b32_e32 v38, 16, v4
	s_or_b64 s[64:65], s[16:17], s[26:27]
.LBB64_98:                              ;   in Loop: Header=BB64_7 Depth=1
	s_or_b64 exec, exec, s[24:25]
	s_mov_b64 s[24:25], 0
	s_mov_b64 s[26:27], -1
.LBB64_99:                              ;   in Loop: Header=BB64_7 Depth=1
	s_orn2_b64 s[64:65], s[64:65], exec
.LBB64_100:                             ;   in Loop: Header=BB64_7 Depth=1
	s_or_b64 exec, exec, s[6:7]
	s_andn2_b64 s[6:7], s[62:63], exec
	s_and_b64 s[26:27], s[26:27], exec
	s_or_b64 s[62:63], s[6:7], s[26:27]
	s_andn2_b64 s[6:7], s[60:61], exec
	s_and_b64 s[24:25], s[24:25], exec
	v_readfirstlane_b32 s16, v0
	s_andn2_b64 s[58:59], s[58:59], exec
	s_or_b64 s[60:61], s[6:7], s[24:25]
                                        ; implicit-def: $vgpr12
	s_and_saveexec_b64 s[6:7], s[64:65]
	s_cbranch_execz .LBB64_6
; %bb.101:                              ;   in Loop: Header=BB64_7 Depth=1
	s_xor_b64 s[16:17], s[22:23], -1
	s_mov_b64 s[22:23], 0
	v_mov_b32_e32 v12, 1
	v_mov_b32_e32 v4, 1
	s_and_saveexec_b64 s[20:21], s[16:17]
	s_cbranch_execz .LBB64_110
; %bb.102:                              ;   in Loop: Header=BB64_7 Depth=1
	v_cmp_ge_i32_e32 vcc, s76, v39
	s_and_saveexec_b64 s[16:17], vcc
	s_xor_b64 s[22:23], exec, s[16:17]
	s_cbranch_execz .LBB64_107
; %bb.103:                              ;   in Loop: Header=BB64_7 Depth=1
	ds_read_b32 v1, v7 offset:4096
	v_and_b32_e32 v28, v28, v6
	v_or_b32_e32 v37, v37, v3
	s_waitcnt lgkmcnt(0)
	v_cmp_ne_u32_e32 vcc, 0, v1
	s_cbranch_vccnz .LBB64_107
; %bb.104:                              ;   in Loop: Header=BB64_7 Depth=1
	s_and_saveexec_b64 s[24:25], s[0:1]
; %bb.105:                              ;   in Loop: Header=BB64_7 Depth=1
	v_mov_b32_e32 v1, s76
	ds_write_b32 v7, v1 offset:4100
; %bb.106:                              ;   in Loop: Header=BB64_7 Depth=1
	s_or_b64 exec, exec, s[24:25]
	s_waitcnt lgkmcnt(0)
	s_barrier
.LBB64_107:                             ;   in Loop: Header=BB64_7 Depth=1
	s_or_saveexec_b64 s[22:23], s[22:23]
	s_mov_b64 s[24:25], 0
	v_mov_b32_e32 v4, 8
	s_xor_b64 exec, exec, s[22:23]
; %bb.108:                              ;   in Loop: Header=BB64_7 Depth=1
	s_mov_b64 s[24:25], exec
	v_subrev_u32_e32 v39, s76, v39
	v_mov_b32_e32 v4, 0
; %bb.109:                              ;   in Loop: Header=BB64_7 Depth=1
	s_or_b64 exec, exec, s[22:23]
	s_and_b64 s[22:23], s[24:25], exec
	v_mov_b32_e32 v12, v39
.LBB64_110:                             ;   in Loop: Header=BB64_7 Depth=1
	s_or_b64 exec, exec, s[20:21]
	s_mov_b64 s[20:21], -1
	s_mov_b64 s[64:65], -1
                                        ; implicit-def: $sgpr24_sgpr25
                                        ; implicit-def: $sgpr26_sgpr27
	s_and_saveexec_b64 s[16:17], s[22:23]
	s_xor_b64 s[22:23], exec, s[16:17]
	s_cbranch_execz .LBB64_227
; %bb.111:                              ;   in Loop: Header=BB64_7 Depth=1
	s_cmp_eq_u32 s80, 1
	s_cselect_b64 s[16:17], -1, 0
	v_cmp_eq_u32_e32 vcc, 1, v12
	s_and_b64 s[66:67], s[16:17], vcc
	s_mov_b64 s[68:69], -1
                                        ; implicit-def: $sgpr26_sgpr27
                                        ; implicit-def: $sgpr24_sgpr25
	s_and_saveexec_b64 s[64:65], s[66:67]
	s_cbranch_execz .LBB64_137
; %bb.112:                              ;   in Loop: Header=BB64_7 Depth=1
	ds_read_b32 v1, v7 offset:4096
	s_waitcnt lgkmcnt(0)
	s_barrier
	v_readfirstlane_b32 s16, v1
	s_and_saveexec_b64 s[24:25], s[4:5]
; %bb.113:                              ;   in Loop: Header=BB64_7 Depth=1
	ds_write_b16 v17, v7
; %bb.114:                              ;   in Loop: Header=BB64_7 Depth=1
	s_or_b64 exec, exec, s[24:25]
	v_and_b32_e32 v1, v28, v6
	v_lshl_or_b32 v28, 1, v32, v1
	v_or_b32_e32 v37, v37, v3
	s_mov_b64 s[24:25], -1
	s_mov_b64 s[26:27], 0
	s_cmp_gt_i32 s16, 0
	s_mov_b64 s[68:69], 0
	s_mov_b64 s[70:71], -1
	s_waitcnt lgkmcnt(0)
	s_barrier
                                        ; implicit-def: $vgpr38
	s_cbranch_scc1 .LBB64_125
; %bb.115:                              ;   in Loop: Header=BB64_7 Depth=1
	s_mov_b64 s[70:71], 0
                                        ; implicit-def: $vgpr38
	s_mov_b64 s[72:73], exec
	v_readlane_b32 s74, v44, 14
	v_readlane_b32 s75, v44, 15
	s_and_b64 s[74:75], s[72:73], s[74:75]
	s_mov_b64 exec, s[74:75]
	s_cbranch_execz .LBB64_124
; %bb.116:                              ;   in Loop: Header=BB64_7 Depth=1
	v_mov_b32_e32 v1, v5
	v_mov_b32_e32 v13, v0
                                        ; implicit-def: $sgpr74_sgpr75
	s_branch .LBB64_119
.LBB64_117:                             ;   in Loop: Header=BB64_119 Depth=2
	s_or_b64 exec, exec, s[76:77]
	s_waitcnt lgkmcnt(0)
	s_barrier
	ds_read_b32 v2, v7 offset:3072
	s_mov_b64 s[76:77], -1
	s_mov_b64 s[78:79], -1
	s_waitcnt lgkmcnt(0)
	s_barrier
	v_and_b32_e32 v38, 0x7fff, v2
	v_cmp_ne_u32_e32 vcc, 0, v38
	s_cbranch_vccz .LBB64_122
.LBB64_118:                             ;   in Loop: Header=BB64_119 Depth=2
	s_and_b64 s[76:77], exec, s[76:77]
	s_or_b64 s[68:69], s[76:77], s[68:69]
	s_andn2_b64 s[74:75], s[74:75], exec
	s_and_b64 s[76:77], s[78:79], exec
	s_or_b64 s[74:75], s[74:75], s[76:77]
	s_andn2_b64 exec, exec, s[68:69]
	s_cbranch_execz .LBB64_123
.LBB64_119:                             ;   Parent Loop BB64_7 Depth=1
                                        ; =>  This Inner Loop Header: Depth=2
	v_cmp_gt_i32_e32 vcc, s28, v13
	s_and_saveexec_b64 s[76:77], vcc
	s_cbranch_execz .LBB64_117
; %bb.120:                              ;   in Loop: Header=BB64_119 Depth=2
	v_ashrrev_i32_e32 v2, 31, v1
	v_lshlrev_b64 v[38:39], 1, v[1:2]
	v_mov_b32_e32 v2, s35
	v_add_co_u32_e32 v38, vcc, s30, v38
	v_addc_co_u32_e32 v39, vcc, v2, v39, vcc
	global_load_ushort v2, v[38:39], off
	s_waitcnt vmcnt(0)
	v_cmp_lt_i16_e32 vcc, -1, v2
	v_cndmask_b32_e32 v38, v33, v34, vcc
	v_lshlrev_b32_e32 v39, 16, v2
	v_xor_b32_sdwa v38, v38, v2 dst_sel:DWORD dst_unused:UNUSED_PAD src0_sel:DWORD src1_sel:WORD_0
	v_cmp_o_f32_e32 vcc, v39, v39
	v_cndmask_b32_e32 v38, v33, v38, vcc
	v_and_b32_e32 v38, v38, v37
	v_cmp_eq_u32_e32 vcc, v38, v28
	s_and_b64 exec, exec, vcc
	s_cbranch_execz .LBB64_117
; %bb.121:                              ;   in Loop: Header=BB64_119 Depth=2
	v_perm_b32 v2, v2, s29, v36
	ds_write_b32 v7, v2 offset:3072
	s_branch .LBB64_117
.LBB64_122:                             ;   in Loop: Header=BB64_119 Depth=2
	v_add_u32_e32 v13, s34, v13
	v_cmp_le_i32_e32 vcc, s47, v13
	v_add_u32_e32 v1, s36, v1
	s_mov_b64 s[78:79], 0
	s_orn2_b64 s[76:77], vcc, exec
	s_branch .LBB64_118
.LBB64_123:                             ;   in Loop: Header=BB64_7 Depth=1
	s_or_b64 exec, exec, s[68:69]
	v_lshrrev_b32_e32 v38, 16, v2
	s_and_b64 s[68:69], s[74:75], exec
.LBB64_124:                             ;   in Loop: Header=BB64_7 Depth=1
	s_or_b64 exec, exec, s[72:73]
.LBB64_125:                             ;   in Loop: Header=BB64_7 Depth=1
	s_and_b64 vcc, exec, s[70:71]
	s_cbranch_vccz .LBB64_136
; %bb.126:                              ;   in Loop: Header=BB64_7 Depth=1
	s_add_i32 s17, s16, s33
	s_abs_i32 s25, s17
	s_mul_hi_u32 s26, s25, s46
	s_mul_i32 s26, s26, s34
	s_sub_i32 s25, s25, s26
	s_ashr_i32 s24, s17, 31
	s_sub_i32 s26, s25, s34
	s_cmp_ge_u32 s25, s34
	s_cselect_b32 s25, s26, s25
	s_sub_i32 s26, s25, s34
	s_cmp_ge_u32 s25, s34
	s_cselect_b32 s25, s26, s25
	s_xor_b32 s25, s25, s24
	s_sub_i32 s24, s24, s25
	s_add_i32 s17, s17, s24
	v_cmp_gt_i32_e32 vcc, s17, v0
                                        ; implicit-def: $vgpr38
	s_and_saveexec_b64 s[24:25], vcc
	s_cbranch_execz .LBB64_135
; %bb.127:                              ;   in Loop: Header=BB64_7 Depth=1
	s_mov_b64 s[26:27], 0
	v_mov_b32_e32 v1, v16
	v_mov_b32_e32 v2, v0
                                        ; implicit-def: $sgpr70_sgpr71
	s_branch .LBB64_130
.LBB64_128:                             ;   in Loop: Header=BB64_130 Depth=2
	s_or_b64 exec, exec, s[72:73]
	s_waitcnt lgkmcnt(0)
	s_barrier
	ds_read_b32 v13, v7 offset:3072
	s_mov_b64 s[72:73], -1
	s_mov_b64 s[74:75], -1
	s_waitcnt lgkmcnt(0)
	s_barrier
	v_and_b32_e32 v38, 0x7fff, v13
	v_cmp_eq_u32_e32 vcc, 0, v38
	s_cbranch_vccnz .LBB64_133
.LBB64_129:                             ;   in Loop: Header=BB64_130 Depth=2
	s_and_b64 s[72:73], exec, s[72:73]
	s_or_b64 s[26:27], s[72:73], s[26:27]
	s_andn2_b64 s[70:71], s[70:71], exec
	s_and_b64 s[72:73], s[74:75], exec
	s_or_b64 s[70:71], s[70:71], s[72:73]
	s_andn2_b64 exec, exec, s[26:27]
	s_cbranch_execz .LBB64_134
.LBB64_130:                             ;   Parent Loop BB64_7 Depth=1
                                        ; =>  This Inner Loop Header: Depth=2
	v_cmp_gt_i32_e32 vcc, s16, v2
	s_and_saveexec_b64 s[72:73], vcc
	s_cbranch_execz .LBB64_128
; %bb.131:                              ;   in Loop: Header=BB64_130 Depth=2
	ds_read_u16 v13, v1
	s_waitcnt lgkmcnt(0)
	v_cmp_lt_i16_e32 vcc, -1, v13
	v_cndmask_b32_e32 v38, v33, v34, vcc
	v_lshlrev_b32_e32 v39, 16, v13
	v_xor_b32_sdwa v38, v38, v13 dst_sel:DWORD dst_unused:UNUSED_PAD src0_sel:DWORD src1_sel:WORD_0
	v_cmp_o_f32_e32 vcc, v39, v39
	v_cndmask_b32_e32 v38, v33, v38, vcc
	v_and_b32_e32 v38, v38, v37
	v_cmp_eq_u32_e32 vcc, v38, v28
	s_and_b64 exec, exec, vcc
	s_cbranch_execz .LBB64_128
; %bb.132:                              ;   in Loop: Header=BB64_130 Depth=2
	v_perm_b32 v13, v13, s29, v36
	ds_write_b32 v7, v13 offset:3072
	s_branch .LBB64_128
.LBB64_133:                             ;   in Loop: Header=BB64_130 Depth=2
	v_add_u32_e32 v2, s34, v2
	v_cmp_le_i32_e32 vcc, s17, v2
	v_add_u32_e32 v1, s44, v1
	s_mov_b64 s[74:75], 0
	s_orn2_b64 s[72:73], vcc, exec
	s_branch .LBB64_129
.LBB64_134:                             ;   in Loop: Header=BB64_7 Depth=1
	s_or_b64 exec, exec, s[26:27]
	s_andn2_b64 s[16:17], s[68:69], exec
	s_and_b64 s[26:27], s[70:71], exec
	v_lshrrev_b32_e32 v38, 16, v13
	s_or_b64 s[68:69], s[16:17], s[26:27]
.LBB64_135:                             ;   in Loop: Header=BB64_7 Depth=1
	s_or_b64 exec, exec, s[24:25]
	s_mov_b64 s[24:25], 0
	s_mov_b64 s[26:27], -1
.LBB64_136:                             ;   in Loop: Header=BB64_7 Depth=1
	s_orn2_b64 s[68:69], s[68:69], exec
.LBB64_137:                             ;   in Loop: Header=BB64_7 Depth=1
	s_or_b64 exec, exec, s[64:65]
	s_mov_b64 s[70:71], 0
	s_and_saveexec_b64 s[64:65], s[68:69]
	s_cbranch_execz .LBB64_226
; %bb.138:                              ;   in Loop: Header=BB64_7 Depth=1
	s_xor_b64 s[16:17], s[66:67], -1
	s_mov_b64 s[74:75], 0
	v_mov_b32_e32 v13, 1
	v_mov_b32_e32 v4, 1
	s_and_saveexec_b64 s[66:67], s[16:17]
	s_cbranch_execz .LBB64_147
; %bb.139:                              ;   in Loop: Header=BB64_7 Depth=1
	v_cmp_ge_i32_e32 vcc, s80, v12
	s_and_saveexec_b64 s[16:17], vcc
	s_xor_b64 s[68:69], exec, s[16:17]
	s_cbranch_execz .LBB64_144
; %bb.140:                              ;   in Loop: Header=BB64_7 Depth=1
	ds_read_b32 v1, v7 offset:4096
	v_and_b32_e32 v2, v28, v6
	v_lshl_or_b32 v28, 1, v32, v2
	v_or_b32_e32 v37, v37, v3
	s_waitcnt lgkmcnt(0)
	v_cmp_ne_u32_e32 vcc, 0, v1
	s_cbranch_vccnz .LBB64_144
; %bb.141:                              ;   in Loop: Header=BB64_7 Depth=1
	s_and_saveexec_b64 s[70:71], s[0:1]
; %bb.142:                              ;   in Loop: Header=BB64_7 Depth=1
	v_mov_b32_e32 v1, s80
	ds_write_b32 v7, v1 offset:4100
; %bb.143:                              ;   in Loop: Header=BB64_7 Depth=1
	s_or_b64 exec, exec, s[70:71]
	s_waitcnt lgkmcnt(0)
	s_barrier
.LBB64_144:                             ;   in Loop: Header=BB64_7 Depth=1
	s_or_saveexec_b64 s[68:69], s[68:69]
	s_mov_b64 s[70:71], 0
	v_mov_b32_e32 v4, 8
	s_xor_b64 exec, exec, s[68:69]
; %bb.145:                              ;   in Loop: Header=BB64_7 Depth=1
	s_mov_b64 s[70:71], exec
	v_subrev_u32_e32 v12, s80, v12
	v_mov_b32_e32 v4, 0
; %bb.146:                              ;   in Loop: Header=BB64_7 Depth=1
	s_or_b64 exec, exec, s[68:69]
	s_and_b64 s[74:75], s[70:71], exec
	v_mov_b32_e32 v13, v12
.LBB64_147:                             ;   in Loop: Header=BB64_7 Depth=1
	s_or_b64 exec, exec, s[66:67]
	s_mov_b64 s[72:73], -1
                                        ; implicit-def: $sgpr68_sgpr69
                                        ; implicit-def: $sgpr70_sgpr71
	s_and_saveexec_b64 s[66:67], s[74:75]
	s_cbranch_execz .LBB64_225
; %bb.148:                              ;   in Loop: Header=BB64_7 Depth=1
	s_cmp_eq_u32 s88, 1
	s_cselect_b64 s[16:17], -1, 0
	v_cmp_eq_u32_e32 vcc, 1, v13
	s_and_b64 s[74:75], s[16:17], vcc
	s_mov_b64 s[76:77], -1
                                        ; implicit-def: $sgpr70_sgpr71
                                        ; implicit-def: $sgpr68_sgpr69
	s_and_saveexec_b64 s[72:73], s[74:75]
	s_cbranch_execz .LBB64_174
; %bb.149:                              ;   in Loop: Header=BB64_7 Depth=1
	ds_read_b32 v1, v7 offset:4096
	s_waitcnt lgkmcnt(0)
	s_barrier
	v_readfirstlane_b32 s89, v1
	s_and_saveexec_b64 s[68:69], s[4:5]
; %bb.150:                              ;   in Loop: Header=BB64_7 Depth=1
	ds_write_b16 v17, v7
; %bb.151:                              ;   in Loop: Header=BB64_7 Depth=1
	s_or_b64 exec, exec, s[68:69]
	v_and_b32_e32 v1, v28, v6
	v_lshl_or_b32 v28, 2, v32, v1
	v_or_b32_e32 v37, v37, v3
	s_mov_b64 s[68:69], -1
	s_mov_b64 s[70:71], 0
	s_cmp_gt_i32 s89, 0
	s_mov_b64 s[76:77], 0
	s_mov_b64 s[78:79], -1
	s_waitcnt lgkmcnt(0)
	s_barrier
                                        ; implicit-def: $vgpr38
	s_cbranch_scc1 .LBB64_162
; %bb.152:                              ;   in Loop: Header=BB64_7 Depth=1
	s_mov_b64 s[78:79], 0
                                        ; implicit-def: $vgpr38
	s_mov_b64 s[80:81], exec
	v_readlane_b32 s16, v44, 14
	v_readlane_b32 s17, v44, 15
	s_and_b64 s[16:17], s[80:81], s[16:17]
	s_mov_b64 exec, s[16:17]
	s_cbranch_execz .LBB64_161
; %bb.153:                              ;   in Loop: Header=BB64_7 Depth=1
	v_mov_b32_e32 v1, v5
	v_mov_b32_e32 v12, v0
                                        ; implicit-def: $sgpr82_sgpr83
	s_branch .LBB64_156
.LBB64_154:                             ;   in Loop: Header=BB64_156 Depth=2
	s_or_b64 exec, exec, s[84:85]
	s_waitcnt lgkmcnt(0)
	s_barrier
	ds_read_b32 v2, v7 offset:3072
	s_mov_b64 s[84:85], -1
	s_mov_b64 s[86:87], -1
	s_waitcnt lgkmcnt(0)
	s_barrier
	v_and_b32_e32 v38, 0x7fff, v2
	v_cmp_ne_u32_e32 vcc, 0, v38
	s_cbranch_vccz .LBB64_159
.LBB64_155:                             ;   in Loop: Header=BB64_156 Depth=2
	s_and_b64 s[16:17], exec, s[84:85]
	s_or_b64 s[76:77], s[16:17], s[76:77]
	s_andn2_b64 s[16:17], s[82:83], exec
	s_and_b64 s[82:83], s[86:87], exec
	s_or_b64 s[82:83], s[16:17], s[82:83]
	s_andn2_b64 exec, exec, s[76:77]
	s_cbranch_execz .LBB64_160
.LBB64_156:                             ;   Parent Loop BB64_7 Depth=1
                                        ; =>  This Inner Loop Header: Depth=2
	v_cmp_gt_i32_e32 vcc, s28, v12
	s_and_saveexec_b64 s[84:85], vcc
	s_cbranch_execz .LBB64_154
; %bb.157:                              ;   in Loop: Header=BB64_156 Depth=2
	v_ashrrev_i32_e32 v2, 31, v1
	v_lshlrev_b64 v[38:39], 1, v[1:2]
	v_mov_b32_e32 v2, s35
	v_add_co_u32_e32 v38, vcc, s30, v38
	v_addc_co_u32_e32 v39, vcc, v2, v39, vcc
	global_load_ushort v2, v[38:39], off
	s_waitcnt vmcnt(0)
	v_cmp_lt_i16_e32 vcc, -1, v2
	v_cndmask_b32_e32 v38, v33, v34, vcc
	v_lshlrev_b32_e32 v39, 16, v2
	v_xor_b32_sdwa v38, v38, v2 dst_sel:DWORD dst_unused:UNUSED_PAD src0_sel:DWORD src1_sel:WORD_0
	v_cmp_o_f32_e32 vcc, v39, v39
	v_cndmask_b32_e32 v38, v33, v38, vcc
	v_and_b32_e32 v38, v38, v37
	v_cmp_eq_u32_e32 vcc, v38, v28
	s_and_b64 exec, exec, vcc
	s_cbranch_execz .LBB64_154
; %bb.158:                              ;   in Loop: Header=BB64_156 Depth=2
	v_perm_b32 v2, v2, s29, v36
	ds_write_b32 v7, v2 offset:3072
	s_branch .LBB64_154
.LBB64_159:                             ;   in Loop: Header=BB64_156 Depth=2
	v_add_u32_e32 v12, s34, v12
	v_cmp_le_i32_e32 vcc, s47, v12
	v_add_u32_e32 v1, s36, v1
	s_mov_b64 s[86:87], 0
	s_orn2_b64 s[84:85], vcc, exec
	s_branch .LBB64_155
.LBB64_160:                             ;   in Loop: Header=BB64_7 Depth=1
	s_or_b64 exec, exec, s[76:77]
	v_lshrrev_b32_e32 v38, 16, v2
	s_and_b64 s[76:77], s[82:83], exec
.LBB64_161:                             ;   in Loop: Header=BB64_7 Depth=1
	s_or_b64 exec, exec, s[80:81]
.LBB64_162:                             ;   in Loop: Header=BB64_7 Depth=1
	s_and_b64 vcc, exec, s[78:79]
	s_cbranch_vccz .LBB64_173
; %bb.163:                              ;   in Loop: Header=BB64_7 Depth=1
	s_add_i32 s16, s89, s33
	s_abs_i32 s68, s16
	s_mul_hi_u32 s69, s68, s46
	s_mul_i32 s69, s69, s34
	s_sub_i32 s68, s68, s69
	s_ashr_i32 s17, s16, 31
	s_sub_i32 s69, s68, s34
	s_cmp_ge_u32 s68, s34
	s_cselect_b32 s68, s69, s68
	s_sub_i32 s69, s68, s34
	s_cmp_ge_u32 s68, s34
	s_cselect_b32 s68, s69, s68
	s_xor_b32 s68, s68, s17
	s_sub_i32 s17, s17, s68
	s_add_i32 s16, s16, s17
	v_cmp_gt_i32_e32 vcc, s16, v0
                                        ; implicit-def: $vgpr38
	s_and_saveexec_b64 s[68:69], vcc
	s_cbranch_execz .LBB64_172
; %bb.164:                              ;   in Loop: Header=BB64_7 Depth=1
	s_mov_b64 s[70:71], 0
	v_mov_b32_e32 v1, v16
	v_mov_b32_e32 v2, v0
                                        ; implicit-def: $sgpr78_sgpr79
	s_branch .LBB64_167
.LBB64_165:                             ;   in Loop: Header=BB64_167 Depth=2
	s_or_b64 exec, exec, s[80:81]
	s_waitcnt lgkmcnt(0)
	s_barrier
	ds_read_b32 v12, v7 offset:3072
	s_mov_b64 s[80:81], -1
	s_mov_b64 s[82:83], -1
	s_waitcnt lgkmcnt(0)
	s_barrier
	v_and_b32_e32 v38, 0x7fff, v12
	v_cmp_eq_u32_e32 vcc, 0, v38
	s_cbranch_vccnz .LBB64_170
.LBB64_166:                             ;   in Loop: Header=BB64_167 Depth=2
	s_and_b64 s[80:81], exec, s[80:81]
	s_or_b64 s[70:71], s[80:81], s[70:71]
	s_andn2_b64 s[78:79], s[78:79], exec
	s_and_b64 s[80:81], s[82:83], exec
	s_or_b64 s[78:79], s[78:79], s[80:81]
	s_andn2_b64 exec, exec, s[70:71]
	s_cbranch_execz .LBB64_171
.LBB64_167:                             ;   Parent Loop BB64_7 Depth=1
                                        ; =>  This Inner Loop Header: Depth=2
	v_cmp_gt_i32_e32 vcc, s89, v2
	s_and_saveexec_b64 s[80:81], vcc
	s_cbranch_execz .LBB64_165
; %bb.168:                              ;   in Loop: Header=BB64_167 Depth=2
	ds_read_u16 v12, v1
	s_waitcnt lgkmcnt(0)
	v_cmp_lt_i16_e32 vcc, -1, v12
	v_cndmask_b32_e32 v38, v33, v34, vcc
	v_lshlrev_b32_e32 v39, 16, v12
	v_cmp_o_f32_e32 vcc, v39, v39
	v_xor_b32_sdwa v38, v38, v12 dst_sel:DWORD dst_unused:UNUSED_PAD src0_sel:DWORD src1_sel:WORD_0
	v_cndmask_b32_e32 v38, v33, v38, vcc
	v_and_b32_e32 v38, v38, v37
	v_cmp_eq_u32_e32 vcc, v38, v28
	s_and_b64 exec, exec, vcc
	s_cbranch_execz .LBB64_165
; %bb.169:                              ;   in Loop: Header=BB64_167 Depth=2
	v_perm_b32 v12, v12, s29, v36
	ds_write_b32 v7, v12 offset:3072
	s_branch .LBB64_165
.LBB64_170:                             ;   in Loop: Header=BB64_167 Depth=2
	v_add_u32_e32 v2, s34, v2
	v_cmp_le_i32_e32 vcc, s16, v2
	v_add_u32_e32 v1, s44, v1
	s_mov_b64 s[82:83], 0
	s_orn2_b64 s[80:81], vcc, exec
	s_branch .LBB64_166
.LBB64_171:                             ;   in Loop: Header=BB64_7 Depth=1
	s_or_b64 exec, exec, s[70:71]
	s_andn2_b64 s[16:17], s[76:77], exec
	s_and_b64 s[70:71], s[78:79], exec
	v_lshrrev_b32_e32 v38, 16, v12
	s_or_b64 s[76:77], s[16:17], s[70:71]
.LBB64_172:                             ;   in Loop: Header=BB64_7 Depth=1
	s_or_b64 exec, exec, s[68:69]
	s_mov_b64 s[68:69], 0
	s_mov_b64 s[70:71], -1
.LBB64_173:                             ;   in Loop: Header=BB64_7 Depth=1
	s_orn2_b64 s[76:77], s[76:77], exec
.LBB64_174:                             ;   in Loop: Header=BB64_7 Depth=1
	s_or_b64 exec, exec, s[72:73]
	s_mov_b64 s[78:79], 0
	s_and_saveexec_b64 s[72:73], s[76:77]
	s_cbranch_execz .LBB64_224
; %bb.175:                              ;   in Loop: Header=BB64_7 Depth=1
	s_xor_b64 s[16:17], s[74:75], -1
	s_mov_b64 s[82:83], 0
	v_mov_b32_e32 v12, 1
	v_mov_b32_e32 v4, 1
	s_and_saveexec_b64 s[74:75], s[16:17]
	s_cbranch_execz .LBB64_184
; %bb.176:                              ;   in Loop: Header=BB64_7 Depth=1
	v_cmp_ge_i32_e32 vcc, s88, v13
	s_and_saveexec_b64 s[16:17], vcc
	s_xor_b64 s[76:77], exec, s[16:17]
	s_cbranch_execz .LBB64_181
; %bb.177:                              ;   in Loop: Header=BB64_7 Depth=1
	ds_read_b32 v1, v7 offset:4096
	v_and_b32_e32 v2, v28, v6
	v_lshl_or_b32 v28, 2, v32, v2
	v_or_b32_e32 v37, v37, v3
	s_waitcnt lgkmcnt(0)
	v_cmp_ne_u32_e32 vcc, 0, v1
	s_cbranch_vccnz .LBB64_181
; %bb.178:                              ;   in Loop: Header=BB64_7 Depth=1
	s_and_saveexec_b64 s[78:79], s[0:1]
; %bb.179:                              ;   in Loop: Header=BB64_7 Depth=1
	v_mov_b32_e32 v1, s88
	ds_write_b32 v7, v1 offset:4100
; %bb.180:                              ;   in Loop: Header=BB64_7 Depth=1
	s_or_b64 exec, exec, s[78:79]
	s_waitcnt lgkmcnt(0)
	s_barrier
.LBB64_181:                             ;   in Loop: Header=BB64_7 Depth=1
	s_or_saveexec_b64 s[76:77], s[76:77]
	s_mov_b64 s[78:79], 0
	v_mov_b32_e32 v4, 8
	s_xor_b64 exec, exec, s[76:77]
; %bb.182:                              ;   in Loop: Header=BB64_7 Depth=1
	s_mov_b64 s[78:79], exec
	v_subrev_u32_e32 v13, s88, v13
	v_mov_b32_e32 v4, 0
; %bb.183:                              ;   in Loop: Header=BB64_7 Depth=1
	s_or_b64 exec, exec, s[76:77]
	s_and_b64 s[82:83], s[78:79], exec
	v_mov_b32_e32 v12, v13
.LBB64_184:                             ;   in Loop: Header=BB64_7 Depth=1
	s_or_b64 exec, exec, s[74:75]
	s_mov_b64 s[76:77], -1
                                        ; implicit-def: $sgpr80_sgpr81
                                        ; implicit-def: $sgpr78_sgpr79
	s_and_saveexec_b64 s[74:75], s[82:83]
	s_cbranch_execz .LBB64_223
; %bb.185:                              ;   in Loop: Header=BB64_7 Depth=1
	s_cmp_eq_u32 s45, 1
	s_cselect_b64 s[16:17], -1, 0
	v_cmp_eq_u32_e32 vcc, 1, v12
	s_and_b64 s[76:77], s[16:17], vcc
	s_mov_b64 s[84:85], -1
                                        ; implicit-def: $sgpr80_sgpr81
                                        ; implicit-def: $sgpr78_sgpr79
	s_and_saveexec_b64 s[82:83], s[76:77]
	s_cbranch_execz .LBB64_211
; %bb.186:                              ;   in Loop: Header=BB64_7 Depth=1
	ds_read_b32 v1, v7 offset:4096
	s_waitcnt lgkmcnt(0)
	s_barrier
	v_readfirstlane_b32 s16, v1
	s_and_saveexec_b64 s[78:79], s[4:5]
; %bb.187:                              ;   in Loop: Header=BB64_7 Depth=1
	ds_write_b16 v17, v7
; %bb.188:                              ;   in Loop: Header=BB64_7 Depth=1
	s_or_b64 exec, exec, s[78:79]
	v_or_b32_e32 v28, v28, v3
	v_or_b32_e32 v37, v37, v3
	s_mov_b64 s[78:79], -1
	s_mov_b64 s[80:81], 0
	s_cmp_gt_i32 s16, 0
	s_mov_b64 s[84:85], 0
	s_mov_b64 s[86:87], -1
	s_waitcnt lgkmcnt(0)
	s_barrier
                                        ; implicit-def: $vgpr38
	s_cbranch_scc1 .LBB64_199
; %bb.189:                              ;   in Loop: Header=BB64_7 Depth=1
	v_writelane_b32 v44, s92, 16
	s_mov_b64 s[86:87], 0
	v_writelane_b32 v44, s93, 17
                                        ; implicit-def: $vgpr38
	s_mov_b64 s[88:89], exec
	v_readlane_b32 s90, v44, 14
	v_readlane_b32 s91, v44, 15
	s_and_b64 s[90:91], s[88:89], s[90:91]
	s_mov_b64 exec, s[90:91]
	s_cbranch_execz .LBB64_198
; %bb.190:                              ;   in Loop: Header=BB64_7 Depth=1
	s_mov_b32 s17, s94
	v_mov_b32_e32 v1, v5
	v_mov_b32_e32 v6, v0
	v_writelane_b32 v44, s95, 18
                                        ; implicit-def: $sgpr90_sgpr91
	s_branch .LBB64_193
.LBB64_191:                             ;   in Loop: Header=BB64_193 Depth=2
	s_or_b64 exec, exec, s[92:93]
	s_waitcnt lgkmcnt(0)
	s_barrier
	ds_read_b32 v2, v7 offset:3072
	s_mov_b64 s[92:93], -1
	s_mov_b64 s[94:95], -1
	s_waitcnt lgkmcnt(0)
	s_barrier
	v_and_b32_e32 v13, 0x7fff, v2
	v_cmp_ne_u32_e32 vcc, 0, v13
	s_cbranch_vccz .LBB64_196
.LBB64_192:                             ;   in Loop: Header=BB64_193 Depth=2
	s_and_b64 s[92:93], exec, s[92:93]
	s_or_b64 s[84:85], s[92:93], s[84:85]
	s_andn2_b64 s[90:91], s[90:91], exec
	s_and_b64 s[92:93], s[94:95], exec
	s_or_b64 s[90:91], s[90:91], s[92:93]
	s_andn2_b64 exec, exec, s[84:85]
	s_cbranch_execz .LBB64_197
.LBB64_193:                             ;   Parent Loop BB64_7 Depth=1
                                        ; =>  This Inner Loop Header: Depth=2
	v_cmp_gt_i32_e32 vcc, s28, v6
	s_and_saveexec_b64 s[92:93], vcc
	s_cbranch_execz .LBB64_191
; %bb.194:                              ;   in Loop: Header=BB64_193 Depth=2
	v_ashrrev_i32_e32 v2, 31, v1
	v_lshlrev_b64 v[38:39], 1, v[1:2]
	v_mov_b32_e32 v2, s35
	v_add_co_u32_e32 v38, vcc, s30, v38
	v_addc_co_u32_e32 v39, vcc, v2, v39, vcc
	global_load_ushort v2, v[38:39], off
	s_waitcnt vmcnt(0)
	v_cmp_lt_i16_e32 vcc, -1, v2
	v_cndmask_b32_e32 v13, v33, v34, vcc
	v_lshlrev_b32_e32 v38, 16, v2
	v_xor_b32_sdwa v13, v13, v2 dst_sel:DWORD dst_unused:UNUSED_PAD src0_sel:DWORD src1_sel:WORD_0
	v_cmp_o_f32_e32 vcc, v38, v38
	v_cndmask_b32_e32 v13, v33, v13, vcc
	v_and_b32_e32 v13, v13, v37
	v_cmp_eq_u32_e32 vcc, v13, v28
	s_and_b64 exec, exec, vcc
	s_cbranch_execz .LBB64_191
; %bb.195:                              ;   in Loop: Header=BB64_193 Depth=2
	v_perm_b32 v2, v2, s29, v36
	ds_write_b32 v7, v2 offset:3072
	s_branch .LBB64_191
.LBB64_196:                             ;   in Loop: Header=BB64_193 Depth=2
	v_add_u32_e32 v6, s34, v6
	v_cmp_le_i32_e32 vcc, s47, v6
	v_add_u32_e32 v1, s36, v1
	s_mov_b64 s[94:95], 0
	s_orn2_b64 s[92:93], vcc, exec
	s_branch .LBB64_192
.LBB64_197:                             ;   in Loop: Header=BB64_7 Depth=1
	s_or_b64 exec, exec, s[84:85]
	v_lshrrev_b32_e32 v38, 16, v2
	s_and_b64 s[84:85], s[90:91], exec
	s_mov_b32 s94, s17
	v_readlane_b32 s95, v44, 18
.LBB64_198:                             ;   in Loop: Header=BB64_7 Depth=1
	s_or_b64 exec, exec, s[88:89]
	v_readlane_b32 s92, v44, 16
	v_readlane_b32 s93, v44, 17
.LBB64_199:                             ;   in Loop: Header=BB64_7 Depth=1
	s_and_b64 vcc, exec, s[86:87]
	s_cbranch_vccz .LBB64_210
; %bb.200:                              ;   in Loop: Header=BB64_7 Depth=1
	s_add_i32 s17, s16, s33
	s_abs_i32 s79, s17
	s_mul_hi_u32 s80, s79, s46
	s_mul_i32 s80, s80, s34
	s_sub_i32 s79, s79, s80
	s_ashr_i32 s78, s17, 31
	s_sub_i32 s80, s79, s34
	s_cmp_ge_u32 s79, s34
	s_cselect_b32 s79, s80, s79
	s_sub_i32 s80, s79, s34
	s_cmp_ge_u32 s79, s34
	s_cselect_b32 s79, s80, s79
	s_xor_b32 s79, s79, s78
	s_sub_i32 s78, s78, s79
	s_add_i32 s17, s17, s78
	v_cmp_gt_i32_e32 vcc, s17, v0
                                        ; implicit-def: $vgpr38
	s_and_saveexec_b64 s[78:79], vcc
	s_cbranch_execz .LBB64_209
; %bb.201:                              ;   in Loop: Header=BB64_7 Depth=1
	s_mov_b64 s[80:81], 0
	v_mov_b32_e32 v1, v16
	v_mov_b32_e32 v2, v0
                                        ; implicit-def: $sgpr86_sgpr87
	s_branch .LBB64_204
.LBB64_202:                             ;   in Loop: Header=BB64_204 Depth=2
	s_or_b64 exec, exec, s[88:89]
	s_waitcnt lgkmcnt(0)
	s_barrier
	ds_read_b32 v6, v7 offset:3072
	s_mov_b64 s[88:89], -1
	s_mov_b64 s[90:91], -1
	s_waitcnt lgkmcnt(0)
	s_barrier
	v_and_b32_e32 v13, 0x7fff, v6
	v_cmp_eq_u32_e32 vcc, 0, v13
	s_cbranch_vccnz .LBB64_207
.LBB64_203:                             ;   in Loop: Header=BB64_204 Depth=2
	s_and_b64 s[88:89], exec, s[88:89]
	s_or_b64 s[80:81], s[88:89], s[80:81]
	s_andn2_b64 s[86:87], s[86:87], exec
	s_and_b64 s[88:89], s[90:91], exec
	s_or_b64 s[86:87], s[86:87], s[88:89]
	s_andn2_b64 exec, exec, s[80:81]
	s_cbranch_execz .LBB64_208
.LBB64_204:                             ;   Parent Loop BB64_7 Depth=1
                                        ; =>  This Inner Loop Header: Depth=2
	v_cmp_gt_i32_e32 vcc, s16, v2
	s_and_saveexec_b64 s[88:89], vcc
	s_cbranch_execz .LBB64_202
; %bb.205:                              ;   in Loop: Header=BB64_204 Depth=2
	ds_read_u16 v6, v1
	s_waitcnt lgkmcnt(0)
	v_cmp_lt_i16_e32 vcc, -1, v6
	v_cndmask_b32_e32 v13, v33, v34, vcc
	v_lshlrev_b32_e32 v38, 16, v6
	v_cmp_o_f32_e32 vcc, v38, v38
	v_xor_b32_sdwa v13, v13, v6 dst_sel:DWORD dst_unused:UNUSED_PAD src0_sel:DWORD src1_sel:WORD_0
	v_cndmask_b32_e32 v13, v33, v13, vcc
	v_and_b32_e32 v13, v13, v37
	v_cmp_eq_u32_e32 vcc, v13, v28
	s_and_b64 exec, exec, vcc
	s_cbranch_execz .LBB64_202
; %bb.206:                              ;   in Loop: Header=BB64_204 Depth=2
	v_perm_b32 v6, v6, s29, v36
	ds_write_b32 v7, v6 offset:3072
	s_branch .LBB64_202
.LBB64_207:                             ;   in Loop: Header=BB64_204 Depth=2
	v_add_u32_e32 v2, s34, v2
	v_cmp_le_i32_e32 vcc, s17, v2
	v_add_u32_e32 v1, s44, v1
	s_mov_b64 s[90:91], 0
	s_orn2_b64 s[88:89], vcc, exec
	s_branch .LBB64_203
.LBB64_208:                             ;   in Loop: Header=BB64_7 Depth=1
	s_or_b64 exec, exec, s[80:81]
	s_andn2_b64 s[16:17], s[84:85], exec
	s_and_b64 s[80:81], s[86:87], exec
	v_lshrrev_b32_e32 v38, 16, v6
	s_or_b64 s[84:85], s[16:17], s[80:81]
.LBB64_209:                             ;   in Loop: Header=BB64_7 Depth=1
	s_or_b64 exec, exec, s[78:79]
	s_mov_b64 s[78:79], 0
	s_mov_b64 s[80:81], -1
.LBB64_210:                             ;   in Loop: Header=BB64_7 Depth=1
	s_orn2_b64 s[84:85], s[84:85], exec
.LBB64_211:                             ;   in Loop: Header=BB64_7 Depth=1
	s_or_b64 exec, exec, s[82:83]
	s_mov_b64 s[86:87], 0
	s_and_saveexec_b64 s[82:83], s[84:85]
	s_cbranch_execz .LBB64_222
; %bb.212:                              ;   in Loop: Header=BB64_7 Depth=1
	s_xor_b64 s[16:17], s[76:77], -1
	v_mov_b32_e32 v4, 1
	v_mov_b32_e32 v1, 1
	s_and_saveexec_b64 s[76:77], s[16:17]
	s_cbranch_execz .LBB64_221
; %bb.213:                              ;   in Loop: Header=BB64_7 Depth=1
	v_cmp_ge_i32_e32 vcc, s45, v12
	s_and_saveexec_b64 s[16:17], vcc
	s_xor_b64 s[84:85], exec, s[16:17]
	s_cbranch_execz .LBB64_218
; %bb.214:                              ;   in Loop: Header=BB64_7 Depth=1
	ds_read_b32 v1, v7 offset:4096
	v_or_b32_e32 v28, v28, v3
	v_or_b32_e32 v37, v37, v3
	s_waitcnt lgkmcnt(0)
	v_cmp_ne_u32_e32 vcc, 0, v1
	s_cbranch_vccnz .LBB64_218
; %bb.215:                              ;   in Loop: Header=BB64_7 Depth=1
	s_and_saveexec_b64 s[86:87], s[0:1]
; %bb.216:                              ;   in Loop: Header=BB64_7 Depth=1
	v_mov_b32_e32 v1, s45
	ds_write_b32 v7, v1 offset:4100
; %bb.217:                              ;   in Loop: Header=BB64_7 Depth=1
	s_or_b64 exec, exec, s[86:87]
	s_waitcnt lgkmcnt(0)
	s_barrier
.LBB64_218:                             ;   in Loop: Header=BB64_7 Depth=1
	s_andn2_saveexec_b64 s[84:85], s[84:85]
; %bb.219:                              ;   in Loop: Header=BB64_7 Depth=1
	v_subrev_u32_e32 v12, s45, v12
; %bb.220:                              ;   in Loop: Header=BB64_7 Depth=1
	s_or_b64 exec, exec, s[84:85]
	v_mov_b32_e32 v4, 8
	v_mov_b32_e32 v1, v12
.LBB64_221:                             ;   in Loop: Header=BB64_7 Depth=1
	s_or_b64 exec, exec, s[76:77]
	s_mov_b64 s[86:87], exec
	v_mov_b32_e32 v12, v1
.LBB64_222:                             ;   in Loop: Header=BB64_7 Depth=1
	s_or_b64 exec, exec, s[82:83]
	s_orn2_b64 s[76:77], s[86:87], exec
.LBB64_223:                             ;   in Loop: Header=BB64_7 Depth=1
	s_or_b64 exec, exec, s[74:75]
	s_andn2_b64 s[16:17], s[70:71], exec
	s_and_b64 s[70:71], s[80:81], exec
	s_or_b64 s[70:71], s[16:17], s[70:71]
	s_andn2_b64 s[16:17], s[68:69], exec
	s_and_b64 s[68:69], s[78:79], exec
	s_or_b64 s[68:69], s[16:17], s[68:69]
	s_and_b64 s[78:79], s[76:77], exec
	v_mov_b32_e32 v13, v12
.LBB64_224:                             ;   in Loop: Header=BB64_7 Depth=1
	s_or_b64 exec, exec, s[72:73]
	s_orn2_b64 s[72:73], s[78:79], exec
.LBB64_225:                             ;   in Loop: Header=BB64_7 Depth=1
	s_or_b64 exec, exec, s[66:67]
	s_andn2_b64 s[16:17], s[26:27], exec
	s_and_b64 s[26:27], s[70:71], exec
	s_or_b64 s[26:27], s[16:17], s[26:27]
	s_andn2_b64 s[16:17], s[24:25], exec
	s_and_b64 s[24:25], s[68:69], exec
	s_or_b64 s[24:25], s[16:17], s[24:25]
	s_and_b64 s[70:71], s[72:73], exec
	v_mov_b32_e32 v12, v13
.LBB64_226:                             ;   in Loop: Header=BB64_7 Depth=1
	s_or_b64 exec, exec, s[64:65]
	s_orn2_b64 s[64:65], s[70:71], exec
.LBB64_227:                             ;   in Loop: Header=BB64_7 Depth=1
	s_or_b64 exec, exec, s[22:23]
	s_mov_b64 s[66:67], 0
                                        ; implicit-def: $sgpr16
	s_and_saveexec_b64 s[22:23], s[64:65]
	s_xor_b64 s[22:23], exec, s[22:23]
	s_cbranch_execz .LBB64_5
; %bb.228:                              ;   in Loop: Header=BB64_7 Depth=1
	v_and_b32_e32 v1, 7, v4
	v_cmp_eq_u32_e32 vcc, 0, v1
	s_mov_b64 s[20:21], -1
	s_mov_b64 s[64:65], -1
                                        ; implicit-def: $sgpr16
	s_and_saveexec_b64 s[66:67], vcc
	s_cbranch_execz .LBB64_4
; %bb.229:                              ;   in Loop: Header=BB64_7 Depth=1
	v_add_u32_e32 v1, -2, v32
	v_cmp_eq_u32_e32 vcc, 0, v32
	s_xor_b32 s16, s18, 1
	s_xor_b64 s[64:65], exec, -1
	s_orn2_b64 s[20:21], vcc, exec
	v_mov_b32_e32 v32, v1
	s_branch .LBB64_4
.LBB64_230:
	s_or_b64 exec, exec, s[50:51]
	s_xor_b64 s[6:7], s[56:57], -1
	s_xor_b64 s[4:5], s[52:53], -1
	;; [unrolled: 1-line block ×3, first 2 shown]
	s_mov_b64 s[2:3], 0
	s_and_saveexec_b64 s[10:11], s[4:5]
	s_xor_b64 s[4:5], exec, s[10:11]
	s_cbranch_execnz .LBB64_235
; %bb.231:
	s_andn2_saveexec_b64 s[0:1], s[4:5]
	s_cbranch_execnz .LBB64_255
.LBB64_232:
	s_or_b64 exec, exec, s[0:1]
	s_and_saveexec_b64 s[0:1], s[2:3]
.LBB64_233:
	; divergent unreachable
.LBB64_234:
	s_endpgm
.LBB64_235:
	s_and_saveexec_b64 s[2:3], s[6:7]
	s_xor_b64 s[6:7], exec, s[2:3]
	s_cbranch_execz .LBB64_253
; %bb.236:
	s_and_saveexec_b64 s[2:3], s[8:9]
	s_xor_b64 s[2:3], exec, s[2:3]
; %bb.237:
	v_and_b32_e32 v1, 0x8000, v28
	v_mov_b32_e32 v2, 0x8000
	v_mov_b32_e32 v3, 0xffff
	v_cmp_eq_u32_e32 vcc, 0, v1
	v_cndmask_b32_e32 v1, v2, v3, vcc
	v_xor_b32_e32 v38, v1, v28
; %bb.238:
	s_or_b64 exec, exec, s[2:3]
	s_and_saveexec_b64 s[2:3], s[0:1]
; %bb.239:
	v_mov_b32_e32 v1, 0
	v_mov_b32_e32 v2, s28
	ds_write_b32 v1, v2 offset:4108
; %bb.240:
	s_or_b64 exec, exec, s[2:3]
	v_mov_b32_e32 v1, 0
	s_waitcnt lgkmcnt(0)
	s_barrier
	ds_read_b32 v1, v1 offset:4108
	s_waitcnt lgkmcnt(0)
	v_min_i32_e32 v1, s28, v1
	v_cmp_lt_i32_e32 vcc, v0, v1
	s_and_saveexec_b64 s[8:9], vcc
	s_cbranch_execz .LBB64_250
; %bb.241:
	v_lshlrev_b32_e32 v3, 16, v38
	v_cmp_u_f32_e32 vcc, v3, v3
	s_mov_b64 s[10:11], 0
	v_mov_b32_e32 v4, s35
	s_xor_b64 s[14:15], vcc, -1
                                        ; implicit-def: $sgpr12_sgpr13
                                        ; implicit-def: $sgpr18_sgpr19
                                        ; implicit-def: $sgpr16_sgpr17
	s_branch .LBB64_243
.LBB64_242:                             ;   in Loop: Header=BB64_243 Depth=1
	s_or_b64 exec, exec, s[2:3]
	s_and_b64 s[2:3], exec, s[18:19]
	s_or_b64 s[10:11], s[2:3], s[10:11]
	s_andn2_b64 s[2:3], s[12:13], exec
	s_and_b64 s[12:13], s[16:17], exec
	s_or_b64 s[12:13], s[2:3], s[12:13]
	s_andn2_b64 exec, exec, s[10:11]
	s_cbranch_execz .LBB64_245
.LBB64_243:                             ; =>This Inner Loop Header: Depth=1
	v_ashrrev_i32_e32 v6, 31, v5
	v_lshlrev_b64 v[6:7], 1, v[5:6]
	v_mov_b32_e32 v2, v0
	v_add_co_u32_e32 v6, vcc, s30, v6
	v_addc_co_u32_e32 v7, vcc, v4, v7, vcc
	global_load_ushort v6, v[6:7], off
	s_or_b64 s[16:17], s[16:17], exec
	s_or_b64 s[18:19], s[18:19], exec
	s_waitcnt vmcnt(0)
	v_lshlrev_b32_e32 v0, 16, v6
	v_cmp_o_f32_e64 s[2:3], v0, v0
	v_cmp_neq_f32_e32 vcc, v0, v3
	s_or_b64 s[2:3], s[14:15], s[2:3]
	s_and_b64 s[20:21], vcc, s[2:3]
                                        ; implicit-def: $vgpr0
	s_and_saveexec_b64 s[2:3], s[20:21]
	s_cbranch_execz .LBB64_242
; %bb.244:                              ;   in Loop: Header=BB64_243 Depth=1
	v_add_u32_e32 v0, s34, v2
	v_cmp_ge_i32_e32 vcc, v0, v1
	s_andn2_b64 s[18:19], s[18:19], exec
	s_and_b64 s[20:21], vcc, exec
	v_add_u32_e32 v5, s36, v5
	s_andn2_b64 s[16:17], s[16:17], exec
	s_or_b64 s[18:19], s[18:19], s[20:21]
	s_branch .LBB64_242
.LBB64_245:
	s_or_b64 exec, exec, s[10:11]
	s_and_saveexec_b64 s[2:3], s[12:13]
	s_xor_b64 s[2:3], exec, s[2:3]
	s_cbranch_execz .LBB64_250
; %bb.246:
	s_mov_b64 s[2:3], exec
	s_brev_b32 s10, -2
.LBB64_247:                             ; =>This Inner Loop Header: Depth=1
	s_ff1_i32_b64 s11, s[2:3]
	v_readlane_b32 s14, v2, s11
	s_lshl_b64 s[12:13], 1, s11
	s_min_i32 s10, s10, s14
	s_andn2_b64 s[2:3], s[2:3], s[12:13]
	s_cmp_lg_u64 s[2:3], 0
	s_cbranch_scc1 .LBB64_247
; %bb.248:
	v_mbcnt_lo_u32_b32 v0, exec_lo, 0
	v_mbcnt_hi_u32_b32 v0, exec_hi, v0
	v_cmp_eq_u32_e32 vcc, 0, v0
	s_and_saveexec_b64 s[2:3], vcc
	s_xor_b64 s[2:3], exec, s[2:3]
; %bb.249:
	v_mov_b32_e32 v0, 0
	v_mov_b32_e32 v1, s10
	ds_min_i32 v0, v1 offset:4108
.LBB64_250:
	s_or_b64 exec, exec, s[8:9]
	s_waitcnt lgkmcnt(0)
	s_barrier
	s_and_saveexec_b64 s[2:3], s[0:1]
	s_cbranch_execz .LBB64_252
; %bb.251:
	v_readlane_b32 s0, v44, 2
	s_mul_i32 s0, s0, s94
	s_ashr_i32 s1, s0, 31
	v_mov_b32_e32 v2, 0
	s_lshl_b64 s[0:1], s[0:1], 1
	ds_read_b32 v0, v2 offset:4108
	s_mul_i32 s8, s95, s94
	s_add_u32 s0, s92, s0
	s_addc_u32 s1, s93, s1
	s_ashr_i32 s9, s8, 31
	s_lshl_b64 s[8:9], s[8:9], 3
	v_readlane_b32 s10, v44, 0
	v_readlane_b32 s11, v44, 1
	s_add_u32 s8, s10, s8
	s_addc_u32 s9, s11, s9
	s_waitcnt lgkmcnt(0)
	v_ashrrev_i32_e32 v1, 31, v0
	global_store_dwordx2 v2, v[0:1], s[8:9]
	global_store_short v2, v38, s[0:1]
.LBB64_252:
	s_or_b64 exec, exec, s[2:3]
.LBB64_253:
	s_or_saveexec_b64 s[0:1], s[6:7]
	s_mov_b64 s[2:3], 0
	s_xor_b64 exec, exec, s[0:1]
	s_cbranch_execnz .LBB64_256
.LBB64_254:
	s_or_b64 exec, exec, s[0:1]
	s_and_b64 s[2:3], s[2:3], exec
	s_andn2_saveexec_b64 s[0:1], s[4:5]
	s_cbranch_execz .LBB64_232
.LBB64_255:
	s_or_b64 s[2:3], s[2:3], exec
	s_trap 2
	s_or_b64 exec, exec, s[0:1]
	s_and_saveexec_b64 s[0:1], s[2:3]
	s_cbranch_execnz .LBB64_233
	s_branch .LBB64_234
.LBB64_256:
	s_mov_b64 s[2:3], exec
	s_trap 2
	s_branch .LBB64_254
	.section	.rodata,"a",@progbits
	.p2align	6, 0x0
	.amdhsa_kernel _ZN2at6native12_GLOBAL__N_114gatherKthValueIN3c108BFloat16EiLi1EEEvNS_4cuda6detail10TensorInfoIKT_T0_EESA_SA_SA_SA_NS7_IS8_SA_EENS7_IlSA_EE
		.amdhsa_group_segment_fixed_size 4112
		.amdhsa_private_segment_fixed_size 0
		.amdhsa_kernarg_size 920
		.amdhsa_user_sgpr_count 6
		.amdhsa_user_sgpr_private_segment_buffer 1
		.amdhsa_user_sgpr_dispatch_ptr 0
		.amdhsa_user_sgpr_queue_ptr 0
		.amdhsa_user_sgpr_kernarg_segment_ptr 1
		.amdhsa_user_sgpr_dispatch_id 0
		.amdhsa_user_sgpr_flat_scratch_init 0
		.amdhsa_user_sgpr_private_segment_size 0
		.amdhsa_uses_dynamic_stack 0
		.amdhsa_system_sgpr_private_segment_wavefront_offset 0
		.amdhsa_system_sgpr_workgroup_id_x 1
		.amdhsa_system_sgpr_workgroup_id_y 1
		.amdhsa_system_sgpr_workgroup_id_z 1
		.amdhsa_system_sgpr_workgroup_info 0
		.amdhsa_system_vgpr_workitem_id 0
		.amdhsa_next_free_vgpr 45
		.amdhsa_next_free_sgpr 96
		.amdhsa_reserve_vcc 1
		.amdhsa_reserve_flat_scratch 0
		.amdhsa_float_round_mode_32 0
		.amdhsa_float_round_mode_16_64 0
		.amdhsa_float_denorm_mode_32 3
		.amdhsa_float_denorm_mode_16_64 3
		.amdhsa_dx10_clamp 1
		.amdhsa_ieee_mode 1
		.amdhsa_fp16_overflow 0
		.amdhsa_exception_fp_ieee_invalid_op 0
		.amdhsa_exception_fp_denorm_src 0
		.amdhsa_exception_fp_ieee_div_zero 0
		.amdhsa_exception_fp_ieee_overflow 0
		.amdhsa_exception_fp_ieee_underflow 0
		.amdhsa_exception_fp_ieee_inexact 0
		.amdhsa_exception_int_div_zero 0
	.end_amdhsa_kernel
	.section	.text._ZN2at6native12_GLOBAL__N_114gatherKthValueIN3c108BFloat16EiLi1EEEvNS_4cuda6detail10TensorInfoIKT_T0_EESA_SA_SA_SA_NS7_IS8_SA_EENS7_IlSA_EE,"axG",@progbits,_ZN2at6native12_GLOBAL__N_114gatherKthValueIN3c108BFloat16EiLi1EEEvNS_4cuda6detail10TensorInfoIKT_T0_EESA_SA_SA_SA_NS7_IS8_SA_EENS7_IlSA_EE,comdat
.Lfunc_end64:
	.size	_ZN2at6native12_GLOBAL__N_114gatherKthValueIN3c108BFloat16EiLi1EEEvNS_4cuda6detail10TensorInfoIKT_T0_EESA_SA_SA_SA_NS7_IS8_SA_EENS7_IlSA_EE, .Lfunc_end64-_ZN2at6native12_GLOBAL__N_114gatherKthValueIN3c108BFloat16EiLi1EEEvNS_4cuda6detail10TensorInfoIKT_T0_EESA_SA_SA_SA_NS7_IS8_SA_EENS7_IlSA_EE
                                        ; -- End function
	.set _ZN2at6native12_GLOBAL__N_114gatherKthValueIN3c108BFloat16EiLi1EEEvNS_4cuda6detail10TensorInfoIKT_T0_EESA_SA_SA_SA_NS7_IS8_SA_EENS7_IlSA_EE.num_vgpr, 45
	.set _ZN2at6native12_GLOBAL__N_114gatherKthValueIN3c108BFloat16EiLi1EEEvNS_4cuda6detail10TensorInfoIKT_T0_EESA_SA_SA_SA_NS7_IS8_SA_EENS7_IlSA_EE.num_agpr, 0
	.set _ZN2at6native12_GLOBAL__N_114gatherKthValueIN3c108BFloat16EiLi1EEEvNS_4cuda6detail10TensorInfoIKT_T0_EESA_SA_SA_SA_NS7_IS8_SA_EENS7_IlSA_EE.numbered_sgpr, 96
	.set _ZN2at6native12_GLOBAL__N_114gatherKthValueIN3c108BFloat16EiLi1EEEvNS_4cuda6detail10TensorInfoIKT_T0_EESA_SA_SA_SA_NS7_IS8_SA_EENS7_IlSA_EE.num_named_barrier, 0
	.set _ZN2at6native12_GLOBAL__N_114gatherKthValueIN3c108BFloat16EiLi1EEEvNS_4cuda6detail10TensorInfoIKT_T0_EESA_SA_SA_SA_NS7_IS8_SA_EENS7_IlSA_EE.private_seg_size, 0
	.set _ZN2at6native12_GLOBAL__N_114gatherKthValueIN3c108BFloat16EiLi1EEEvNS_4cuda6detail10TensorInfoIKT_T0_EESA_SA_SA_SA_NS7_IS8_SA_EENS7_IlSA_EE.uses_vcc, 1
	.set _ZN2at6native12_GLOBAL__N_114gatherKthValueIN3c108BFloat16EiLi1EEEvNS_4cuda6detail10TensorInfoIKT_T0_EESA_SA_SA_SA_NS7_IS8_SA_EENS7_IlSA_EE.uses_flat_scratch, 0
	.set _ZN2at6native12_GLOBAL__N_114gatherKthValueIN3c108BFloat16EiLi1EEEvNS_4cuda6detail10TensorInfoIKT_T0_EESA_SA_SA_SA_NS7_IS8_SA_EENS7_IlSA_EE.has_dyn_sized_stack, 0
	.set _ZN2at6native12_GLOBAL__N_114gatherKthValueIN3c108BFloat16EiLi1EEEvNS_4cuda6detail10TensorInfoIKT_T0_EESA_SA_SA_SA_NS7_IS8_SA_EENS7_IlSA_EE.has_recursion, 0
	.set _ZN2at6native12_GLOBAL__N_114gatherKthValueIN3c108BFloat16EiLi1EEEvNS_4cuda6detail10TensorInfoIKT_T0_EESA_SA_SA_SA_NS7_IS8_SA_EENS7_IlSA_EE.has_indirect_call, 0
	.section	.AMDGPU.csdata,"",@progbits
; Kernel info:
; codeLenInByte = 9272
; TotalNumSgprs: 100
; NumVgprs: 45
; ScratchSize: 0
; MemoryBound: 0
; FloatMode: 240
; IeeeMode: 1
; LDSByteSize: 4112 bytes/workgroup (compile time only)
; SGPRBlocks: 12
; VGPRBlocks: 11
; NumSGPRsForWavesPerEU: 100
; NumVGPRsForWavesPerEU: 45
; Occupancy: 5
; WaveLimiterHint : 1
; COMPUTE_PGM_RSRC2:SCRATCH_EN: 0
; COMPUTE_PGM_RSRC2:USER_SGPR: 6
; COMPUTE_PGM_RSRC2:TRAP_HANDLER: 0
; COMPUTE_PGM_RSRC2:TGID_X_EN: 1
; COMPUTE_PGM_RSRC2:TGID_Y_EN: 1
; COMPUTE_PGM_RSRC2:TGID_Z_EN: 1
; COMPUTE_PGM_RSRC2:TIDIG_COMP_CNT: 0
	.section	.text._ZN2at6native12_GLOBAL__N_114gatherKthValueIN3c108BFloat16EiLi2EEEvNS_4cuda6detail10TensorInfoIKT_T0_EESA_SA_SA_SA_NS7_IS8_SA_EENS7_IlSA_EE,"axG",@progbits,_ZN2at6native12_GLOBAL__N_114gatherKthValueIN3c108BFloat16EiLi2EEEvNS_4cuda6detail10TensorInfoIKT_T0_EESA_SA_SA_SA_NS7_IS8_SA_EENS7_IlSA_EE,comdat
	.globl	_ZN2at6native12_GLOBAL__N_114gatherKthValueIN3c108BFloat16EiLi2EEEvNS_4cuda6detail10TensorInfoIKT_T0_EESA_SA_SA_SA_NS7_IS8_SA_EENS7_IlSA_EE ; -- Begin function _ZN2at6native12_GLOBAL__N_114gatherKthValueIN3c108BFloat16EiLi2EEEvNS_4cuda6detail10TensorInfoIKT_T0_EESA_SA_SA_SA_NS7_IS8_SA_EENS7_IlSA_EE
	.p2align	8
	.type	_ZN2at6native12_GLOBAL__N_114gatherKthValueIN3c108BFloat16EiLi2EEEvNS_4cuda6detail10TensorInfoIKT_T0_EESA_SA_SA_SA_NS7_IS8_SA_EENS7_IlSA_EE,@function
_ZN2at6native12_GLOBAL__N_114gatherKthValueIN3c108BFloat16EiLi2EEEvNS_4cuda6detail10TensorInfoIKT_T0_EESA_SA_SA_SA_NS7_IS8_SA_EENS7_IlSA_EE: ; @_ZN2at6native12_GLOBAL__N_114gatherKthValueIN3c108BFloat16EiLi2EEEvNS_4cuda6detail10TensorInfoIKT_T0_EESA_SA_SA_SA_NS7_IS8_SA_EENS7_IlSA_EE
; %bb.0:
	s_load_dwordx2 s[12:13], s[4:5], 0x298
	s_load_dwordx4 s[28:31], s[4:5], 0xd8
	s_add_u32 s10, s4, 0x298
	s_addc_u32 s11, s5, 0
	s_waitcnt lgkmcnt(0)
	s_mul_i32 s0, s13, s8
	s_add_i32 s0, s0, s7
	s_mul_i32 s0, s0, s12
	s_add_i32 s18, s0, s6
	s_cmp_ge_i32 s18, s30
	s_cbranch_scc1 .LBB65_234
; %bb.1:
	s_load_dword s7, s[4:5], 0xc
	s_load_dwordx2 s[0:1], s[4:5], 0xe8
                                        ; implicit-def: $vgpr44 : SGPR spill to VGPR lane
                                        ; kill: killed $sgpr4 killed $sgpr5
	s_abs_i32 s21, s18
	s_ashr_i32 s20, s18, 31
	s_mov_b32 s33, 0
	s_waitcnt lgkmcnt(0)
	s_abs_i32 s13, s7
	v_writelane_b32 v44, s0, 0
	v_writelane_b32 v44, s1, 1
	s_load_dwordx2 s[8:9], s[4:5], 0x6c
	s_load_dwordx2 s[2:3], s[4:5], 0x0
	s_load_dwordx2 s[0:1], s[4:5], 0x22c
	v_cvt_f32_u32_e32 v1, s13
	s_ashr_i32 s14, s7, 31
	s_load_dword s22, s[4:5], 0xf4
	s_waitcnt lgkmcnt(0)
	v_writelane_b32 v44, s0, 2
	v_writelane_b32 v44, s1, 3
	s_load_dword s19, s[4:5], 0x1cc
	s_load_dwordx2 s[0:1], s[4:5], 0x1c0
	v_rcp_iflag_f32_e32 v1, v1
	s_waitcnt lgkmcnt(0)
	v_writelane_b32 v44, s0, 4
	v_writelane_b32 v44, s1, 5
	s_load_dwordx2 s[0:1], s[4:5], 0x154
	v_mul_f32_e32 v1, 0x4f7ffffe, v1
	s_abs_i32 s5, s22
	v_cvt_u32_f32_e32 v1, v1
	v_cvt_f32_u32_e32 v2, s5
	s_waitcnt lgkmcnt(0)
	v_writelane_b32 v44, s0, 6
	v_writelane_b32 v44, s1, 7
	v_readfirstlane_b32 s1, v1
	v_rcp_iflag_f32_e32 v1, v2
	s_abs_i32 s4, s19
	v_cvt_f32_u32_e32 v2, s4
	s_sub_i32 s0, 0, s13
	v_mul_f32_e32 v1, 0x4f7ffffe, v1
	v_cvt_u32_f32_e32 v1, v1
	v_rcp_iflag_f32_e32 v2, v2
	s_mul_i32 s0, s0, s1
	s_mul_hi_u32 s0, s1, s0
	s_add_i32 s1, s1, s0
	s_mul_hi_u32 s15, s21, s1
	s_sub_i32 s0, 0, s5
	v_readfirstlane_b32 s1, v1
	v_mul_f32_e32 v1, 0x4f7ffffe, v2
	s_mul_i32 s0, s0, s1
	v_cvt_u32_f32_e32 v1, v1
	s_mul_hi_u32 s0, s1, s0
	s_add_i32 s1, s1, s0
	v_writelane_b32 v44, s5, 8
	s_mul_hi_u32 s0, s21, s1
	v_writelane_b32 v44, s0, 9
	s_sub_i32 s0, 0, s4
	v_readfirstlane_b32 s1, v1
	s_mul_i32 s0, s0, s1
	s_mul_hi_u32 s0, s1, s0
	s_add_i32 s1, s1, s0
	v_writelane_b32 v44, s4, 10
	s_mul_hi_u32 s0, s21, s1
	v_writelane_b32 v44, s0, 11
	v_cmp_eq_u32_e64 s[0:1], 0, v0
	s_and_saveexec_b64 s[4:5], s[0:1]
; %bb.2:
	v_mov_b32_e32 v1, 0
	v_mov_b32_e32 v2, s28
	;; [unrolled: 1-line block ×3, first 2 shown]
	ds_write_b96 v1, v[1:3] offset:4096
; %bb.3:
	s_or_b64 exec, exec, s[4:5]
	v_writelane_b32 v44, s22, 12
	s_ashr_i32 s4, s22, 31
	v_writelane_b32 v44, s4, 13
	s_mul_i32 s5, s15, s13
	v_writelane_b32 v44, s19, 14
	s_ashr_i32 s4, s19, 31
	s_sub_i32 s5, s21, s5
	v_writelane_b32 v44, s4, 15
	s_xor_b32 s4, s20, s14
	s_add_i32 s14, s15, 1
	s_sub_i32 s16, s5, s13
	s_cmp_ge_u32 s5, s13
	s_cselect_b32 s14, s14, s15
	s_cselect_b32 s5, s16, s5
	s_add_i32 s15, s14, 1
	s_cmp_ge_u32 s5, s13
	s_cselect_b32 s5, s15, s14
	s_xor_b32 s5, s5, s4
	s_sub_i32 s4, s5, s4
	s_mul_i32 s5, s4, s7
	s_sub_i32 s5, s18, s5
	s_mul_i32 s5, s5, s9
	s_mul_i32 s4, s4, s8
	v_mul_lo_u32 v5, s31, v0
	s_add_i32 s4, s4, s5
	s_waitcnt lgkmcnt(0)
	s_barrier
	s_load_dword s7, s[10:11], 0xc
	s_ashr_i32 s5, s4, 31
	v_mov_b32_e32 v7, 0
	s_lshl_b64 s[4:5], s[4:5], 1
	v_mbcnt_lo_u32_b32 v1, -1, 0
	v_mov_b32_e32 v6, v7
	s_add_u32 s30, s2, s4
	v_mbcnt_hi_u32_b32 v15, -1, v1
	v_lshlrev_b64 v[1:2], 1, v[5:6]
	s_addc_u32 s41, s3, s5
	v_cmp_gt_u32_e32 vcc, 64, v0
	v_cmp_gt_i32_e64 s[4:5], 4, v15
	v_writelane_b32 v44, s20, 16
	s_and_b64 s[42:43], vcc, s[4:5]
	v_mov_b32_e32 v18, s41
	v_add_co_u32_e32 v8, vcc, s30, v1
	v_writelane_b32 v44, s21, 17
	s_waitcnt lgkmcnt(0)
	s_and_b32 s40, s7, 0xffff
	v_addc_co_u32_e32 v9, vcc, v18, v2, vcc
	v_lshlrev_b64 v[2:3], v15, -1
	v_writelane_b32 v44, s18, 18
	s_add_i32 s18, s40, -1
	s_lshl_b32 s39, s40, 2
	s_bfe_u32 s7, s7, 0xa0006
	s_add_i32 s51, s18, s28
	v_not_b32_e32 v21, v2
	v_lshrrev_b32_e32 v2, 2, v0
	s_cmpk_gt_i32 s28, 0x600
	v_cmp_gt_u32_e64 s[8:9], s28, v0
	v_and_b32_e32 v2, 0xf0, v2
	s_cselect_b64 s[44:45], -1, 0
	v_writelane_b32 v44, s8, 19
	s_cmp_gt_u32 s40, 63
	v_or_b32_e32 v22, 0xc00, v2
	v_cvt_f32_u32_e32 v2, s39
	v_writelane_b32 v44, s9, 20
	v_cmp_gt_i32_e64 s[8:9], s28, v0
	s_cselect_b64 s[46:47], -1, 0
	s_cmp_lt_u32 s6, s12
	v_writelane_b32 v44, s8, 21
	s_cselect_b32 s6, 12, 18
	v_writelane_b32 v44, s9, 22
	s_add_u32 s8, s10, s6
	s_addc_u32 s9, s11, 0
	v_rcp_iflag_f32_e32 v2, v2
	v_writelane_b32 v44, s8, 23
	s_add_i32 s6, s7, -1
	v_writelane_b32 v44, s9, 24
	s_bfe_u32 s8, s40, 0x30006
	s_and_b32 s6, s6, 0xffff
	s_cmp_gt_u32 s6, 6
	s_cselect_b64 s[10:11], -1, 0
	v_mul_f32_e32 v2, 0x4f7ffffe, v2
	v_writelane_b32 v44, s10, 25
	s_and_b32 s19, s7, 0x3f8
	v_cvt_u32_f32_e32 v2, v2
	v_writelane_b32 v44, s11, 26
	s_cmp_lg_u32 s8, 0
	v_writelane_b32 v44, s8, 27
	s_cselect_b64 s[6:7], -1, 0
	v_writelane_b32 v44, s6, 28
	v_writelane_b32 v44, s7, 29
	s_sub_i32 s6, 0, s39
	v_readfirstlane_b32 s7, v2
	s_mul_i32 s6, s6, s7
	s_mul_hi_u32 s6, s7, s6
	s_add_i32 s8, s7, s6
	s_mul_hi_u32 s6, s28, s8
	s_mul_i32 s6, s6, s39
	s_sub_i32 s6, s28, s6
	s_sub_i32 s7, s6, s39
	s_cmp_ge_u32 s6, s39
	s_cselect_b32 s6, s7, s6
	s_sub_i32 s7, s6, s39
	s_cmp_ge_u32 s6, s39
	s_cselect_b32 s6, s7, s6
	s_sub_i32 s9, s28, s6
	v_add_u32_e32 v23, s9, v0
	v_cvt_f32_u32_e32 v4, s40
	v_mul_lo_u32 v2, v23, s31
	v_not_b32_e32 v20, v3
	s_sub_i32 s17, 0, s40
	v_rcp_iflag_f32_e32 v4, v4
	v_ashrrev_i32_e32 v3, 31, v2
	v_lshlrev_b64 v[2:3], 1, v[2:3]
	s_abs_i32 s16, s51
	v_add_co_u32_e32 v10, vcc, s30, v2
	v_mul_f32_e32 v2, 0x4f7ffffe, v4
	v_cvt_u32_f32_e32 v2, v2
	s_ashr_i32 s7, s51, 31
	v_lshlrev_b32_e32 v14, 2, v0
	v_lshlrev_b32_e32 v16, 1, v0
	v_readfirstlane_b32 s20, v2
	s_mul_i32 s17, s17, s20
	s_mul_hi_u32 s17, s20, s17
	s_add_i32 s50, s20, s17
	s_mul_hi_u32 s17, s16, s50
	s_mul_i32 s17, s17, s40
	s_sub_i32 s16, s16, s17
	s_sub_i32 s17, s16, s40
	s_cmp_ge_u32 s16, s40
	s_cselect_b32 s16, s17, s16
	s_sub_i32 s17, s16, s40
	v_mul_lo_u32 v2, s31, v14
	s_cmp_ge_u32 s16, s40
	s_cselect_b32 s16, s17, s16
	s_xor_b32 s16, s16, s7
	s_sub_i32 s7, s7, s16
	v_add_u32_e32 v24, s31, v2
	v_or_b32_e32 v2, 2, v14
	s_add_i32 s51, s51, s7
	v_mul_lo_u32 v25, s31, v2
	v_or_b32_e32 v2, 3, v14
	s_add_i32 s7, s40, s28
	v_mul_lo_u32 v26, s31, v2
	v_add_u32_e32 v2, s7, v0
	v_subrev_u32_e32 v2, s6, v2
	v_mul_lo_u32 v29, s31, v2
	v_lshlrev_b32_e32 v1, 2, v15
	v_mov_b32_e32 v6, s41
	v_cmp_gt_i32_e64 s[16:17], s51, v0
	s_mul_i32 s38, s31, s40
	v_cmp_eq_u32_e64 s[2:3], 0, v15
	v_cmp_gt_u32_e64 s[4:5], 2, v0
	v_add_u32_e32 v17, 0xc00, v16
	v_and_b32_e32 v19, 0x100, v1
	v_cmp_gt_i32_e64 s[10:11], s9, v14
	v_cmp_gt_u32_e64 s[12:13], s28, v23
	v_addc_co_u32_e32 v11, vcc, v6, v3, vcc
	v_cmp_gt_i32_e64 s[14:15], s28, v23
	v_writelane_b32 v44, s16, 30
	s_lshl_b32 s52, s38, 2
	v_lshlrev_b32_e32 v27, 2, v5
	v_lshlrev_b32_e32 v30, 3, v0
	s_lshl_b32 s53, s40, 3
	s_lshl_b32 s48, s40, 1
	v_or_b32_e32 v31, 0xc00, v1
	s_mov_b64 s[54:55], 0
	v_mov_b32_e32 v32, 14
	v_mov_b32_e32 v39, s29
	s_movk_i32 s29, 0x3f80
	v_mov_b32_e32 v33, 0xffff
	v_mov_b32_e32 v34, 0x8000
	v_mov_b32_e32 v35, -1
	v_mov_b32_e32 v36, 0x5040100
	v_mov_b32_e32 v38, 0
	;; [unrolled: 1-line block ×4, first 2 shown]
	v_writelane_b32 v44, s17, 31
                                        ; implicit-def: $sgpr56_sgpr57
                                        ; implicit-def: $sgpr60_sgpr61
                                        ; implicit-def: $sgpr58_sgpr59
                                        ; implicit-def: $sgpr64_sgpr65
                                        ; implicit-def: $sgpr66_sgpr67
                                        ; implicit-def: $sgpr62_sgpr63
	s_branch .LBB65_7
.LBB65_4:                               ;   in Loop: Header=BB65_7 Depth=1
	s_or_b64 exec, exec, s[36:37]
	s_and_b64 s[34:35], s[34:35], exec
	s_andn2_b64 s[26:27], s[26:27], exec
	s_andn2_b64 s[24:25], s[24:25], exec
	s_orn2_b64 s[20:21], s[20:21], exec
.LBB65_5:                               ;   in Loop: Header=BB65_7 Depth=1
	s_or_b64 exec, exec, s[22:23]
	s_andn2_b64 s[22:23], s[62:63], exec
	s_and_b64 s[34:35], s[34:35], exec
	s_or_b64 s[62:63], s[22:23], s[34:35]
	s_andn2_b64 s[22:23], s[66:67], exec
	s_and_b64 s[26:27], s[26:27], exec
	s_or_b64 s[66:67], s[22:23], s[26:27]
	;; [unrolled: 3-line block ×3, first 2 shown]
	s_orn2_b64 s[20:21], s[20:21], exec
.LBB65_6:                               ;   in Loop: Header=BB65_7 Depth=1
	s_or_b64 exec, exec, s[6:7]
	s_and_b64 s[6:7], exec, s[20:21]
	s_or_b64 s[54:55], s[6:7], s[54:55]
	s_andn2_b64 s[6:7], s[58:59], exec
	s_and_b64 s[20:21], s[62:63], exec
	s_or_b64 s[58:59], s[6:7], s[20:21]
	s_andn2_b64 s[6:7], s[60:61], exec
	s_and_b64 s[20:21], s[66:67], exec
	;; [unrolled: 3-line block ×3, first 2 shown]
	s_or_b64 s[56:57], s[6:7], s[20:21]
	s_mov_b32 s33, s16
	v_mov_b32_e32 v39, v12
	s_andn2_b64 exec, exec, s[54:55]
	s_cbranch_execz .LBB65_230
.LBB65_7:                               ; =>This Loop Header: Depth=1
                                        ;     Child Loop BB65_12 Depth 2
                                        ;     Child Loop BB65_27 Depth 2
	;; [unrolled: 1-line block ×16, first 2 shown]
	ds_read_b64 v[1:2], v7 offset:4096
	s_waitcnt lgkmcnt(0)
	v_readfirstlane_b32 s36, v1
	s_cmp_gt_i32 s36, 0
	s_cbranch_scc1 .LBB65_34
; %bb.8:                                ;   in Loop: Header=BB65_7 Depth=1
	s_and_b64 vcc, exec, s[44:45]
	s_cbranch_vccz .LBB65_20
; %bb.9:                                ;   in Loop: Header=BB65_7 Depth=1
	s_movk_i32 s6, 0x601
	v_cmp_gt_i32_e32 vcc, s6, v2
	s_mov_b64 s[20:21], 0
	s_mov_b64 s[6:7], 0
	s_cbranch_vccz .LBB65_21
; %bb.10:                               ;   in Loop: Header=BB65_7 Depth=1
	v_readlane_b32 s6, v44, 23
	v_readlane_b32 s7, v44, 24
	s_nop 4
	global_load_ushort v1, v7, s[6:7]
	global_load_ushort v4, v[8:9], off
	s_mov_b64 s[22:23], 0
	v_mov_b32_e32 v3, v0
	s_waitcnt vmcnt(1)
	v_add_u32_e32 v2, v0, v1
	v_mul_lo_u32 v6, s31, v2
	v_mul_lo_u32 v2, s31, v1
	s_branch .LBB65_12
.LBB65_11:                              ;   in Loop: Header=BB65_12 Depth=2
	s_or_b64 exec, exec, s[6:7]
	v_cmp_le_i32_e32 vcc, s28, v3
	v_add_u32_e32 v6, v6, v2
	s_or_b64 s[22:23], vcc, s[22:23]
	v_mov_b32_e32 v4, v12
	s_andn2_b64 exec, exec, s[22:23]
	s_cbranch_execz .LBB65_66
.LBB65_12:                              ;   Parent Loop BB65_7 Depth=1
                                        ; =>  This Inner Loop Header: Depth=2
	v_add_u32_e32 v3, v3, v1
	v_cmp_gt_u32_e32 vcc, s28, v3
	s_waitcnt lgkmcnt(0)
	v_mov_b32_e32 v13, 0
	v_mov_b32_e32 v12, 0
	s_and_saveexec_b64 s[6:7], vcc
	s_cbranch_execz .LBB65_14
; %bb.13:                               ;   in Loop: Header=BB65_12 Depth=2
	v_lshlrev_b64 v[40:41], 1, v[6:7]
	v_add_co_u32_e32 v40, vcc, s30, v40
	v_addc_co_u32_e32 v41, vcc, v18, v41, vcc
	global_load_ushort v12, v[40:41], off
.LBB65_14:                              ;   in Loop: Header=BB65_12 Depth=2
	s_or_b64 exec, exec, s[6:7]
	s_waitcnt vmcnt(0)
	v_cmp_lt_i16_e32 vcc, -1, v4
	v_cndmask_b32_e32 v40, v33, v34, vcc
	v_lshlrev_b32_e32 v41, 16, v4
	v_xor_b32_sdwa v40, v40, v4 dst_sel:DWORD dst_unused:UNUSED_PAD src0_sel:DWORD src1_sel:WORD_0
	v_cmp_o_f32_e32 vcc, v41, v41
	v_cndmask_b32_e32 v40, v33, v40, vcc
	v_and_b32_e32 v40, v40, v37
	v_cmp_eq_u32_e32 vcc, v40, v28
	s_cmp_lg_u64 vcc, 0
	s_cselect_b64 s[6:7], -1, 0
	s_and_b64 s[6:7], s[2:3], s[6:7]
	s_and_saveexec_b64 s[24:25], s[6:7]
	s_cbranch_execz .LBB65_18
; %bb.15:                               ;   in Loop: Header=BB65_12 Depth=2
	s_mov_b64 s[34:35], exec
	v_mbcnt_lo_u32_b32 v13, s34, 0
	v_mbcnt_hi_u32_b32 v13, s35, v13
	s_bcnt1_i32_b64 s16, vcc
	v_cmp_eq_u32_e64 s[6:7], 0, v13
                                        ; implicit-def: $vgpr40
	s_and_saveexec_b64 s[26:27], s[6:7]
; %bb.16:                               ;   in Loop: Header=BB65_12 Depth=2
	s_bcnt1_i32_b64 s6, s[34:35]
	s_mul_i32 s6, s16, s6
	v_mov_b32_e32 v40, s6
	ds_add_rtn_u32 v40, v7, v40 offset:4104
; %bb.17:                               ;   in Loop: Header=BB65_12 Depth=2
	s_or_b64 exec, exec, s[26:27]
	s_waitcnt lgkmcnt(0)
	v_readfirstlane_b32 s6, v40
	v_mov_b32_e32 v40, s6
	v_mad_u32_u24 v13, s16, v13, v40
.LBB65_18:                              ;   in Loop: Header=BB65_12 Depth=2
	s_or_b64 exec, exec, s[24:25]
	ds_bpermute_b32 v13, v19, v13
	s_and_saveexec_b64 s[6:7], vcc
	s_cbranch_execz .LBB65_11
; %bb.19:                               ;   in Loop: Header=BB65_12 Depth=2
	v_and_b32_e32 v41, vcc_lo, v21
	v_and_b32_e32 v40, vcc_hi, v20
	v_bcnt_u32_b32 v41, v41, 0
	v_bcnt_u32_b32 v40, v40, v41
	v_lshlrev_b32_e32 v40, 1, v40
	s_waitcnt lgkmcnt(0)
	v_lshl_add_u32 v13, v13, 1, v40
	ds_write_b16 v13, v4
	s_branch .LBB65_11
.LBB65_20:                              ;   in Loop: Header=BB65_7 Depth=1
	s_mov_b64 s[20:21], -1
	s_mov_b64 s[6:7], 0
.LBB65_21:                              ;   in Loop: Header=BB65_7 Depth=1
	s_and_b64 vcc, exec, s[20:21]
	s_cbranch_vccz .LBB65_32
.LBB65_22:                              ;   in Loop: Header=BB65_7 Depth=1
	v_mov_b32_e32 v1, 0
	s_mov_b64 s[6:7], exec
	v_readlane_b32 s16, v44, 19
	v_readlane_b32 s17, v44, 20
	s_and_b64 s[16:17], s[6:7], s[16:17]
	s_mov_b64 exec, s[16:17]
	s_cbranch_execz .LBB65_24
; %bb.23:                               ;   in Loop: Header=BB65_7 Depth=1
	global_load_ushort v1, v[8:9], off
.LBB65_24:                              ;   in Loop: Header=BB65_7 Depth=1
	s_or_b64 exec, exec, s[6:7]
	s_mov_b64 s[6:7], exec
	v_readlane_b32 s16, v44, 21
	v_readlane_b32 s17, v44, 22
	s_and_b64 s[16:17], s[6:7], s[16:17]
	s_mov_b64 exec, s[16:17]
	s_cbranch_execz .LBB65_29
; %bb.25:                               ;   in Loop: Header=BB65_7 Depth=1
	v_readlane_b32 s16, v44, 23
	v_readlane_b32 s17, v44, 24
	s_mov_b64 s[20:21], 0
	v_mov_b32_e32 v12, v16
	v_mov_b32_e32 v13, v0
	s_nop 1
	global_load_ushort v2, v7, s[16:17]
	s_waitcnt vmcnt(0)
	v_add_u32_e32 v4, v0, v2
	v_mul_lo_u32 v6, s31, v4
	v_mul_lo_u32 v4, s31, v2
	v_lshlrev_b32_e32 v3, 1, v2
	s_branch .LBB65_27
.LBB65_26:                              ;   in Loop: Header=BB65_27 Depth=2
	s_or_b64 exec, exec, s[22:23]
	v_cmp_le_i32_e32 vcc, s28, v13
	ds_write_b16 v12, v1
	v_add_u32_e32 v12, v12, v3
	v_add_u32_e32 v6, v6, v4
	s_or_b64 s[20:21], vcc, s[20:21]
	s_waitcnt vmcnt(0)
	v_mov_b32_e32 v1, v40
	s_andn2_b64 exec, exec, s[20:21]
	s_cbranch_execz .LBB65_29
.LBB65_27:                              ;   Parent Loop BB65_7 Depth=1
                                        ; =>  This Inner Loop Header: Depth=2
	v_add_u32_e32 v13, v13, v2
	v_cmp_gt_u32_e32 vcc, s28, v13
	v_mov_b32_e32 v40, 0
	s_and_saveexec_b64 s[22:23], vcc
	s_cbranch_execz .LBB65_26
; %bb.28:                               ;   in Loop: Header=BB65_27 Depth=2
	v_lshlrev_b64 v[40:41], 1, v[6:7]
	v_mov_b32_e32 v42, s41
	v_add_co_u32_e32 v40, vcc, s30, v40
	v_addc_co_u32_e32 v41, vcc, v42, v41, vcc
	global_load_ushort v40, v[40:41], off
	s_branch .LBB65_26
.LBB65_29:                              ;   in Loop: Header=BB65_7 Depth=1
	s_or_b64 exec, exec, s[6:7]
	s_waitcnt vmcnt(0) lgkmcnt(0)
	s_barrier
	s_and_saveexec_b64 s[6:7], s[0:1]
; %bb.30:                               ;   in Loop: Header=BB65_7 Depth=1
	v_mov_b32_e32 v1, s28
	ds_write_b32 v7, v1 offset:4096
; %bb.31:                               ;   in Loop: Header=BB65_7 Depth=1
	s_or_b64 exec, exec, s[6:7]
	s_mov_b64 s[6:7], -1
	s_waitcnt lgkmcnt(0)
	s_barrier
.LBB65_32:                              ;   in Loop: Header=BB65_7 Depth=1
	s_and_b64 vcc, exec, s[6:7]
	s_cbranch_vccz .LBB65_34
; %bb.33:                               ;   in Loop: Header=BB65_7 Depth=1
	ds_read_b32 v1, v7 offset:4096
	s_waitcnt lgkmcnt(0)
	v_readfirstlane_b32 s36, v1
.LBB65_34:                              ;   in Loop: Header=BB65_7 Depth=1
	s_cmp_lt_i32 s36, 1
	s_mov_b64 s[6:7], -1
                                        ; implicit-def: $vgpr1
	s_cbranch_scc1 .LBB65_44
; %bb.35:                               ;   in Loop: Header=BB65_7 Depth=1
	s_and_b64 vcc, exec, s[6:7]
	s_cbranch_vccnz .LBB65_57
.LBB65_36:                              ;   in Loop: Header=BB65_7 Depth=1
	s_lshl_b32 s16, s33, 6
	s_and_saveexec_b64 s[6:7], s[2:3]
.LBB65_37:                              ;   in Loop: Header=BB65_7 Depth=1
	v_lshl_add_u32 v6, s16, 2, v22
	ds_write_b128 v6, v[1:4]
.LBB65_38:                              ;   in Loop: Header=BB65_7 Depth=1
	s_or_b64 exec, exec, s[6:7]
	s_waitcnt vmcnt(0) lgkmcnt(0)
	s_barrier
	s_and_saveexec_b64 s[6:7], s[42:43]
	s_cbranch_execz .LBB65_74
; %bb.39:                               ;   in Loop: Header=BB65_7 Depth=1
	s_andn2_b64 vcc, exec, s[46:47]
	v_mov_b32_e32 v1, 0
	s_cbranch_vccnz .LBB65_73
; %bb.40:                               ;   in Loop: Header=BB65_7 Depth=1
	v_readlane_b32 s20, v44, 25
	v_readlane_b32 s21, v44, 26
	s_andn2_b64 vcc, exec, s[20:21]
	s_cbranch_vccnz .LBB65_69
; %bb.41:                               ;   in Loop: Header=BB65_7 Depth=1
	v_lshl_add_u32 v2, s33, 8, v31
	s_mov_b32 s17, 0
	v_mov_b32_e32 v1, 0
.LBB65_42:                              ;   Parent Loop BB65_7 Depth=1
                                        ; =>  This Inner Loop Header: Depth=2
	ds_read2_b32 v[3:4], v2 offset1:4
	ds_read2_b32 v[12:13], v2 offset0:8 offset1:12
	ds_read2_b32 v[40:41], v2 offset0:16 offset1:20
	;; [unrolled: 1-line block ×3, first 2 shown]
	s_add_i32 s17, s17, 8
	s_waitcnt lgkmcnt(3)
	v_add3_u32 v1, v3, v1, v4
	s_waitcnt lgkmcnt(2)
	v_add3_u32 v1, v12, v1, v13
	;; [unrolled: 2-line block ×3, first 2 shown]
	v_add_u32_e32 v2, 0x80, v2
	s_cmp_eq_u32 s19, s17
	s_waitcnt lgkmcnt(0)
	v_add3_u32 v1, v42, v1, v43
	s_cbranch_scc0 .LBB65_42
; %bb.43:                               ;   in Loop: Header=BB65_7 Depth=1
	s_mov_b32 s17, s19
	s_branch .LBB65_70
.LBB65_44:                              ;   in Loop: Header=BB65_7 Depth=1
	v_mov_b32_e32 v1, 0
	v_mov_b32_e32 v2, 0
	;; [unrolled: 1-line block ×4, first 2 shown]
	s_and_saveexec_b64 s[26:27], s[10:11]
	s_cbranch_execnz .LBB65_47
; %bb.45:                               ;   in Loop: Header=BB65_7 Depth=1
	s_or_b64 exec, exec, s[26:27]
	v_mov_b32_e32 v40, 0
	s_and_saveexec_b64 s[6:7], s[12:13]
	s_cbranch_execnz .LBB65_50
.LBB65_46:                              ;   in Loop: Header=BB65_7 Depth=1
	s_or_b64 exec, exec, s[6:7]
	s_and_saveexec_b64 s[20:21], s[14:15]
	s_cbranch_execnz .LBB65_51
	s_branch .LBB65_56
.LBB65_47:                              ;   in Loop: Header=BB65_7 Depth=1
	s_mov_b32 s34, 0
	s_mov_b64 s[68:69], 0
	s_mov_b32 s35, 0
	s_mov_b32 s37, 0
	;; [unrolled: 1-line block ×4, first 2 shown]
	v_mov_b32_e32 v6, v14
.LBB65_48:                              ;   Parent Loop BB65_7 Depth=1
                                        ; =>  This Inner Loop Header: Depth=2
	v_add_u32_e32 v1, s34, v27
	v_ashrrev_i32_e32 v2, 31, v1
	v_lshlrev_b64 v[1:2], 1, v[1:2]
	v_mov_b32_e32 v3, s41
	v_add_co_u32_e32 v1, vcc, s30, v1
	v_addc_co_u32_e32 v2, vcc, v3, v2, vcc
	global_load_ushort v4, v[1:2], off
	v_add_u32_e32 v1, s34, v24
	v_ashrrev_i32_e32 v2, 31, v1
	v_lshlrev_b64 v[1:2], 1, v[1:2]
	v_add_u32_e32 v6, s39, v6
	v_add_co_u32_e32 v1, vcc, s30, v1
	v_addc_co_u32_e32 v2, vcc, v3, v2, vcc
	global_load_ushort v12, v[1:2], off
	v_add_u32_e32 v1, s34, v25
	v_ashrrev_i32_e32 v2, 31, v1
	v_lshlrev_b64 v[1:2], 1, v[1:2]
	v_add_co_u32_e32 v1, vcc, s30, v1
	v_addc_co_u32_e32 v2, vcc, v3, v2, vcc
	global_load_ushort v13, v[1:2], off
	v_add_u32_e32 v1, s34, v26
	v_ashrrev_i32_e32 v2, 31, v1
	v_lshlrev_b64 v[1:2], 1, v[1:2]
	s_add_i32 s34, s34, s52
	v_add_co_u32_e32 v1, vcc, s30, v1
	v_addc_co_u32_e32 v2, vcc, v3, v2, vcc
	global_load_ushort v1, v[1:2], off
	s_waitcnt vmcnt(3)
	v_cmp_lt_i16_e32 vcc, -1, v4
	v_cndmask_b32_e32 v2, v33, v34, vcc
	v_lshlrev_b32_e32 v3, 16, v4
	v_cmp_o_f32_e32 vcc, v3, v3
	v_xor_b32_sdwa v2, v2, v4 dst_sel:DWORD dst_unused:UNUSED_PAD src0_sel:DWORD src1_sel:WORD_0
	v_cndmask_b32_e32 v2, v33, v2, vcc
	s_waitcnt vmcnt(2)
	v_cmp_lt_i16_e32 vcc, -1, v12
	v_cndmask_b32_e32 v3, v33, v34, vcc
	v_lshlrev_b32_e32 v4, 16, v12
	v_cmp_o_f32_e32 vcc, v4, v4
	v_xor_b32_sdwa v3, v3, v12 dst_sel:DWORD dst_unused:UNUSED_PAD src0_sel:DWORD src1_sel:WORD_0
	v_cndmask_b32_e32 v3, v33, v3, vcc
	;; [unrolled: 7-line block ×3, first 2 shown]
	s_waitcnt vmcnt(0)
	v_cmp_lt_i16_e32 vcc, -1, v1
	v_cndmask_b32_e32 v12, v33, v34, vcc
	v_lshlrev_b32_e32 v13, 16, v1
	v_cmp_o_f32_e32 vcc, v13, v13
	v_xor_b32_sdwa v1, v12, v1 dst_sel:DWORD dst_unused:UNUSED_PAD src0_sel:DWORD src1_sel:WORD_0
	v_and_b32_e32 v12, v2, v37
	v_bfe_u32 v2, v2, v32, 2
	v_cndmask_b32_e32 v1, v33, v1, vcc
	v_cmp_eq_u32_e32 vcc, v12, v28
	v_and_b32_e32 v12, v3, v37
	v_bfe_u32 v3, v3, v32, 2
	v_cmp_eq_u32_e64 s[24:25], 0, v2
	v_cmp_eq_u32_e64 s[6:7], v12, v28
	v_and_b32_e32 v12, v4, v37
	v_bfe_u32 v4, v4, v32, 2
	s_and_b64 s[16:17], vcc, s[24:25]
	v_cmp_eq_u32_e64 s[24:25], 0, v3
	v_cmp_eq_u32_e64 s[20:21], v12, v28
	v_and_b32_e32 v12, v1, v37
	v_bfe_u32 v1, v1, v32, 2
	s_and_b64 s[72:73], s[6:7], s[24:25]
	v_cmp_eq_u32_e64 s[24:25], 0, v4
	v_cmp_eq_u32_e64 s[22:23], v12, v28
	s_and_b64 s[74:75], s[20:21], s[24:25]
	v_cmp_eq_u32_e64 s[24:25], 0, v1
	v_cndmask_b32_e64 v12, 0, 1, s[16:17]
	s_and_b64 s[76:77], s[22:23], s[24:25]
	v_cmp_ne_u32_e64 s[24:25], 0, v12
	v_cndmask_b32_e64 v12, 0, 1, s[72:73]
	s_bcnt1_i32_b64 s16, s[24:25]
	v_cmp_ne_u32_e64 s[24:25], 0, v12
	v_cndmask_b32_e64 v12, 0, 1, s[74:75]
	s_bcnt1_i32_b64 s17, s[24:25]
	v_cmp_ne_u32_e64 s[24:25], 0, v12
	v_cndmask_b32_e64 v12, 0, 1, s[76:77]
	s_add_i32 s16, s70, s16
	s_bcnt1_i32_b64 s71, s[24:25]
	v_cmp_ne_u32_e64 s[24:25], 0, v12
	s_add_i32 s16, s16, s17
	s_bcnt1_i32_b64 s24, s[24:25]
	s_add_i32 s16, s16, s71
	s_add_i32 s70, s16, s24
	v_cmp_eq_u32_e64 s[24:25], 1, v2
	s_and_b64 s[16:17], vcc, s[24:25]
	v_cmp_eq_u32_e64 s[24:25], 1, v3
	s_and_b64 s[72:73], s[6:7], s[24:25]
	v_cmp_eq_u32_e64 s[24:25], 1, v4
	s_and_b64 s[74:75], s[20:21], s[24:25]
	v_cmp_eq_u32_e64 s[24:25], 1, v1
	v_cndmask_b32_e64 v12, 0, 1, s[16:17]
	s_and_b64 s[76:77], s[22:23], s[24:25]
	v_cmp_ne_u32_e64 s[24:25], 0, v12
	v_cndmask_b32_e64 v12, 0, 1, s[72:73]
	s_bcnt1_i32_b64 s16, s[24:25]
	v_cmp_ne_u32_e64 s[24:25], 0, v12
	v_cndmask_b32_e64 v12, 0, 1, s[74:75]
	s_bcnt1_i32_b64 s17, s[24:25]
	v_cmp_ne_u32_e64 s[24:25], 0, v12
	v_cndmask_b32_e64 v12, 0, 1, s[76:77]
	s_add_i32 s16, s49, s16
	s_bcnt1_i32_b64 s71, s[24:25]
	v_cmp_ne_u32_e64 s[24:25], 0, v12
	s_add_i32 s16, s16, s17
	s_bcnt1_i32_b64 s24, s[24:25]
	s_add_i32 s16, s16, s71
	s_add_i32 s49, s16, s24
	v_cmp_eq_u32_e64 s[24:25], 2, v2
	s_and_b64 s[16:17], vcc, s[24:25]
	v_cmp_eq_u32_e64 s[24:25], 2, v3
	s_and_b64 s[72:73], s[6:7], s[24:25]
	v_cmp_eq_u32_e64 s[24:25], 2, v4
	s_and_b64 s[74:75], s[20:21], s[24:25]
	v_cmp_eq_u32_e64 s[24:25], 2, v1
	v_cndmask_b32_e64 v12, 0, 1, s[16:17]
	s_and_b64 s[76:77], s[22:23], s[24:25]
	v_cmp_ne_u32_e64 s[24:25], 0, v12
	v_cndmask_b32_e64 v12, 0, 1, s[72:73]
	s_bcnt1_i32_b64 s16, s[24:25]
	v_cmp_ne_u32_e64 s[24:25], 0, v12
	v_cndmask_b32_e64 v12, 0, 1, s[74:75]
	s_bcnt1_i32_b64 s17, s[24:25]
	v_cmp_ne_u32_e64 s[24:25], 0, v12
	v_cndmask_b32_e64 v12, 0, 1, s[76:77]
	s_add_i32 s16, s37, s16
	s_bcnt1_i32_b64 s71, s[24:25]
	v_cmp_ne_u32_e64 s[24:25], 0, v12
	s_add_i32 s16, s16, s17
	s_bcnt1_i32_b64 s24, s[24:25]
	s_add_i32 s16, s16, s71
	s_add_i32 s37, s16, s24
	v_cmp_eq_u32_e64 s[24:25], 3, v2
	s_and_b64 s[16:17], vcc, s[24:25]
	v_cmp_eq_u32_e32 vcc, 3, v3
	s_and_b64 s[6:7], s[6:7], vcc
	v_cmp_eq_u32_e32 vcc, 3, v4
	s_and_b64 s[20:21], s[20:21], vcc
	v_cmp_eq_u32_e32 vcc, 3, v1
	v_cndmask_b32_e64 v1, 0, 1, s[16:17]
	s_and_b64 s[22:23], s[22:23], vcc
	v_cmp_ne_u32_e32 vcc, 0, v1
	v_cndmask_b32_e64 v1, 0, 1, s[6:7]
	s_bcnt1_i32_b64 s16, vcc
	v_cmp_ne_u32_e32 vcc, 0, v1
	v_cndmask_b32_e64 v1, 0, 1, s[20:21]
	s_bcnt1_i32_b64 s6, vcc
	v_cmp_ne_u32_e32 vcc, 0, v1
	v_cndmask_b32_e64 v1, 0, 1, s[22:23]
	s_add_i32 s16, s35, s16
	s_bcnt1_i32_b64 s7, vcc
	v_cmp_ne_u32_e32 vcc, 0, v1
	s_add_i32 s6, s16, s6
	s_bcnt1_i32_b64 s17, vcc
	s_add_i32 s6, s6, s7
	s_add_i32 s35, s6, s17
	v_cmp_le_i32_e32 vcc, s9, v6
	s_or_b64 s[68:69], vcc, s[68:69]
	v_mov_b32_e32 v1, s70
	v_mov_b32_e32 v2, s49
	;; [unrolled: 1-line block ×4, first 2 shown]
	s_andn2_b64 exec, exec, s[68:69]
	s_cbranch_execnz .LBB65_48
; %bb.49:                               ;   in Loop: Header=BB65_7 Depth=1
	s_or_b64 exec, exec, s[68:69]
	s_or_b64 exec, exec, s[26:27]
	v_mov_b32_e32 v40, 0
	s_and_saveexec_b64 s[6:7], s[12:13]
	s_cbranch_execz .LBB65_46
.LBB65_50:                              ;   in Loop: Header=BB65_7 Depth=1
	global_load_ushort v40, v[10:11], off
	s_or_b64 exec, exec, s[6:7]
	s_and_saveexec_b64 s[20:21], s[14:15]
	s_cbranch_execz .LBB65_56
.LBB65_51:                              ;   in Loop: Header=BB65_7 Depth=1
	s_mov_b64 s[22:23], 0
	v_mov_b32_e32 v12, v29
	v_mov_b32_e32 v6, v23
	s_branch .LBB65_53
.LBB65_52:                              ;   in Loop: Header=BB65_53 Depth=2
	s_or_b64 exec, exec, s[6:7]
	s_waitcnt vmcnt(0)
	v_cmp_lt_i16_e32 vcc, -1, v40
	v_cndmask_b32_e32 v41, v33, v34, vcc
	v_lshlrev_b32_e32 v42, 16, v40
	v_xor_b32_sdwa v40, v41, v40 dst_sel:DWORD dst_unused:UNUSED_PAD src0_sel:DWORD src1_sel:WORD_0
	v_cmp_o_f32_e32 vcc, v42, v42
	v_cndmask_b32_e32 v40, v33, v40, vcc
	v_and_b32_e32 v41, v40, v37
	v_bfe_u32 v40, v40, v32, 2
	v_cmp_eq_u32_e32 vcc, v41, v28
	v_cmp_eq_u32_e64 s[6:7], 0, v40
	s_and_b64 s[6:7], vcc, s[6:7]
	v_cndmask_b32_e64 v41, 0, 1, s[6:7]
	v_cmp_ne_u32_e64 s[6:7], 0, v41
	s_bcnt1_i32_b64 s6, s[6:7]
	v_add_u32_e32 v1, s6, v1
	v_cmp_eq_u32_e64 s[6:7], 1, v40
	s_and_b64 s[6:7], vcc, s[6:7]
	v_cndmask_b32_e64 v41, 0, 1, s[6:7]
	v_cmp_ne_u32_e64 s[6:7], 0, v41
	s_bcnt1_i32_b64 s6, s[6:7]
	v_add_u32_e32 v2, s6, v2
	;; [unrolled: 6-line block ×3, first 2 shown]
	v_cmp_eq_u32_e64 s[6:7], 3, v40
	s_and_b64 s[6:7], vcc, s[6:7]
	v_cndmask_b32_e64 v40, 0, 1, s[6:7]
	v_cmp_ne_u32_e32 vcc, 0, v40
	s_bcnt1_i32_b64 s6, vcc
	v_cmp_le_i32_e32 vcc, s28, v6
	v_add_u32_e32 v4, s6, v4
	v_add_u32_e32 v12, s38, v12
	s_or_b64 s[22:23], vcc, s[22:23]
	v_mov_b32_e32 v40, v13
	s_andn2_b64 exec, exec, s[22:23]
	s_cbranch_execz .LBB65_55
.LBB65_53:                              ;   Parent Loop BB65_7 Depth=1
                                        ; =>  This Inner Loop Header: Depth=2
	v_add_u32_e32 v6, s40, v6
	v_cmp_gt_u32_e32 vcc, s28, v6
	v_mov_b32_e32 v13, 0
	s_and_saveexec_b64 s[6:7], vcc
	s_cbranch_execz .LBB65_52
; %bb.54:                               ;   in Loop: Header=BB65_53 Depth=2
	v_ashrrev_i32_e32 v13, 31, v12
	v_lshlrev_b64 v[41:42], 1, v[12:13]
	v_mov_b32_e32 v13, s41
	v_add_co_u32_e32 v41, vcc, s30, v41
	v_addc_co_u32_e32 v42, vcc, v13, v42, vcc
	global_load_ushort v13, v[41:42], off
	s_branch .LBB65_52
.LBB65_55:                              ;   in Loop: Header=BB65_7 Depth=1
	s_or_b64 exec, exec, s[22:23]
.LBB65_56:                              ;   in Loop: Header=BB65_7 Depth=1
	s_or_b64 exec, exec, s[20:21]
	s_branch .LBB65_36
.LBB65_57:                              ;   in Loop: Header=BB65_7 Depth=1
	s_mul_hi_u32 s6, s36, s8
	s_mul_i32 s6, s6, s39
	s_sub_i32 s6, s36, s6
	s_sub_i32 s7, s6, s39
	s_cmp_ge_u32 s6, s39
	s_cselect_b32 s6, s7, s6
	s_sub_i32 s7, s6, s39
	s_cmp_ge_u32 s6, s39
	s_cselect_b32 s6, s7, s6
	s_sub_i32 s34, s36, s6
	v_cmp_gt_u32_e32 vcc, s34, v14
	v_mov_b32_e32 v1, 0
	v_mov_b32_e32 v2, 0
	;; [unrolled: 1-line block ×4, first 2 shown]
	s_and_saveexec_b64 s[26:27], vcc
	s_cbranch_execz .LBB65_61
; %bb.58:                               ;   in Loop: Header=BB65_7 Depth=1
	s_mov_b32 s35, 0
	s_mov_b64 s[68:69], 0
	v_mov_b32_e32 v6, v30
	s_mov_b32 s37, 0
	s_mov_b32 s49, 0
	;; [unrolled: 1-line block ×3, first 2 shown]
	v_mov_b32_e32 v12, v14
.LBB65_59:                              ;   Parent Loop BB65_7 Depth=1
                                        ; =>  This Inner Loop Header: Depth=2
	ds_read_b64 v[1:2], v6
	v_add_u32_e32 v12, s39, v12
	v_add_u32_e32 v6, s53, v6
	s_waitcnt lgkmcnt(0)
	v_cmp_lt_i16_e32 vcc, -1, v1
	v_cndmask_b32_e32 v3, v33, v34, vcc
	v_lshlrev_b32_e32 v4, 16, v1
	v_cmp_o_f32_e32 vcc, v4, v4
	v_xor_b32_sdwa v3, v3, v1 dst_sel:DWORD dst_unused:UNUSED_PAD src0_sel:DWORD src1_sel:WORD_0
	v_cndmask_b32_e32 v3, v33, v3, vcc
	v_cmp_gt_i16_sdwa vcc, v1, v35 src0_sel:WORD_1 src1_sel:DWORD
	v_cndmask_b32_e32 v4, v33, v34, vcc
	v_and_b32_e32 v13, 0xffff0000, v1
	v_cmp_o_f32_e32 vcc, v13, v13
	v_xor_b32_sdwa v1, v4, v1 dst_sel:DWORD dst_unused:UNUSED_PAD src0_sel:DWORD src1_sel:WORD_1
	v_cndmask_b32_e32 v1, v33, v1, vcc
	v_cmp_lt_i16_e32 vcc, -1, v2
	v_cndmask_b32_e32 v4, v33, v34, vcc
	v_lshlrev_b32_e32 v13, 16, v2
	v_cmp_o_f32_e32 vcc, v13, v13
	v_xor_b32_sdwa v4, v4, v2 dst_sel:DWORD dst_unused:UNUSED_PAD src0_sel:DWORD src1_sel:WORD_0
	v_cndmask_b32_e32 v4, v33, v4, vcc
	v_cmp_gt_i16_sdwa vcc, v2, v35 src0_sel:WORD_1 src1_sel:DWORD
	v_cndmask_b32_e32 v13, v33, v34, vcc
	s_waitcnt vmcnt(0)
	v_and_b32_e32 v40, 0xffff0000, v2
	v_cmp_o_f32_e32 vcc, v40, v40
	v_xor_b32_sdwa v2, v13, v2 dst_sel:DWORD dst_unused:UNUSED_PAD src0_sel:DWORD src1_sel:WORD_1
	v_and_b32_e32 v13, v3, v37
	v_bfe_u32 v3, v3, v32, 2
	v_cndmask_b32_e32 v2, v33, v2, vcc
	v_cmp_eq_u32_e32 vcc, v13, v28
	v_and_b32_e32 v13, v1, v37
	v_bfe_u32 v1, v1, v32, 2
	v_cmp_eq_u32_e64 s[24:25], 0, v3
	v_cmp_eq_u32_e64 s[6:7], v13, v28
	v_and_b32_e32 v13, v4, v37
	v_bfe_u32 v4, v4, v32, 2
	s_and_b64 s[16:17], vcc, s[24:25]
	v_cmp_eq_u32_e64 s[24:25], 0, v1
	v_cmp_eq_u32_e64 s[20:21], v13, v28
	v_and_b32_e32 v13, v2, v37
	v_bfe_u32 v2, v2, v32, 2
	s_and_b64 s[72:73], s[6:7], s[24:25]
	v_cmp_eq_u32_e64 s[24:25], 0, v4
	v_cmp_eq_u32_e64 s[22:23], v13, v28
	s_and_b64 s[74:75], s[20:21], s[24:25]
	v_cmp_eq_u32_e64 s[24:25], 0, v2
	v_cndmask_b32_e64 v13, 0, 1, s[16:17]
	s_and_b64 s[76:77], s[22:23], s[24:25]
	v_cmp_ne_u32_e64 s[24:25], 0, v13
	v_cndmask_b32_e64 v13, 0, 1, s[72:73]
	s_bcnt1_i32_b64 s16, s[24:25]
	v_cmp_ne_u32_e64 s[24:25], 0, v13
	v_cndmask_b32_e64 v13, 0, 1, s[74:75]
	s_bcnt1_i32_b64 s17, s[24:25]
	v_cmp_ne_u32_e64 s[24:25], 0, v13
	v_cndmask_b32_e64 v13, 0, 1, s[76:77]
	s_add_i32 s16, s70, s16
	s_bcnt1_i32_b64 s71, s[24:25]
	v_cmp_ne_u32_e64 s[24:25], 0, v13
	s_add_i32 s16, s16, s17
	s_bcnt1_i32_b64 s24, s[24:25]
	s_add_i32 s16, s16, s71
	s_add_i32 s70, s16, s24
	v_cmp_eq_u32_e64 s[24:25], 1, v3
	s_and_b64 s[16:17], vcc, s[24:25]
	v_cmp_eq_u32_e64 s[24:25], 1, v1
	s_and_b64 s[72:73], s[6:7], s[24:25]
	v_cmp_eq_u32_e64 s[24:25], 1, v4
	s_and_b64 s[74:75], s[20:21], s[24:25]
	v_cmp_eq_u32_e64 s[24:25], 1, v2
	v_cndmask_b32_e64 v13, 0, 1, s[16:17]
	s_and_b64 s[76:77], s[22:23], s[24:25]
	v_cmp_ne_u32_e64 s[24:25], 0, v13
	v_cndmask_b32_e64 v13, 0, 1, s[72:73]
	s_bcnt1_i32_b64 s16, s[24:25]
	v_cmp_ne_u32_e64 s[24:25], 0, v13
	v_cndmask_b32_e64 v13, 0, 1, s[74:75]
	s_bcnt1_i32_b64 s17, s[24:25]
	v_cmp_ne_u32_e64 s[24:25], 0, v13
	v_cndmask_b32_e64 v13, 0, 1, s[76:77]
	s_add_i32 s16, s49, s16
	s_bcnt1_i32_b64 s71, s[24:25]
	v_cmp_ne_u32_e64 s[24:25], 0, v13
	s_add_i32 s16, s16, s17
	s_bcnt1_i32_b64 s24, s[24:25]
	s_add_i32 s16, s16, s71
	s_add_i32 s49, s16, s24
	v_cmp_eq_u32_e64 s[24:25], 2, v3
	s_and_b64 s[16:17], vcc, s[24:25]
	v_cmp_eq_u32_e64 s[24:25], 2, v1
	s_and_b64 s[72:73], s[6:7], s[24:25]
	v_cmp_eq_u32_e64 s[24:25], 2, v4
	s_and_b64 s[74:75], s[20:21], s[24:25]
	v_cmp_eq_u32_e64 s[24:25], 2, v2
	v_cndmask_b32_e64 v13, 0, 1, s[16:17]
	s_and_b64 s[76:77], s[22:23], s[24:25]
	v_cmp_ne_u32_e64 s[24:25], 0, v13
	v_cndmask_b32_e64 v13, 0, 1, s[72:73]
	s_bcnt1_i32_b64 s16, s[24:25]
	v_cmp_ne_u32_e64 s[24:25], 0, v13
	v_cndmask_b32_e64 v13, 0, 1, s[74:75]
	s_bcnt1_i32_b64 s17, s[24:25]
	v_cmp_ne_u32_e64 s[24:25], 0, v13
	v_cndmask_b32_e64 v13, 0, 1, s[76:77]
	s_add_i32 s16, s37, s16
	s_bcnt1_i32_b64 s71, s[24:25]
	v_cmp_ne_u32_e64 s[24:25], 0, v13
	s_add_i32 s16, s16, s17
	s_bcnt1_i32_b64 s24, s[24:25]
	s_add_i32 s16, s16, s71
	s_add_i32 s37, s16, s24
	v_cmp_eq_u32_e64 s[24:25], 3, v3
	s_and_b64 s[16:17], vcc, s[24:25]
	v_cmp_eq_u32_e32 vcc, 3, v1
	s_and_b64 s[6:7], s[6:7], vcc
	v_cmp_eq_u32_e32 vcc, 3, v4
	s_and_b64 s[20:21], s[20:21], vcc
	v_cmp_eq_u32_e32 vcc, 3, v2
	v_cndmask_b32_e64 v1, 0, 1, s[16:17]
	s_and_b64 s[22:23], s[22:23], vcc
	v_cmp_ne_u32_e32 vcc, 0, v1
	v_cndmask_b32_e64 v1, 0, 1, s[6:7]
	s_bcnt1_i32_b64 s16, vcc
	v_cmp_ne_u32_e32 vcc, 0, v1
	v_cndmask_b32_e64 v1, 0, 1, s[20:21]
	s_bcnt1_i32_b64 s6, vcc
	v_cmp_ne_u32_e32 vcc, 0, v1
	v_cndmask_b32_e64 v1, 0, 1, s[22:23]
	s_add_i32 s16, s35, s16
	s_bcnt1_i32_b64 s7, vcc
	v_cmp_ne_u32_e32 vcc, 0, v1
	s_add_i32 s6, s16, s6
	s_bcnt1_i32_b64 s17, vcc
	s_add_i32 s6, s6, s7
	s_add_i32 s35, s6, s17
	v_cmp_le_i32_e32 vcc, s34, v12
	s_or_b64 s[68:69], vcc, s[68:69]
	v_mov_b32_e32 v1, s70
	v_mov_b32_e32 v2, s49
	;; [unrolled: 1-line block ×4, first 2 shown]
	s_andn2_b64 exec, exec, s[68:69]
	s_cbranch_execnz .LBB65_59
; %bb.60:                               ;   in Loop: Header=BB65_7 Depth=1
	s_or_b64 exec, exec, s[68:69]
.LBB65_61:                              ;   in Loop: Header=BB65_7 Depth=1
	s_or_b64 exec, exec, s[26:27]
	v_add_u32_e32 v6, s34, v0
	v_cmp_gt_i32_e32 vcc, s36, v6
	s_and_saveexec_b64 s[68:69], vcc
	s_cbranch_execz .LBB65_65
; %bb.62:                               ;   in Loop: Header=BB65_7 Depth=1
	v_lshlrev_b32_e32 v12, 1, v6
	s_mov_b64 s[70:71], 0
.LBB65_63:                              ;   Parent Loop BB65_7 Depth=1
                                        ; =>  This Inner Loop Header: Depth=2
	ds_read_u16 v13, v12
	v_add_u32_e32 v6, s40, v6
	v_cmp_le_i32_e32 vcc, s36, v6
	v_add_u32_e32 v12, s48, v12
	s_waitcnt lgkmcnt(0)
	v_cmp_lt_i16_e64 s[6:7], -1, v13
	s_waitcnt vmcnt(0)
	v_cndmask_b32_e64 v40, v33, v34, s[6:7]
	v_lshlrev_b32_e32 v41, 16, v13
	v_xor_b32_sdwa v13, v40, v13 dst_sel:DWORD dst_unused:UNUSED_PAD src0_sel:DWORD src1_sel:WORD_0
	v_cmp_o_f32_e64 s[6:7], v41, v41
	v_cndmask_b32_e64 v13, v33, v13, s[6:7]
	v_and_b32_e32 v40, v13, v37
	v_bfe_u32 v13, v13, v32, 2
	v_cmp_eq_u32_e64 s[6:7], v40, v28
	v_cmp_eq_u32_e64 s[20:21], 0, v13
	;; [unrolled: 1-line block ×3, first 2 shown]
	s_and_b64 s[16:17], s[6:7], s[20:21]
	v_cmp_eq_u32_e64 s[24:25], 2, v13
	v_cmp_eq_u32_e64 s[26:27], 3, v13
	v_cndmask_b32_e64 v13, 0, 1, s[16:17]
	s_and_b64 s[16:17], s[6:7], s[22:23]
	v_cndmask_b32_e64 v40, 0, 1, s[16:17]
	s_and_b64 s[16:17], s[6:7], s[24:25]
	s_and_b64 s[6:7], s[6:7], s[26:27]
	v_cndmask_b32_e64 v41, 0, 1, s[16:17]
	v_cndmask_b32_e64 v42, 0, 1, s[6:7]
	v_cmp_ne_u32_e64 s[6:7], 0, v13
	v_cmp_ne_u32_e64 s[20:21], 0, v40
	;; [unrolled: 1-line block ×4, first 2 shown]
	s_bcnt1_i32_b64 s6, s[6:7]
	s_bcnt1_i32_b64 s7, s[20:21]
	;; [unrolled: 1-line block ×4, first 2 shown]
	v_add_u32_e32 v1, s6, v1
	v_add_u32_e32 v2, s7, v2
	;; [unrolled: 1-line block ×3, first 2 shown]
	s_or_b64 s[70:71], vcc, s[70:71]
	v_add_u32_e32 v4, s17, v4
	s_andn2_b64 exec, exec, s[70:71]
	s_cbranch_execnz .LBB65_63
; %bb.64:                               ;   in Loop: Header=BB65_7 Depth=1
	s_or_b64 exec, exec, s[70:71]
.LBB65_65:                              ;   in Loop: Header=BB65_7 Depth=1
	s_or_b64 exec, exec, s[68:69]
	s_lshl_b32 s16, s33, 6
	s_and_saveexec_b64 s[6:7], s[2:3]
	s_cbranch_execnz .LBB65_37
	s_branch .LBB65_38
.LBB65_66:                              ;   in Loop: Header=BB65_7 Depth=1
	s_or_b64 exec, exec, s[22:23]
	s_waitcnt lgkmcnt(0)
	s_barrier
	s_and_saveexec_b64 s[6:7], s[0:1]
	s_cbranch_execz .LBB65_68
; %bb.67:                               ;   in Loop: Header=BB65_7 Depth=1
	ds_read_b32 v1, v7 offset:4104
	s_waitcnt lgkmcnt(0)
	ds_write_b32 v7, v1 offset:4096
.LBB65_68:                              ;   in Loop: Header=BB65_7 Depth=1
	s_or_b64 exec, exec, s[6:7]
	s_waitcnt lgkmcnt(0)
	s_barrier
	s_mov_b64 s[6:7], -1
	s_and_b64 vcc, exec, s[20:21]
	s_cbranch_vccnz .LBB65_22
	s_branch .LBB65_32
.LBB65_69:                              ;   in Loop: Header=BB65_7 Depth=1
	v_mov_b32_e32 v1, 0
	s_mov_b32 s17, 0
.LBB65_70:                              ;   in Loop: Header=BB65_7 Depth=1
	v_readlane_b32 s20, v44, 28
	v_readlane_b32 s21, v44, 29
	s_andn2_b64 vcc, exec, s[20:21]
	s_cbranch_vccnz .LBB65_73
; %bb.71:                               ;   in Loop: Header=BB65_7 Depth=1
	s_lshl_b32 s20, s33, 8
	s_lshl_b32 s17, s17, 4
	s_add_i32 s20, s20, s17
	v_add_u32_e32 v2, s20, v31
	v_readlane_b32 s17, v44, 27
.LBB65_72:                              ;   Parent Loop BB65_7 Depth=1
                                        ; =>  This Inner Loop Header: Depth=2
	ds_read_b32 v3, v2
	s_add_i32 s17, s17, -1
	v_add_u32_e32 v2, 16, v2
	s_cmp_lg_u32 s17, 0
	s_waitcnt lgkmcnt(0)
	v_add_u32_e32 v1, v3, v1
	s_cbranch_scc1 .LBB65_72
.LBB65_73:                              ;   in Loop: Header=BB65_7 Depth=1
	v_add_lshl_u32 v2, s16, v15, 2
	ds_write_b32 v2, v1 offset:3072
.LBB65_74:                              ;   in Loop: Header=BB65_7 Depth=1
	s_or_b64 exec, exec, s[6:7]
	s_lshl_b32 s6, s16, 2
	v_mov_b32_e32 v1, s6
	s_waitcnt lgkmcnt(0)
	s_barrier
	ds_read_b128 v[1:4], v1 offset:3072
	v_cmp_eq_u32_e32 vcc, 1, v39
	s_mov_b64 s[20:21], -1
	s_mov_b64 s[68:69], -1
                                        ; implicit-def: $sgpr26_sgpr27
                                        ; implicit-def: $sgpr24_sgpr25
	s_waitcnt lgkmcnt(0)
	v_readfirstlane_b32 s78, v1
	s_cmp_eq_u32 s78, 1
	v_readfirstlane_b32 s36, v3
	v_lshlrev_b32_e64 v3, v32, 3
	s_cselect_b64 s[6:7], -1, 0
	v_readfirstlane_b32 s37, v2
	v_readfirstlane_b32 s49, v4
	v_not_b32_e32 v6, v3
	s_and_b64 s[22:23], s[6:7], vcc
	s_and_saveexec_b64 s[6:7], s[22:23]
	s_cbranch_execz .LBB65_100
; %bb.75:                               ;   in Loop: Header=BB65_7 Depth=1
	ds_read_b32 v1, v7 offset:4096
	s_waitcnt lgkmcnt(0)
	s_barrier
	v_readfirstlane_b32 s16, v1
	s_and_saveexec_b64 s[24:25], s[4:5]
; %bb.76:                               ;   in Loop: Header=BB65_7 Depth=1
	ds_write_b16 v17, v7
; %bb.77:                               ;   in Loop: Header=BB65_7 Depth=1
	s_or_b64 exec, exec, s[24:25]
	v_and_b32_e32 v28, v28, v6
	v_or_b32_e32 v37, v37, v3
	s_mov_b64 s[24:25], -1
	s_mov_b64 s[26:27], 0
	s_cmp_lt_i32 s16, 1
	s_mov_b64 s[68:69], 0
	s_mov_b64 s[70:71], -1
	s_waitcnt lgkmcnt(0)
	s_barrier
                                        ; implicit-def: $vgpr38
	s_cbranch_scc0 .LBB65_88
; %bb.78:                               ;   in Loop: Header=BB65_7 Depth=1
	s_mov_b64 s[70:71], 0
                                        ; implicit-def: $vgpr38
	s_mov_b64 s[72:73], exec
	v_readlane_b32 s34, v44, 30
	v_readlane_b32 s35, v44, 31
	s_and_b64 s[34:35], s[72:73], s[34:35]
	s_mov_b64 exec, s[34:35]
	s_cbranch_execz .LBB65_87
; %bb.79:                               ;   in Loop: Header=BB65_7 Depth=1
	v_mov_b32_e32 v1, v5
	v_mov_b32_e32 v4, v0
                                        ; implicit-def: $sgpr74_sgpr75
	s_branch .LBB65_82
.LBB65_80:                              ;   in Loop: Header=BB65_82 Depth=2
	s_or_b64 exec, exec, s[34:35]
	s_waitcnt lgkmcnt(0)
	s_barrier
	ds_read_b32 v2, v7 offset:3072
	s_mov_b64 s[34:35], -1
	s_mov_b64 s[76:77], -1
	s_waitcnt lgkmcnt(0)
	s_barrier
	v_and_b32_e32 v12, 0x7fff, v2
	v_cmp_ne_u32_e32 vcc, 0, v12
	s_cbranch_vccz .LBB65_85
.LBB65_81:                              ;   in Loop: Header=BB65_82 Depth=2
	s_and_b64 s[34:35], exec, s[34:35]
	s_or_b64 s[68:69], s[34:35], s[68:69]
	s_andn2_b64 s[34:35], s[74:75], exec
	s_and_b64 s[74:75], s[76:77], exec
	s_or_b64 s[74:75], s[34:35], s[74:75]
	s_andn2_b64 exec, exec, s[68:69]
	s_cbranch_execz .LBB65_86
.LBB65_82:                              ;   Parent Loop BB65_7 Depth=1
                                        ; =>  This Inner Loop Header: Depth=2
	v_cmp_gt_i32_e32 vcc, s28, v4
	s_and_saveexec_b64 s[34:35], vcc
	s_cbranch_execz .LBB65_80
; %bb.83:                               ;   in Loop: Header=BB65_82 Depth=2
	v_ashrrev_i32_e32 v2, 31, v1
	v_lshlrev_b64 v[12:13], 1, v[1:2]
	v_mov_b32_e32 v2, s41
	v_add_co_u32_e32 v12, vcc, s30, v12
	v_addc_co_u32_e32 v13, vcc, v2, v13, vcc
	global_load_ushort v2, v[12:13], off
	s_waitcnt vmcnt(0)
	v_cmp_lt_i16_e32 vcc, -1, v2
	v_cndmask_b32_e32 v12, v33, v34, vcc
	v_lshlrev_b32_e32 v13, 16, v2
	v_xor_b32_sdwa v12, v12, v2 dst_sel:DWORD dst_unused:UNUSED_PAD src0_sel:DWORD src1_sel:WORD_0
	v_cmp_o_f32_e32 vcc, v13, v13
	v_cndmask_b32_e32 v12, v33, v12, vcc
	v_and_b32_e32 v12, v12, v37
	v_cmp_eq_u32_e32 vcc, v12, v28
	s_and_b64 exec, exec, vcc
	s_cbranch_execz .LBB65_80
; %bb.84:                               ;   in Loop: Header=BB65_82 Depth=2
	v_perm_b32 v2, v2, s29, v36
	ds_write_b32 v7, v2 offset:3072
	s_branch .LBB65_80
.LBB65_85:                              ;   in Loop: Header=BB65_82 Depth=2
	v_add_u32_e32 v4, s40, v4
	v_cmp_le_i32_e32 vcc, s51, v4
	v_add_u32_e32 v1, s38, v1
	s_mov_b64 s[76:77], 0
	s_orn2_b64 s[34:35], vcc, exec
	s_branch .LBB65_81
.LBB65_86:                              ;   in Loop: Header=BB65_7 Depth=1
	s_or_b64 exec, exec, s[68:69]
	v_lshrrev_b32_e32 v38, 16, v2
	s_and_b64 s[68:69], s[74:75], exec
.LBB65_87:                              ;   in Loop: Header=BB65_7 Depth=1
	s_or_b64 exec, exec, s[72:73]
.LBB65_88:                              ;   in Loop: Header=BB65_7 Depth=1
	s_and_b64 vcc, exec, s[70:71]
	s_cbranch_vccz .LBB65_99
; %bb.89:                               ;   in Loop: Header=BB65_7 Depth=1
	s_add_i32 s17, s16, s18
	s_abs_i32 s25, s17
	s_mul_hi_u32 s26, s25, s50
	s_mul_i32 s26, s26, s40
	s_sub_i32 s25, s25, s26
	s_ashr_i32 s24, s17, 31
	s_sub_i32 s26, s25, s40
	s_cmp_ge_u32 s25, s40
	s_cselect_b32 s25, s26, s25
	s_sub_i32 s26, s25, s40
	s_cmp_ge_u32 s25, s40
	s_cselect_b32 s25, s26, s25
	s_xor_b32 s25, s25, s24
	s_sub_i32 s24, s24, s25
	s_add_i32 s17, s17, s24
	v_cmp_gt_i32_e32 vcc, s17, v0
                                        ; implicit-def: $vgpr38
	s_and_saveexec_b64 s[24:25], vcc
	s_cbranch_execz .LBB65_98
; %bb.90:                               ;   in Loop: Header=BB65_7 Depth=1
	s_mov_b64 s[26:27], 0
	v_mov_b32_e32 v1, v16
	v_mov_b32_e32 v2, v0
                                        ; implicit-def: $sgpr70_sgpr71
	s_branch .LBB65_93
.LBB65_91:                              ;   in Loop: Header=BB65_93 Depth=2
	s_or_b64 exec, exec, s[34:35]
	s_waitcnt lgkmcnt(0)
	s_barrier
	ds_read_b32 v4, v7 offset:3072
	s_mov_b64 s[34:35], -1
	s_mov_b64 s[72:73], -1
	s_waitcnt lgkmcnt(0)
	s_barrier
	v_and_b32_e32 v12, 0x7fff, v4
	v_cmp_ne_u32_e32 vcc, 0, v12
	s_cbranch_vccz .LBB65_96
.LBB65_92:                              ;   in Loop: Header=BB65_93 Depth=2
	s_and_b64 s[34:35], exec, s[34:35]
	s_or_b64 s[26:27], s[34:35], s[26:27]
	s_andn2_b64 s[34:35], s[70:71], exec
	s_and_b64 s[70:71], s[72:73], exec
	s_or_b64 s[70:71], s[34:35], s[70:71]
	s_andn2_b64 exec, exec, s[26:27]
	s_cbranch_execz .LBB65_97
.LBB65_93:                              ;   Parent Loop BB65_7 Depth=1
                                        ; =>  This Inner Loop Header: Depth=2
	v_cmp_gt_i32_e32 vcc, s16, v2
	s_and_saveexec_b64 s[34:35], vcc
	s_cbranch_execz .LBB65_91
; %bb.94:                               ;   in Loop: Header=BB65_93 Depth=2
	ds_read_u16 v4, v1
	s_waitcnt lgkmcnt(0)
	v_cmp_lt_i16_e32 vcc, -1, v4
	v_cndmask_b32_e32 v12, v33, v34, vcc
	v_lshlrev_b32_e32 v13, 16, v4
	v_cmp_o_f32_e32 vcc, v13, v13
	v_xor_b32_sdwa v12, v12, v4 dst_sel:DWORD dst_unused:UNUSED_PAD src0_sel:DWORD src1_sel:WORD_0
	v_cndmask_b32_e32 v12, v33, v12, vcc
	v_and_b32_e32 v12, v12, v37
	v_cmp_eq_u32_e32 vcc, v12, v28
	s_and_b64 exec, exec, vcc
	s_cbranch_execz .LBB65_91
; %bb.95:                               ;   in Loop: Header=BB65_93 Depth=2
	v_perm_b32 v4, v4, s29, v36
	ds_write_b32 v7, v4 offset:3072
	s_branch .LBB65_91
.LBB65_96:                              ;   in Loop: Header=BB65_93 Depth=2
	v_add_u32_e32 v2, s40, v2
	v_cmp_le_i32_e32 vcc, s17, v2
	v_add_u32_e32 v1, s48, v1
	s_mov_b64 s[72:73], 0
	s_orn2_b64 s[34:35], vcc, exec
	s_branch .LBB65_92
.LBB65_97:                              ;   in Loop: Header=BB65_7 Depth=1
	s_or_b64 exec, exec, s[26:27]
	s_andn2_b64 s[16:17], s[68:69], exec
	s_and_b64 s[26:27], s[70:71], exec
	v_lshrrev_b32_e32 v38, 16, v4
	s_or_b64 s[68:69], s[16:17], s[26:27]
.LBB65_98:                              ;   in Loop: Header=BB65_7 Depth=1
	s_or_b64 exec, exec, s[24:25]
	s_mov_b64 s[24:25], 0
	s_mov_b64 s[26:27], -1
.LBB65_99:                              ;   in Loop: Header=BB65_7 Depth=1
	s_orn2_b64 s[68:69], s[68:69], exec
.LBB65_100:                             ;   in Loop: Header=BB65_7 Depth=1
	s_or_b64 exec, exec, s[6:7]
	s_andn2_b64 s[6:7], s[66:67], exec
	s_and_b64 s[26:27], s[26:27], exec
	s_or_b64 s[66:67], s[6:7], s[26:27]
	s_andn2_b64 s[6:7], s[64:65], exec
	s_and_b64 s[24:25], s[24:25], exec
	v_readfirstlane_b32 s16, v0
	s_andn2_b64 s[62:63], s[62:63], exec
	s_or_b64 s[64:65], s[6:7], s[24:25]
                                        ; implicit-def: $vgpr12
	s_and_saveexec_b64 s[6:7], s[68:69]
	s_cbranch_execz .LBB65_6
; %bb.101:                              ;   in Loop: Header=BB65_7 Depth=1
	s_xor_b64 s[16:17], s[22:23], -1
	s_mov_b64 s[22:23], 0
	v_mov_b32_e32 v12, 1
	v_mov_b32_e32 v4, 1
	s_and_saveexec_b64 s[20:21], s[16:17]
	s_cbranch_execz .LBB65_110
; %bb.102:                              ;   in Loop: Header=BB65_7 Depth=1
	v_cmp_ge_i32_e32 vcc, s78, v39
	s_and_saveexec_b64 s[16:17], vcc
	s_xor_b64 s[22:23], exec, s[16:17]
	s_cbranch_execz .LBB65_107
; %bb.103:                              ;   in Loop: Header=BB65_7 Depth=1
	ds_read_b32 v1, v7 offset:4096
	v_and_b32_e32 v28, v28, v6
	v_or_b32_e32 v37, v37, v3
	s_waitcnt lgkmcnt(0)
	v_cmp_ne_u32_e32 vcc, 0, v1
	s_cbranch_vccnz .LBB65_107
; %bb.104:                              ;   in Loop: Header=BB65_7 Depth=1
	s_and_saveexec_b64 s[24:25], s[0:1]
; %bb.105:                              ;   in Loop: Header=BB65_7 Depth=1
	v_mov_b32_e32 v1, s78
	ds_write_b32 v7, v1 offset:4100
; %bb.106:                              ;   in Loop: Header=BB65_7 Depth=1
	s_or_b64 exec, exec, s[24:25]
	s_waitcnt lgkmcnt(0)
	s_barrier
.LBB65_107:                             ;   in Loop: Header=BB65_7 Depth=1
	s_or_saveexec_b64 s[22:23], s[22:23]
	s_mov_b64 s[24:25], 0
	v_mov_b32_e32 v4, 8
	s_xor_b64 exec, exec, s[22:23]
; %bb.108:                              ;   in Loop: Header=BB65_7 Depth=1
	s_mov_b64 s[24:25], exec
	v_subrev_u32_e32 v39, s78, v39
	v_mov_b32_e32 v4, 0
; %bb.109:                              ;   in Loop: Header=BB65_7 Depth=1
	s_or_b64 exec, exec, s[22:23]
	s_and_b64 s[22:23], s[24:25], exec
	v_mov_b32_e32 v12, v39
.LBB65_110:                             ;   in Loop: Header=BB65_7 Depth=1
	s_or_b64 exec, exec, s[20:21]
	s_mov_b64 s[20:21], -1
	s_mov_b64 s[68:69], -1
                                        ; implicit-def: $sgpr24_sgpr25
                                        ; implicit-def: $sgpr26_sgpr27
	s_and_saveexec_b64 s[16:17], s[22:23]
	s_xor_b64 s[22:23], exec, s[16:17]
	s_cbranch_execz .LBB65_227
; %bb.111:                              ;   in Loop: Header=BB65_7 Depth=1
	s_cmp_eq_u32 s37, 1
	s_cselect_b64 s[16:17], -1, 0
	v_cmp_eq_u32_e32 vcc, 1, v12
	s_and_b64 s[70:71], s[16:17], vcc
	s_mov_b64 s[72:73], -1
                                        ; implicit-def: $sgpr26_sgpr27
                                        ; implicit-def: $sgpr24_sgpr25
	s_and_saveexec_b64 s[68:69], s[70:71]
	s_cbranch_execz .LBB65_137
; %bb.112:                              ;   in Loop: Header=BB65_7 Depth=1
	ds_read_b32 v1, v7 offset:4096
	s_waitcnt lgkmcnt(0)
	s_barrier
	v_readfirstlane_b32 s82, v1
	s_and_saveexec_b64 s[24:25], s[4:5]
; %bb.113:                              ;   in Loop: Header=BB65_7 Depth=1
	ds_write_b16 v17, v7
; %bb.114:                              ;   in Loop: Header=BB65_7 Depth=1
	s_or_b64 exec, exec, s[24:25]
	v_and_b32_e32 v1, v28, v6
	v_lshl_or_b32 v28, 1, v32, v1
	v_or_b32_e32 v37, v37, v3
	s_mov_b64 s[24:25], -1
	s_mov_b64 s[26:27], 0
	s_cmp_gt_i32 s82, 0
	s_mov_b64 s[72:73], 0
	s_mov_b64 s[74:75], -1
	s_waitcnt lgkmcnt(0)
	s_barrier
                                        ; implicit-def: $vgpr38
	s_cbranch_scc1 .LBB65_125
; %bb.115:                              ;   in Loop: Header=BB65_7 Depth=1
	s_mov_b64 s[74:75], 0
                                        ; implicit-def: $vgpr38
	s_mov_b64 s[76:77], exec
	v_readlane_b32 s16, v44, 30
	v_readlane_b32 s17, v44, 31
	s_and_b64 s[16:17], s[76:77], s[16:17]
	s_mov_b64 exec, s[16:17]
	s_cbranch_execz .LBB65_124
; %bb.116:                              ;   in Loop: Header=BB65_7 Depth=1
	v_mov_b32_e32 v1, v5
	v_mov_b32_e32 v13, v0
                                        ; implicit-def: $sgpr78_sgpr79
	s_branch .LBB65_119
.LBB65_117:                             ;   in Loop: Header=BB65_119 Depth=2
	s_or_b64 exec, exec, s[80:81]
	s_waitcnt lgkmcnt(0)
	s_barrier
	ds_read_b32 v2, v7 offset:3072
	s_mov_b64 s[34:35], -1
	s_mov_b64 s[80:81], -1
	s_waitcnt lgkmcnt(0)
	s_barrier
	v_and_b32_e32 v38, 0x7fff, v2
	v_cmp_ne_u32_e32 vcc, 0, v38
	s_cbranch_vccz .LBB65_122
.LBB65_118:                             ;   in Loop: Header=BB65_119 Depth=2
	s_and_b64 s[16:17], exec, s[34:35]
	s_or_b64 s[72:73], s[16:17], s[72:73]
	s_andn2_b64 s[16:17], s[78:79], exec
	s_and_b64 s[34:35], s[80:81], exec
	s_or_b64 s[78:79], s[16:17], s[34:35]
	s_andn2_b64 exec, exec, s[72:73]
	s_cbranch_execz .LBB65_123
.LBB65_119:                             ;   Parent Loop BB65_7 Depth=1
                                        ; =>  This Inner Loop Header: Depth=2
	v_cmp_gt_i32_e32 vcc, s28, v13
	s_and_saveexec_b64 s[80:81], vcc
	s_cbranch_execz .LBB65_117
; %bb.120:                              ;   in Loop: Header=BB65_119 Depth=2
	v_ashrrev_i32_e32 v2, 31, v1
	v_lshlrev_b64 v[38:39], 1, v[1:2]
	v_mov_b32_e32 v2, s41
	v_add_co_u32_e32 v38, vcc, s30, v38
	v_addc_co_u32_e32 v39, vcc, v2, v39, vcc
	global_load_ushort v2, v[38:39], off
	s_waitcnt vmcnt(0)
	v_cmp_lt_i16_e32 vcc, -1, v2
	v_cndmask_b32_e32 v38, v33, v34, vcc
	v_lshlrev_b32_e32 v39, 16, v2
	v_xor_b32_sdwa v38, v38, v2 dst_sel:DWORD dst_unused:UNUSED_PAD src0_sel:DWORD src1_sel:WORD_0
	v_cmp_o_f32_e32 vcc, v39, v39
	v_cndmask_b32_e32 v38, v33, v38, vcc
	v_and_b32_e32 v38, v38, v37
	v_cmp_eq_u32_e32 vcc, v38, v28
	s_and_b64 exec, exec, vcc
	s_cbranch_execz .LBB65_117
; %bb.121:                              ;   in Loop: Header=BB65_119 Depth=2
	v_perm_b32 v2, v2, s29, v36
	ds_write_b32 v7, v2 offset:3072
	s_branch .LBB65_117
.LBB65_122:                             ;   in Loop: Header=BB65_119 Depth=2
	v_add_u32_e32 v13, s40, v13
	v_cmp_le_i32_e32 vcc, s51, v13
	v_add_u32_e32 v1, s38, v1
	s_mov_b64 s[80:81], 0
	s_orn2_b64 s[34:35], vcc, exec
	s_branch .LBB65_118
.LBB65_123:                             ;   in Loop: Header=BB65_7 Depth=1
	s_or_b64 exec, exec, s[72:73]
	v_lshrrev_b32_e32 v38, 16, v2
	s_and_b64 s[72:73], s[78:79], exec
.LBB65_124:                             ;   in Loop: Header=BB65_7 Depth=1
	s_or_b64 exec, exec, s[76:77]
.LBB65_125:                             ;   in Loop: Header=BB65_7 Depth=1
	s_and_b64 vcc, exec, s[74:75]
	s_cbranch_vccz .LBB65_136
; %bb.126:                              ;   in Loop: Header=BB65_7 Depth=1
	s_add_i32 s16, s82, s18
	s_abs_i32 s24, s16
	s_mul_hi_u32 s25, s24, s50
	s_mul_i32 s25, s25, s40
	s_sub_i32 s24, s24, s25
	s_ashr_i32 s17, s16, 31
	s_sub_i32 s25, s24, s40
	s_cmp_ge_u32 s24, s40
	s_cselect_b32 s24, s25, s24
	s_sub_i32 s25, s24, s40
	s_cmp_ge_u32 s24, s40
	s_cselect_b32 s24, s25, s24
	s_xor_b32 s24, s24, s17
	s_sub_i32 s17, s17, s24
	s_add_i32 s16, s16, s17
	v_cmp_gt_i32_e32 vcc, s16, v0
                                        ; implicit-def: $vgpr38
	s_and_saveexec_b64 s[24:25], vcc
	s_cbranch_execz .LBB65_135
; %bb.127:                              ;   in Loop: Header=BB65_7 Depth=1
	s_mov_b64 s[26:27], 0
	v_mov_b32_e32 v1, v16
	v_mov_b32_e32 v2, v0
                                        ; implicit-def: $sgpr74_sgpr75
	s_branch .LBB65_130
.LBB65_128:                             ;   in Loop: Header=BB65_130 Depth=2
	s_or_b64 exec, exec, s[34:35]
	s_waitcnt lgkmcnt(0)
	s_barrier
	ds_read_b32 v13, v7 offset:3072
	s_mov_b64 s[34:35], -1
	s_mov_b64 s[76:77], -1
	s_waitcnt lgkmcnt(0)
	s_barrier
	v_and_b32_e32 v38, 0x7fff, v13
	v_cmp_eq_u32_e32 vcc, 0, v38
	s_cbranch_vccnz .LBB65_133
.LBB65_129:                             ;   in Loop: Header=BB65_130 Depth=2
	s_and_b64 s[34:35], exec, s[34:35]
	s_or_b64 s[26:27], s[34:35], s[26:27]
	s_andn2_b64 s[34:35], s[74:75], exec
	s_and_b64 s[74:75], s[76:77], exec
	s_or_b64 s[74:75], s[34:35], s[74:75]
	s_andn2_b64 exec, exec, s[26:27]
	s_cbranch_execz .LBB65_134
.LBB65_130:                             ;   Parent Loop BB65_7 Depth=1
                                        ; =>  This Inner Loop Header: Depth=2
	v_cmp_gt_i32_e32 vcc, s82, v2
	s_and_saveexec_b64 s[34:35], vcc
	s_cbranch_execz .LBB65_128
; %bb.131:                              ;   in Loop: Header=BB65_130 Depth=2
	ds_read_u16 v13, v1
	s_waitcnt lgkmcnt(0)
	v_cmp_lt_i16_e32 vcc, -1, v13
	v_cndmask_b32_e32 v38, v33, v34, vcc
	v_lshlrev_b32_e32 v39, 16, v13
	v_cmp_o_f32_e32 vcc, v39, v39
	v_xor_b32_sdwa v38, v38, v13 dst_sel:DWORD dst_unused:UNUSED_PAD src0_sel:DWORD src1_sel:WORD_0
	v_cndmask_b32_e32 v38, v33, v38, vcc
	v_and_b32_e32 v38, v38, v37
	v_cmp_eq_u32_e32 vcc, v38, v28
	s_and_b64 exec, exec, vcc
	s_cbranch_execz .LBB65_128
; %bb.132:                              ;   in Loop: Header=BB65_130 Depth=2
	v_perm_b32 v13, v13, s29, v36
	ds_write_b32 v7, v13 offset:3072
	s_branch .LBB65_128
.LBB65_133:                             ;   in Loop: Header=BB65_130 Depth=2
	v_add_u32_e32 v2, s40, v2
	v_cmp_le_i32_e32 vcc, s16, v2
	v_add_u32_e32 v1, s48, v1
	s_mov_b64 s[76:77], 0
	s_orn2_b64 s[34:35], vcc, exec
	s_branch .LBB65_129
.LBB65_134:                             ;   in Loop: Header=BB65_7 Depth=1
	s_or_b64 exec, exec, s[26:27]
	s_andn2_b64 s[16:17], s[72:73], exec
	s_and_b64 s[26:27], s[74:75], exec
	v_lshrrev_b32_e32 v38, 16, v13
	s_or_b64 s[72:73], s[16:17], s[26:27]
.LBB65_135:                             ;   in Loop: Header=BB65_7 Depth=1
	s_or_b64 exec, exec, s[24:25]
	s_mov_b64 s[24:25], 0
	s_mov_b64 s[26:27], -1
.LBB65_136:                             ;   in Loop: Header=BB65_7 Depth=1
	s_orn2_b64 s[72:73], s[72:73], exec
.LBB65_137:                             ;   in Loop: Header=BB65_7 Depth=1
	s_or_b64 exec, exec, s[68:69]
	s_mov_b64 s[34:35], 0
	s_and_saveexec_b64 s[68:69], s[72:73]
	s_cbranch_execz .LBB65_226
; %bb.138:                              ;   in Loop: Header=BB65_7 Depth=1
	s_xor_b64 s[16:17], s[70:71], -1
	v_mov_b32_e32 v13, 1
	v_mov_b32_e32 v4, 1
	s_and_saveexec_b64 s[70:71], s[16:17]
	s_cbranch_execz .LBB65_147
; %bb.139:                              ;   in Loop: Header=BB65_7 Depth=1
	v_cmp_ge_i32_e32 vcc, s37, v12
	s_and_saveexec_b64 s[16:17], vcc
	s_xor_b64 s[72:73], exec, s[16:17]
	s_cbranch_execz .LBB65_144
; %bb.140:                              ;   in Loop: Header=BB65_7 Depth=1
	v_and_b32_e32 v1, v28, v6
	v_lshl_or_b32 v28, 1, v32, v1
	ds_read_b32 v1, v7 offset:4096
	v_or_b32_e32 v37, v37, v3
	s_waitcnt lgkmcnt(0)
	v_cmp_ne_u32_e32 vcc, 0, v1
	s_cbranch_vccnz .LBB65_144
; %bb.141:                              ;   in Loop: Header=BB65_7 Depth=1
	s_and_saveexec_b64 s[34:35], s[0:1]
; %bb.142:                              ;   in Loop: Header=BB65_7 Depth=1
	v_mov_b32_e32 v1, s37
	ds_write_b32 v7, v1 offset:4100
; %bb.143:                              ;   in Loop: Header=BB65_7 Depth=1
	s_or_b64 exec, exec, s[34:35]
	s_waitcnt lgkmcnt(0)
	s_barrier
.LBB65_144:                             ;   in Loop: Header=BB65_7 Depth=1
	s_or_saveexec_b64 s[72:73], s[72:73]
	s_mov_b64 s[34:35], 0
	v_mov_b32_e32 v4, 8
	s_xor_b64 exec, exec, s[72:73]
; %bb.145:                              ;   in Loop: Header=BB65_7 Depth=1
	v_subrev_u32_e32 v12, s37, v12
	v_mov_b32_e32 v4, 0
	s_mov_b64 s[34:35], exec
; %bb.146:                              ;   in Loop: Header=BB65_7 Depth=1
	s_or_b64 exec, exec, s[72:73]
	s_and_b64 s[34:35], s[34:35], exec
	v_mov_b32_e32 v13, v12
.LBB65_147:                             ;   in Loop: Header=BB65_7 Depth=1
	s_or_b64 exec, exec, s[70:71]
	s_mov_b64 s[76:77], -1
                                        ; implicit-def: $sgpr72_sgpr73
                                        ; implicit-def: $sgpr74_sgpr75
	s_and_saveexec_b64 s[70:71], s[34:35]
	s_cbranch_execz .LBB65_225
; %bb.148:                              ;   in Loop: Header=BB65_7 Depth=1
	s_cmp_eq_u32 s36, 1
	s_cselect_b64 s[16:17], -1, 0
	v_cmp_eq_u32_e32 vcc, 1, v13
	s_and_b64 s[78:79], s[16:17], vcc
	s_mov_b64 s[80:81], -1
                                        ; implicit-def: $sgpr74_sgpr75
                                        ; implicit-def: $sgpr72_sgpr73
	s_and_saveexec_b64 s[76:77], s[78:79]
	s_cbranch_execz .LBB65_174
; %bb.149:                              ;   in Loop: Header=BB65_7 Depth=1
	ds_read_b32 v1, v7 offset:4096
	s_waitcnt lgkmcnt(0)
	s_barrier
	v_readfirstlane_b32 s37, v1
	s_and_saveexec_b64 s[34:35], s[4:5]
; %bb.150:                              ;   in Loop: Header=BB65_7 Depth=1
	ds_write_b16 v17, v7
; %bb.151:                              ;   in Loop: Header=BB65_7 Depth=1
	s_or_b64 exec, exec, s[34:35]
	v_and_b32_e32 v1, v28, v6
	v_lshl_or_b32 v28, 2, v32, v1
	v_or_b32_e32 v37, v37, v3
	s_mov_b64 s[72:73], -1
	s_mov_b64 s[74:75], 0
	s_cmp_gt_i32 s37, 0
	s_mov_b64 s[80:81], 0
	s_mov_b64 s[82:83], -1
	s_waitcnt lgkmcnt(0)
	s_barrier
                                        ; implicit-def: $vgpr38
	s_cbranch_scc1 .LBB65_162
; %bb.152:                              ;   in Loop: Header=BB65_7 Depth=1
	s_mov_b64 s[82:83], 0
                                        ; implicit-def: $vgpr38
	s_mov_b64 s[84:85], exec
	v_readlane_b32 s16, v44, 30
	v_readlane_b32 s17, v44, 31
	s_and_b64 s[16:17], s[84:85], s[16:17]
	s_mov_b64 exec, s[16:17]
	s_cbranch_execz .LBB65_161
; %bb.153:                              ;   in Loop: Header=BB65_7 Depth=1
	v_mov_b32_e32 v1, v5
	v_mov_b32_e32 v12, v0
                                        ; implicit-def: $sgpr86_sgpr87
	s_branch .LBB65_156
.LBB65_154:                             ;   in Loop: Header=BB65_156 Depth=2
	s_or_b64 exec, exec, s[88:89]
	s_waitcnt lgkmcnt(0)
	s_barrier
	ds_read_b32 v2, v7 offset:3072
	s_mov_b64 s[34:35], -1
	s_mov_b64 s[88:89], -1
	s_waitcnt lgkmcnt(0)
	s_barrier
	v_and_b32_e32 v38, 0x7fff, v2
	v_cmp_ne_u32_e32 vcc, 0, v38
	s_cbranch_vccz .LBB65_159
.LBB65_155:                             ;   in Loop: Header=BB65_156 Depth=2
	s_and_b64 s[16:17], exec, s[34:35]
	s_or_b64 s[80:81], s[16:17], s[80:81]
	s_andn2_b64 s[16:17], s[86:87], exec
	s_and_b64 s[34:35], s[88:89], exec
	s_or_b64 s[86:87], s[16:17], s[34:35]
	s_andn2_b64 exec, exec, s[80:81]
	s_cbranch_execz .LBB65_160
.LBB65_156:                             ;   Parent Loop BB65_7 Depth=1
                                        ; =>  This Inner Loop Header: Depth=2
	v_cmp_gt_i32_e32 vcc, s28, v12
	s_and_saveexec_b64 s[88:89], vcc
	s_cbranch_execz .LBB65_154
; %bb.157:                              ;   in Loop: Header=BB65_156 Depth=2
	v_ashrrev_i32_e32 v2, 31, v1
	v_lshlrev_b64 v[38:39], 1, v[1:2]
	v_mov_b32_e32 v2, s41
	v_add_co_u32_e32 v38, vcc, s30, v38
	v_addc_co_u32_e32 v39, vcc, v2, v39, vcc
	global_load_ushort v2, v[38:39], off
	s_waitcnt vmcnt(0)
	v_cmp_lt_i16_e32 vcc, -1, v2
	v_cndmask_b32_e32 v38, v33, v34, vcc
	v_lshlrev_b32_e32 v39, 16, v2
	v_xor_b32_sdwa v38, v38, v2 dst_sel:DWORD dst_unused:UNUSED_PAD src0_sel:DWORD src1_sel:WORD_0
	v_cmp_o_f32_e32 vcc, v39, v39
	v_cndmask_b32_e32 v38, v33, v38, vcc
	v_and_b32_e32 v38, v38, v37
	v_cmp_eq_u32_e32 vcc, v38, v28
	s_and_b64 exec, exec, vcc
	s_cbranch_execz .LBB65_154
; %bb.158:                              ;   in Loop: Header=BB65_156 Depth=2
	v_perm_b32 v2, v2, s29, v36
	ds_write_b32 v7, v2 offset:3072
	s_branch .LBB65_154
.LBB65_159:                             ;   in Loop: Header=BB65_156 Depth=2
	v_add_u32_e32 v12, s40, v12
	v_cmp_le_i32_e32 vcc, s51, v12
	v_add_u32_e32 v1, s38, v1
	s_mov_b64 s[88:89], 0
	s_orn2_b64 s[34:35], vcc, exec
	s_branch .LBB65_155
.LBB65_160:                             ;   in Loop: Header=BB65_7 Depth=1
	s_or_b64 exec, exec, s[80:81]
	v_lshrrev_b32_e32 v38, 16, v2
	s_and_b64 s[80:81], s[86:87], exec
.LBB65_161:                             ;   in Loop: Header=BB65_7 Depth=1
	s_or_b64 exec, exec, s[84:85]
.LBB65_162:                             ;   in Loop: Header=BB65_7 Depth=1
	s_and_b64 vcc, exec, s[82:83]
	s_cbranch_vccz .LBB65_173
; %bb.163:                              ;   in Loop: Header=BB65_7 Depth=1
	s_add_i32 s16, s37, s18
	s_abs_i32 s34, s16
	s_mul_hi_u32 s35, s34, s50
	s_mul_i32 s35, s35, s40
	s_sub_i32 s34, s34, s35
	s_ashr_i32 s17, s16, 31
	s_sub_i32 s35, s34, s40
	s_cmp_ge_u32 s34, s40
	s_cselect_b32 s34, s35, s34
	s_sub_i32 s35, s34, s40
	s_cmp_ge_u32 s34, s40
	s_cselect_b32 s34, s35, s34
	s_xor_b32 s34, s34, s17
	s_sub_i32 s17, s17, s34
	s_add_i32 s16, s16, s17
	v_cmp_gt_i32_e32 vcc, s16, v0
                                        ; implicit-def: $vgpr38
	s_and_saveexec_b64 s[72:73], vcc
	s_cbranch_execz .LBB65_172
; %bb.164:                              ;   in Loop: Header=BB65_7 Depth=1
	s_mov_b64 s[74:75], 0
	v_mov_b32_e32 v1, v16
	v_mov_b32_e32 v2, v0
                                        ; implicit-def: $sgpr82_sgpr83
	s_branch .LBB65_167
.LBB65_165:                             ;   in Loop: Header=BB65_167 Depth=2
	s_or_b64 exec, exec, s[34:35]
	s_waitcnt lgkmcnt(0)
	s_barrier
	ds_read_b32 v12, v7 offset:3072
	s_mov_b64 s[34:35], -1
	s_mov_b64 s[84:85], -1
	s_waitcnt lgkmcnt(0)
	s_barrier
	v_and_b32_e32 v38, 0x7fff, v12
	v_cmp_eq_u32_e32 vcc, 0, v38
	s_cbranch_vccnz .LBB65_170
.LBB65_166:                             ;   in Loop: Header=BB65_167 Depth=2
	s_and_b64 s[34:35], exec, s[34:35]
	s_or_b64 s[74:75], s[34:35], s[74:75]
	s_andn2_b64 s[34:35], s[82:83], exec
	s_and_b64 s[82:83], s[84:85], exec
	s_or_b64 s[82:83], s[34:35], s[82:83]
	s_andn2_b64 exec, exec, s[74:75]
	s_cbranch_execz .LBB65_171
.LBB65_167:                             ;   Parent Loop BB65_7 Depth=1
                                        ; =>  This Inner Loop Header: Depth=2
	v_cmp_gt_i32_e32 vcc, s37, v2
	s_and_saveexec_b64 s[34:35], vcc
	s_cbranch_execz .LBB65_165
; %bb.168:                              ;   in Loop: Header=BB65_167 Depth=2
	ds_read_u16 v12, v1
	s_waitcnt lgkmcnt(0)
	v_cmp_lt_i16_e32 vcc, -1, v12
	v_cndmask_b32_e32 v38, v33, v34, vcc
	v_lshlrev_b32_e32 v39, 16, v12
	v_cmp_o_f32_e32 vcc, v39, v39
	v_xor_b32_sdwa v38, v38, v12 dst_sel:DWORD dst_unused:UNUSED_PAD src0_sel:DWORD src1_sel:WORD_0
	v_cndmask_b32_e32 v38, v33, v38, vcc
	v_and_b32_e32 v38, v38, v37
	v_cmp_eq_u32_e32 vcc, v38, v28
	s_and_b64 exec, exec, vcc
	s_cbranch_execz .LBB65_165
; %bb.169:                              ;   in Loop: Header=BB65_167 Depth=2
	v_perm_b32 v12, v12, s29, v36
	ds_write_b32 v7, v12 offset:3072
	s_branch .LBB65_165
.LBB65_170:                             ;   in Loop: Header=BB65_167 Depth=2
	v_add_u32_e32 v2, s40, v2
	v_cmp_le_i32_e32 vcc, s16, v2
	v_add_u32_e32 v1, s48, v1
	s_mov_b64 s[84:85], 0
	s_orn2_b64 s[34:35], vcc, exec
	s_branch .LBB65_166
.LBB65_171:                             ;   in Loop: Header=BB65_7 Depth=1
	s_or_b64 exec, exec, s[74:75]
	s_andn2_b64 s[16:17], s[80:81], exec
	s_and_b64 s[34:35], s[82:83], exec
	v_lshrrev_b32_e32 v38, 16, v12
	s_or_b64 s[80:81], s[16:17], s[34:35]
.LBB65_172:                             ;   in Loop: Header=BB65_7 Depth=1
	s_or_b64 exec, exec, s[72:73]
	s_mov_b64 s[72:73], 0
	s_mov_b64 s[74:75], -1
.LBB65_173:                             ;   in Loop: Header=BB65_7 Depth=1
	s_orn2_b64 s[80:81], s[80:81], exec
.LBB65_174:                             ;   in Loop: Header=BB65_7 Depth=1
	s_or_b64 exec, exec, s[76:77]
	s_mov_b64 s[34:35], 0
	s_and_saveexec_b64 s[76:77], s[80:81]
	s_cbranch_execz .LBB65_224
; %bb.175:                              ;   in Loop: Header=BB65_7 Depth=1
	s_xor_b64 s[16:17], s[78:79], -1
	v_mov_b32_e32 v12, 1
	v_mov_b32_e32 v4, 1
	s_and_saveexec_b64 s[78:79], s[16:17]
	s_cbranch_execz .LBB65_184
; %bb.176:                              ;   in Loop: Header=BB65_7 Depth=1
	v_cmp_ge_i32_e32 vcc, s36, v13
	s_and_saveexec_b64 s[16:17], vcc
	s_xor_b64 s[80:81], exec, s[16:17]
	s_cbranch_execz .LBB65_181
; %bb.177:                              ;   in Loop: Header=BB65_7 Depth=1
	v_and_b32_e32 v1, v28, v6
	v_lshl_or_b32 v28, 2, v32, v1
	ds_read_b32 v1, v7 offset:4096
	v_or_b32_e32 v37, v37, v3
	s_waitcnt lgkmcnt(0)
	v_cmp_ne_u32_e32 vcc, 0, v1
	s_cbranch_vccnz .LBB65_181
; %bb.178:                              ;   in Loop: Header=BB65_7 Depth=1
	s_and_saveexec_b64 s[34:35], s[0:1]
; %bb.179:                              ;   in Loop: Header=BB65_7 Depth=1
	v_mov_b32_e32 v1, s36
	ds_write_b32 v7, v1 offset:4100
; %bb.180:                              ;   in Loop: Header=BB65_7 Depth=1
	s_or_b64 exec, exec, s[34:35]
	s_waitcnt lgkmcnt(0)
	s_barrier
.LBB65_181:                             ;   in Loop: Header=BB65_7 Depth=1
	s_or_saveexec_b64 s[80:81], s[80:81]
	s_mov_b64 s[34:35], 0
	v_mov_b32_e32 v4, 8
	s_xor_b64 exec, exec, s[80:81]
; %bb.182:                              ;   in Loop: Header=BB65_7 Depth=1
	v_subrev_u32_e32 v13, s36, v13
	v_mov_b32_e32 v4, 0
	s_mov_b64 s[34:35], exec
; %bb.183:                              ;   in Loop: Header=BB65_7 Depth=1
	s_or_b64 exec, exec, s[80:81]
	s_and_b64 s[34:35], s[34:35], exec
	v_mov_b32_e32 v12, v13
.LBB65_184:                             ;   in Loop: Header=BB65_7 Depth=1
	s_or_b64 exec, exec, s[78:79]
	s_mov_b64 s[80:81], -1
                                        ; implicit-def: $sgpr84_sgpr85
                                        ; implicit-def: $sgpr82_sgpr83
	s_and_saveexec_b64 s[78:79], s[34:35]
	s_cbranch_execz .LBB65_223
; %bb.185:                              ;   in Loop: Header=BB65_7 Depth=1
	s_cmp_eq_u32 s49, 1
	s_cselect_b64 s[16:17], -1, 0
	v_cmp_eq_u32_e32 vcc, 1, v12
	s_and_b64 s[80:81], s[16:17], vcc
	s_mov_b64 s[34:35], -1
                                        ; implicit-def: $sgpr84_sgpr85
                                        ; implicit-def: $sgpr82_sgpr83
	s_and_saveexec_b64 s[86:87], s[80:81]
	s_cbranch_execz .LBB65_211
; %bb.186:                              ;   in Loop: Header=BB65_7 Depth=1
	ds_read_b32 v1, v7 offset:4096
	s_waitcnt lgkmcnt(0)
	s_barrier
	v_readfirstlane_b32 s16, v1
	s_and_saveexec_b64 s[34:35], s[4:5]
; %bb.187:                              ;   in Loop: Header=BB65_7 Depth=1
	ds_write_b16 v17, v7
; %bb.188:                              ;   in Loop: Header=BB65_7 Depth=1
	s_or_b64 exec, exec, s[34:35]
	v_or_b32_e32 v28, v28, v3
	v_or_b32_e32 v37, v37, v3
	s_mov_b64 s[82:83], -1
	s_mov_b64 s[84:85], 0
	s_cmp_gt_i32 s16, 0
	s_mov_b64 s[88:89], 0
	s_mov_b64 s[90:91], -1
	s_waitcnt lgkmcnt(0)
	s_barrier
                                        ; implicit-def: $vgpr38
	s_cbranch_scc1 .LBB65_199
; %bb.189:                              ;   in Loop: Header=BB65_7 Depth=1
	s_mov_b64 s[90:91], 0
                                        ; implicit-def: $vgpr38
	s_mov_b64 s[92:93], exec
	v_readlane_b32 s34, v44, 30
	v_readlane_b32 s35, v44, 31
	s_and_b64 s[34:35], s[92:93], s[34:35]
	s_mov_b64 exec, s[34:35]
	s_cbranch_execz .LBB65_198
; %bb.190:                              ;   in Loop: Header=BB65_7 Depth=1
	v_mov_b32_e32 v1, v5
	v_mov_b32_e32 v6, v0
                                        ; implicit-def: $sgpr94_sgpr95
	s_branch .LBB65_193
.LBB65_191:                             ;   in Loop: Header=BB65_193 Depth=2
	s_or_b64 exec, exec, s[34:35]
	s_waitcnt lgkmcnt(0)
	s_barrier
	ds_read_b32 v2, v7 offset:3072
	s_mov_b64 s[34:35], -1
	s_mov_b64 s[36:37], -1
	s_waitcnt lgkmcnt(0)
	s_barrier
	v_and_b32_e32 v13, 0x7fff, v2
	v_cmp_ne_u32_e32 vcc, 0, v13
	s_cbranch_vccz .LBB65_196
.LBB65_192:                             ;   in Loop: Header=BB65_193 Depth=2
	s_and_b64 s[34:35], exec, s[34:35]
	s_or_b64 s[88:89], s[34:35], s[88:89]
	s_andn2_b64 s[34:35], s[94:95], exec
	s_and_b64 s[36:37], s[36:37], exec
	s_or_b64 s[94:95], s[34:35], s[36:37]
	s_andn2_b64 exec, exec, s[88:89]
	s_cbranch_execz .LBB65_197
.LBB65_193:                             ;   Parent Loop BB65_7 Depth=1
                                        ; =>  This Inner Loop Header: Depth=2
	v_cmp_gt_i32_e32 vcc, s28, v6
	s_and_saveexec_b64 s[34:35], vcc
	s_cbranch_execz .LBB65_191
; %bb.194:                              ;   in Loop: Header=BB65_193 Depth=2
	v_ashrrev_i32_e32 v2, 31, v1
	v_lshlrev_b64 v[38:39], 1, v[1:2]
	v_mov_b32_e32 v2, s41
	v_add_co_u32_e32 v38, vcc, s30, v38
	v_addc_co_u32_e32 v39, vcc, v2, v39, vcc
	global_load_ushort v2, v[38:39], off
	s_waitcnt vmcnt(0)
	v_cmp_lt_i16_e32 vcc, -1, v2
	v_cndmask_b32_e32 v13, v33, v34, vcc
	v_lshlrev_b32_e32 v38, 16, v2
	v_xor_b32_sdwa v13, v13, v2 dst_sel:DWORD dst_unused:UNUSED_PAD src0_sel:DWORD src1_sel:WORD_0
	v_cmp_o_f32_e32 vcc, v38, v38
	v_cndmask_b32_e32 v13, v33, v13, vcc
	v_and_b32_e32 v13, v13, v37
	v_cmp_eq_u32_e32 vcc, v13, v28
	s_and_b64 exec, exec, vcc
	s_cbranch_execz .LBB65_191
; %bb.195:                              ;   in Loop: Header=BB65_193 Depth=2
	v_perm_b32 v2, v2, s29, v36
	ds_write_b32 v7, v2 offset:3072
	s_branch .LBB65_191
.LBB65_196:                             ;   in Loop: Header=BB65_193 Depth=2
	v_add_u32_e32 v6, s40, v6
	v_cmp_le_i32_e32 vcc, s51, v6
	v_add_u32_e32 v1, s38, v1
	s_mov_b64 s[36:37], 0
	s_orn2_b64 s[34:35], vcc, exec
	s_branch .LBB65_192
.LBB65_197:                             ;   in Loop: Header=BB65_7 Depth=1
	s_or_b64 exec, exec, s[88:89]
	v_lshrrev_b32_e32 v38, 16, v2
	s_and_b64 s[88:89], s[94:95], exec
.LBB65_198:                             ;   in Loop: Header=BB65_7 Depth=1
	s_or_b64 exec, exec, s[92:93]
.LBB65_199:                             ;   in Loop: Header=BB65_7 Depth=1
	s_and_b64 vcc, exec, s[90:91]
	s_cbranch_vccz .LBB65_210
; %bb.200:                              ;   in Loop: Header=BB65_7 Depth=1
	s_add_i32 s17, s16, s18
	s_abs_i32 s35, s17
	s_mul_hi_u32 s36, s35, s50
	s_mul_i32 s36, s36, s40
	s_sub_i32 s35, s35, s36
	s_ashr_i32 s34, s17, 31
	s_sub_i32 s36, s35, s40
	s_cmp_ge_u32 s35, s40
	s_cselect_b32 s35, s36, s35
	s_sub_i32 s36, s35, s40
	s_cmp_ge_u32 s35, s40
	s_cselect_b32 s35, s36, s35
	s_xor_b32 s35, s35, s34
	s_sub_i32 s34, s34, s35
	s_add_i32 s17, s17, s34
	v_cmp_gt_i32_e32 vcc, s17, v0
                                        ; implicit-def: $vgpr38
	s_and_saveexec_b64 s[82:83], vcc
	s_cbranch_execz .LBB65_209
; %bb.201:                              ;   in Loop: Header=BB65_7 Depth=1
	s_mov_b64 s[84:85], 0
	v_mov_b32_e32 v1, v16
	v_mov_b32_e32 v2, v0
                                        ; implicit-def: $sgpr90_sgpr91
	s_branch .LBB65_204
.LBB65_202:                             ;   in Loop: Header=BB65_204 Depth=2
	s_or_b64 exec, exec, s[34:35]
	s_waitcnt lgkmcnt(0)
	s_barrier
	ds_read_b32 v6, v7 offset:3072
	s_mov_b64 s[34:35], -1
	s_mov_b64 s[36:37], -1
	s_waitcnt lgkmcnt(0)
	s_barrier
	v_and_b32_e32 v13, 0x7fff, v6
	v_cmp_eq_u32_e32 vcc, 0, v13
	s_cbranch_vccnz .LBB65_207
.LBB65_203:                             ;   in Loop: Header=BB65_204 Depth=2
	s_and_b64 s[34:35], exec, s[34:35]
	s_or_b64 s[84:85], s[34:35], s[84:85]
	s_andn2_b64 s[34:35], s[90:91], exec
	s_and_b64 s[36:37], s[36:37], exec
	s_or_b64 s[90:91], s[34:35], s[36:37]
	s_andn2_b64 exec, exec, s[84:85]
	s_cbranch_execz .LBB65_208
.LBB65_204:                             ;   Parent Loop BB65_7 Depth=1
                                        ; =>  This Inner Loop Header: Depth=2
	v_cmp_gt_i32_e32 vcc, s16, v2
	s_and_saveexec_b64 s[34:35], vcc
	s_cbranch_execz .LBB65_202
; %bb.205:                              ;   in Loop: Header=BB65_204 Depth=2
	ds_read_u16 v6, v1
	s_waitcnt lgkmcnt(0)
	v_cmp_lt_i16_e32 vcc, -1, v6
	v_cndmask_b32_e32 v13, v33, v34, vcc
	v_lshlrev_b32_e32 v38, 16, v6
	v_cmp_o_f32_e32 vcc, v38, v38
	v_xor_b32_sdwa v13, v13, v6 dst_sel:DWORD dst_unused:UNUSED_PAD src0_sel:DWORD src1_sel:WORD_0
	v_cndmask_b32_e32 v13, v33, v13, vcc
	v_and_b32_e32 v13, v13, v37
	v_cmp_eq_u32_e32 vcc, v13, v28
	s_and_b64 exec, exec, vcc
	s_cbranch_execz .LBB65_202
; %bb.206:                              ;   in Loop: Header=BB65_204 Depth=2
	v_perm_b32 v6, v6, s29, v36
	ds_write_b32 v7, v6 offset:3072
	s_branch .LBB65_202
.LBB65_207:                             ;   in Loop: Header=BB65_204 Depth=2
	v_add_u32_e32 v2, s40, v2
	v_cmp_le_i32_e32 vcc, s17, v2
	v_add_u32_e32 v1, s48, v1
	s_mov_b64 s[36:37], 0
	s_orn2_b64 s[34:35], vcc, exec
	s_branch .LBB65_203
.LBB65_208:                             ;   in Loop: Header=BB65_7 Depth=1
	s_or_b64 exec, exec, s[84:85]
	s_andn2_b64 s[16:17], s[88:89], exec
	s_and_b64 s[34:35], s[90:91], exec
	v_lshrrev_b32_e32 v38, 16, v6
	s_or_b64 s[88:89], s[16:17], s[34:35]
.LBB65_209:                             ;   in Loop: Header=BB65_7 Depth=1
	s_or_b64 exec, exec, s[82:83]
	s_mov_b64 s[82:83], 0
	s_mov_b64 s[84:85], -1
.LBB65_210:                             ;   in Loop: Header=BB65_7 Depth=1
	s_orn2_b64 s[34:35], s[88:89], exec
.LBB65_211:                             ;   in Loop: Header=BB65_7 Depth=1
	s_or_b64 exec, exec, s[86:87]
	s_mov_b64 s[88:89], 0
	s_and_saveexec_b64 s[86:87], s[34:35]
	s_cbranch_execz .LBB65_222
; %bb.212:                              ;   in Loop: Header=BB65_7 Depth=1
	s_xor_b64 s[16:17], s[80:81], -1
	v_mov_b32_e32 v4, 1
	v_mov_b32_e32 v1, 1
	s_and_saveexec_b64 s[80:81], s[16:17]
	s_cbranch_execz .LBB65_221
; %bb.213:                              ;   in Loop: Header=BB65_7 Depth=1
	v_cmp_ge_i32_e32 vcc, s49, v12
	s_and_saveexec_b64 s[16:17], vcc
	s_xor_b64 s[88:89], exec, s[16:17]
	s_cbranch_execz .LBB65_218
; %bb.214:                              ;   in Loop: Header=BB65_7 Depth=1
	ds_read_b32 v1, v7 offset:4096
	v_or_b32_e32 v28, v28, v3
	v_or_b32_e32 v37, v37, v3
	s_waitcnt lgkmcnt(0)
	v_cmp_ne_u32_e32 vcc, 0, v1
	s_cbranch_vccnz .LBB65_218
; %bb.215:                              ;   in Loop: Header=BB65_7 Depth=1
	s_and_saveexec_b64 s[34:35], s[0:1]
; %bb.216:                              ;   in Loop: Header=BB65_7 Depth=1
	v_mov_b32_e32 v1, s49
	ds_write_b32 v7, v1 offset:4100
; %bb.217:                              ;   in Loop: Header=BB65_7 Depth=1
	s_or_b64 exec, exec, s[34:35]
	s_waitcnt lgkmcnt(0)
	s_barrier
.LBB65_218:                             ;   in Loop: Header=BB65_7 Depth=1
	s_andn2_saveexec_b64 s[34:35], s[88:89]
; %bb.219:                              ;   in Loop: Header=BB65_7 Depth=1
	v_subrev_u32_e32 v12, s49, v12
; %bb.220:                              ;   in Loop: Header=BB65_7 Depth=1
	s_or_b64 exec, exec, s[34:35]
	v_mov_b32_e32 v4, 8
	v_mov_b32_e32 v1, v12
.LBB65_221:                             ;   in Loop: Header=BB65_7 Depth=1
	s_or_b64 exec, exec, s[80:81]
	s_mov_b64 s[88:89], exec
	v_mov_b32_e32 v12, v1
.LBB65_222:                             ;   in Loop: Header=BB65_7 Depth=1
	s_or_b64 exec, exec, s[86:87]
	s_orn2_b64 s[80:81], s[88:89], exec
.LBB65_223:                             ;   in Loop: Header=BB65_7 Depth=1
	s_or_b64 exec, exec, s[78:79]
	s_andn2_b64 s[16:17], s[74:75], exec
	s_and_b64 s[34:35], s[84:85], exec
	s_or_b64 s[74:75], s[16:17], s[34:35]
	s_andn2_b64 s[16:17], s[72:73], exec
	s_and_b64 s[34:35], s[82:83], exec
	s_or_b64 s[72:73], s[16:17], s[34:35]
	s_and_b64 s[34:35], s[80:81], exec
	v_mov_b32_e32 v13, v12
.LBB65_224:                             ;   in Loop: Header=BB65_7 Depth=1
	s_or_b64 exec, exec, s[76:77]
	s_orn2_b64 s[76:77], s[34:35], exec
.LBB65_225:                             ;   in Loop: Header=BB65_7 Depth=1
	s_or_b64 exec, exec, s[70:71]
	s_andn2_b64 s[16:17], s[26:27], exec
	s_and_b64 s[26:27], s[74:75], exec
	s_or_b64 s[26:27], s[16:17], s[26:27]
	s_andn2_b64 s[16:17], s[24:25], exec
	s_and_b64 s[24:25], s[72:73], exec
	s_or_b64 s[24:25], s[16:17], s[24:25]
	s_and_b64 s[34:35], s[76:77], exec
	v_mov_b32_e32 v12, v13
.LBB65_226:                             ;   in Loop: Header=BB65_7 Depth=1
	s_or_b64 exec, exec, s[68:69]
	s_orn2_b64 s[68:69], s[34:35], exec
.LBB65_227:                             ;   in Loop: Header=BB65_7 Depth=1
	s_or_b64 exec, exec, s[22:23]
	s_mov_b64 s[34:35], 0
                                        ; implicit-def: $sgpr16
	s_and_saveexec_b64 s[22:23], s[68:69]
	s_xor_b64 s[22:23], exec, s[22:23]
	s_cbranch_execz .LBB65_5
; %bb.228:                              ;   in Loop: Header=BB65_7 Depth=1
	v_and_b32_e32 v1, 7, v4
	v_cmp_eq_u32_e32 vcc, 0, v1
	s_mov_b64 s[20:21], -1
	s_mov_b64 s[34:35], -1
                                        ; implicit-def: $sgpr16
	s_and_saveexec_b64 s[36:37], vcc
	s_cbranch_execz .LBB65_4
; %bb.229:                              ;   in Loop: Header=BB65_7 Depth=1
	v_add_u32_e32 v1, -2, v32
	v_cmp_eq_u32_e32 vcc, 0, v32
	s_xor_b32 s16, s33, 1
	s_xor_b64 s[34:35], exec, -1
	s_orn2_b64 s[20:21], vcc, exec
	v_mov_b32_e32 v32, v1
	s_branch .LBB65_4
.LBB65_230:
	s_or_b64 exec, exec, s[54:55]
	s_xor_b64 s[6:7], s[60:61], -1
	s_xor_b64 s[4:5], s[56:57], -1
	;; [unrolled: 1-line block ×3, first 2 shown]
	s_mov_b64 s[2:3], 0
	s_and_saveexec_b64 s[10:11], s[4:5]
	s_xor_b64 s[4:5], exec, s[10:11]
	s_cbranch_execnz .LBB65_235
; %bb.231:
	s_andn2_saveexec_b64 s[0:1], s[4:5]
	s_cbranch_execnz .LBB65_255
.LBB65_232:
	s_or_b64 exec, exec, s[0:1]
	s_and_saveexec_b64 s[0:1], s[2:3]
.LBB65_233:
	; divergent unreachable
.LBB65_234:
	s_endpgm
.LBB65_235:
	s_and_saveexec_b64 s[2:3], s[6:7]
	s_xor_b64 s[6:7], exec, s[2:3]
	s_cbranch_execz .LBB65_253
; %bb.236:
	s_and_saveexec_b64 s[2:3], s[8:9]
	s_xor_b64 s[2:3], exec, s[2:3]
; %bb.237:
	v_and_b32_e32 v1, 0x8000, v28
	v_mov_b32_e32 v2, 0x8000
	v_mov_b32_e32 v3, 0xffff
	v_cmp_eq_u32_e32 vcc, 0, v1
	v_cndmask_b32_e32 v1, v2, v3, vcc
	v_xor_b32_e32 v38, v1, v28
; %bb.238:
	s_or_b64 exec, exec, s[2:3]
	s_and_saveexec_b64 s[2:3], s[0:1]
	v_readlane_b32 s22, v44, 18
	v_readlane_b32 s23, v44, 14
	;; [unrolled: 1-line block ×5, first 2 shown]
; %bb.239:
	v_mov_b32_e32 v1, 0
	v_mov_b32_e32 v2, s28
	ds_write_b32 v1, v2 offset:4108
; %bb.240:
	s_or_b64 exec, exec, s[2:3]
	v_mov_b32_e32 v1, 0
	s_waitcnt lgkmcnt(0)
	s_barrier
	ds_read_b32 v1, v1 offset:4108
	s_waitcnt lgkmcnt(0)
	v_min_i32_e32 v1, s28, v1
	v_cmp_lt_i32_e32 vcc, v0, v1
	s_and_saveexec_b64 s[8:9], vcc
	s_cbranch_execz .LBB65_250
; %bb.241:
	v_lshlrev_b32_e32 v3, 16, v38
	v_cmp_u_f32_e32 vcc, v3, v3
	s_mov_b64 s[10:11], 0
	v_mov_b32_e32 v4, s41
	s_xor_b64 s[14:15], vcc, -1
                                        ; implicit-def: $sgpr12_sgpr13
                                        ; implicit-def: $sgpr18_sgpr19
                                        ; implicit-def: $sgpr16_sgpr17
	s_branch .LBB65_243
.LBB65_242:                             ;   in Loop: Header=BB65_243 Depth=1
	s_or_b64 exec, exec, s[2:3]
	s_and_b64 s[2:3], exec, s[18:19]
	s_or_b64 s[10:11], s[2:3], s[10:11]
	s_andn2_b64 s[2:3], s[12:13], exec
	s_and_b64 s[12:13], s[16:17], exec
	s_or_b64 s[12:13], s[2:3], s[12:13]
	s_andn2_b64 exec, exec, s[10:11]
	s_cbranch_execz .LBB65_245
.LBB65_243:                             ; =>This Inner Loop Header: Depth=1
	v_ashrrev_i32_e32 v6, 31, v5
	v_lshlrev_b64 v[6:7], 1, v[5:6]
	v_mov_b32_e32 v2, v0
	v_add_co_u32_e32 v6, vcc, s30, v6
	v_addc_co_u32_e32 v7, vcc, v4, v7, vcc
	global_load_ushort v6, v[6:7], off
	s_or_b64 s[16:17], s[16:17], exec
	s_or_b64 s[18:19], s[18:19], exec
	s_waitcnt vmcnt(0)
	v_lshlrev_b32_e32 v0, 16, v6
	v_cmp_o_f32_e64 s[2:3], v0, v0
	v_cmp_neq_f32_e32 vcc, v0, v3
	s_or_b64 s[2:3], s[14:15], s[2:3]
	s_and_b64 s[20:21], vcc, s[2:3]
                                        ; implicit-def: $vgpr0
	s_and_saveexec_b64 s[2:3], s[20:21]
	s_cbranch_execz .LBB65_242
; %bb.244:                              ;   in Loop: Header=BB65_243 Depth=1
	v_add_u32_e32 v0, s40, v2
	v_cmp_ge_i32_e32 vcc, v0, v1
	s_andn2_b64 s[18:19], s[18:19], exec
	s_and_b64 s[20:21], vcc, exec
	v_add_u32_e32 v5, s38, v5
	s_andn2_b64 s[16:17], s[16:17], exec
	s_or_b64 s[18:19], s[18:19], s[20:21]
	s_branch .LBB65_242
.LBB65_245:
	s_or_b64 exec, exec, s[10:11]
	s_and_saveexec_b64 s[2:3], s[12:13]
	s_xor_b64 s[2:3], exec, s[2:3]
	s_cbranch_execz .LBB65_250
; %bb.246:
	s_mov_b64 s[2:3], exec
	s_brev_b32 s10, -2
.LBB65_247:                             ; =>This Inner Loop Header: Depth=1
	s_ff1_i32_b64 s11, s[2:3]
	v_readlane_b32 s14, v2, s11
	s_lshl_b64 s[12:13], 1, s11
	s_min_i32 s10, s10, s14
	s_andn2_b64 s[2:3], s[2:3], s[12:13]
	s_cmp_lg_u64 s[2:3], 0
	s_cbranch_scc1 .LBB65_247
; %bb.248:
	v_mbcnt_lo_u32_b32 v0, exec_lo, 0
	v_mbcnt_hi_u32_b32 v0, exec_hi, v0
	v_cmp_eq_u32_e32 vcc, 0, v0
	s_and_saveexec_b64 s[2:3], vcc
	s_xor_b64 s[2:3], exec, s[2:3]
; %bb.249:
	v_mov_b32_e32 v0, 0
	v_mov_b32_e32 v1, s10
	ds_min_i32 v0, v1 offset:4108
.LBB65_250:
	s_or_b64 exec, exec, s[8:9]
	s_waitcnt lgkmcnt(0)
	s_barrier
	s_and_saveexec_b64 s[2:3], s[0:1]
	s_cbranch_execz .LBB65_252
; %bb.251:
	v_readlane_b32 s10, v44, 8
	v_readlane_b32 s11, v44, 9
	s_mul_i32 s1, s11, s10
	v_readlane_b32 s0, v44, 13
	s_sub_i32 s1, s25, s1
	s_xor_b32 s0, s24, s0
	s_add_i32 s8, s11, 1
	s_sub_i32 s9, s1, s10
	s_cmp_ge_u32 s1, s10
	s_cselect_b32 s8, s8, s11
	s_cselect_b32 s1, s9, s1
	s_add_i32 s9, s8, 1
	s_cmp_ge_u32 s1, s10
	s_cselect_b32 s1, s9, s8
	s_xor_b32 s1, s1, s0
	s_sub_i32 s0, s1, s0
	s_mul_i32 s1, s0, s26
	v_readlane_b32 s8, v44, 6
	s_sub_i32 s1, s22, s1
	v_readlane_b32 s9, v44, 7
	v_readlane_b32 s11, v44, 10
	;; [unrolled: 1-line block ×3, first 2 shown]
	s_mul_i32 s1, s1, s9
	s_mul_i32 s0, s0, s8
	;; [unrolled: 1-line block ×3, first 2 shown]
	s_add_i32 s0, s0, s1
	v_readlane_b32 s1, v44, 15
	s_sub_i32 s8, s25, s8
	s_xor_b32 s1, s24, s1
	s_add_i32 s9, s12, 1
	s_sub_i32 s10, s8, s11
	s_cmp_ge_u32 s8, s11
	s_cselect_b32 s9, s9, s12
	s_cselect_b32 s8, s10, s8
	s_add_i32 s10, s9, 1
	s_cmp_ge_u32 s8, s11
	s_cselect_b32 s8, s10, s9
	s_xor_b32 s8, s8, s1
	s_sub_i32 s1, s8, s1
	s_mul_i32 s8, s1, s23
	v_readlane_b32 s10, v44, 2
	s_sub_i32 s8, s22, s8
	v_readlane_b32 s11, v44, 3
	s_mul_i32 s8, s8, s11
	s_mul_i32 s1, s1, s10
	s_add_i32 s8, s1, s8
	s_ashr_i32 s1, s0, 31
	v_mov_b32_e32 v2, 0
	s_lshl_b64 s[0:1], s[0:1], 1
	v_readlane_b32 s10, v44, 0
	ds_read_b32 v0, v2 offset:4108
	v_readlane_b32 s11, v44, 1
	s_add_u32 s0, s10, s0
	s_addc_u32 s1, s11, s1
	s_ashr_i32 s9, s8, 31
	s_lshl_b64 s[8:9], s[8:9], 3
	v_readlane_b32 s10, v44, 4
	v_readlane_b32 s11, v44, 5
	s_add_u32 s8, s10, s8
	s_addc_u32 s9, s11, s9
	s_waitcnt lgkmcnt(0)
	v_ashrrev_i32_e32 v1, 31, v0
	global_store_dwordx2 v2, v[0:1], s[8:9]
	global_store_short v2, v38, s[0:1]
.LBB65_252:
	s_or_b64 exec, exec, s[2:3]
.LBB65_253:
	s_or_saveexec_b64 s[0:1], s[6:7]
	s_mov_b64 s[2:3], 0
	s_xor_b64 exec, exec, s[0:1]
	s_cbranch_execnz .LBB65_256
.LBB65_254:
	s_or_b64 exec, exec, s[0:1]
	s_and_b64 s[2:3], s[2:3], exec
	s_andn2_saveexec_b64 s[0:1], s[4:5]
	s_cbranch_execz .LBB65_232
.LBB65_255:
	s_or_b64 s[2:3], s[2:3], exec
	s_trap 2
	s_or_b64 exec, exec, s[0:1]
	s_and_saveexec_b64 s[0:1], s[2:3]
	s_cbranch_execnz .LBB65_233
	s_branch .LBB65_234
.LBB65_256:
	s_mov_b64 s[2:3], exec
	s_trap 2
	s_branch .LBB65_254
	.section	.rodata,"a",@progbits
	.p2align	6, 0x0
	.amdhsa_kernel _ZN2at6native12_GLOBAL__N_114gatherKthValueIN3c108BFloat16EiLi2EEEvNS_4cuda6detail10TensorInfoIKT_T0_EESA_SA_SA_SA_NS7_IS8_SA_EENS7_IlSA_EE
		.amdhsa_group_segment_fixed_size 4112
		.amdhsa_private_segment_fixed_size 0
		.amdhsa_kernarg_size 920
		.amdhsa_user_sgpr_count 6
		.amdhsa_user_sgpr_private_segment_buffer 1
		.amdhsa_user_sgpr_dispatch_ptr 0
		.amdhsa_user_sgpr_queue_ptr 0
		.amdhsa_user_sgpr_kernarg_segment_ptr 1
		.amdhsa_user_sgpr_dispatch_id 0
		.amdhsa_user_sgpr_flat_scratch_init 0
		.amdhsa_user_sgpr_private_segment_size 0
		.amdhsa_uses_dynamic_stack 0
		.amdhsa_system_sgpr_private_segment_wavefront_offset 0
		.amdhsa_system_sgpr_workgroup_id_x 1
		.amdhsa_system_sgpr_workgroup_id_y 1
		.amdhsa_system_sgpr_workgroup_id_z 1
		.amdhsa_system_sgpr_workgroup_info 0
		.amdhsa_system_vgpr_workitem_id 0
		.amdhsa_next_free_vgpr 45
		.amdhsa_next_free_sgpr 96
		.amdhsa_reserve_vcc 1
		.amdhsa_reserve_flat_scratch 0
		.amdhsa_float_round_mode_32 0
		.amdhsa_float_round_mode_16_64 0
		.amdhsa_float_denorm_mode_32 3
		.amdhsa_float_denorm_mode_16_64 3
		.amdhsa_dx10_clamp 1
		.amdhsa_ieee_mode 1
		.amdhsa_fp16_overflow 0
		.amdhsa_exception_fp_ieee_invalid_op 0
		.amdhsa_exception_fp_denorm_src 0
		.amdhsa_exception_fp_ieee_div_zero 0
		.amdhsa_exception_fp_ieee_overflow 0
		.amdhsa_exception_fp_ieee_underflow 0
		.amdhsa_exception_fp_ieee_inexact 0
		.amdhsa_exception_int_div_zero 0
	.end_amdhsa_kernel
	.section	.text._ZN2at6native12_GLOBAL__N_114gatherKthValueIN3c108BFloat16EiLi2EEEvNS_4cuda6detail10TensorInfoIKT_T0_EESA_SA_SA_SA_NS7_IS8_SA_EENS7_IlSA_EE,"axG",@progbits,_ZN2at6native12_GLOBAL__N_114gatherKthValueIN3c108BFloat16EiLi2EEEvNS_4cuda6detail10TensorInfoIKT_T0_EESA_SA_SA_SA_NS7_IS8_SA_EENS7_IlSA_EE,comdat
.Lfunc_end65:
	.size	_ZN2at6native12_GLOBAL__N_114gatherKthValueIN3c108BFloat16EiLi2EEEvNS_4cuda6detail10TensorInfoIKT_T0_EESA_SA_SA_SA_NS7_IS8_SA_EENS7_IlSA_EE, .Lfunc_end65-_ZN2at6native12_GLOBAL__N_114gatherKthValueIN3c108BFloat16EiLi2EEEvNS_4cuda6detail10TensorInfoIKT_T0_EESA_SA_SA_SA_NS7_IS8_SA_EENS7_IlSA_EE
                                        ; -- End function
	.set _ZN2at6native12_GLOBAL__N_114gatherKthValueIN3c108BFloat16EiLi2EEEvNS_4cuda6detail10TensorInfoIKT_T0_EESA_SA_SA_SA_NS7_IS8_SA_EENS7_IlSA_EE.num_vgpr, 45
	.set _ZN2at6native12_GLOBAL__N_114gatherKthValueIN3c108BFloat16EiLi2EEEvNS_4cuda6detail10TensorInfoIKT_T0_EESA_SA_SA_SA_NS7_IS8_SA_EENS7_IlSA_EE.num_agpr, 0
	.set _ZN2at6native12_GLOBAL__N_114gatherKthValueIN3c108BFloat16EiLi2EEEvNS_4cuda6detail10TensorInfoIKT_T0_EESA_SA_SA_SA_NS7_IS8_SA_EENS7_IlSA_EE.numbered_sgpr, 96
	.set _ZN2at6native12_GLOBAL__N_114gatherKthValueIN3c108BFloat16EiLi2EEEvNS_4cuda6detail10TensorInfoIKT_T0_EESA_SA_SA_SA_NS7_IS8_SA_EENS7_IlSA_EE.num_named_barrier, 0
	.set _ZN2at6native12_GLOBAL__N_114gatherKthValueIN3c108BFloat16EiLi2EEEvNS_4cuda6detail10TensorInfoIKT_T0_EESA_SA_SA_SA_NS7_IS8_SA_EENS7_IlSA_EE.private_seg_size, 0
	.set _ZN2at6native12_GLOBAL__N_114gatherKthValueIN3c108BFloat16EiLi2EEEvNS_4cuda6detail10TensorInfoIKT_T0_EESA_SA_SA_SA_NS7_IS8_SA_EENS7_IlSA_EE.uses_vcc, 1
	.set _ZN2at6native12_GLOBAL__N_114gatherKthValueIN3c108BFloat16EiLi2EEEvNS_4cuda6detail10TensorInfoIKT_T0_EESA_SA_SA_SA_NS7_IS8_SA_EENS7_IlSA_EE.uses_flat_scratch, 0
	.set _ZN2at6native12_GLOBAL__N_114gatherKthValueIN3c108BFloat16EiLi2EEEvNS_4cuda6detail10TensorInfoIKT_T0_EESA_SA_SA_SA_NS7_IS8_SA_EENS7_IlSA_EE.has_dyn_sized_stack, 0
	.set _ZN2at6native12_GLOBAL__N_114gatherKthValueIN3c108BFloat16EiLi2EEEvNS_4cuda6detail10TensorInfoIKT_T0_EESA_SA_SA_SA_NS7_IS8_SA_EENS7_IlSA_EE.has_recursion, 0
	.set _ZN2at6native12_GLOBAL__N_114gatherKthValueIN3c108BFloat16EiLi2EEEvNS_4cuda6detail10TensorInfoIKT_T0_EESA_SA_SA_SA_NS7_IS8_SA_EENS7_IlSA_EE.has_indirect_call, 0
	.section	.AMDGPU.csdata,"",@progbits
; Kernel info:
; codeLenInByte = 9868
; TotalNumSgprs: 100
; NumVgprs: 45
; ScratchSize: 0
; MemoryBound: 0
; FloatMode: 240
; IeeeMode: 1
; LDSByteSize: 4112 bytes/workgroup (compile time only)
; SGPRBlocks: 12
; VGPRBlocks: 11
; NumSGPRsForWavesPerEU: 100
; NumVGPRsForWavesPerEU: 45
; Occupancy: 5
; WaveLimiterHint : 1
; COMPUTE_PGM_RSRC2:SCRATCH_EN: 0
; COMPUTE_PGM_RSRC2:USER_SGPR: 6
; COMPUTE_PGM_RSRC2:TRAP_HANDLER: 0
; COMPUTE_PGM_RSRC2:TGID_X_EN: 1
; COMPUTE_PGM_RSRC2:TGID_Y_EN: 1
; COMPUTE_PGM_RSRC2:TGID_Z_EN: 1
; COMPUTE_PGM_RSRC2:TIDIG_COMP_CNT: 0
	.section	.text._ZN2at6native12_GLOBAL__N_114gatherKthValueIN3c108BFloat16EiLi3EEEvNS_4cuda6detail10TensorInfoIKT_T0_EESA_SA_SA_SA_NS7_IS8_SA_EENS7_IlSA_EE,"axG",@progbits,_ZN2at6native12_GLOBAL__N_114gatherKthValueIN3c108BFloat16EiLi3EEEvNS_4cuda6detail10TensorInfoIKT_T0_EESA_SA_SA_SA_NS7_IS8_SA_EENS7_IlSA_EE,comdat
	.globl	_ZN2at6native12_GLOBAL__N_114gatherKthValueIN3c108BFloat16EiLi3EEEvNS_4cuda6detail10TensorInfoIKT_T0_EESA_SA_SA_SA_NS7_IS8_SA_EENS7_IlSA_EE ; -- Begin function _ZN2at6native12_GLOBAL__N_114gatherKthValueIN3c108BFloat16EiLi3EEEvNS_4cuda6detail10TensorInfoIKT_T0_EESA_SA_SA_SA_NS7_IS8_SA_EENS7_IlSA_EE
	.p2align	8
	.type	_ZN2at6native12_GLOBAL__N_114gatherKthValueIN3c108BFloat16EiLi3EEEvNS_4cuda6detail10TensorInfoIKT_T0_EESA_SA_SA_SA_NS7_IS8_SA_EENS7_IlSA_EE,@function
_ZN2at6native12_GLOBAL__N_114gatherKthValueIN3c108BFloat16EiLi3EEEvNS_4cuda6detail10TensorInfoIKT_T0_EESA_SA_SA_SA_NS7_IS8_SA_EENS7_IlSA_EE: ; @_ZN2at6native12_GLOBAL__N_114gatherKthValueIN3c108BFloat16EiLi3EEEvNS_4cuda6detail10TensorInfoIKT_T0_EESA_SA_SA_SA_NS7_IS8_SA_EENS7_IlSA_EE
; %bb.0:
	s_load_dwordx2 s[14:15], s[4:5], 0x298
	s_load_dwordx4 s[40:43], s[4:5], 0xd8
	s_add_u32 s12, s4, 0x298
	s_addc_u32 s13, s5, 0
	s_waitcnt lgkmcnt(0)
	s_mul_i32 s0, s15, s8
	s_add_i32 s0, s0, s7
	s_mul_i32 s0, s0, s14
	s_add_i32 s24, s0, s6
	s_cmp_ge_i32 s24, s42
	s_cbranch_scc1 .LBB66_234
; %bb.1:
	s_load_dwordx2 s[2:3], s[4:5], 0xc
	s_load_dwordx2 s[26:27], s[4:5], 0xf4
	s_ashr_i32 s1, s24, 31
	s_abs_i32 s8, s24
	s_load_dwordx4 s[28:31], s[4:5], 0x154
	s_waitcnt lgkmcnt(0)
	s_abs_i32 s0, s3
	v_cvt_f32_u32_e32 v1, s0
	s_ashr_i32 s7, s3, 31
	s_xor_b32 s9, s1, s7
	s_sub_i32 s7, 0, s0
	v_rcp_iflag_f32_e32 v1, v1
                                        ; implicit-def: $vgpr44 : SGPR spill to VGPR lane
                                        ; kill: killed $sgpr4 killed $sgpr5
	v_writelane_b32 v44, s28, 0
	v_writelane_b32 v44, s29, 1
	v_mul_f32_e32 v1, 0x4f7ffffe, v1
	v_cvt_u32_f32_e32 v1, v1
	v_writelane_b32 v44, s30, 2
	v_writelane_b32 v44, s31, 3
	v_readfirstlane_b32 s10, v1
	s_mul_i32 s7, s7, s10
	s_mul_hi_u32 s7, s10, s7
	s_add_i32 s10, s10, s7
	s_mul_hi_u32 s7, s8, s10
	s_mul_i32 s10, s7, s0
	s_sub_i32 s10, s8, s10
	s_add_i32 s11, s7, 1
	s_sub_i32 s15, s10, s0
	s_cmp_ge_u32 s10, s0
	s_cselect_b32 s7, s11, s7
	s_cselect_b32 s10, s15, s10
	s_add_i32 s11, s7, 1
	s_cmp_ge_u32 s10, s0
	s_cselect_b32 s0, s11, s7
	s_abs_i32 s7, s2
	v_cvt_f32_u32_e32 v1, s7
	s_abs_i32 s11, s27
	v_cvt_f32_u32_e32 v2, s11
	s_xor_b32 s0, s0, s9
	v_rcp_iflag_f32_e32 v1, v1
	s_sub_i32 s16, 0, s7
	v_rcp_iflag_f32_e32 v2, v2
	s_sub_i32 s19, s0, s9
	v_mul_f32_e32 v1, 0x4f7ffffe, v1
	v_cvt_u32_f32_e32 v1, v1
	v_mul_f32_e32 v2, 0x4f7ffffe, v2
	v_cvt_u32_f32_e32 v2, v2
	s_ashr_i32 s10, s27, 31
	v_readfirstlane_b32 s0, v1
	s_mul_i32 s16, s16, s0
	s_mul_hi_u32 s9, s0, s16
	s_add_i32 s0, s0, s9
	s_sub_i32 s9, 0, s11
	v_readfirstlane_b32 s16, v2
	s_mul_i32 s9, s9, s16
	s_mul_hi_u32 s9, s16, s9
	s_add_i32 s16, s16, s9
	s_mul_hi_u32 s9, s8, s16
	s_mul_i32 s16, s9, s11
	s_sub_i32 s16, s8, s16
	s_ashr_i32 s15, s2, 31
	s_xor_b32 s10, s1, s10
	s_ashr_i32 s20, s19, 31
	s_abs_i32 s21, s19
	s_add_i32 s17, s9, 1
	s_sub_i32 s18, s16, s11
	s_cmp_ge_u32 s16, s11
	s_cselect_b32 s9, s17, s9
	s_cselect_b32 s16, s18, s16
	s_add_i32 s17, s9, 1
	s_cmp_ge_u32 s16, s11
	s_cselect_b32 s9, s17, s9
	s_load_dwordx2 s[16:17], s[4:5], 0x0
	s_load_dwordx4 s[28:31], s[4:5], 0x22c
	s_abs_i32 s11, s26
	v_cvt_f32_u32_e32 v1, s11
	s_xor_b32 s9, s9, s10
	s_sub_i32 s25, s9, s10
	s_waitcnt lgkmcnt(0)
	v_writelane_b32 v44, s28, 4
	v_writelane_b32 v44, s29, 5
	;; [unrolled: 1-line block ×4, first 2 shown]
	v_rcp_iflag_f32_e32 v1, v1
	s_load_dwordx2 s[28:29], s[4:5], 0x1cc
	s_load_dwordx2 s[22:23], s[4:5], 0x1c0
	s_sub_i32 s10, 0, s11
	s_abs_i32 s30, s25
	v_mul_f32_e32 v1, 0x4f7ffffe, v1
	s_waitcnt lgkmcnt(0)
	s_abs_i32 s9, s29
	v_cvt_u32_f32_e32 v1, v1
	v_cvt_f32_u32_e32 v2, s9
	v_writelane_b32 v44, s22, 8
	v_writelane_b32 v44, s23, 9
	;; [unrolled: 1-line block ×3, first 2 shown]
	v_readfirstlane_b32 s11, v1
	v_rcp_iflag_f32_e32 v1, v2
	s_mul_i32 s10, s10, s11
	s_mul_hi_u32 s10, s11, s10
	s_add_i32 s22, s11, s10
	v_mul_f32_e32 v1, 0x4f7ffffe, v1
	v_cvt_u32_f32_e32 v1, v1
	s_ashr_i32 s10, s29, 31
	s_xor_b32 s1, s1, s10
	s_sub_i32 s10, 0, s9
	v_readfirstlane_b32 s11, v1
	s_mul_i32 s10, s10, s11
	s_mul_hi_u32 s10, s11, s10
	s_add_i32 s11, s11, s10
	s_mul_hi_u32 s10, s8, s11
	s_mul_i32 s11, s10, s9
	s_sub_i32 s8, s8, s11
	s_add_i32 s11, s10, 1
	s_sub_i32 s18, s8, s9
	s_cmp_ge_u32 s8, s9
	s_cselect_b32 s10, s11, s10
	s_cselect_b32 s8, s18, s8
	s_add_i32 s11, s10, 1
	s_cmp_ge_u32 s8, s9
	s_cselect_b32 s23, s11, s10
	s_abs_i32 s31, s28
	v_cvt_f32_u32_e32 v1, s31
	s_load_dwordx2 s[8:9], s[4:5], 0xe8
	s_mov_b32 s18, 0
	v_rcp_iflag_f32_e32 v1, v1
	s_waitcnt lgkmcnt(0)
	v_writelane_b32 v44, s8, 11
	v_writelane_b32 v44, s9, 12
	v_mul_f32_e32 v1, 0x4f7ffffe, v1
	v_cvt_u32_f32_e32 v1, v1
	s_load_dwordx4 s[8:11], s[4:5], 0x6c
	s_waitcnt lgkmcnt(0)
	s_mul_hi_u32 s11, s21, s0
	v_writelane_b32 v44, s30, 13
	s_mul_hi_u32 s0, s30, s22
	v_writelane_b32 v44, s0, 14
	s_xor_b32 s0, s23, s1
	s_sub_i32 s30, s0, s1
	s_sub_i32 s0, 0, s31
	v_readfirstlane_b32 s1, v1
	s_mul_i32 s0, s0, s1
	s_mul_hi_u32 s0, s1, s0
	s_abs_i32 s4, s30
	v_writelane_b32 v44, s31, 15
	s_add_i32 s1, s1, s0
	v_writelane_b32 v44, s4, 16
	s_mul_hi_u32 s0, s4, s1
	v_writelane_b32 v44, s0, 17
	v_cmp_eq_u32_e64 s[0:1], 0, v0
	s_and_saveexec_b64 s[4:5], s[0:1]
; %bb.2:
	v_mov_b32_e32 v1, 0
	v_mov_b32_e32 v2, s40
	;; [unrolled: 1-line block ×3, first 2 shown]
	ds_write_b96 v1, v[1:3] offset:4096
; %bb.3:
	s_or_b64 exec, exec, s[4:5]
	v_writelane_b32 v44, s25, 18
	s_ashr_i32 s4, s25, 31
	v_writelane_b32 v44, s4, 19
	v_writelane_b32 v44, s26, 20
	;; [unrolled: 1-line block ×3, first 2 shown]
	s_ashr_i32 s4, s26, 31
	v_writelane_b32 v44, s4, 22
	v_writelane_b32 v44, s30, 23
	s_ashr_i32 s4, s30, 31
	v_writelane_b32 v44, s4, 24
	v_writelane_b32 v44, s28, 25
	s_mul_i32 s3, s19, s3
	s_mul_i32 s5, s11, s7
	v_writelane_b32 v44, s29, 26
	s_ashr_i32 s4, s28, 31
	s_sub_i32 s3, s24, s3
	s_sub_i32 s5, s21, s5
	v_writelane_b32 v44, s4, 27
	s_mul_i32 s3, s3, s10
	s_xor_b32 s4, s20, s15
	s_add_i32 s10, s11, 1
	s_sub_i32 s15, s5, s7
	s_cmp_ge_u32 s5, s7
	s_cselect_b32 s10, s10, s11
	s_cselect_b32 s5, s15, s5
	s_add_i32 s11, s10, 1
	s_cmp_ge_u32 s5, s7
	s_cselect_b32 s5, s11, s10
	s_xor_b32 s5, s5, s4
	s_sub_i32 s4, s5, s4
	s_mul_i32 s2, s4, s2
	s_sub_i32 s2, s19, s2
	s_mul_i32 s2, s2, s9
	s_add_i32 s2, s2, s3
	s_mul_i32 s4, s4, s8
	s_add_i32 s2, s2, s4
	s_waitcnt lgkmcnt(0)
	s_barrier
	s_load_dword s4, s[12:13], 0xc
	v_mul_lo_u32 v5, s43, v0
	s_ashr_i32 s3, s2, 31
	v_mov_b32_e32 v7, 0
	s_lshl_b64 s[2:3], s[2:3], 1
	v_mbcnt_lo_u32_b32 v1, -1, 0
	v_mov_b32_e32 v6, v7
	s_add_u32 s42, s16, s2
	v_mbcnt_hi_u32_b32 v15, -1, v1
	v_lshlrev_b64 v[1:2], 1, v[5:6]
	s_addc_u32 s27, s17, s3
	s_waitcnt lgkmcnt(0)
	s_and_b32 s26, s4, 0xffff
	s_bfe_u32 s7, s4, 0xa0006
	v_cmp_gt_u32_e32 vcc, 64, v0
	v_cmp_gt_i32_e64 s[4:5], 4, v15
	s_and_b64 s[48:49], vcc, s[4:5]
	v_mov_b32_e32 v18, s27
	v_add_co_u32_e32 v8, vcc, s42, v1
	v_addc_co_u32_e32 v9, vcc, v18, v2, vcc
	v_lshlrev_b64 v[2:3], v15, -1
	s_add_i32 s33, s26, -1
	s_lshl_b32 s45, s26, 2
	s_add_i32 s57, s33, s40
	v_not_b32_e32 v21, v2
	v_lshrrev_b32_e32 v2, 2, v0
	v_writelane_b32 v44, s24, 28
	s_cmpk_gt_i32 s40, 0x600
	v_cmp_gt_u32_e64 s[8:9], s40, v0
	v_and_b32_e32 v2, 0xf0, v2
	s_cselect_b64 s[50:51], -1, 0
	v_writelane_b32 v44, s8, 29
	s_cmp_gt_u32 s26, 63
	v_or_b32_e32 v22, 0xc00, v2
	v_cvt_f32_u32_e32 v2, s45
	v_writelane_b32 v44, s9, 30
	v_cmp_gt_i32_e64 s[8:9], s40, v0
	s_cselect_b64 s[52:53], -1, 0
	s_cmp_lt_u32 s6, s14
	v_writelane_b32 v44, s8, 31
	s_cselect_b32 s6, 12, 18
	v_writelane_b32 v44, s9, 32
	s_add_u32 s8, s12, s6
	s_addc_u32 s9, s13, 0
	v_rcp_iflag_f32_e32 v2, v2
	v_writelane_b32 v44, s8, 33
	s_add_i32 s6, s7, -1
	v_writelane_b32 v44, s9, 34
	s_bfe_u32 s8, s26, 0x30006
	s_and_b32 s6, s6, 0xffff
	s_cmp_gt_u32 s6, 6
	s_cselect_b64 s[10:11], -1, 0
	v_mul_f32_e32 v2, 0x4f7ffffe, v2
	v_writelane_b32 v44, s10, 35
	s_and_b32 s19, s7, 0x3f8
	v_cvt_u32_f32_e32 v2, v2
	v_writelane_b32 v44, s11, 36
	s_cmp_lg_u32 s8, 0
	v_writelane_b32 v44, s8, 37
	s_cselect_b64 s[6:7], -1, 0
	v_writelane_b32 v44, s6, 38
	v_writelane_b32 v44, s7, 39
	s_sub_i32 s6, 0, s45
	v_readfirstlane_b32 s7, v2
	s_mul_i32 s6, s6, s7
	s_mul_hi_u32 s6, s7, s6
	s_add_i32 s8, s7, s6
	s_mul_hi_u32 s6, s40, s8
	s_mul_i32 s6, s6, s45
	s_sub_i32 s6, s40, s6
	s_sub_i32 s7, s6, s45
	s_cmp_ge_u32 s6, s45
	s_cselect_b32 s6, s7, s6
	s_sub_i32 s7, s6, s45
	s_cmp_ge_u32 s6, s45
	s_cselect_b32 s6, s7, s6
	s_sub_i32 s9, s40, s6
	v_add_u32_e32 v23, s9, v0
	v_cvt_f32_u32_e32 v4, s26
	v_mul_lo_u32 v2, v23, s43
	v_not_b32_e32 v20, v3
	s_sub_i32 s17, 0, s26
	v_rcp_iflag_f32_e32 v4, v4
	v_ashrrev_i32_e32 v3, 31, v2
	v_lshlrev_b64 v[2:3], 1, v[2:3]
	s_abs_i32 s16, s57
	v_add_co_u32_e32 v10, vcc, s42, v2
	v_mul_f32_e32 v2, 0x4f7ffffe, v4
	v_cvt_u32_f32_e32 v2, v2
	s_ashr_i32 s7, s57, 31
	v_lshlrev_b32_e32 v14, 2, v0
	v_lshlrev_b32_e32 v16, 1, v0
	v_readfirstlane_b32 s20, v2
	s_mul_i32 s17, s17, s20
	s_mul_hi_u32 s17, s20, s17
	s_add_i32 s56, s20, s17
	s_mul_hi_u32 s17, s16, s56
	s_mul_i32 s17, s17, s26
	s_sub_i32 s16, s16, s17
	s_sub_i32 s17, s16, s26
	s_cmp_ge_u32 s16, s26
	s_cselect_b32 s16, s17, s16
	s_sub_i32 s17, s16, s26
	v_mul_lo_u32 v2, s43, v14
	s_cmp_ge_u32 s16, s26
	s_cselect_b32 s16, s17, s16
	s_xor_b32 s16, s16, s7
	s_sub_i32 s7, s7, s16
	v_add_u32_e32 v24, s43, v2
	v_or_b32_e32 v2, 2, v14
	s_add_i32 s57, s57, s7
	v_mul_lo_u32 v25, s43, v2
	v_or_b32_e32 v2, 3, v14
	s_add_i32 s7, s26, s40
	v_mul_lo_u32 v26, s43, v2
	v_add_u32_e32 v2, s7, v0
	v_subrev_u32_e32 v2, s6, v2
	v_mul_lo_u32 v29, s43, v2
	v_lshlrev_b32_e32 v1, 2, v15
	v_mov_b32_e32 v6, s27
	v_cmp_gt_i32_e64 s[16:17], s57, v0
	s_mul_i32 s44, s43, s26
	v_cmp_eq_u32_e64 s[2:3], 0, v15
	v_cmp_gt_u32_e64 s[4:5], 2, v0
	v_add_u32_e32 v17, 0xc00, v16
	v_and_b32_e32 v19, 0x100, v1
	v_cmp_gt_i32_e64 s[10:11], s9, v14
	v_cmp_gt_u32_e64 s[12:13], s40, v23
	v_addc_co_u32_e32 v11, vcc, v6, v3, vcc
	v_cmp_gt_i32_e64 s[14:15], s40, v23
	v_writelane_b32 v44, s16, 40
	s_lshl_b32 s58, s44, 2
	v_lshlrev_b32_e32 v27, 2, v5
	v_lshlrev_b32_e32 v30, 3, v0
	s_lshl_b32 s59, s26, 3
	s_lshl_b32 s54, s26, 1
	v_or_b32_e32 v31, 0xc00, v1
	s_mov_b64 s[60:61], 0
	v_mov_b32_e32 v32, 14
	v_mov_b32_e32 v39, s41
	s_movk_i32 s41, 0x3f80
	v_mov_b32_e32 v33, 0xffff
	v_mov_b32_e32 v34, 0x8000
	v_mov_b32_e32 v35, -1
	v_mov_b32_e32 v36, 0x5040100
	v_mov_b32_e32 v38, 0
	;; [unrolled: 1-line block ×4, first 2 shown]
	v_writelane_b32 v44, s17, 41
                                        ; implicit-def: $sgpr62_sgpr63
                                        ; implicit-def: $sgpr66_sgpr67
                                        ; implicit-def: $sgpr64_sgpr65
                                        ; implicit-def: $sgpr70_sgpr71
                                        ; implicit-def: $sgpr72_sgpr73
                                        ; implicit-def: $sgpr68_sgpr69
	s_branch .LBB66_7
.LBB66_4:                               ;   in Loop: Header=BB66_7 Depth=1
	s_or_b64 exec, exec, s[30:31]
	s_and_b64 s[30:31], s[28:29], exec
	s_andn2_b64 s[74:75], s[74:75], exec
	s_andn2_b64 s[24:25], s[24:25], exec
	s_orn2_b64 s[20:21], s[20:21], exec
.LBB66_5:                               ;   in Loop: Header=BB66_7 Depth=1
	s_or_b64 exec, exec, s[22:23]
	s_andn2_b64 s[22:23], s[68:69], exec
	s_and_b64 s[28:29], s[30:31], exec
	s_or_b64 s[68:69], s[22:23], s[28:29]
	s_andn2_b64 s[22:23], s[72:73], exec
	s_and_b64 s[28:29], s[74:75], exec
	s_or_b64 s[72:73], s[22:23], s[28:29]
	s_andn2_b64 s[22:23], s[70:71], exec
	s_and_b64 s[24:25], s[24:25], exec
	s_or_b64 s[70:71], s[22:23], s[24:25]
	s_orn2_b64 s[20:21], s[20:21], exec
.LBB66_6:                               ;   in Loop: Header=BB66_7 Depth=1
	s_or_b64 exec, exec, s[6:7]
	s_and_b64 s[6:7], exec, s[20:21]
	s_or_b64 s[60:61], s[6:7], s[60:61]
	s_andn2_b64 s[6:7], s[64:65], exec
	s_and_b64 s[20:21], s[68:69], exec
	s_or_b64 s[64:65], s[6:7], s[20:21]
	s_andn2_b64 s[6:7], s[66:67], exec
	s_and_b64 s[20:21], s[72:73], exec
	s_or_b64 s[66:67], s[6:7], s[20:21]
	s_andn2_b64 s[6:7], s[62:63], exec
	s_and_b64 s[20:21], s[70:71], exec
	s_or_b64 s[62:63], s[6:7], s[20:21]
	s_mov_b32 s18, s16
	v_mov_b32_e32 v39, v12
	s_andn2_b64 exec, exec, s[60:61]
	s_cbranch_execz .LBB66_230
.LBB66_7:                               ; =>This Loop Header: Depth=1
                                        ;     Child Loop BB66_12 Depth 2
                                        ;     Child Loop BB66_27 Depth 2
	;; [unrolled: 1-line block ×16, first 2 shown]
	ds_read_b64 v[1:2], v7 offset:4096
	s_waitcnt lgkmcnt(0)
	v_readfirstlane_b32 s34, v1
	s_cmp_gt_i32 s34, 0
	s_cbranch_scc1 .LBB66_34
; %bb.8:                                ;   in Loop: Header=BB66_7 Depth=1
	s_and_b64 vcc, exec, s[50:51]
	s_cbranch_vccz .LBB66_20
; %bb.9:                                ;   in Loop: Header=BB66_7 Depth=1
	s_movk_i32 s6, 0x601
	v_cmp_gt_i32_e32 vcc, s6, v2
	s_mov_b64 s[20:21], 0
	s_mov_b64 s[6:7], 0
	s_cbranch_vccz .LBB66_21
; %bb.10:                               ;   in Loop: Header=BB66_7 Depth=1
	v_readlane_b32 s6, v44, 33
	v_readlane_b32 s7, v44, 34
	s_nop 4
	global_load_ushort v1, v7, s[6:7]
	global_load_ushort v4, v[8:9], off
	s_mov_b64 s[22:23], 0
	v_mov_b32_e32 v3, v0
	s_waitcnt vmcnt(1)
	v_add_u32_e32 v2, v0, v1
	v_mul_lo_u32 v6, s43, v2
	v_mul_lo_u32 v2, s43, v1
	s_branch .LBB66_12
.LBB66_11:                              ;   in Loop: Header=BB66_12 Depth=2
	s_or_b64 exec, exec, s[6:7]
	v_cmp_le_i32_e32 vcc, s40, v3
	v_add_u32_e32 v6, v6, v2
	s_or_b64 s[22:23], vcc, s[22:23]
	v_mov_b32_e32 v4, v12
	s_andn2_b64 exec, exec, s[22:23]
	s_cbranch_execz .LBB66_66
.LBB66_12:                              ;   Parent Loop BB66_7 Depth=1
                                        ; =>  This Inner Loop Header: Depth=2
	v_add_u32_e32 v3, v3, v1
	v_cmp_gt_u32_e32 vcc, s40, v3
	s_waitcnt lgkmcnt(0)
	v_mov_b32_e32 v13, 0
	v_mov_b32_e32 v12, 0
	s_and_saveexec_b64 s[6:7], vcc
	s_cbranch_execz .LBB66_14
; %bb.13:                               ;   in Loop: Header=BB66_12 Depth=2
	v_lshlrev_b64 v[40:41], 1, v[6:7]
	v_add_co_u32_e32 v40, vcc, s42, v40
	v_addc_co_u32_e32 v41, vcc, v18, v41, vcc
	global_load_ushort v12, v[40:41], off
.LBB66_14:                              ;   in Loop: Header=BB66_12 Depth=2
	s_or_b64 exec, exec, s[6:7]
	s_waitcnt vmcnt(0)
	v_cmp_lt_i16_e32 vcc, -1, v4
	v_cndmask_b32_e32 v40, v33, v34, vcc
	v_lshlrev_b32_e32 v41, 16, v4
	v_xor_b32_sdwa v40, v40, v4 dst_sel:DWORD dst_unused:UNUSED_PAD src0_sel:DWORD src1_sel:WORD_0
	v_cmp_o_f32_e32 vcc, v41, v41
	v_cndmask_b32_e32 v40, v33, v40, vcc
	v_and_b32_e32 v40, v40, v37
	v_cmp_eq_u32_e32 vcc, v40, v28
	s_cmp_lg_u64 vcc, 0
	s_cselect_b64 s[6:7], -1, 0
	s_and_b64 s[6:7], s[2:3], s[6:7]
	s_and_saveexec_b64 s[24:25], s[6:7]
	s_cbranch_execz .LBB66_18
; %bb.15:                               ;   in Loop: Header=BB66_12 Depth=2
	s_mov_b64 s[30:31], exec
	v_mbcnt_lo_u32_b32 v13, s30, 0
	v_mbcnt_hi_u32_b32 v13, s31, v13
	s_bcnt1_i32_b64 s16, vcc
	v_cmp_eq_u32_e64 s[6:7], 0, v13
                                        ; implicit-def: $vgpr40
	s_and_saveexec_b64 s[28:29], s[6:7]
; %bb.16:                               ;   in Loop: Header=BB66_12 Depth=2
	s_bcnt1_i32_b64 s6, s[30:31]
	s_mul_i32 s6, s16, s6
	v_mov_b32_e32 v40, s6
	ds_add_rtn_u32 v40, v7, v40 offset:4104
; %bb.17:                               ;   in Loop: Header=BB66_12 Depth=2
	s_or_b64 exec, exec, s[28:29]
	s_waitcnt lgkmcnt(0)
	v_readfirstlane_b32 s6, v40
	v_mov_b32_e32 v40, s6
	v_mad_u32_u24 v13, s16, v13, v40
.LBB66_18:                              ;   in Loop: Header=BB66_12 Depth=2
	s_or_b64 exec, exec, s[24:25]
	ds_bpermute_b32 v13, v19, v13
	s_and_saveexec_b64 s[6:7], vcc
	s_cbranch_execz .LBB66_11
; %bb.19:                               ;   in Loop: Header=BB66_12 Depth=2
	v_and_b32_e32 v41, vcc_lo, v21
	v_and_b32_e32 v40, vcc_hi, v20
	v_bcnt_u32_b32 v41, v41, 0
	v_bcnt_u32_b32 v40, v40, v41
	v_lshlrev_b32_e32 v40, 1, v40
	s_waitcnt lgkmcnt(0)
	v_lshl_add_u32 v13, v13, 1, v40
	ds_write_b16 v13, v4
	s_branch .LBB66_11
.LBB66_20:                              ;   in Loop: Header=BB66_7 Depth=1
	s_mov_b64 s[20:21], -1
	s_mov_b64 s[6:7], 0
.LBB66_21:                              ;   in Loop: Header=BB66_7 Depth=1
	s_and_b64 vcc, exec, s[20:21]
	s_cbranch_vccz .LBB66_32
.LBB66_22:                              ;   in Loop: Header=BB66_7 Depth=1
	v_mov_b32_e32 v1, 0
	s_mov_b64 s[6:7], exec
	v_readlane_b32 s16, v44, 29
	v_readlane_b32 s17, v44, 30
	s_and_b64 s[16:17], s[6:7], s[16:17]
	s_mov_b64 exec, s[16:17]
	s_cbranch_execz .LBB66_24
; %bb.23:                               ;   in Loop: Header=BB66_7 Depth=1
	global_load_ushort v1, v[8:9], off
.LBB66_24:                              ;   in Loop: Header=BB66_7 Depth=1
	s_or_b64 exec, exec, s[6:7]
	s_mov_b64 s[6:7], exec
	v_readlane_b32 s16, v44, 31
	v_readlane_b32 s17, v44, 32
	s_and_b64 s[16:17], s[6:7], s[16:17]
	s_mov_b64 exec, s[16:17]
	s_cbranch_execz .LBB66_29
; %bb.25:                               ;   in Loop: Header=BB66_7 Depth=1
	v_readlane_b32 s16, v44, 33
	v_readlane_b32 s17, v44, 34
	s_mov_b64 s[20:21], 0
	v_mov_b32_e32 v12, v16
	v_mov_b32_e32 v13, v0
	s_nop 1
	global_load_ushort v2, v7, s[16:17]
	s_waitcnt vmcnt(0)
	v_add_u32_e32 v4, v0, v2
	v_mul_lo_u32 v6, s43, v4
	v_mul_lo_u32 v4, s43, v2
	v_lshlrev_b32_e32 v3, 1, v2
	s_branch .LBB66_27
.LBB66_26:                              ;   in Loop: Header=BB66_27 Depth=2
	s_or_b64 exec, exec, s[22:23]
	v_cmp_le_i32_e32 vcc, s40, v13
	ds_write_b16 v12, v1
	v_add_u32_e32 v12, v12, v3
	v_add_u32_e32 v6, v6, v4
	s_or_b64 s[20:21], vcc, s[20:21]
	s_waitcnt vmcnt(0)
	v_mov_b32_e32 v1, v40
	s_andn2_b64 exec, exec, s[20:21]
	s_cbranch_execz .LBB66_29
.LBB66_27:                              ;   Parent Loop BB66_7 Depth=1
                                        ; =>  This Inner Loop Header: Depth=2
	v_add_u32_e32 v13, v13, v2
	v_cmp_gt_u32_e32 vcc, s40, v13
	v_mov_b32_e32 v40, 0
	s_and_saveexec_b64 s[22:23], vcc
	s_cbranch_execz .LBB66_26
; %bb.28:                               ;   in Loop: Header=BB66_27 Depth=2
	v_lshlrev_b64 v[40:41], 1, v[6:7]
	v_mov_b32_e32 v42, s27
	v_add_co_u32_e32 v40, vcc, s42, v40
	v_addc_co_u32_e32 v41, vcc, v42, v41, vcc
	global_load_ushort v40, v[40:41], off
	s_branch .LBB66_26
.LBB66_29:                              ;   in Loop: Header=BB66_7 Depth=1
	s_or_b64 exec, exec, s[6:7]
	s_waitcnt vmcnt(0) lgkmcnt(0)
	s_barrier
	s_and_saveexec_b64 s[6:7], s[0:1]
; %bb.30:                               ;   in Loop: Header=BB66_7 Depth=1
	v_mov_b32_e32 v1, s40
	ds_write_b32 v7, v1 offset:4096
; %bb.31:                               ;   in Loop: Header=BB66_7 Depth=1
	s_or_b64 exec, exec, s[6:7]
	s_mov_b64 s[6:7], -1
	s_waitcnt lgkmcnt(0)
	s_barrier
.LBB66_32:                              ;   in Loop: Header=BB66_7 Depth=1
	s_and_b64 vcc, exec, s[6:7]
	s_cbranch_vccz .LBB66_34
; %bb.33:                               ;   in Loop: Header=BB66_7 Depth=1
	ds_read_b32 v1, v7 offset:4096
	s_waitcnt lgkmcnt(0)
	v_readfirstlane_b32 s34, v1
.LBB66_34:                              ;   in Loop: Header=BB66_7 Depth=1
	s_cmp_lt_i32 s34, 1
	s_mov_b64 s[6:7], -1
                                        ; implicit-def: $vgpr1
	s_cbranch_scc1 .LBB66_44
; %bb.35:                               ;   in Loop: Header=BB66_7 Depth=1
	s_and_b64 vcc, exec, s[6:7]
	s_cbranch_vccnz .LBB66_57
.LBB66_36:                              ;   in Loop: Header=BB66_7 Depth=1
	s_lshl_b32 s16, s18, 6
	s_and_saveexec_b64 s[6:7], s[2:3]
.LBB66_37:                              ;   in Loop: Header=BB66_7 Depth=1
	v_lshl_add_u32 v6, s16, 2, v22
	ds_write_b128 v6, v[1:4]
.LBB66_38:                              ;   in Loop: Header=BB66_7 Depth=1
	s_or_b64 exec, exec, s[6:7]
	s_waitcnt vmcnt(0) lgkmcnt(0)
	s_barrier
	s_and_saveexec_b64 s[6:7], s[48:49]
	s_cbranch_execz .LBB66_74
; %bb.39:                               ;   in Loop: Header=BB66_7 Depth=1
	s_andn2_b64 vcc, exec, s[52:53]
	v_mov_b32_e32 v1, 0
	s_cbranch_vccnz .LBB66_73
; %bb.40:                               ;   in Loop: Header=BB66_7 Depth=1
	v_readlane_b32 s20, v44, 35
	v_readlane_b32 s21, v44, 36
	s_andn2_b64 vcc, exec, s[20:21]
	s_cbranch_vccnz .LBB66_69
; %bb.41:                               ;   in Loop: Header=BB66_7 Depth=1
	v_lshl_add_u32 v2, s18, 8, v31
	s_mov_b32 s17, 0
	v_mov_b32_e32 v1, 0
.LBB66_42:                              ;   Parent Loop BB66_7 Depth=1
                                        ; =>  This Inner Loop Header: Depth=2
	ds_read2_b32 v[3:4], v2 offset1:4
	ds_read2_b32 v[12:13], v2 offset0:8 offset1:12
	ds_read2_b32 v[40:41], v2 offset0:16 offset1:20
	;; [unrolled: 1-line block ×3, first 2 shown]
	s_add_i32 s17, s17, 8
	s_waitcnt lgkmcnt(3)
	v_add3_u32 v1, v3, v1, v4
	s_waitcnt lgkmcnt(2)
	v_add3_u32 v1, v12, v1, v13
	s_waitcnt lgkmcnt(1)
	v_add3_u32 v1, v40, v1, v41
	v_add_u32_e32 v2, 0x80, v2
	s_cmp_eq_u32 s19, s17
	s_waitcnt lgkmcnt(0)
	v_add3_u32 v1, v42, v1, v43
	s_cbranch_scc0 .LBB66_42
; %bb.43:                               ;   in Loop: Header=BB66_7 Depth=1
	s_mov_b32 s17, s19
	s_branch .LBB66_70
.LBB66_44:                              ;   in Loop: Header=BB66_7 Depth=1
	v_mov_b32_e32 v1, 0
	v_mov_b32_e32 v2, 0
	;; [unrolled: 1-line block ×4, first 2 shown]
	s_and_saveexec_b64 s[74:75], s[10:11]
	s_cbranch_execnz .LBB66_47
; %bb.45:                               ;   in Loop: Header=BB66_7 Depth=1
	s_or_b64 exec, exec, s[74:75]
	v_mov_b32_e32 v40, 0
	s_and_saveexec_b64 s[6:7], s[12:13]
	s_cbranch_execnz .LBB66_50
.LBB66_46:                              ;   in Loop: Header=BB66_7 Depth=1
	s_or_b64 exec, exec, s[6:7]
	s_and_saveexec_b64 s[20:21], s[14:15]
	s_cbranch_execnz .LBB66_51
	s_branch .LBB66_56
.LBB66_47:                              ;   in Loop: Header=BB66_7 Depth=1
	s_mov_b32 s28, 0
	s_mov_b64 s[76:77], 0
	s_mov_b32 s29, 0
	s_mov_b32 s30, 0
	;; [unrolled: 1-line block ×4, first 2 shown]
	v_mov_b32_e32 v6, v14
.LBB66_48:                              ;   Parent Loop BB66_7 Depth=1
                                        ; =>  This Inner Loop Header: Depth=2
	v_add_u32_e32 v1, s28, v27
	v_ashrrev_i32_e32 v2, 31, v1
	v_lshlrev_b64 v[1:2], 1, v[1:2]
	v_mov_b32_e32 v3, s27
	v_add_co_u32_e32 v1, vcc, s42, v1
	v_addc_co_u32_e32 v2, vcc, v3, v2, vcc
	global_load_ushort v4, v[1:2], off
	v_add_u32_e32 v1, s28, v24
	v_ashrrev_i32_e32 v2, 31, v1
	v_lshlrev_b64 v[1:2], 1, v[1:2]
	v_add_u32_e32 v6, s45, v6
	v_add_co_u32_e32 v1, vcc, s42, v1
	v_addc_co_u32_e32 v2, vcc, v3, v2, vcc
	global_load_ushort v12, v[1:2], off
	v_add_u32_e32 v1, s28, v25
	v_ashrrev_i32_e32 v2, 31, v1
	v_lshlrev_b64 v[1:2], 1, v[1:2]
	v_add_co_u32_e32 v1, vcc, s42, v1
	v_addc_co_u32_e32 v2, vcc, v3, v2, vcc
	global_load_ushort v13, v[1:2], off
	v_add_u32_e32 v1, s28, v26
	v_ashrrev_i32_e32 v2, 31, v1
	v_lshlrev_b64 v[1:2], 1, v[1:2]
	s_add_i32 s28, s28, s58
	v_add_co_u32_e32 v1, vcc, s42, v1
	v_addc_co_u32_e32 v2, vcc, v3, v2, vcc
	global_load_ushort v1, v[1:2], off
	s_waitcnt vmcnt(3)
	v_cmp_lt_i16_e32 vcc, -1, v4
	v_cndmask_b32_e32 v2, v33, v34, vcc
	v_lshlrev_b32_e32 v3, 16, v4
	v_cmp_o_f32_e32 vcc, v3, v3
	v_xor_b32_sdwa v2, v2, v4 dst_sel:DWORD dst_unused:UNUSED_PAD src0_sel:DWORD src1_sel:WORD_0
	v_cndmask_b32_e32 v2, v33, v2, vcc
	s_waitcnt vmcnt(2)
	v_cmp_lt_i16_e32 vcc, -1, v12
	v_cndmask_b32_e32 v3, v33, v34, vcc
	v_lshlrev_b32_e32 v4, 16, v12
	v_cmp_o_f32_e32 vcc, v4, v4
	v_xor_b32_sdwa v3, v3, v12 dst_sel:DWORD dst_unused:UNUSED_PAD src0_sel:DWORD src1_sel:WORD_0
	v_cndmask_b32_e32 v3, v33, v3, vcc
	s_waitcnt vmcnt(1)
	v_cmp_lt_i16_e32 vcc, -1, v13
	v_cndmask_b32_e32 v4, v33, v34, vcc
	v_lshlrev_b32_e32 v12, 16, v13
	v_cmp_o_f32_e32 vcc, v12, v12
	v_xor_b32_sdwa v4, v4, v13 dst_sel:DWORD dst_unused:UNUSED_PAD src0_sel:DWORD src1_sel:WORD_0
	v_cndmask_b32_e32 v4, v33, v4, vcc
	s_waitcnt vmcnt(0)
	v_cmp_lt_i16_e32 vcc, -1, v1
	v_cndmask_b32_e32 v12, v33, v34, vcc
	v_lshlrev_b32_e32 v13, 16, v1
	v_cmp_o_f32_e32 vcc, v13, v13
	v_xor_b32_sdwa v1, v12, v1 dst_sel:DWORD dst_unused:UNUSED_PAD src0_sel:DWORD src1_sel:WORD_0
	v_and_b32_e32 v12, v2, v37
	v_bfe_u32 v2, v2, v32, 2
	v_cndmask_b32_e32 v1, v33, v1, vcc
	v_cmp_eq_u32_e32 vcc, v12, v28
	v_and_b32_e32 v12, v3, v37
	v_bfe_u32 v3, v3, v32, 2
	v_cmp_eq_u32_e64 s[24:25], 0, v2
	v_cmp_eq_u32_e64 s[6:7], v12, v28
	v_and_b32_e32 v12, v4, v37
	v_bfe_u32 v4, v4, v32, 2
	s_and_b64 s[16:17], vcc, s[24:25]
	v_cmp_eq_u32_e64 s[24:25], 0, v3
	v_cmp_eq_u32_e64 s[20:21], v12, v28
	v_and_b32_e32 v12, v1, v37
	v_bfe_u32 v1, v1, v32, 2
	s_and_b64 s[36:37], s[6:7], s[24:25]
	v_cmp_eq_u32_e64 s[24:25], 0, v4
	v_cmp_eq_u32_e64 s[22:23], v12, v28
	s_and_b64 s[38:39], s[20:21], s[24:25]
	v_cmp_eq_u32_e64 s[24:25], 0, v1
	v_cndmask_b32_e64 v12, 0, 1, s[16:17]
	s_and_b64 s[46:47], s[22:23], s[24:25]
	v_cmp_ne_u32_e64 s[24:25], 0, v12
	v_cndmask_b32_e64 v12, 0, 1, s[36:37]
	s_bcnt1_i32_b64 s16, s[24:25]
	v_cmp_ne_u32_e64 s[24:25], 0, v12
	v_cndmask_b32_e64 v12, 0, 1, s[38:39]
	s_bcnt1_i32_b64 s17, s[24:25]
	v_cmp_ne_u32_e64 s[24:25], 0, v12
	v_cndmask_b32_e64 v12, 0, 1, s[46:47]
	s_add_i32 s16, s35, s16
	s_bcnt1_i32_b64 s36, s[24:25]
	v_cmp_ne_u32_e64 s[24:25], 0, v12
	s_add_i32 s16, s16, s17
	s_bcnt1_i32_b64 s24, s[24:25]
	s_add_i32 s16, s16, s36
	s_add_i32 s35, s16, s24
	v_cmp_eq_u32_e64 s[24:25], 1, v2
	s_and_b64 s[16:17], vcc, s[24:25]
	v_cmp_eq_u32_e64 s[24:25], 1, v3
	s_and_b64 s[36:37], s[6:7], s[24:25]
	v_cmp_eq_u32_e64 s[24:25], 1, v4
	s_and_b64 s[38:39], s[20:21], s[24:25]
	v_cmp_eq_u32_e64 s[24:25], 1, v1
	v_cndmask_b32_e64 v12, 0, 1, s[16:17]
	s_and_b64 s[46:47], s[22:23], s[24:25]
	v_cmp_ne_u32_e64 s[24:25], 0, v12
	v_cndmask_b32_e64 v12, 0, 1, s[36:37]
	s_bcnt1_i32_b64 s16, s[24:25]
	v_cmp_ne_u32_e64 s[24:25], 0, v12
	v_cndmask_b32_e64 v12, 0, 1, s[38:39]
	s_bcnt1_i32_b64 s17, s[24:25]
	v_cmp_ne_u32_e64 s[24:25], 0, v12
	v_cndmask_b32_e64 v12, 0, 1, s[46:47]
	s_add_i32 s16, s31, s16
	s_bcnt1_i32_b64 s36, s[24:25]
	v_cmp_ne_u32_e64 s[24:25], 0, v12
	s_add_i32 s16, s16, s17
	s_bcnt1_i32_b64 s24, s[24:25]
	s_add_i32 s16, s16, s36
	s_add_i32 s31, s16, s24
	v_cmp_eq_u32_e64 s[24:25], 2, v2
	s_and_b64 s[16:17], vcc, s[24:25]
	v_cmp_eq_u32_e64 s[24:25], 2, v3
	s_and_b64 s[36:37], s[6:7], s[24:25]
	v_cmp_eq_u32_e64 s[24:25], 2, v4
	s_and_b64 s[38:39], s[20:21], s[24:25]
	v_cmp_eq_u32_e64 s[24:25], 2, v1
	v_cndmask_b32_e64 v12, 0, 1, s[16:17]
	s_and_b64 s[46:47], s[22:23], s[24:25]
	v_cmp_ne_u32_e64 s[24:25], 0, v12
	v_cndmask_b32_e64 v12, 0, 1, s[36:37]
	s_bcnt1_i32_b64 s16, s[24:25]
	v_cmp_ne_u32_e64 s[24:25], 0, v12
	v_cndmask_b32_e64 v12, 0, 1, s[38:39]
	s_bcnt1_i32_b64 s17, s[24:25]
	v_cmp_ne_u32_e64 s[24:25], 0, v12
	v_cndmask_b32_e64 v12, 0, 1, s[46:47]
	s_add_i32 s16, s30, s16
	s_bcnt1_i32_b64 s36, s[24:25]
	v_cmp_ne_u32_e64 s[24:25], 0, v12
	s_add_i32 s16, s16, s17
	s_bcnt1_i32_b64 s24, s[24:25]
	s_add_i32 s16, s16, s36
	s_add_i32 s30, s16, s24
	v_cmp_eq_u32_e64 s[24:25], 3, v2
	s_and_b64 s[16:17], vcc, s[24:25]
	v_cmp_eq_u32_e32 vcc, 3, v3
	s_and_b64 s[6:7], s[6:7], vcc
	v_cmp_eq_u32_e32 vcc, 3, v4
	s_and_b64 s[20:21], s[20:21], vcc
	v_cmp_eq_u32_e32 vcc, 3, v1
	v_cndmask_b32_e64 v1, 0, 1, s[16:17]
	s_and_b64 s[22:23], s[22:23], vcc
	v_cmp_ne_u32_e32 vcc, 0, v1
	v_cndmask_b32_e64 v1, 0, 1, s[6:7]
	s_bcnt1_i32_b64 s16, vcc
	v_cmp_ne_u32_e32 vcc, 0, v1
	v_cndmask_b32_e64 v1, 0, 1, s[20:21]
	s_bcnt1_i32_b64 s6, vcc
	v_cmp_ne_u32_e32 vcc, 0, v1
	v_cndmask_b32_e64 v1, 0, 1, s[22:23]
	s_add_i32 s16, s29, s16
	s_bcnt1_i32_b64 s7, vcc
	v_cmp_ne_u32_e32 vcc, 0, v1
	s_add_i32 s6, s16, s6
	s_bcnt1_i32_b64 s17, vcc
	s_add_i32 s6, s6, s7
	s_add_i32 s29, s6, s17
	v_cmp_le_i32_e32 vcc, s9, v6
	s_or_b64 s[76:77], vcc, s[76:77]
	v_mov_b32_e32 v1, s35
	v_mov_b32_e32 v2, s31
	v_mov_b32_e32 v3, s30
	v_mov_b32_e32 v4, s29
	s_andn2_b64 exec, exec, s[76:77]
	s_cbranch_execnz .LBB66_48
; %bb.49:                               ;   in Loop: Header=BB66_7 Depth=1
	s_or_b64 exec, exec, s[76:77]
	s_or_b64 exec, exec, s[74:75]
	v_mov_b32_e32 v40, 0
	s_and_saveexec_b64 s[6:7], s[12:13]
	s_cbranch_execz .LBB66_46
.LBB66_50:                              ;   in Loop: Header=BB66_7 Depth=1
	global_load_ushort v40, v[10:11], off
	s_or_b64 exec, exec, s[6:7]
	s_and_saveexec_b64 s[20:21], s[14:15]
	s_cbranch_execz .LBB66_56
.LBB66_51:                              ;   in Loop: Header=BB66_7 Depth=1
	s_mov_b64 s[22:23], 0
	v_mov_b32_e32 v12, v29
	v_mov_b32_e32 v6, v23
	s_branch .LBB66_53
.LBB66_52:                              ;   in Loop: Header=BB66_53 Depth=2
	s_or_b64 exec, exec, s[6:7]
	s_waitcnt vmcnt(0)
	v_cmp_lt_i16_e32 vcc, -1, v40
	v_cndmask_b32_e32 v41, v33, v34, vcc
	v_lshlrev_b32_e32 v42, 16, v40
	v_xor_b32_sdwa v40, v41, v40 dst_sel:DWORD dst_unused:UNUSED_PAD src0_sel:DWORD src1_sel:WORD_0
	v_cmp_o_f32_e32 vcc, v42, v42
	v_cndmask_b32_e32 v40, v33, v40, vcc
	v_and_b32_e32 v41, v40, v37
	v_bfe_u32 v40, v40, v32, 2
	v_cmp_eq_u32_e32 vcc, v41, v28
	v_cmp_eq_u32_e64 s[6:7], 0, v40
	s_and_b64 s[6:7], vcc, s[6:7]
	v_cndmask_b32_e64 v41, 0, 1, s[6:7]
	v_cmp_ne_u32_e64 s[6:7], 0, v41
	s_bcnt1_i32_b64 s6, s[6:7]
	v_add_u32_e32 v1, s6, v1
	v_cmp_eq_u32_e64 s[6:7], 1, v40
	s_and_b64 s[6:7], vcc, s[6:7]
	v_cndmask_b32_e64 v41, 0, 1, s[6:7]
	v_cmp_ne_u32_e64 s[6:7], 0, v41
	s_bcnt1_i32_b64 s6, s[6:7]
	v_add_u32_e32 v2, s6, v2
	;; [unrolled: 6-line block ×3, first 2 shown]
	v_cmp_eq_u32_e64 s[6:7], 3, v40
	s_and_b64 s[6:7], vcc, s[6:7]
	v_cndmask_b32_e64 v40, 0, 1, s[6:7]
	v_cmp_ne_u32_e32 vcc, 0, v40
	s_bcnt1_i32_b64 s6, vcc
	v_cmp_le_i32_e32 vcc, s40, v6
	v_add_u32_e32 v4, s6, v4
	v_add_u32_e32 v12, s44, v12
	s_or_b64 s[22:23], vcc, s[22:23]
	v_mov_b32_e32 v40, v13
	s_andn2_b64 exec, exec, s[22:23]
	s_cbranch_execz .LBB66_55
.LBB66_53:                              ;   Parent Loop BB66_7 Depth=1
                                        ; =>  This Inner Loop Header: Depth=2
	v_add_u32_e32 v6, s26, v6
	v_cmp_gt_u32_e32 vcc, s40, v6
	v_mov_b32_e32 v13, 0
	s_and_saveexec_b64 s[6:7], vcc
	s_cbranch_execz .LBB66_52
; %bb.54:                               ;   in Loop: Header=BB66_53 Depth=2
	v_ashrrev_i32_e32 v13, 31, v12
	v_lshlrev_b64 v[41:42], 1, v[12:13]
	v_mov_b32_e32 v13, s27
	v_add_co_u32_e32 v41, vcc, s42, v41
	v_addc_co_u32_e32 v42, vcc, v13, v42, vcc
	global_load_ushort v13, v[41:42], off
	s_branch .LBB66_52
.LBB66_55:                              ;   in Loop: Header=BB66_7 Depth=1
	s_or_b64 exec, exec, s[22:23]
.LBB66_56:                              ;   in Loop: Header=BB66_7 Depth=1
	s_or_b64 exec, exec, s[20:21]
	s_branch .LBB66_36
.LBB66_57:                              ;   in Loop: Header=BB66_7 Depth=1
	s_mul_hi_u32 s6, s34, s8
	s_mul_i32 s6, s6, s45
	s_sub_i32 s6, s34, s6
	s_sub_i32 s7, s6, s45
	s_cmp_ge_u32 s6, s45
	s_cselect_b32 s6, s7, s6
	s_sub_i32 s7, s6, s45
	s_cmp_ge_u32 s6, s45
	s_cselect_b32 s6, s7, s6
	s_sub_i32 s28, s34, s6
	v_cmp_gt_u32_e32 vcc, s28, v14
	v_mov_b32_e32 v1, 0
	v_mov_b32_e32 v2, 0
	;; [unrolled: 1-line block ×4, first 2 shown]
	s_and_saveexec_b64 s[74:75], vcc
	s_cbranch_execz .LBB66_61
; %bb.58:                               ;   in Loop: Header=BB66_7 Depth=1
	s_mov_b32 s29, 0
	s_mov_b64 s[76:77], 0
	v_mov_b32_e32 v6, v30
	s_mov_b32 s30, 0
	s_mov_b32 s31, 0
	;; [unrolled: 1-line block ×3, first 2 shown]
	v_mov_b32_e32 v12, v14
.LBB66_59:                              ;   Parent Loop BB66_7 Depth=1
                                        ; =>  This Inner Loop Header: Depth=2
	ds_read_b64 v[1:2], v6
	v_add_u32_e32 v12, s45, v12
	v_add_u32_e32 v6, s59, v6
	s_waitcnt lgkmcnt(0)
	v_cmp_lt_i16_e32 vcc, -1, v1
	v_cndmask_b32_e32 v3, v33, v34, vcc
	v_lshlrev_b32_e32 v4, 16, v1
	v_cmp_o_f32_e32 vcc, v4, v4
	v_xor_b32_sdwa v3, v3, v1 dst_sel:DWORD dst_unused:UNUSED_PAD src0_sel:DWORD src1_sel:WORD_0
	v_cndmask_b32_e32 v3, v33, v3, vcc
	v_cmp_gt_i16_sdwa vcc, v1, v35 src0_sel:WORD_1 src1_sel:DWORD
	v_cndmask_b32_e32 v4, v33, v34, vcc
	v_and_b32_e32 v13, 0xffff0000, v1
	v_cmp_o_f32_e32 vcc, v13, v13
	v_xor_b32_sdwa v1, v4, v1 dst_sel:DWORD dst_unused:UNUSED_PAD src0_sel:DWORD src1_sel:WORD_1
	v_cndmask_b32_e32 v1, v33, v1, vcc
	v_cmp_lt_i16_e32 vcc, -1, v2
	v_cndmask_b32_e32 v4, v33, v34, vcc
	v_lshlrev_b32_e32 v13, 16, v2
	v_cmp_o_f32_e32 vcc, v13, v13
	v_xor_b32_sdwa v4, v4, v2 dst_sel:DWORD dst_unused:UNUSED_PAD src0_sel:DWORD src1_sel:WORD_0
	v_cndmask_b32_e32 v4, v33, v4, vcc
	v_cmp_gt_i16_sdwa vcc, v2, v35 src0_sel:WORD_1 src1_sel:DWORD
	v_cndmask_b32_e32 v13, v33, v34, vcc
	s_waitcnt vmcnt(0)
	v_and_b32_e32 v40, 0xffff0000, v2
	v_cmp_o_f32_e32 vcc, v40, v40
	v_xor_b32_sdwa v2, v13, v2 dst_sel:DWORD dst_unused:UNUSED_PAD src0_sel:DWORD src1_sel:WORD_1
	v_and_b32_e32 v13, v3, v37
	v_bfe_u32 v3, v3, v32, 2
	v_cndmask_b32_e32 v2, v33, v2, vcc
	v_cmp_eq_u32_e32 vcc, v13, v28
	v_and_b32_e32 v13, v1, v37
	v_bfe_u32 v1, v1, v32, 2
	v_cmp_eq_u32_e64 s[24:25], 0, v3
	v_cmp_eq_u32_e64 s[6:7], v13, v28
	v_and_b32_e32 v13, v4, v37
	v_bfe_u32 v4, v4, v32, 2
	s_and_b64 s[16:17], vcc, s[24:25]
	v_cmp_eq_u32_e64 s[24:25], 0, v1
	v_cmp_eq_u32_e64 s[20:21], v13, v28
	v_and_b32_e32 v13, v2, v37
	v_bfe_u32 v2, v2, v32, 2
	s_and_b64 s[36:37], s[6:7], s[24:25]
	v_cmp_eq_u32_e64 s[24:25], 0, v4
	v_cmp_eq_u32_e64 s[22:23], v13, v28
	s_and_b64 s[38:39], s[20:21], s[24:25]
	v_cmp_eq_u32_e64 s[24:25], 0, v2
	v_cndmask_b32_e64 v13, 0, 1, s[16:17]
	s_and_b64 s[46:47], s[22:23], s[24:25]
	v_cmp_ne_u32_e64 s[24:25], 0, v13
	v_cndmask_b32_e64 v13, 0, 1, s[36:37]
	s_bcnt1_i32_b64 s16, s[24:25]
	v_cmp_ne_u32_e64 s[24:25], 0, v13
	v_cndmask_b32_e64 v13, 0, 1, s[38:39]
	s_bcnt1_i32_b64 s17, s[24:25]
	v_cmp_ne_u32_e64 s[24:25], 0, v13
	v_cndmask_b32_e64 v13, 0, 1, s[46:47]
	s_add_i32 s16, s35, s16
	s_bcnt1_i32_b64 s36, s[24:25]
	v_cmp_ne_u32_e64 s[24:25], 0, v13
	s_add_i32 s16, s16, s17
	s_bcnt1_i32_b64 s24, s[24:25]
	s_add_i32 s16, s16, s36
	s_add_i32 s35, s16, s24
	v_cmp_eq_u32_e64 s[24:25], 1, v3
	s_and_b64 s[16:17], vcc, s[24:25]
	v_cmp_eq_u32_e64 s[24:25], 1, v1
	s_and_b64 s[36:37], s[6:7], s[24:25]
	v_cmp_eq_u32_e64 s[24:25], 1, v4
	s_and_b64 s[38:39], s[20:21], s[24:25]
	v_cmp_eq_u32_e64 s[24:25], 1, v2
	v_cndmask_b32_e64 v13, 0, 1, s[16:17]
	s_and_b64 s[46:47], s[22:23], s[24:25]
	v_cmp_ne_u32_e64 s[24:25], 0, v13
	v_cndmask_b32_e64 v13, 0, 1, s[36:37]
	s_bcnt1_i32_b64 s16, s[24:25]
	v_cmp_ne_u32_e64 s[24:25], 0, v13
	v_cndmask_b32_e64 v13, 0, 1, s[38:39]
	s_bcnt1_i32_b64 s17, s[24:25]
	v_cmp_ne_u32_e64 s[24:25], 0, v13
	v_cndmask_b32_e64 v13, 0, 1, s[46:47]
	s_add_i32 s16, s31, s16
	s_bcnt1_i32_b64 s36, s[24:25]
	v_cmp_ne_u32_e64 s[24:25], 0, v13
	s_add_i32 s16, s16, s17
	s_bcnt1_i32_b64 s24, s[24:25]
	s_add_i32 s16, s16, s36
	s_add_i32 s31, s16, s24
	v_cmp_eq_u32_e64 s[24:25], 2, v3
	s_and_b64 s[16:17], vcc, s[24:25]
	v_cmp_eq_u32_e64 s[24:25], 2, v1
	s_and_b64 s[36:37], s[6:7], s[24:25]
	v_cmp_eq_u32_e64 s[24:25], 2, v4
	s_and_b64 s[38:39], s[20:21], s[24:25]
	v_cmp_eq_u32_e64 s[24:25], 2, v2
	v_cndmask_b32_e64 v13, 0, 1, s[16:17]
	s_and_b64 s[46:47], s[22:23], s[24:25]
	v_cmp_ne_u32_e64 s[24:25], 0, v13
	v_cndmask_b32_e64 v13, 0, 1, s[36:37]
	s_bcnt1_i32_b64 s16, s[24:25]
	v_cmp_ne_u32_e64 s[24:25], 0, v13
	v_cndmask_b32_e64 v13, 0, 1, s[38:39]
	s_bcnt1_i32_b64 s17, s[24:25]
	v_cmp_ne_u32_e64 s[24:25], 0, v13
	v_cndmask_b32_e64 v13, 0, 1, s[46:47]
	s_add_i32 s16, s30, s16
	s_bcnt1_i32_b64 s36, s[24:25]
	v_cmp_ne_u32_e64 s[24:25], 0, v13
	s_add_i32 s16, s16, s17
	s_bcnt1_i32_b64 s24, s[24:25]
	s_add_i32 s16, s16, s36
	s_add_i32 s30, s16, s24
	v_cmp_eq_u32_e64 s[24:25], 3, v3
	s_and_b64 s[16:17], vcc, s[24:25]
	v_cmp_eq_u32_e32 vcc, 3, v1
	s_and_b64 s[6:7], s[6:7], vcc
	v_cmp_eq_u32_e32 vcc, 3, v4
	s_and_b64 s[20:21], s[20:21], vcc
	v_cmp_eq_u32_e32 vcc, 3, v2
	v_cndmask_b32_e64 v1, 0, 1, s[16:17]
	s_and_b64 s[22:23], s[22:23], vcc
	v_cmp_ne_u32_e32 vcc, 0, v1
	v_cndmask_b32_e64 v1, 0, 1, s[6:7]
	s_bcnt1_i32_b64 s16, vcc
	v_cmp_ne_u32_e32 vcc, 0, v1
	v_cndmask_b32_e64 v1, 0, 1, s[20:21]
	s_bcnt1_i32_b64 s6, vcc
	v_cmp_ne_u32_e32 vcc, 0, v1
	v_cndmask_b32_e64 v1, 0, 1, s[22:23]
	s_add_i32 s16, s29, s16
	s_bcnt1_i32_b64 s7, vcc
	v_cmp_ne_u32_e32 vcc, 0, v1
	s_add_i32 s6, s16, s6
	s_bcnt1_i32_b64 s17, vcc
	s_add_i32 s6, s6, s7
	s_add_i32 s29, s6, s17
	v_cmp_le_i32_e32 vcc, s28, v12
	s_or_b64 s[76:77], vcc, s[76:77]
	v_mov_b32_e32 v1, s35
	v_mov_b32_e32 v2, s31
	;; [unrolled: 1-line block ×4, first 2 shown]
	s_andn2_b64 exec, exec, s[76:77]
	s_cbranch_execnz .LBB66_59
; %bb.60:                               ;   in Loop: Header=BB66_7 Depth=1
	s_or_b64 exec, exec, s[76:77]
.LBB66_61:                              ;   in Loop: Header=BB66_7 Depth=1
	s_or_b64 exec, exec, s[74:75]
	v_add_u32_e32 v6, s28, v0
	v_cmp_gt_i32_e32 vcc, s34, v6
	s_and_saveexec_b64 s[20:21], vcc
	s_cbranch_execz .LBB66_65
; %bb.62:                               ;   in Loop: Header=BB66_7 Depth=1
	v_lshlrev_b32_e32 v12, 1, v6
	s_mov_b64 s[22:23], 0
.LBB66_63:                              ;   Parent Loop BB66_7 Depth=1
                                        ; =>  This Inner Loop Header: Depth=2
	ds_read_u16 v13, v12
	v_add_u32_e32 v6, s26, v6
	v_add_u32_e32 v12, s54, v12
	s_waitcnt lgkmcnt(0)
	v_cmp_lt_i16_e32 vcc, -1, v13
	s_waitcnt vmcnt(0)
	v_cndmask_b32_e32 v40, v33, v34, vcc
	v_lshlrev_b32_e32 v41, 16, v13
	v_cmp_o_f32_e32 vcc, v41, v41
	v_xor_b32_sdwa v13, v40, v13 dst_sel:DWORD dst_unused:UNUSED_PAD src0_sel:DWORD src1_sel:WORD_0
	v_cndmask_b32_e32 v13, v33, v13, vcc
	v_and_b32_e32 v40, v13, v37
	v_bfe_u32 v13, v13, v32, 2
	v_cmp_eq_u32_e32 vcc, v40, v28
	v_cmp_eq_u32_e64 s[6:7], 0, v13
	s_and_b64 s[6:7], vcc, s[6:7]
	v_cndmask_b32_e64 v40, 0, 1, s[6:7]
	v_cmp_ne_u32_e64 s[6:7], 0, v40
	s_bcnt1_i32_b64 s6, s[6:7]
	v_add_u32_e32 v1, s6, v1
	v_cmp_eq_u32_e64 s[6:7], 1, v13
	s_and_b64 s[6:7], vcc, s[6:7]
	v_cndmask_b32_e64 v40, 0, 1, s[6:7]
	v_cmp_ne_u32_e64 s[6:7], 0, v40
	s_bcnt1_i32_b64 s6, s[6:7]
	v_add_u32_e32 v2, s6, v2
	;; [unrolled: 6-line block ×3, first 2 shown]
	v_cmp_eq_u32_e64 s[6:7], 3, v13
	s_and_b64 s[6:7], vcc, s[6:7]
	v_cndmask_b32_e64 v13, 0, 1, s[6:7]
	v_cmp_ne_u32_e32 vcc, 0, v13
	s_bcnt1_i32_b64 s6, vcc
	v_cmp_le_i32_e32 vcc, s34, v6
	v_add_u32_e32 v4, s6, v4
	s_or_b64 s[22:23], vcc, s[22:23]
	s_andn2_b64 exec, exec, s[22:23]
	s_cbranch_execnz .LBB66_63
; %bb.64:                               ;   in Loop: Header=BB66_7 Depth=1
	s_or_b64 exec, exec, s[22:23]
.LBB66_65:                              ;   in Loop: Header=BB66_7 Depth=1
	s_or_b64 exec, exec, s[20:21]
	s_lshl_b32 s16, s18, 6
	s_and_saveexec_b64 s[6:7], s[2:3]
	s_cbranch_execnz .LBB66_37
	s_branch .LBB66_38
.LBB66_66:                              ;   in Loop: Header=BB66_7 Depth=1
	s_or_b64 exec, exec, s[22:23]
	s_waitcnt lgkmcnt(0)
	s_barrier
	s_and_saveexec_b64 s[6:7], s[0:1]
	s_cbranch_execz .LBB66_68
; %bb.67:                               ;   in Loop: Header=BB66_7 Depth=1
	ds_read_b32 v1, v7 offset:4104
	s_waitcnt lgkmcnt(0)
	ds_write_b32 v7, v1 offset:4096
.LBB66_68:                              ;   in Loop: Header=BB66_7 Depth=1
	s_or_b64 exec, exec, s[6:7]
	s_waitcnt lgkmcnt(0)
	s_barrier
	s_mov_b64 s[6:7], -1
	s_and_b64 vcc, exec, s[20:21]
	s_cbranch_vccnz .LBB66_22
	s_branch .LBB66_32
.LBB66_69:                              ;   in Loop: Header=BB66_7 Depth=1
	v_mov_b32_e32 v1, 0
	s_mov_b32 s17, 0
.LBB66_70:                              ;   in Loop: Header=BB66_7 Depth=1
	v_readlane_b32 s20, v44, 38
	v_readlane_b32 s21, v44, 39
	s_andn2_b64 vcc, exec, s[20:21]
	s_cbranch_vccnz .LBB66_73
; %bb.71:                               ;   in Loop: Header=BB66_7 Depth=1
	s_lshl_b32 s20, s18, 8
	s_lshl_b32 s17, s17, 4
	s_add_i32 s20, s20, s17
	v_add_u32_e32 v2, s20, v31
	v_readlane_b32 s17, v44, 37
.LBB66_72:                              ;   Parent Loop BB66_7 Depth=1
                                        ; =>  This Inner Loop Header: Depth=2
	ds_read_b32 v3, v2
	s_add_i32 s17, s17, -1
	v_add_u32_e32 v2, 16, v2
	s_cmp_lg_u32 s17, 0
	s_waitcnt lgkmcnt(0)
	v_add_u32_e32 v1, v3, v1
	s_cbranch_scc1 .LBB66_72
.LBB66_73:                              ;   in Loop: Header=BB66_7 Depth=1
	v_add_lshl_u32 v2, s16, v15, 2
	ds_write_b32 v2, v1 offset:3072
.LBB66_74:                              ;   in Loop: Header=BB66_7 Depth=1
	s_or_b64 exec, exec, s[6:7]
	s_lshl_b32 s6, s16, 2
	v_mov_b32_e32 v1, s6
	s_waitcnt lgkmcnt(0)
	s_barrier
	ds_read_b128 v[1:4], v1 offset:3072
	v_cmp_eq_u32_e32 vcc, 1, v39
	s_mov_b64 s[20:21], -1
	s_mov_b64 s[28:29], -1
                                        ; implicit-def: $sgpr74_sgpr75
                                        ; implicit-def: $sgpr24_sgpr25
	s_waitcnt lgkmcnt(0)
	v_readfirstlane_b32 s46, v1
	s_cmp_eq_u32 s46, 1
	v_readfirstlane_b32 s90, v3
	v_lshlrev_b32_e64 v3, v32, 3
	s_cselect_b64 s[6:7], -1, 0
	v_readfirstlane_b32 s82, v2
	v_readfirstlane_b32 s55, v4
	v_not_b32_e32 v6, v3
	s_and_b64 s[22:23], s[6:7], vcc
	s_and_saveexec_b64 s[6:7], s[22:23]
	s_cbranch_execz .LBB66_100
; %bb.75:                               ;   in Loop: Header=BB66_7 Depth=1
	ds_read_b32 v1, v7 offset:4096
	s_waitcnt lgkmcnt(0)
	s_barrier
	v_readfirstlane_b32 s16, v1
	s_and_saveexec_b64 s[24:25], s[4:5]
; %bb.76:                               ;   in Loop: Header=BB66_7 Depth=1
	ds_write_b16 v17, v7
; %bb.77:                               ;   in Loop: Header=BB66_7 Depth=1
	s_or_b64 exec, exec, s[24:25]
	v_and_b32_e32 v28, v28, v6
	v_or_b32_e32 v37, v37, v3
	s_mov_b64 s[24:25], -1
	s_mov_b64 s[74:75], 0
	s_cmp_lt_i32 s16, 1
	s_mov_b64 s[34:35], 0
	s_mov_b64 s[76:77], -1
	s_waitcnt lgkmcnt(0)
	s_barrier
                                        ; implicit-def: $vgpr38
	s_cbranch_scc0 .LBB66_88
; %bb.78:                               ;   in Loop: Header=BB66_7 Depth=1
	s_mov_b64 s[76:77], 0
                                        ; implicit-def: $vgpr38
	s_mov_b64 s[28:29], exec
	v_readlane_b32 s30, v44, 40
	v_readlane_b32 s31, v44, 41
	s_and_b64 s[30:31], s[28:29], s[30:31]
	s_mov_b64 exec, s[30:31]
	s_cbranch_execz .LBB66_87
; %bb.79:                               ;   in Loop: Header=BB66_7 Depth=1
	s_mov_b64 s[30:31], 0
	v_mov_b32_e32 v1, v5
	v_mov_b32_e32 v4, v0
                                        ; implicit-def: $sgpr34_sgpr35
	s_branch .LBB66_82
.LBB66_80:                              ;   in Loop: Header=BB66_82 Depth=2
	s_or_b64 exec, exec, s[36:37]
	s_waitcnt lgkmcnt(0)
	s_barrier
	ds_read_b32 v2, v7 offset:3072
	s_mov_b64 s[36:37], -1
	s_mov_b64 s[38:39], -1
	s_waitcnt lgkmcnt(0)
	s_barrier
	v_and_b32_e32 v12, 0x7fff, v2
	v_cmp_ne_u32_e32 vcc, 0, v12
	s_cbranch_vccz .LBB66_85
.LBB66_81:                              ;   in Loop: Header=BB66_82 Depth=2
	s_and_b64 s[36:37], exec, s[36:37]
	s_or_b64 s[30:31], s[36:37], s[30:31]
	s_andn2_b64 s[34:35], s[34:35], exec
	s_and_b64 s[36:37], s[38:39], exec
	s_or_b64 s[34:35], s[34:35], s[36:37]
	s_andn2_b64 exec, exec, s[30:31]
	s_cbranch_execz .LBB66_86
.LBB66_82:                              ;   Parent Loop BB66_7 Depth=1
                                        ; =>  This Inner Loop Header: Depth=2
	v_cmp_gt_i32_e32 vcc, s40, v4
	s_and_saveexec_b64 s[36:37], vcc
	s_cbranch_execz .LBB66_80
; %bb.83:                               ;   in Loop: Header=BB66_82 Depth=2
	v_ashrrev_i32_e32 v2, 31, v1
	v_lshlrev_b64 v[12:13], 1, v[1:2]
	v_mov_b32_e32 v2, s27
	v_add_co_u32_e32 v12, vcc, s42, v12
	v_addc_co_u32_e32 v13, vcc, v2, v13, vcc
	global_load_ushort v2, v[12:13], off
	s_waitcnt vmcnt(0)
	v_cmp_lt_i16_e32 vcc, -1, v2
	v_cndmask_b32_e32 v12, v33, v34, vcc
	v_lshlrev_b32_e32 v13, 16, v2
	v_xor_b32_sdwa v12, v12, v2 dst_sel:DWORD dst_unused:UNUSED_PAD src0_sel:DWORD src1_sel:WORD_0
	v_cmp_o_f32_e32 vcc, v13, v13
	v_cndmask_b32_e32 v12, v33, v12, vcc
	v_and_b32_e32 v12, v12, v37
	v_cmp_eq_u32_e32 vcc, v12, v28
	s_and_b64 exec, exec, vcc
	s_cbranch_execz .LBB66_80
; %bb.84:                               ;   in Loop: Header=BB66_82 Depth=2
	v_perm_b32 v2, v2, s41, v36
	ds_write_b32 v7, v2 offset:3072
	s_branch .LBB66_80
.LBB66_85:                              ;   in Loop: Header=BB66_82 Depth=2
	v_add_u32_e32 v4, s26, v4
	v_cmp_le_i32_e32 vcc, s57, v4
	v_add_u32_e32 v1, s44, v1
	s_mov_b64 s[38:39], 0
	s_orn2_b64 s[36:37], vcc, exec
	s_branch .LBB66_81
.LBB66_86:                              ;   in Loop: Header=BB66_7 Depth=1
	s_or_b64 exec, exec, s[30:31]
	v_lshrrev_b32_e32 v38, 16, v2
	s_and_b64 s[34:35], s[34:35], exec
.LBB66_87:                              ;   in Loop: Header=BB66_7 Depth=1
	s_or_b64 exec, exec, s[28:29]
.LBB66_88:                              ;   in Loop: Header=BB66_7 Depth=1
	s_and_b64 vcc, exec, s[76:77]
	s_cbranch_vccz .LBB66_99
; %bb.89:                               ;   in Loop: Header=BB66_7 Depth=1
	s_add_i32 s17, s16, s33
	s_abs_i32 s25, s17
	s_mul_hi_u32 s28, s25, s56
	s_mul_i32 s28, s28, s26
	s_sub_i32 s25, s25, s28
	s_ashr_i32 s24, s17, 31
	s_sub_i32 s28, s25, s26
	s_cmp_ge_u32 s25, s26
	s_cselect_b32 s25, s28, s25
	s_sub_i32 s28, s25, s26
	s_cmp_ge_u32 s25, s26
	s_cselect_b32 s25, s28, s25
	s_xor_b32 s25, s25, s24
	s_sub_i32 s24, s24, s25
	s_add_i32 s17, s17, s24
	v_cmp_gt_i32_e32 vcc, s17, v0
                                        ; implicit-def: $vgpr38
	s_and_saveexec_b64 s[24:25], vcc
	s_cbranch_execz .LBB66_98
; %bb.90:                               ;   in Loop: Header=BB66_7 Depth=1
	s_mov_b64 s[28:29], 0
	v_mov_b32_e32 v1, v16
	v_mov_b32_e32 v2, v0
                                        ; implicit-def: $sgpr30_sgpr31
	s_branch .LBB66_93
.LBB66_91:                              ;   in Loop: Header=BB66_93 Depth=2
	s_or_b64 exec, exec, s[36:37]
	s_waitcnt lgkmcnt(0)
	s_barrier
	ds_read_b32 v4, v7 offset:3072
	s_mov_b64 s[36:37], -1
	s_mov_b64 s[38:39], -1
	s_waitcnt lgkmcnt(0)
	s_barrier
	v_and_b32_e32 v12, 0x7fff, v4
	v_cmp_ne_u32_e32 vcc, 0, v12
	s_cbranch_vccz .LBB66_96
.LBB66_92:                              ;   in Loop: Header=BB66_93 Depth=2
	s_and_b64 s[36:37], exec, s[36:37]
	s_or_b64 s[28:29], s[36:37], s[28:29]
	s_andn2_b64 s[30:31], s[30:31], exec
	s_and_b64 s[36:37], s[38:39], exec
	s_or_b64 s[30:31], s[30:31], s[36:37]
	s_andn2_b64 exec, exec, s[28:29]
	s_cbranch_execz .LBB66_97
.LBB66_93:                              ;   Parent Loop BB66_7 Depth=1
                                        ; =>  This Inner Loop Header: Depth=2
	v_cmp_gt_i32_e32 vcc, s16, v2
	s_and_saveexec_b64 s[36:37], vcc
	s_cbranch_execz .LBB66_91
; %bb.94:                               ;   in Loop: Header=BB66_93 Depth=2
	ds_read_u16 v4, v1
	s_waitcnt lgkmcnt(0)
	v_cmp_lt_i16_e32 vcc, -1, v4
	v_cndmask_b32_e32 v12, v33, v34, vcc
	v_lshlrev_b32_e32 v13, 16, v4
	v_cmp_o_f32_e32 vcc, v13, v13
	v_xor_b32_sdwa v12, v12, v4 dst_sel:DWORD dst_unused:UNUSED_PAD src0_sel:DWORD src1_sel:WORD_0
	v_cndmask_b32_e32 v12, v33, v12, vcc
	v_and_b32_e32 v12, v12, v37
	v_cmp_eq_u32_e32 vcc, v12, v28
	s_and_b64 exec, exec, vcc
	s_cbranch_execz .LBB66_91
; %bb.95:                               ;   in Loop: Header=BB66_93 Depth=2
	v_perm_b32 v4, v4, s41, v36
	ds_write_b32 v7, v4 offset:3072
	s_branch .LBB66_91
.LBB66_96:                              ;   in Loop: Header=BB66_93 Depth=2
	v_add_u32_e32 v2, s26, v2
	v_cmp_le_i32_e32 vcc, s17, v2
	v_add_u32_e32 v1, s54, v1
	s_mov_b64 s[38:39], 0
	s_orn2_b64 s[36:37], vcc, exec
	s_branch .LBB66_92
.LBB66_97:                              ;   in Loop: Header=BB66_7 Depth=1
	s_or_b64 exec, exec, s[28:29]
	s_andn2_b64 s[16:17], s[34:35], exec
	s_and_b64 s[28:29], s[30:31], exec
	v_lshrrev_b32_e32 v38, 16, v4
	s_or_b64 s[34:35], s[16:17], s[28:29]
.LBB66_98:                              ;   in Loop: Header=BB66_7 Depth=1
	s_or_b64 exec, exec, s[24:25]
	s_mov_b64 s[24:25], 0
	s_mov_b64 s[74:75], -1
.LBB66_99:                              ;   in Loop: Header=BB66_7 Depth=1
	s_orn2_b64 s[28:29], s[34:35], exec
.LBB66_100:                             ;   in Loop: Header=BB66_7 Depth=1
	s_or_b64 exec, exec, s[6:7]
	s_andn2_b64 s[6:7], s[72:73], exec
	s_and_b64 s[30:31], s[74:75], exec
	s_or_b64 s[72:73], s[6:7], s[30:31]
	s_andn2_b64 s[6:7], s[70:71], exec
	s_and_b64 s[24:25], s[24:25], exec
	v_readfirstlane_b32 s16, v0
	s_andn2_b64 s[68:69], s[68:69], exec
	s_or_b64 s[70:71], s[6:7], s[24:25]
                                        ; implicit-def: $vgpr12
	s_and_saveexec_b64 s[6:7], s[28:29]
	s_cbranch_execz .LBB66_6
; %bb.101:                              ;   in Loop: Header=BB66_7 Depth=1
	s_xor_b64 s[16:17], s[22:23], -1
	s_mov_b64 s[22:23], 0
	v_mov_b32_e32 v12, 1
	v_mov_b32_e32 v4, 1
	s_and_saveexec_b64 s[20:21], s[16:17]
	s_cbranch_execz .LBB66_110
; %bb.102:                              ;   in Loop: Header=BB66_7 Depth=1
	v_cmp_ge_i32_e32 vcc, s46, v39
	s_and_saveexec_b64 s[16:17], vcc
	s_xor_b64 s[22:23], exec, s[16:17]
	s_cbranch_execz .LBB66_107
; %bb.103:                              ;   in Loop: Header=BB66_7 Depth=1
	ds_read_b32 v1, v7 offset:4096
	v_and_b32_e32 v28, v28, v6
	v_or_b32_e32 v37, v37, v3
	s_waitcnt lgkmcnt(0)
	v_cmp_ne_u32_e32 vcc, 0, v1
	s_cbranch_vccnz .LBB66_107
; %bb.104:                              ;   in Loop: Header=BB66_7 Depth=1
	s_and_saveexec_b64 s[24:25], s[0:1]
; %bb.105:                              ;   in Loop: Header=BB66_7 Depth=1
	v_mov_b32_e32 v1, s46
	ds_write_b32 v7, v1 offset:4100
; %bb.106:                              ;   in Loop: Header=BB66_7 Depth=1
	s_or_b64 exec, exec, s[24:25]
	s_waitcnt lgkmcnt(0)
	s_barrier
.LBB66_107:                             ;   in Loop: Header=BB66_7 Depth=1
	s_or_saveexec_b64 s[22:23], s[22:23]
	s_mov_b64 s[24:25], 0
	v_mov_b32_e32 v4, 8
	s_xor_b64 exec, exec, s[22:23]
; %bb.108:                              ;   in Loop: Header=BB66_7 Depth=1
	v_subrev_u32_e32 v39, s46, v39
	v_mov_b32_e32 v4, 0
	s_mov_b64 s[24:25], exec
; %bb.109:                              ;   in Loop: Header=BB66_7 Depth=1
	s_or_b64 exec, exec, s[22:23]
	s_and_b64 s[22:23], s[24:25], exec
	v_mov_b32_e32 v12, v39
.LBB66_110:                             ;   in Loop: Header=BB66_7 Depth=1
	s_or_b64 exec, exec, s[20:21]
	s_mov_b64 s[20:21], -1
	s_mov_b64 s[28:29], -1
                                        ; implicit-def: $sgpr24_sgpr25
                                        ; implicit-def: $sgpr74_sgpr75
	s_and_saveexec_b64 s[16:17], s[22:23]
	s_xor_b64 s[22:23], exec, s[16:17]
	s_cbranch_execz .LBB66_227
; %bb.111:                              ;   in Loop: Header=BB66_7 Depth=1
	s_cmp_eq_u32 s82, 1
	s_cselect_b64 s[16:17], -1, 0
	v_cmp_eq_u32_e32 vcc, 1, v12
	s_and_b64 s[78:79], s[16:17], vcc
                                        ; implicit-def: $sgpr74_sgpr75
                                        ; implicit-def: $sgpr24_sgpr25
	s_and_saveexec_b64 s[76:77], s[78:79]
	s_cbranch_execz .LBB66_137
; %bb.112:                              ;   in Loop: Header=BB66_7 Depth=1
	ds_read_b32 v1, v7 offset:4096
	s_waitcnt lgkmcnt(0)
	s_barrier
	v_readfirstlane_b32 s83, v1
	s_and_saveexec_b64 s[24:25], s[4:5]
; %bb.113:                              ;   in Loop: Header=BB66_7 Depth=1
	ds_write_b16 v17, v7
; %bb.114:                              ;   in Loop: Header=BB66_7 Depth=1
	s_or_b64 exec, exec, s[24:25]
	v_and_b32_e32 v1, v28, v6
	v_lshl_or_b32 v28, 1, v32, v1
	v_or_b32_e32 v37, v37, v3
	s_mov_b64 s[24:25], -1
	s_mov_b64 s[74:75], 0
	s_cmp_gt_i32 s83, 0
	s_mov_b64 s[80:81], 0
	s_mov_b64 s[34:35], -1
	s_waitcnt lgkmcnt(0)
	s_barrier
                                        ; implicit-def: $vgpr38
	s_cbranch_scc1 .LBB66_125
; %bb.115:                              ;   in Loop: Header=BB66_7 Depth=1
	s_mov_b64 s[34:35], 0
                                        ; implicit-def: $vgpr38
	s_mov_b64 s[46:47], exec
	v_readlane_b32 s16, v44, 40
	v_readlane_b32 s17, v44, 41
	s_and_b64 s[16:17], s[46:47], s[16:17]
	s_mov_b64 exec, s[16:17]
	s_cbranch_execz .LBB66_124
; %bb.116:                              ;   in Loop: Header=BB66_7 Depth=1
	s_mov_b64 s[28:29], 0
	v_mov_b32_e32 v1, v5
	v_mov_b32_e32 v13, v0
                                        ; implicit-def: $sgpr30_sgpr31
	s_branch .LBB66_119
.LBB66_117:                             ;   in Loop: Header=BB66_119 Depth=2
	s_or_b64 exec, exec, s[80:81]
	s_waitcnt lgkmcnt(0)
	s_barrier
	ds_read_b32 v2, v7 offset:3072
	s_mov_b64 s[36:37], -1
	s_mov_b64 s[38:39], -1
	s_waitcnt lgkmcnt(0)
	s_barrier
	v_and_b32_e32 v38, 0x7fff, v2
	v_cmp_ne_u32_e32 vcc, 0, v38
	s_cbranch_vccz .LBB66_122
.LBB66_118:                             ;   in Loop: Header=BB66_119 Depth=2
	s_and_b64 s[16:17], exec, s[36:37]
	s_or_b64 s[28:29], s[16:17], s[28:29]
	s_andn2_b64 s[16:17], s[30:31], exec
	s_and_b64 s[30:31], s[38:39], exec
	s_or_b64 s[30:31], s[16:17], s[30:31]
	s_andn2_b64 exec, exec, s[28:29]
	s_cbranch_execz .LBB66_123
.LBB66_119:                             ;   Parent Loop BB66_7 Depth=1
                                        ; =>  This Inner Loop Header: Depth=2
	v_cmp_gt_i32_e32 vcc, s40, v13
	s_and_saveexec_b64 s[80:81], vcc
	s_cbranch_execz .LBB66_117
; %bb.120:                              ;   in Loop: Header=BB66_119 Depth=2
	v_ashrrev_i32_e32 v2, 31, v1
	v_lshlrev_b64 v[38:39], 1, v[1:2]
	v_mov_b32_e32 v2, s27
	v_add_co_u32_e32 v38, vcc, s42, v38
	v_addc_co_u32_e32 v39, vcc, v2, v39, vcc
	global_load_ushort v2, v[38:39], off
	s_waitcnt vmcnt(0)
	v_cmp_lt_i16_e32 vcc, -1, v2
	v_cndmask_b32_e32 v38, v33, v34, vcc
	v_lshlrev_b32_e32 v39, 16, v2
	v_xor_b32_sdwa v38, v38, v2 dst_sel:DWORD dst_unused:UNUSED_PAD src0_sel:DWORD src1_sel:WORD_0
	v_cmp_o_f32_e32 vcc, v39, v39
	v_cndmask_b32_e32 v38, v33, v38, vcc
	v_and_b32_e32 v38, v38, v37
	v_cmp_eq_u32_e32 vcc, v38, v28
	s_and_b64 exec, exec, vcc
	s_cbranch_execz .LBB66_117
; %bb.121:                              ;   in Loop: Header=BB66_119 Depth=2
	v_perm_b32 v2, v2, s41, v36
	ds_write_b32 v7, v2 offset:3072
	s_branch .LBB66_117
.LBB66_122:                             ;   in Loop: Header=BB66_119 Depth=2
	v_add_u32_e32 v13, s26, v13
	v_cmp_le_i32_e32 vcc, s57, v13
	v_add_u32_e32 v1, s44, v1
	s_mov_b64 s[38:39], 0
	s_orn2_b64 s[36:37], vcc, exec
	s_branch .LBB66_118
.LBB66_123:                             ;   in Loop: Header=BB66_7 Depth=1
	s_or_b64 exec, exec, s[28:29]
	v_lshrrev_b32_e32 v38, 16, v2
	s_and_b64 s[80:81], s[30:31], exec
.LBB66_124:                             ;   in Loop: Header=BB66_7 Depth=1
	s_or_b64 exec, exec, s[46:47]
.LBB66_125:                             ;   in Loop: Header=BB66_7 Depth=1
	s_and_b64 vcc, exec, s[34:35]
	s_cbranch_vccz .LBB66_136
; %bb.126:                              ;   in Loop: Header=BB66_7 Depth=1
	s_add_i32 s16, s83, s33
	s_abs_i32 s24, s16
	s_mul_hi_u32 s25, s24, s56
	s_mul_i32 s25, s25, s26
	s_sub_i32 s24, s24, s25
	s_ashr_i32 s17, s16, 31
	s_sub_i32 s25, s24, s26
	s_cmp_ge_u32 s24, s26
	s_cselect_b32 s24, s25, s24
	s_sub_i32 s25, s24, s26
	s_cmp_ge_u32 s24, s26
	s_cselect_b32 s24, s25, s24
	s_xor_b32 s24, s24, s17
	s_sub_i32 s17, s17, s24
	s_add_i32 s16, s16, s17
	v_cmp_gt_i32_e32 vcc, s16, v0
                                        ; implicit-def: $vgpr38
	s_and_saveexec_b64 s[24:25], vcc
	s_cbranch_execz .LBB66_135
; %bb.127:                              ;   in Loop: Header=BB66_7 Depth=1
	s_mov_b64 s[28:29], 0
	v_mov_b32_e32 v1, v16
	v_mov_b32_e32 v2, v0
                                        ; implicit-def: $sgpr30_sgpr31
	s_branch .LBB66_130
.LBB66_128:                             ;   in Loop: Header=BB66_130 Depth=2
	s_or_b64 exec, exec, s[34:35]
	s_waitcnt lgkmcnt(0)
	s_barrier
	ds_read_b32 v13, v7 offset:3072
	s_mov_b64 s[34:35], -1
	s_mov_b64 s[36:37], -1
	s_waitcnt lgkmcnt(0)
	s_barrier
	v_and_b32_e32 v38, 0x7fff, v13
	v_cmp_eq_u32_e32 vcc, 0, v38
	s_cbranch_vccnz .LBB66_133
.LBB66_129:                             ;   in Loop: Header=BB66_130 Depth=2
	s_and_b64 s[34:35], exec, s[34:35]
	s_or_b64 s[28:29], s[34:35], s[28:29]
	s_andn2_b64 s[30:31], s[30:31], exec
	s_and_b64 s[34:35], s[36:37], exec
	s_or_b64 s[30:31], s[30:31], s[34:35]
	s_andn2_b64 exec, exec, s[28:29]
	s_cbranch_execz .LBB66_134
.LBB66_130:                             ;   Parent Loop BB66_7 Depth=1
                                        ; =>  This Inner Loop Header: Depth=2
	v_cmp_gt_i32_e32 vcc, s83, v2
	s_and_saveexec_b64 s[34:35], vcc
	s_cbranch_execz .LBB66_128
; %bb.131:                              ;   in Loop: Header=BB66_130 Depth=2
	ds_read_u16 v13, v1
	s_waitcnt lgkmcnt(0)
	v_cmp_lt_i16_e32 vcc, -1, v13
	v_cndmask_b32_e32 v38, v33, v34, vcc
	v_lshlrev_b32_e32 v39, 16, v13
	v_cmp_o_f32_e32 vcc, v39, v39
	v_xor_b32_sdwa v38, v38, v13 dst_sel:DWORD dst_unused:UNUSED_PAD src0_sel:DWORD src1_sel:WORD_0
	v_cndmask_b32_e32 v38, v33, v38, vcc
	v_and_b32_e32 v38, v38, v37
	v_cmp_eq_u32_e32 vcc, v38, v28
	s_and_b64 exec, exec, vcc
	s_cbranch_execz .LBB66_128
; %bb.132:                              ;   in Loop: Header=BB66_130 Depth=2
	v_perm_b32 v13, v13, s41, v36
	ds_write_b32 v7, v13 offset:3072
	s_branch .LBB66_128
.LBB66_133:                             ;   in Loop: Header=BB66_130 Depth=2
	v_add_u32_e32 v2, s26, v2
	v_cmp_le_i32_e32 vcc, s16, v2
	v_add_u32_e32 v1, s54, v1
	s_mov_b64 s[36:37], 0
	s_orn2_b64 s[34:35], vcc, exec
	s_branch .LBB66_129
.LBB66_134:                             ;   in Loop: Header=BB66_7 Depth=1
	s_or_b64 exec, exec, s[28:29]
	s_andn2_b64 s[16:17], s[80:81], exec
	s_and_b64 s[28:29], s[30:31], exec
	v_lshrrev_b32_e32 v38, 16, v13
	s_or_b64 s[80:81], s[16:17], s[28:29]
.LBB66_135:                             ;   in Loop: Header=BB66_7 Depth=1
	s_or_b64 exec, exec, s[24:25]
	s_mov_b64 s[24:25], 0
	s_mov_b64 s[74:75], -1
.LBB66_136:                             ;   in Loop: Header=BB66_7 Depth=1
	s_orn2_b64 s[28:29], s[80:81], exec
.LBB66_137:                             ;   in Loop: Header=BB66_7 Depth=1
	s_or_b64 exec, exec, s[76:77]
	s_mov_b64 s[30:31], 0
	s_and_saveexec_b64 s[76:77], s[28:29]
	s_cbranch_execz .LBB66_226
; %bb.138:                              ;   in Loop: Header=BB66_7 Depth=1
	s_xor_b64 s[16:17], s[78:79], -1
	v_mov_b32_e32 v13, 1
	v_mov_b32_e32 v4, 1
	s_and_saveexec_b64 s[34:35], s[16:17]
	s_cbranch_execz .LBB66_147
; %bb.139:                              ;   in Loop: Header=BB66_7 Depth=1
	v_cmp_ge_i32_e32 vcc, s82, v12
	s_and_saveexec_b64 s[16:17], vcc
	s_xor_b64 s[28:29], exec, s[16:17]
	s_cbranch_execz .LBB66_144
; %bb.140:                              ;   in Loop: Header=BB66_7 Depth=1
	v_and_b32_e32 v1, v28, v6
	v_lshl_or_b32 v28, 1, v32, v1
	ds_read_b32 v1, v7 offset:4096
	v_or_b32_e32 v37, v37, v3
	s_waitcnt lgkmcnt(0)
	v_cmp_ne_u32_e32 vcc, 0, v1
	s_cbranch_vccnz .LBB66_144
; %bb.141:                              ;   in Loop: Header=BB66_7 Depth=1
	s_and_saveexec_b64 s[30:31], s[0:1]
; %bb.142:                              ;   in Loop: Header=BB66_7 Depth=1
	v_mov_b32_e32 v1, s82
	ds_write_b32 v7, v1 offset:4100
; %bb.143:                              ;   in Loop: Header=BB66_7 Depth=1
	s_or_b64 exec, exec, s[30:31]
	s_waitcnt lgkmcnt(0)
	s_barrier
.LBB66_144:                             ;   in Loop: Header=BB66_7 Depth=1
	s_or_saveexec_b64 s[28:29], s[28:29]
	s_mov_b64 s[30:31], 0
	v_mov_b32_e32 v4, 8
	s_xor_b64 exec, exec, s[28:29]
; %bb.145:                              ;   in Loop: Header=BB66_7 Depth=1
	v_subrev_u32_e32 v12, s82, v12
	v_mov_b32_e32 v4, 0
	s_mov_b64 s[30:31], exec
; %bb.146:                              ;   in Loop: Header=BB66_7 Depth=1
	s_or_b64 exec, exec, s[28:29]
	s_and_b64 s[30:31], s[30:31], exec
	v_mov_b32_e32 v13, v12
.LBB66_147:                             ;   in Loop: Header=BB66_7 Depth=1
	s_or_b64 exec, exec, s[34:35]
	s_mov_b64 s[28:29], -1
                                        ; implicit-def: $sgpr80_sgpr81
                                        ; implicit-def: $sgpr82_sgpr83
	s_and_saveexec_b64 s[78:79], s[30:31]
	s_cbranch_execz .LBB66_225
; %bb.148:                              ;   in Loop: Header=BB66_7 Depth=1
	s_cmp_eq_u32 s90, 1
	s_cselect_b64 s[16:17], -1, 0
	v_cmp_eq_u32_e32 vcc, 1, v13
	s_and_b64 s[86:87], s[16:17], vcc
                                        ; implicit-def: $sgpr82_sgpr83
                                        ; implicit-def: $sgpr80_sgpr81
	s_and_saveexec_b64 s[84:85], s[86:87]
	s_cbranch_execz .LBB66_174
; %bb.149:                              ;   in Loop: Header=BB66_7 Depth=1
	ds_read_b32 v1, v7 offset:4096
	s_waitcnt lgkmcnt(0)
	s_barrier
	v_readfirstlane_b32 s91, v1
	s_and_saveexec_b64 s[28:29], s[4:5]
; %bb.150:                              ;   in Loop: Header=BB66_7 Depth=1
	ds_write_b16 v17, v7
; %bb.151:                              ;   in Loop: Header=BB66_7 Depth=1
	s_or_b64 exec, exec, s[28:29]
	v_and_b32_e32 v1, v28, v6
	v_lshl_or_b32 v28, 2, v32, v1
	v_or_b32_e32 v37, v37, v3
	s_mov_b64 s[80:81], -1
	s_mov_b64 s[82:83], 0
	s_cmp_gt_i32 s91, 0
	s_mov_b64 s[88:89], 0
	s_mov_b64 s[34:35], -1
	s_waitcnt lgkmcnt(0)
	s_barrier
                                        ; implicit-def: $vgpr38
	s_cbranch_scc1 .LBB66_162
; %bb.152:                              ;   in Loop: Header=BB66_7 Depth=1
	s_mov_b64 s[34:35], 0
                                        ; implicit-def: $vgpr38
	s_mov_b64 s[46:47], exec
	v_readlane_b32 s16, v44, 40
	v_readlane_b32 s17, v44, 41
	s_and_b64 s[16:17], s[46:47], s[16:17]
	s_mov_b64 exec, s[16:17]
	s_cbranch_execz .LBB66_161
; %bb.153:                              ;   in Loop: Header=BB66_7 Depth=1
	s_mov_b64 s[28:29], 0
	v_mov_b32_e32 v1, v5
	v_mov_b32_e32 v12, v0
                                        ; implicit-def: $sgpr30_sgpr31
	s_branch .LBB66_156
.LBB66_154:                             ;   in Loop: Header=BB66_156 Depth=2
	s_or_b64 exec, exec, s[88:89]
	s_waitcnt lgkmcnt(0)
	s_barrier
	ds_read_b32 v2, v7 offset:3072
	s_mov_b64 s[36:37], -1
	s_mov_b64 s[38:39], -1
	s_waitcnt lgkmcnt(0)
	s_barrier
	v_and_b32_e32 v38, 0x7fff, v2
	v_cmp_ne_u32_e32 vcc, 0, v38
	s_cbranch_vccz .LBB66_159
.LBB66_155:                             ;   in Loop: Header=BB66_156 Depth=2
	s_and_b64 s[16:17], exec, s[36:37]
	s_or_b64 s[28:29], s[16:17], s[28:29]
	s_andn2_b64 s[16:17], s[30:31], exec
	s_and_b64 s[30:31], s[38:39], exec
	s_or_b64 s[30:31], s[16:17], s[30:31]
	s_andn2_b64 exec, exec, s[28:29]
	s_cbranch_execz .LBB66_160
.LBB66_156:                             ;   Parent Loop BB66_7 Depth=1
                                        ; =>  This Inner Loop Header: Depth=2
	v_cmp_gt_i32_e32 vcc, s40, v12
	s_and_saveexec_b64 s[88:89], vcc
	s_cbranch_execz .LBB66_154
; %bb.157:                              ;   in Loop: Header=BB66_156 Depth=2
	v_ashrrev_i32_e32 v2, 31, v1
	v_lshlrev_b64 v[38:39], 1, v[1:2]
	v_mov_b32_e32 v2, s27
	v_add_co_u32_e32 v38, vcc, s42, v38
	v_addc_co_u32_e32 v39, vcc, v2, v39, vcc
	global_load_ushort v2, v[38:39], off
	s_waitcnt vmcnt(0)
	v_cmp_lt_i16_e32 vcc, -1, v2
	v_cndmask_b32_e32 v38, v33, v34, vcc
	v_lshlrev_b32_e32 v39, 16, v2
	v_xor_b32_sdwa v38, v38, v2 dst_sel:DWORD dst_unused:UNUSED_PAD src0_sel:DWORD src1_sel:WORD_0
	v_cmp_o_f32_e32 vcc, v39, v39
	v_cndmask_b32_e32 v38, v33, v38, vcc
	v_and_b32_e32 v38, v38, v37
	v_cmp_eq_u32_e32 vcc, v38, v28
	s_and_b64 exec, exec, vcc
	s_cbranch_execz .LBB66_154
; %bb.158:                              ;   in Loop: Header=BB66_156 Depth=2
	v_perm_b32 v2, v2, s41, v36
	ds_write_b32 v7, v2 offset:3072
	s_branch .LBB66_154
.LBB66_159:                             ;   in Loop: Header=BB66_156 Depth=2
	v_add_u32_e32 v12, s26, v12
	v_cmp_le_i32_e32 vcc, s57, v12
	v_add_u32_e32 v1, s44, v1
	s_mov_b64 s[38:39], 0
	s_orn2_b64 s[36:37], vcc, exec
	s_branch .LBB66_155
.LBB66_160:                             ;   in Loop: Header=BB66_7 Depth=1
	s_or_b64 exec, exec, s[28:29]
	v_lshrrev_b32_e32 v38, 16, v2
	s_and_b64 s[88:89], s[30:31], exec
.LBB66_161:                             ;   in Loop: Header=BB66_7 Depth=1
	s_or_b64 exec, exec, s[46:47]
.LBB66_162:                             ;   in Loop: Header=BB66_7 Depth=1
	s_and_b64 vcc, exec, s[34:35]
	s_cbranch_vccz .LBB66_173
; %bb.163:                              ;   in Loop: Header=BB66_7 Depth=1
	s_add_i32 s16, s91, s33
	s_abs_i32 s28, s16
	s_mul_hi_u32 s29, s28, s56
	s_mul_i32 s29, s29, s26
	s_sub_i32 s28, s28, s29
	s_ashr_i32 s17, s16, 31
	s_sub_i32 s29, s28, s26
	s_cmp_ge_u32 s28, s26
	s_cselect_b32 s28, s29, s28
	s_sub_i32 s29, s28, s26
	s_cmp_ge_u32 s28, s26
	s_cselect_b32 s28, s29, s28
	s_xor_b32 s28, s28, s17
	s_sub_i32 s17, s17, s28
	s_add_i32 s16, s16, s17
	v_cmp_gt_i32_e32 vcc, s16, v0
                                        ; implicit-def: $vgpr38
	s_and_saveexec_b64 s[28:29], vcc
	s_cbranch_execz .LBB66_172
; %bb.164:                              ;   in Loop: Header=BB66_7 Depth=1
	s_mov_b64 s[30:31], 0
	v_mov_b32_e32 v1, v16
	v_mov_b32_e32 v2, v0
                                        ; implicit-def: $sgpr34_sgpr35
	s_branch .LBB66_167
.LBB66_165:                             ;   in Loop: Header=BB66_167 Depth=2
	s_or_b64 exec, exec, s[36:37]
	s_waitcnt lgkmcnt(0)
	s_barrier
	ds_read_b32 v12, v7 offset:3072
	s_mov_b64 s[36:37], -1
	s_mov_b64 s[38:39], -1
	s_waitcnt lgkmcnt(0)
	s_barrier
	v_and_b32_e32 v38, 0x7fff, v12
	v_cmp_eq_u32_e32 vcc, 0, v38
	s_cbranch_vccnz .LBB66_170
.LBB66_166:                             ;   in Loop: Header=BB66_167 Depth=2
	s_and_b64 s[36:37], exec, s[36:37]
	s_or_b64 s[30:31], s[36:37], s[30:31]
	s_andn2_b64 s[34:35], s[34:35], exec
	s_and_b64 s[36:37], s[38:39], exec
	s_or_b64 s[34:35], s[34:35], s[36:37]
	s_andn2_b64 exec, exec, s[30:31]
	s_cbranch_execz .LBB66_171
.LBB66_167:                             ;   Parent Loop BB66_7 Depth=1
                                        ; =>  This Inner Loop Header: Depth=2
	v_cmp_gt_i32_e32 vcc, s91, v2
	s_and_saveexec_b64 s[36:37], vcc
	s_cbranch_execz .LBB66_165
; %bb.168:                              ;   in Loop: Header=BB66_167 Depth=2
	ds_read_u16 v12, v1
	s_waitcnt lgkmcnt(0)
	v_cmp_lt_i16_e32 vcc, -1, v12
	v_cndmask_b32_e32 v38, v33, v34, vcc
	v_lshlrev_b32_e32 v39, 16, v12
	v_cmp_o_f32_e32 vcc, v39, v39
	v_xor_b32_sdwa v38, v38, v12 dst_sel:DWORD dst_unused:UNUSED_PAD src0_sel:DWORD src1_sel:WORD_0
	v_cndmask_b32_e32 v38, v33, v38, vcc
	v_and_b32_e32 v38, v38, v37
	v_cmp_eq_u32_e32 vcc, v38, v28
	s_and_b64 exec, exec, vcc
	s_cbranch_execz .LBB66_165
; %bb.169:                              ;   in Loop: Header=BB66_167 Depth=2
	v_perm_b32 v12, v12, s41, v36
	ds_write_b32 v7, v12 offset:3072
	s_branch .LBB66_165
.LBB66_170:                             ;   in Loop: Header=BB66_167 Depth=2
	v_add_u32_e32 v2, s26, v2
	v_cmp_le_i32_e32 vcc, s16, v2
	v_add_u32_e32 v1, s54, v1
	s_mov_b64 s[38:39], 0
	s_orn2_b64 s[36:37], vcc, exec
	s_branch .LBB66_166
.LBB66_171:                             ;   in Loop: Header=BB66_7 Depth=1
	s_or_b64 exec, exec, s[30:31]
	s_andn2_b64 s[16:17], s[88:89], exec
	s_and_b64 s[30:31], s[34:35], exec
	v_lshrrev_b32_e32 v38, 16, v12
	s_or_b64 s[88:89], s[16:17], s[30:31]
.LBB66_172:                             ;   in Loop: Header=BB66_7 Depth=1
	s_or_b64 exec, exec, s[28:29]
	s_mov_b64 s[80:81], 0
	s_mov_b64 s[82:83], -1
.LBB66_173:                             ;   in Loop: Header=BB66_7 Depth=1
	s_orn2_b64 s[28:29], s[88:89], exec
.LBB66_174:                             ;   in Loop: Header=BB66_7 Depth=1
	s_or_b64 exec, exec, s[84:85]
	s_mov_b64 s[30:31], 0
	s_and_saveexec_b64 s[84:85], s[28:29]
	s_cbranch_execz .LBB66_224
; %bb.175:                              ;   in Loop: Header=BB66_7 Depth=1
	s_xor_b64 s[16:17], s[86:87], -1
	v_mov_b32_e32 v12, 1
	v_mov_b32_e32 v4, 1
	s_and_saveexec_b64 s[34:35], s[16:17]
	s_cbranch_execz .LBB66_184
; %bb.176:                              ;   in Loop: Header=BB66_7 Depth=1
	v_cmp_ge_i32_e32 vcc, s90, v13
	s_and_saveexec_b64 s[16:17], vcc
	s_xor_b64 s[28:29], exec, s[16:17]
	s_cbranch_execz .LBB66_181
; %bb.177:                              ;   in Loop: Header=BB66_7 Depth=1
	v_and_b32_e32 v1, v28, v6
	v_lshl_or_b32 v28, 2, v32, v1
	ds_read_b32 v1, v7 offset:4096
	v_or_b32_e32 v37, v37, v3
	s_waitcnt lgkmcnt(0)
	v_cmp_ne_u32_e32 vcc, 0, v1
	s_cbranch_vccnz .LBB66_181
; %bb.178:                              ;   in Loop: Header=BB66_7 Depth=1
	s_and_saveexec_b64 s[30:31], s[0:1]
; %bb.179:                              ;   in Loop: Header=BB66_7 Depth=1
	v_mov_b32_e32 v1, s90
	ds_write_b32 v7, v1 offset:4100
; %bb.180:                              ;   in Loop: Header=BB66_7 Depth=1
	s_or_b64 exec, exec, s[30:31]
	s_waitcnt lgkmcnt(0)
	s_barrier
.LBB66_181:                             ;   in Loop: Header=BB66_7 Depth=1
	s_or_saveexec_b64 s[28:29], s[28:29]
	s_mov_b64 s[30:31], 0
	v_mov_b32_e32 v4, 8
	s_xor_b64 exec, exec, s[28:29]
; %bb.182:                              ;   in Loop: Header=BB66_7 Depth=1
	v_subrev_u32_e32 v13, s90, v13
	v_mov_b32_e32 v4, 0
	s_mov_b64 s[30:31], exec
; %bb.183:                              ;   in Loop: Header=BB66_7 Depth=1
	s_or_b64 exec, exec, s[28:29]
	s_and_b64 s[30:31], s[30:31], exec
	v_mov_b32_e32 v12, v13
.LBB66_184:                             ;   in Loop: Header=BB66_7 Depth=1
	s_or_b64 exec, exec, s[34:35]
	s_mov_b64 s[28:29], -1
                                        ; implicit-def: $sgpr92_sgpr93
                                        ; implicit-def: $sgpr90_sgpr91
	s_and_saveexec_b64 s[86:87], s[30:31]
	s_cbranch_execz .LBB66_223
; %bb.185:                              ;   in Loop: Header=BB66_7 Depth=1
	s_cmp_eq_u32 s55, 1
	s_cselect_b64 s[16:17], -1, 0
	v_cmp_eq_u32_e32 vcc, 1, v12
	s_and_b64 s[88:89], s[16:17], vcc
                                        ; implicit-def: $sgpr92_sgpr93
                                        ; implicit-def: $sgpr90_sgpr91
	s_and_saveexec_b64 s[94:95], s[88:89]
	s_cbranch_execz .LBB66_211
; %bb.186:                              ;   in Loop: Header=BB66_7 Depth=1
	ds_read_b32 v1, v7 offset:4096
	s_waitcnt lgkmcnt(0)
	s_barrier
	v_readfirstlane_b32 s16, v1
	s_and_saveexec_b64 s[28:29], s[4:5]
; %bb.187:                              ;   in Loop: Header=BB66_7 Depth=1
	ds_write_b16 v17, v7
; %bb.188:                              ;   in Loop: Header=BB66_7 Depth=1
	s_or_b64 exec, exec, s[28:29]
	v_or_b32_e32 v28, v28, v3
	v_or_b32_e32 v37, v37, v3
	s_mov_b64 s[90:91], -1
	s_mov_b64 s[92:93], 0
	s_cmp_gt_i32 s16, 0
	s_mov_b64 s[34:35], 0
	s_mov_b64 s[46:47], -1
	s_waitcnt lgkmcnt(0)
	s_barrier
                                        ; implicit-def: $vgpr38
	s_cbranch_scc1 .LBB66_199
; %bb.189:                              ;   in Loop: Header=BB66_7 Depth=1
	s_mov_b64 s[46:47], 0
                                        ; implicit-def: $vgpr38
	s_mov_b64 s[28:29], exec
	v_readlane_b32 s30, v44, 40
	v_readlane_b32 s31, v44, 41
	s_and_b64 s[30:31], s[28:29], s[30:31]
	s_mov_b64 exec, s[30:31]
	s_cbranch_execz .LBB66_198
; %bb.190:                              ;   in Loop: Header=BB66_7 Depth=1
	s_mov_b64 s[30:31], 0
	v_mov_b32_e32 v1, v5
	v_mov_b32_e32 v6, v0
                                        ; implicit-def: $sgpr34_sgpr35
	s_branch .LBB66_193
.LBB66_191:                             ;   in Loop: Header=BB66_193 Depth=2
	s_or_b64 exec, exec, s[36:37]
	s_waitcnt lgkmcnt(0)
	s_barrier
	ds_read_b32 v2, v7 offset:3072
	s_mov_b64 s[36:37], -1
	s_mov_b64 s[38:39], -1
	s_waitcnt lgkmcnt(0)
	s_barrier
	v_and_b32_e32 v13, 0x7fff, v2
	v_cmp_ne_u32_e32 vcc, 0, v13
	s_cbranch_vccz .LBB66_196
.LBB66_192:                             ;   in Loop: Header=BB66_193 Depth=2
	s_and_b64 s[36:37], exec, s[36:37]
	s_or_b64 s[30:31], s[36:37], s[30:31]
	s_andn2_b64 s[34:35], s[34:35], exec
	s_and_b64 s[36:37], s[38:39], exec
	s_or_b64 s[34:35], s[34:35], s[36:37]
	s_andn2_b64 exec, exec, s[30:31]
	s_cbranch_execz .LBB66_197
.LBB66_193:                             ;   Parent Loop BB66_7 Depth=1
                                        ; =>  This Inner Loop Header: Depth=2
	v_cmp_gt_i32_e32 vcc, s40, v6
	s_and_saveexec_b64 s[36:37], vcc
	s_cbranch_execz .LBB66_191
; %bb.194:                              ;   in Loop: Header=BB66_193 Depth=2
	v_ashrrev_i32_e32 v2, 31, v1
	v_lshlrev_b64 v[38:39], 1, v[1:2]
	v_mov_b32_e32 v2, s27
	v_add_co_u32_e32 v38, vcc, s42, v38
	v_addc_co_u32_e32 v39, vcc, v2, v39, vcc
	global_load_ushort v2, v[38:39], off
	s_waitcnt vmcnt(0)
	v_cmp_lt_i16_e32 vcc, -1, v2
	v_cndmask_b32_e32 v13, v33, v34, vcc
	v_lshlrev_b32_e32 v38, 16, v2
	v_xor_b32_sdwa v13, v13, v2 dst_sel:DWORD dst_unused:UNUSED_PAD src0_sel:DWORD src1_sel:WORD_0
	v_cmp_o_f32_e32 vcc, v38, v38
	v_cndmask_b32_e32 v13, v33, v13, vcc
	v_and_b32_e32 v13, v13, v37
	v_cmp_eq_u32_e32 vcc, v13, v28
	s_and_b64 exec, exec, vcc
	s_cbranch_execz .LBB66_191
; %bb.195:                              ;   in Loop: Header=BB66_193 Depth=2
	v_perm_b32 v2, v2, s41, v36
	ds_write_b32 v7, v2 offset:3072
	s_branch .LBB66_191
.LBB66_196:                             ;   in Loop: Header=BB66_193 Depth=2
	v_add_u32_e32 v6, s26, v6
	v_cmp_le_i32_e32 vcc, s57, v6
	v_add_u32_e32 v1, s44, v1
	s_mov_b64 s[38:39], 0
	s_orn2_b64 s[36:37], vcc, exec
	s_branch .LBB66_192
.LBB66_197:                             ;   in Loop: Header=BB66_7 Depth=1
	s_or_b64 exec, exec, s[30:31]
	v_lshrrev_b32_e32 v38, 16, v2
	s_and_b64 s[34:35], s[34:35], exec
.LBB66_198:                             ;   in Loop: Header=BB66_7 Depth=1
	s_or_b64 exec, exec, s[28:29]
.LBB66_199:                             ;   in Loop: Header=BB66_7 Depth=1
	s_and_b64 vcc, exec, s[46:47]
	s_cbranch_vccz .LBB66_210
; %bb.200:                              ;   in Loop: Header=BB66_7 Depth=1
	s_add_i32 s17, s16, s33
	s_abs_i32 s29, s17
	s_mul_hi_u32 s30, s29, s56
	s_mul_i32 s30, s30, s26
	s_sub_i32 s29, s29, s30
	s_ashr_i32 s28, s17, 31
	s_sub_i32 s30, s29, s26
	s_cmp_ge_u32 s29, s26
	s_cselect_b32 s29, s30, s29
	s_sub_i32 s30, s29, s26
	s_cmp_ge_u32 s29, s26
	s_cselect_b32 s29, s30, s29
	s_xor_b32 s29, s29, s28
	s_sub_i32 s28, s28, s29
	s_add_i32 s17, s17, s28
	v_cmp_gt_i32_e32 vcc, s17, v0
                                        ; implicit-def: $vgpr38
	s_and_saveexec_b64 s[28:29], vcc
	s_cbranch_execz .LBB66_209
; %bb.201:                              ;   in Loop: Header=BB66_7 Depth=1
	s_mov_b64 s[30:31], 0
	v_mov_b32_e32 v1, v16
	v_mov_b32_e32 v2, v0
                                        ; implicit-def: $sgpr46_sgpr47
	s_branch .LBB66_204
.LBB66_202:                             ;   in Loop: Header=BB66_204 Depth=2
	s_or_b64 exec, exec, s[36:37]
	s_waitcnt lgkmcnt(0)
	s_barrier
	ds_read_b32 v6, v7 offset:3072
	s_mov_b64 s[36:37], -1
	s_mov_b64 s[38:39], -1
	s_waitcnt lgkmcnt(0)
	s_barrier
	v_and_b32_e32 v13, 0x7fff, v6
	v_cmp_eq_u32_e32 vcc, 0, v13
	s_cbranch_vccnz .LBB66_207
.LBB66_203:                             ;   in Loop: Header=BB66_204 Depth=2
	s_and_b64 s[36:37], exec, s[36:37]
	s_or_b64 s[30:31], s[36:37], s[30:31]
	s_andn2_b64 s[36:37], s[46:47], exec
	s_and_b64 s[38:39], s[38:39], exec
	s_or_b64 s[46:47], s[36:37], s[38:39]
	s_andn2_b64 exec, exec, s[30:31]
	s_cbranch_execz .LBB66_208
.LBB66_204:                             ;   Parent Loop BB66_7 Depth=1
                                        ; =>  This Inner Loop Header: Depth=2
	v_cmp_gt_i32_e32 vcc, s16, v2
	s_and_saveexec_b64 s[36:37], vcc
	s_cbranch_execz .LBB66_202
; %bb.205:                              ;   in Loop: Header=BB66_204 Depth=2
	ds_read_u16 v6, v1
	s_waitcnt lgkmcnt(0)
	v_cmp_lt_i16_e32 vcc, -1, v6
	v_cndmask_b32_e32 v13, v33, v34, vcc
	v_lshlrev_b32_e32 v38, 16, v6
	v_cmp_o_f32_e32 vcc, v38, v38
	v_xor_b32_sdwa v13, v13, v6 dst_sel:DWORD dst_unused:UNUSED_PAD src0_sel:DWORD src1_sel:WORD_0
	v_cndmask_b32_e32 v13, v33, v13, vcc
	v_and_b32_e32 v13, v13, v37
	v_cmp_eq_u32_e32 vcc, v13, v28
	s_and_b64 exec, exec, vcc
	s_cbranch_execz .LBB66_202
; %bb.206:                              ;   in Loop: Header=BB66_204 Depth=2
	v_perm_b32 v6, v6, s41, v36
	ds_write_b32 v7, v6 offset:3072
	s_branch .LBB66_202
.LBB66_207:                             ;   in Loop: Header=BB66_204 Depth=2
	v_add_u32_e32 v2, s26, v2
	v_cmp_le_i32_e32 vcc, s17, v2
	v_add_u32_e32 v1, s54, v1
	s_mov_b64 s[38:39], 0
	s_orn2_b64 s[36:37], vcc, exec
	s_branch .LBB66_203
.LBB66_208:                             ;   in Loop: Header=BB66_7 Depth=1
	s_or_b64 exec, exec, s[30:31]
	s_andn2_b64 s[16:17], s[34:35], exec
	s_and_b64 s[30:31], s[46:47], exec
	v_lshrrev_b32_e32 v38, 16, v6
	s_or_b64 s[34:35], s[16:17], s[30:31]
.LBB66_209:                             ;   in Loop: Header=BB66_7 Depth=1
	s_or_b64 exec, exec, s[28:29]
	s_mov_b64 s[90:91], 0
	s_mov_b64 s[92:93], -1
.LBB66_210:                             ;   in Loop: Header=BB66_7 Depth=1
	s_orn2_b64 s[28:29], s[34:35], exec
.LBB66_211:                             ;   in Loop: Header=BB66_7 Depth=1
	s_or_b64 exec, exec, s[94:95]
	s_mov_b64 s[30:31], 0
	s_and_saveexec_b64 s[34:35], s[28:29]
	s_cbranch_execz .LBB66_222
; %bb.212:                              ;   in Loop: Header=BB66_7 Depth=1
	s_xor_b64 s[16:17], s[88:89], -1
	v_mov_b32_e32 v4, 1
	v_mov_b32_e32 v1, 1
	s_and_saveexec_b64 s[28:29], s[16:17]
	s_cbranch_execz .LBB66_221
; %bb.213:                              ;   in Loop: Header=BB66_7 Depth=1
	v_cmp_ge_i32_e32 vcc, s55, v12
	s_and_saveexec_b64 s[16:17], vcc
	s_xor_b64 s[30:31], exec, s[16:17]
	s_cbranch_execz .LBB66_218
; %bb.214:                              ;   in Loop: Header=BB66_7 Depth=1
	ds_read_b32 v1, v7 offset:4096
	v_or_b32_e32 v28, v28, v3
	v_or_b32_e32 v37, v37, v3
	s_waitcnt lgkmcnt(0)
	v_cmp_ne_u32_e32 vcc, 0, v1
	s_cbranch_vccnz .LBB66_218
; %bb.215:                              ;   in Loop: Header=BB66_7 Depth=1
	s_and_saveexec_b64 s[36:37], s[0:1]
; %bb.216:                              ;   in Loop: Header=BB66_7 Depth=1
	v_mov_b32_e32 v1, s55
	ds_write_b32 v7, v1 offset:4100
; %bb.217:                              ;   in Loop: Header=BB66_7 Depth=1
	s_or_b64 exec, exec, s[36:37]
	s_waitcnt lgkmcnt(0)
	s_barrier
.LBB66_218:                             ;   in Loop: Header=BB66_7 Depth=1
	s_andn2_saveexec_b64 s[30:31], s[30:31]
; %bb.219:                              ;   in Loop: Header=BB66_7 Depth=1
	v_subrev_u32_e32 v12, s55, v12
; %bb.220:                              ;   in Loop: Header=BB66_7 Depth=1
	s_or_b64 exec, exec, s[30:31]
	v_mov_b32_e32 v4, 8
	v_mov_b32_e32 v1, v12
.LBB66_221:                             ;   in Loop: Header=BB66_7 Depth=1
	s_or_b64 exec, exec, s[28:29]
	s_mov_b64 s[30:31], exec
	v_mov_b32_e32 v12, v1
.LBB66_222:                             ;   in Loop: Header=BB66_7 Depth=1
	s_or_b64 exec, exec, s[34:35]
	s_orn2_b64 s[28:29], s[30:31], exec
.LBB66_223:                             ;   in Loop: Header=BB66_7 Depth=1
	s_or_b64 exec, exec, s[86:87]
	s_andn2_b64 s[16:17], s[82:83], exec
	s_and_b64 s[30:31], s[92:93], exec
	s_or_b64 s[82:83], s[16:17], s[30:31]
	s_andn2_b64 s[16:17], s[80:81], exec
	s_and_b64 s[30:31], s[90:91], exec
	s_or_b64 s[80:81], s[16:17], s[30:31]
	s_and_b64 s[30:31], s[28:29], exec
	v_mov_b32_e32 v13, v12
.LBB66_224:                             ;   in Loop: Header=BB66_7 Depth=1
	s_or_b64 exec, exec, s[84:85]
	s_orn2_b64 s[28:29], s[30:31], exec
.LBB66_225:                             ;   in Loop: Header=BB66_7 Depth=1
	s_or_b64 exec, exec, s[78:79]
	s_andn2_b64 s[16:17], s[74:75], exec
	s_and_b64 s[30:31], s[82:83], exec
	s_or_b64 s[74:75], s[16:17], s[30:31]
	s_andn2_b64 s[16:17], s[24:25], exec
	s_and_b64 s[24:25], s[80:81], exec
	s_or_b64 s[24:25], s[16:17], s[24:25]
	s_and_b64 s[30:31], s[28:29], exec
	v_mov_b32_e32 v12, v13
.LBB66_226:                             ;   in Loop: Header=BB66_7 Depth=1
	s_or_b64 exec, exec, s[76:77]
	s_orn2_b64 s[28:29], s[30:31], exec
.LBB66_227:                             ;   in Loop: Header=BB66_7 Depth=1
	s_or_b64 exec, exec, s[22:23]
	s_mov_b64 s[30:31], 0
                                        ; implicit-def: $sgpr16
	s_and_saveexec_b64 s[22:23], s[28:29]
	s_xor_b64 s[22:23], exec, s[22:23]
	s_cbranch_execz .LBB66_5
; %bb.228:                              ;   in Loop: Header=BB66_7 Depth=1
	v_and_b32_e32 v1, 7, v4
	v_cmp_eq_u32_e32 vcc, 0, v1
	s_mov_b64 s[20:21], -1
	s_mov_b64 s[28:29], -1
                                        ; implicit-def: $sgpr16
	s_and_saveexec_b64 s[30:31], vcc
	s_cbranch_execz .LBB66_4
; %bb.229:                              ;   in Loop: Header=BB66_7 Depth=1
	v_add_u32_e32 v1, -2, v32
	v_cmp_eq_u32_e32 vcc, 0, v32
	s_xor_b32 s16, s18, 1
	s_xor_b64 s[28:29], exec, -1
	s_orn2_b64 s[20:21], vcc, exec
	v_mov_b32_e32 v32, v1
	s_branch .LBB66_4
.LBB66_230:
	s_or_b64 exec, exec, s[60:61]
	s_xor_b64 s[6:7], s[66:67], -1
	s_xor_b64 s[4:5], s[62:63], -1
	;; [unrolled: 1-line block ×3, first 2 shown]
	s_mov_b64 s[2:3], 0
	s_and_saveexec_b64 s[10:11], s[4:5]
	s_xor_b64 s[4:5], exec, s[10:11]
	s_cbranch_execnz .LBB66_235
; %bb.231:
	s_andn2_saveexec_b64 s[0:1], s[4:5]
	s_cbranch_execnz .LBB66_255
.LBB66_232:
	s_or_b64 exec, exec, s[0:1]
	s_and_saveexec_b64 s[0:1], s[2:3]
.LBB66_233:
	; divergent unreachable
.LBB66_234:
	s_endpgm
.LBB66_235:
	s_and_saveexec_b64 s[2:3], s[6:7]
	s_xor_b64 s[6:7], exec, s[2:3]
	s_cbranch_execz .LBB66_253
; %bb.236:
	s_and_saveexec_b64 s[2:3], s[8:9]
	s_xor_b64 s[2:3], exec, s[2:3]
; %bb.237:
	v_and_b32_e32 v1, 0x8000, v28
	v_mov_b32_e32 v2, 0x8000
	v_mov_b32_e32 v3, 0xffff
	v_cmp_eq_u32_e32 vcc, 0, v1
	v_cndmask_b32_e32 v1, v2, v3, vcc
	v_xor_b32_e32 v38, v1, v28
; %bb.238:
	s_or_b64 exec, exec, s[2:3]
	s_and_saveexec_b64 s[2:3], s[0:1]
	v_readlane_b32 s24, v44, 20
	v_readlane_b32 s28, v44, 25
	;; [unrolled: 1-line block ×7, first 2 shown]
; %bb.239:
	v_mov_b32_e32 v1, 0
	v_mov_b32_e32 v2, s40
	ds_write_b32 v1, v2 offset:4108
; %bb.240:
	s_or_b64 exec, exec, s[2:3]
	v_mov_b32_e32 v1, 0
	s_waitcnt lgkmcnt(0)
	s_barrier
	ds_read_b32 v1, v1 offset:4108
	s_waitcnt lgkmcnt(0)
	v_min_i32_e32 v1, s40, v1
	v_cmp_lt_i32_e32 vcc, v0, v1
	s_and_saveexec_b64 s[8:9], vcc
	s_cbranch_execz .LBB66_250
; %bb.241:
	v_lshlrev_b32_e32 v3, 16, v38
	v_cmp_u_f32_e32 vcc, v3, v3
	s_mov_b64 s[10:11], 0
	v_mov_b32_e32 v4, s27
	s_xor_b64 s[14:15], vcc, -1
                                        ; implicit-def: $sgpr12_sgpr13
                                        ; implicit-def: $sgpr18_sgpr19
                                        ; implicit-def: $sgpr16_sgpr17
	s_branch .LBB66_243
.LBB66_242:                             ;   in Loop: Header=BB66_243 Depth=1
	s_or_b64 exec, exec, s[2:3]
	s_and_b64 s[2:3], exec, s[18:19]
	s_or_b64 s[10:11], s[2:3], s[10:11]
	s_andn2_b64 s[2:3], s[12:13], exec
	s_and_b64 s[12:13], s[16:17], exec
	s_or_b64 s[12:13], s[2:3], s[12:13]
	s_andn2_b64 exec, exec, s[10:11]
	s_cbranch_execz .LBB66_245
.LBB66_243:                             ; =>This Inner Loop Header: Depth=1
	v_ashrrev_i32_e32 v6, 31, v5
	v_lshlrev_b64 v[6:7], 1, v[5:6]
	v_mov_b32_e32 v2, v0
	v_add_co_u32_e32 v6, vcc, s42, v6
	v_addc_co_u32_e32 v7, vcc, v4, v7, vcc
	global_load_ushort v6, v[6:7], off
	s_or_b64 s[16:17], s[16:17], exec
	s_or_b64 s[18:19], s[18:19], exec
	s_waitcnt vmcnt(0)
	v_lshlrev_b32_e32 v0, 16, v6
	v_cmp_o_f32_e64 s[2:3], v0, v0
	v_cmp_neq_f32_e32 vcc, v0, v3
	s_or_b64 s[2:3], s[14:15], s[2:3]
	s_and_b64 s[20:21], vcc, s[2:3]
                                        ; implicit-def: $vgpr0
	s_and_saveexec_b64 s[2:3], s[20:21]
	s_cbranch_execz .LBB66_242
; %bb.244:                              ;   in Loop: Header=BB66_243 Depth=1
	v_add_u32_e32 v0, s26, v2
	v_cmp_ge_i32_e32 vcc, v0, v1
	s_andn2_b64 s[18:19], s[18:19], exec
	s_and_b64 s[20:21], vcc, exec
	v_add_u32_e32 v5, s44, v5
	s_andn2_b64 s[16:17], s[16:17], exec
	s_or_b64 s[18:19], s[18:19], s[20:21]
	s_branch .LBB66_242
.LBB66_245:
	s_or_b64 exec, exec, s[10:11]
	s_and_saveexec_b64 s[2:3], s[12:13]
	s_xor_b64 s[2:3], exec, s[2:3]
	s_cbranch_execz .LBB66_250
; %bb.246:
	s_mov_b64 s[2:3], exec
	s_brev_b32 s10, -2
.LBB66_247:                             ; =>This Inner Loop Header: Depth=1
	s_ff1_i32_b64 s11, s[2:3]
	v_readlane_b32 s14, v2, s11
	s_lshl_b64 s[12:13], 1, s11
	s_min_i32 s10, s10, s14
	s_andn2_b64 s[2:3], s[2:3], s[12:13]
	s_cmp_lg_u64 s[2:3], 0
	s_cbranch_scc1 .LBB66_247
; %bb.248:
	v_mbcnt_lo_u32_b32 v0, exec_lo, 0
	v_mbcnt_hi_u32_b32 v0, exec_hi, v0
	v_cmp_eq_u32_e32 vcc, 0, v0
	s_and_saveexec_b64 s[2:3], vcc
	s_xor_b64 s[2:3], exec, s[2:3]
; %bb.249:
	v_mov_b32_e32 v0, 0
	v_mov_b32_e32 v1, s10
	ds_min_i32 v0, v1 offset:4108
.LBB66_250:
	s_or_b64 exec, exec, s[8:9]
	s_waitcnt lgkmcnt(0)
	s_barrier
	s_and_saveexec_b64 s[2:3], s[0:1]
	s_cbranch_execz .LBB66_252
; %bb.251:
	v_readlane_b32 s8, v44, 0
	s_mul_i32 s0, s23, s25
	v_readlane_b32 s10, v44, 2
	s_sub_i32 s0, s22, s0
	v_readlane_b32 s9, v44, 1
	v_readlane_b32 s11, v44, 3
	s_mov_b32 s14, s10
	s_mov_b64 s[12:13], s[8:9]
	s_mul_i32 s0, s0, s14
	v_readlane_b32 s1, v44, 19
	v_readlane_b32 s8, v44, 22
	;; [unrolled: 1-line block ×4, first 2 shown]
	s_xor_b32 s1, s1, s8
	s_mul_i32 s8, s14, s11
	v_readlane_b32 s9, v44, 13
	s_sub_i32 s8, s9, s8
	s_add_i32 s9, s14, 1
	s_sub_i32 s10, s8, s11
	s_cmp_ge_u32 s8, s11
	s_cselect_b32 s9, s9, s14
	s_cselect_b32 s8, s10, s8
	s_add_i32 s10, s9, 1
	s_cmp_ge_u32 s8, s11
	s_cselect_b32 s8, s10, s9
	s_xor_b32 s8, s8, s1
	s_sub_i32 s1, s8, s1
	s_mul_i32 s8, s1, s24
	s_sub_i32 s8, s23, s8
	s_mul_i32 s8, s8, s13
	s_add_i32 s0, s8, s0
	s_mul_i32 s1, s1, s12
	v_readlane_b32 s8, v44, 4
	s_add_i32 s0, s0, s1
	s_mul_i32 s1, s30, s29
	v_readlane_b32 s10, v44, 6
	s_sub_i32 s1, s22, s1
	v_readlane_b32 s9, v44, 5
	s_mov_b32 s14, s10
	s_mov_b64 s[12:13], s[8:9]
	s_mul_i32 s1, s1, s14
	v_readlane_b32 s8, v44, 24
	v_readlane_b32 s9, v44, 27
	;; [unrolled: 1-line block ×4, first 2 shown]
	s_xor_b32 s8, s8, s9
	s_mul_i32 s9, s15, s14
	v_readlane_b32 s10, v44, 16
	v_readlane_b32 s11, v44, 7
	s_sub_i32 s9, s10, s9
	s_add_i32 s10, s15, 1
	s_sub_i32 s11, s9, s14
	s_cmp_ge_u32 s9, s14
	s_cselect_b32 s10, s10, s15
	s_cselect_b32 s9, s11, s9
	s_add_i32 s11, s10, 1
	s_cmp_ge_u32 s9, s14
	s_cselect_b32 s9, s11, s10
	s_xor_b32 s9, s9, s8
	s_sub_i32 s8, s9, s8
	s_mul_i32 s9, s8, s28
	s_sub_i32 s9, s30, s9
	s_mul_i32 s9, s9, s13
	s_add_i32 s1, s9, s1
	s_mul_i32 s8, s8, s12
	s_add_i32 s8, s1, s8
	s_ashr_i32 s1, s0, 31
	v_mov_b32_e32 v2, 0
	s_lshl_b64 s[0:1], s[0:1], 1
	v_readlane_b32 s10, v44, 11
	ds_read_b32 v0, v2 offset:4108
	v_readlane_b32 s11, v44, 12
	s_add_u32 s0, s10, s0
	s_addc_u32 s1, s11, s1
	s_ashr_i32 s9, s8, 31
	s_lshl_b64 s[8:9], s[8:9], 3
	v_readlane_b32 s10, v44, 8
	v_readlane_b32 s11, v44, 9
	s_add_u32 s8, s10, s8
	s_addc_u32 s9, s11, s9
	s_waitcnt lgkmcnt(0)
	v_ashrrev_i32_e32 v1, 31, v0
	global_store_dwordx2 v2, v[0:1], s[8:9]
	global_store_short v2, v38, s[0:1]
.LBB66_252:
	s_or_b64 exec, exec, s[2:3]
.LBB66_253:
	s_or_saveexec_b64 s[0:1], s[6:7]
	s_mov_b64 s[2:3], 0
	s_xor_b64 exec, exec, s[0:1]
	s_cbranch_execnz .LBB66_256
.LBB66_254:
	s_or_b64 exec, exec, s[0:1]
	s_and_b64 s[2:3], s[2:3], exec
	s_andn2_saveexec_b64 s[0:1], s[4:5]
	s_cbranch_execz .LBB66_232
.LBB66_255:
	s_or_b64 s[2:3], s[2:3], exec
	s_trap 2
	s_or_b64 exec, exec, s[0:1]
	s_and_saveexec_b64 s[0:1], s[2:3]
	s_cbranch_execnz .LBB66_233
	s_branch .LBB66_234
.LBB66_256:
	s_mov_b64 s[2:3], exec
	s_trap 2
	s_branch .LBB66_254
	.section	.rodata,"a",@progbits
	.p2align	6, 0x0
	.amdhsa_kernel _ZN2at6native12_GLOBAL__N_114gatherKthValueIN3c108BFloat16EiLi3EEEvNS_4cuda6detail10TensorInfoIKT_T0_EESA_SA_SA_SA_NS7_IS8_SA_EENS7_IlSA_EE
		.amdhsa_group_segment_fixed_size 4112
		.amdhsa_private_segment_fixed_size 0
		.amdhsa_kernarg_size 920
		.amdhsa_user_sgpr_count 6
		.amdhsa_user_sgpr_private_segment_buffer 1
		.amdhsa_user_sgpr_dispatch_ptr 0
		.amdhsa_user_sgpr_queue_ptr 0
		.amdhsa_user_sgpr_kernarg_segment_ptr 1
		.amdhsa_user_sgpr_dispatch_id 0
		.amdhsa_user_sgpr_flat_scratch_init 0
		.amdhsa_user_sgpr_private_segment_size 0
		.amdhsa_uses_dynamic_stack 0
		.amdhsa_system_sgpr_private_segment_wavefront_offset 0
		.amdhsa_system_sgpr_workgroup_id_x 1
		.amdhsa_system_sgpr_workgroup_id_y 1
		.amdhsa_system_sgpr_workgroup_id_z 1
		.amdhsa_system_sgpr_workgroup_info 0
		.amdhsa_system_vgpr_workitem_id 0
		.amdhsa_next_free_vgpr 45
		.amdhsa_next_free_sgpr 96
		.amdhsa_reserve_vcc 1
		.amdhsa_reserve_flat_scratch 0
		.amdhsa_float_round_mode_32 0
		.amdhsa_float_round_mode_16_64 0
		.amdhsa_float_denorm_mode_32 3
		.amdhsa_float_denorm_mode_16_64 3
		.amdhsa_dx10_clamp 1
		.amdhsa_ieee_mode 1
		.amdhsa_fp16_overflow 0
		.amdhsa_exception_fp_ieee_invalid_op 0
		.amdhsa_exception_fp_denorm_src 0
		.amdhsa_exception_fp_ieee_div_zero 0
		.amdhsa_exception_fp_ieee_overflow 0
		.amdhsa_exception_fp_ieee_underflow 0
		.amdhsa_exception_fp_ieee_inexact 0
		.amdhsa_exception_int_div_zero 0
	.end_amdhsa_kernel
	.section	.text._ZN2at6native12_GLOBAL__N_114gatherKthValueIN3c108BFloat16EiLi3EEEvNS_4cuda6detail10TensorInfoIKT_T0_EESA_SA_SA_SA_NS7_IS8_SA_EENS7_IlSA_EE,"axG",@progbits,_ZN2at6native12_GLOBAL__N_114gatherKthValueIN3c108BFloat16EiLi3EEEvNS_4cuda6detail10TensorInfoIKT_T0_EESA_SA_SA_SA_NS7_IS8_SA_EENS7_IlSA_EE,comdat
.Lfunc_end66:
	.size	_ZN2at6native12_GLOBAL__N_114gatherKthValueIN3c108BFloat16EiLi3EEEvNS_4cuda6detail10TensorInfoIKT_T0_EESA_SA_SA_SA_NS7_IS8_SA_EENS7_IlSA_EE, .Lfunc_end66-_ZN2at6native12_GLOBAL__N_114gatherKthValueIN3c108BFloat16EiLi3EEEvNS_4cuda6detail10TensorInfoIKT_T0_EESA_SA_SA_SA_NS7_IS8_SA_EENS7_IlSA_EE
                                        ; -- End function
	.set _ZN2at6native12_GLOBAL__N_114gatherKthValueIN3c108BFloat16EiLi3EEEvNS_4cuda6detail10TensorInfoIKT_T0_EESA_SA_SA_SA_NS7_IS8_SA_EENS7_IlSA_EE.num_vgpr, 45
	.set _ZN2at6native12_GLOBAL__N_114gatherKthValueIN3c108BFloat16EiLi3EEEvNS_4cuda6detail10TensorInfoIKT_T0_EESA_SA_SA_SA_NS7_IS8_SA_EENS7_IlSA_EE.num_agpr, 0
	.set _ZN2at6native12_GLOBAL__N_114gatherKthValueIN3c108BFloat16EiLi3EEEvNS_4cuda6detail10TensorInfoIKT_T0_EESA_SA_SA_SA_NS7_IS8_SA_EENS7_IlSA_EE.numbered_sgpr, 96
	.set _ZN2at6native12_GLOBAL__N_114gatherKthValueIN3c108BFloat16EiLi3EEEvNS_4cuda6detail10TensorInfoIKT_T0_EESA_SA_SA_SA_NS7_IS8_SA_EENS7_IlSA_EE.num_named_barrier, 0
	.set _ZN2at6native12_GLOBAL__N_114gatherKthValueIN3c108BFloat16EiLi3EEEvNS_4cuda6detail10TensorInfoIKT_T0_EESA_SA_SA_SA_NS7_IS8_SA_EENS7_IlSA_EE.private_seg_size, 0
	.set _ZN2at6native12_GLOBAL__N_114gatherKthValueIN3c108BFloat16EiLi3EEEvNS_4cuda6detail10TensorInfoIKT_T0_EESA_SA_SA_SA_NS7_IS8_SA_EENS7_IlSA_EE.uses_vcc, 1
	.set _ZN2at6native12_GLOBAL__N_114gatherKthValueIN3c108BFloat16EiLi3EEEvNS_4cuda6detail10TensorInfoIKT_T0_EESA_SA_SA_SA_NS7_IS8_SA_EENS7_IlSA_EE.uses_flat_scratch, 0
	.set _ZN2at6native12_GLOBAL__N_114gatherKthValueIN3c108BFloat16EiLi3EEEvNS_4cuda6detail10TensorInfoIKT_T0_EESA_SA_SA_SA_NS7_IS8_SA_EENS7_IlSA_EE.has_dyn_sized_stack, 0
	.set _ZN2at6native12_GLOBAL__N_114gatherKthValueIN3c108BFloat16EiLi3EEEvNS_4cuda6detail10TensorInfoIKT_T0_EESA_SA_SA_SA_NS7_IS8_SA_EENS7_IlSA_EE.has_recursion, 0
	.set _ZN2at6native12_GLOBAL__N_114gatherKthValueIN3c108BFloat16EiLi3EEEvNS_4cuda6detail10TensorInfoIKT_T0_EESA_SA_SA_SA_NS7_IS8_SA_EENS7_IlSA_EE.has_indirect_call, 0
	.section	.AMDGPU.csdata,"",@progbits
; Kernel info:
; codeLenInByte = 10412
; TotalNumSgprs: 100
; NumVgprs: 45
; ScratchSize: 0
; MemoryBound: 0
; FloatMode: 240
; IeeeMode: 1
; LDSByteSize: 4112 bytes/workgroup (compile time only)
; SGPRBlocks: 12
; VGPRBlocks: 11
; NumSGPRsForWavesPerEU: 100
; NumVGPRsForWavesPerEU: 45
; Occupancy: 5
; WaveLimiterHint : 1
; COMPUTE_PGM_RSRC2:SCRATCH_EN: 0
; COMPUTE_PGM_RSRC2:USER_SGPR: 6
; COMPUTE_PGM_RSRC2:TRAP_HANDLER: 0
; COMPUTE_PGM_RSRC2:TGID_X_EN: 1
; COMPUTE_PGM_RSRC2:TGID_Y_EN: 1
; COMPUTE_PGM_RSRC2:TGID_Z_EN: 1
; COMPUTE_PGM_RSRC2:TIDIG_COMP_CNT: 0
	.section	.text._ZN2at6native12_GLOBAL__N_114gatherKthValueIN3c108BFloat16EiLin1EEEvNS_4cuda6detail10TensorInfoIKT_T0_EESA_SA_SA_SA_NS7_IS8_SA_EENS7_IlSA_EE,"axG",@progbits,_ZN2at6native12_GLOBAL__N_114gatherKthValueIN3c108BFloat16EiLin1EEEvNS_4cuda6detail10TensorInfoIKT_T0_EESA_SA_SA_SA_NS7_IS8_SA_EENS7_IlSA_EE,comdat
	.globl	_ZN2at6native12_GLOBAL__N_114gatherKthValueIN3c108BFloat16EiLin1EEEvNS_4cuda6detail10TensorInfoIKT_T0_EESA_SA_SA_SA_NS7_IS8_SA_EENS7_IlSA_EE ; -- Begin function _ZN2at6native12_GLOBAL__N_114gatherKthValueIN3c108BFloat16EiLin1EEEvNS_4cuda6detail10TensorInfoIKT_T0_EESA_SA_SA_SA_NS7_IS8_SA_EENS7_IlSA_EE
	.p2align	8
	.type	_ZN2at6native12_GLOBAL__N_114gatherKthValueIN3c108BFloat16EiLin1EEEvNS_4cuda6detail10TensorInfoIKT_T0_EESA_SA_SA_SA_NS7_IS8_SA_EENS7_IlSA_EE,@function
_ZN2at6native12_GLOBAL__N_114gatherKthValueIN3c108BFloat16EiLin1EEEvNS_4cuda6detail10TensorInfoIKT_T0_EESA_SA_SA_SA_NS7_IS8_SA_EENS7_IlSA_EE: ; @_ZN2at6native12_GLOBAL__N_114gatherKthValueIN3c108BFloat16EiLin1EEEvNS_4cuda6detail10TensorInfoIKT_T0_EESA_SA_SA_SA_NS7_IS8_SA_EENS7_IlSA_EE
; %bb.0:
	s_load_dwordx2 s[12:13], s[4:5], 0x298
	s_load_dwordx4 s[28:31], s[4:5], 0xd8
	s_add_u32 s10, s4, 0x298
	s_addc_u32 s11, s5, 0
	s_waitcnt lgkmcnt(0)
	s_mul_i32 s0, s13, s8
	s_add_i32 s0, s0, s7
	s_mul_i32 s0, s0, s12
	s_add_i32 s33, s0, s6
	s_cmp_ge_i32 s33, s30
	s_cbranch_scc1 .LBB67_243
; %bb.1:
	s_load_dword s0, s[4:5], 0xd0
	s_mov_b32 s3, 0
	s_mov_b32 s2, s33
	s_waitcnt lgkmcnt(0)
	s_cmp_lt_i32 s0, 2
	s_cbranch_scc1 .LBB67_4
; %bb.2:
	s_add_i32 s2, s0, -1
	s_add_i32 s7, s0, 1
	s_lshl_b64 s[0:1], s[2:3], 2
	s_add_u32 s0, s4, s0
	s_addc_u32 s1, s5, s1
	s_add_u32 s0, s0, 8
	s_addc_u32 s1, s1, 0
	s_mov_b32 s2, s33
.LBB67_3:                               ; =>This Inner Loop Header: Depth=1
	s_load_dword s8, s[0:1], 0x0
	s_load_dword s13, s[0:1], 0x64
	s_mov_b32 s9, s2
	s_abs_i32 s2, s2
	s_waitcnt lgkmcnt(0)
	s_abs_i32 s15, s8
	v_cvt_f32_u32_e32 v1, s15
	s_sub_i32 s16, 0, s15
	s_xor_b32 s14, s9, s8
	s_ashr_i32 s14, s14, 31
	v_rcp_iflag_f32_e32 v1, v1
	v_mul_f32_e32 v1, 0x4f7ffffe, v1
	v_cvt_u32_f32_e32 v1, v1
	v_readfirstlane_b32 s17, v1
	s_mul_i32 s16, s16, s17
	s_mul_hi_u32 s16, s17, s16
	s_add_i32 s17, s17, s16
	s_mul_hi_u32 s16, s2, s17
	s_mul_i32 s17, s16, s15
	s_sub_i32 s2, s2, s17
	s_add_i32 s18, s16, 1
	s_sub_i32 s17, s2, s15
	s_cmp_ge_u32 s2, s15
	s_cselect_b32 s16, s18, s16
	s_cselect_b32 s2, s17, s2
	s_add_i32 s17, s16, 1
	s_cmp_ge_u32 s2, s15
	s_cselect_b32 s2, s17, s16
	s_xor_b32 s2, s2, s14
	s_sub_i32 s2, s2, s14
	s_mul_i32 s8, s2, s8
	s_sub_i32 s8, s9, s8
	s_mul_i32 s8, s13, s8
	s_add_i32 s7, s7, -1
	s_add_i32 s3, s8, s3
	s_add_u32 s0, s0, -4
	s_addc_u32 s1, s1, -1
	s_cmp_gt_u32 s7, 2
	s_cbranch_scc1 .LBB67_3
.LBB67_4:
	s_load_dword s8, s[4:5], 0x1b8
	s_add_u32 s0, s4, 0xe8
	s_addc_u32 s1, s5, 0
	s_mov_b32 s35, 0
	s_mov_b32 s30, s33
	s_waitcnt lgkmcnt(0)
	s_cmp_lt_i32 s8, 2
	s_cbranch_scc1 .LBB67_7
; %bb.5:
	s_add_i32 s34, s8, -1
	s_add_i32 s7, s8, 1
	s_lshl_b64 s[8:9], s[34:35], 2
	s_add_u32 s8, s0, s8
	s_addc_u32 s9, s1, s9
	s_add_u32 s8, s8, 8
	s_addc_u32 s9, s9, 0
	s_mov_b32 s30, s33
.LBB67_6:                               ; =>This Inner Loop Header: Depth=1
	s_load_dword s13, s[8:9], 0x0
	s_load_dword s15, s[8:9], 0x64
	s_abs_i32 s16, s30
	s_mov_b32 s14, s30
	s_waitcnt lgkmcnt(0)
	s_abs_i32 s18, s13
	v_cvt_f32_u32_e32 v1, s18
	s_sub_i32 s19, 0, s18
	s_xor_b32 s17, s30, s13
	s_ashr_i32 s17, s17, 31
	v_rcp_iflag_f32_e32 v1, v1
	v_mul_f32_e32 v1, 0x4f7ffffe, v1
	v_cvt_u32_f32_e32 v1, v1
	v_readfirstlane_b32 s20, v1
	s_mul_i32 s19, s19, s20
	s_mul_hi_u32 s19, s20, s19
	s_add_i32 s20, s20, s19
	s_mul_hi_u32 s19, s16, s20
	s_mul_i32 s20, s19, s18
	s_sub_i32 s16, s16, s20
	s_add_i32 s21, s19, 1
	s_sub_i32 s20, s16, s18
	s_cmp_ge_u32 s16, s18
	s_cselect_b32 s19, s21, s19
	s_cselect_b32 s16, s20, s16
	s_add_i32 s20, s19, 1
	s_cmp_ge_u32 s16, s18
	s_cselect_b32 s16, s20, s19
	s_xor_b32 s16, s16, s17
	s_sub_i32 s30, s16, s17
	s_mul_i32 s13, s30, s13
	s_sub_i32 s13, s14, s13
	s_mul_i32 s13, s15, s13
	s_add_i32 s7, s7, -1
	s_add_i32 s35, s13, s35
	s_add_u32 s8, s8, -4
	s_addc_u32 s9, s9, -1
	s_cmp_gt_u32 s7, 2
	s_cbranch_scc1 .LBB67_6
.LBB67_7:
	s_load_dword s7, s[4:5], 0x6c
	s_load_dword s14, s[4:5], 0x290
	s_add_u32 s8, s4, 0x1c0
	s_addc_u32 s9, s5, 0
	s_mov_b32 s37, 0
	s_waitcnt lgkmcnt(0)
	s_cmp_lt_i32 s14, 2
	s_cbranch_scc1 .LBB67_10
; %bb.8:
	s_add_i32 s36, s14, -1
	s_add_i32 s13, s14, 1
	s_lshl_b64 s[14:15], s[36:37], 2
	s_add_u32 s8, s8, s14
	s_addc_u32 s9, s9, s15
	s_add_u32 s8, s8, 8
	s_addc_u32 s9, s9, 0
.LBB67_9:                               ; =>This Inner Loop Header: Depth=1
	s_load_dword s14, s[8:9], 0x0
	s_load_dword s16, s[8:9], 0x64
	s_abs_i32 s17, s33
	s_mov_b32 s15, s33
	s_waitcnt lgkmcnt(0)
	s_abs_i32 s19, s14
	v_cvt_f32_u32_e32 v1, s19
	s_sub_i32 s20, 0, s19
	s_xor_b32 s18, s33, s14
	s_ashr_i32 s18, s18, 31
	v_rcp_iflag_f32_e32 v1, v1
	v_mul_f32_e32 v1, 0x4f7ffffe, v1
	v_cvt_u32_f32_e32 v1, v1
	v_readfirstlane_b32 s21, v1
	s_mul_i32 s20, s20, s21
	s_mul_hi_u32 s20, s21, s20
	s_add_i32 s21, s21, s20
	s_mul_hi_u32 s20, s17, s21
	s_mul_i32 s21, s20, s19
	s_sub_i32 s17, s17, s21
	s_add_i32 s22, s20, 1
	s_sub_i32 s21, s17, s19
	s_cmp_ge_u32 s17, s19
	s_cselect_b32 s20, s22, s20
	s_cselect_b32 s17, s21, s17
	s_add_i32 s21, s20, 1
	s_cmp_ge_u32 s17, s19
	s_cselect_b32 s17, s21, s20
	s_xor_b32 s17, s17, s18
	s_sub_i32 s33, s17, s18
	s_mul_i32 s14, s33, s14
	s_sub_i32 s14, s15, s14
	s_mul_i32 s14, s16, s14
	s_add_i32 s13, s13, -1
	s_add_i32 s37, s14, s37
	s_add_u32 s8, s8, -4
	s_addc_u32 s9, s9, -1
	s_cmp_gt_u32 s13, 2
	s_cbranch_scc1 .LBB67_9
.LBB67_10:
	s_load_dword s0, s[0:1], 0x6c
                                        ; implicit-def: $vgpr44 : SGPR spill to VGPR lane
	s_mov_b32 s52, 0
	s_waitcnt lgkmcnt(0)
	v_writelane_b32 v44, s0, 0
	s_load_dwordx2 s[8:9], s[4:5], 0x0
	s_load_dwordx2 s[0:1], s[4:5], 0xe8
	s_waitcnt lgkmcnt(0)
	v_writelane_b32 v44, s0, 1
	v_writelane_b32 v44, s1, 2
	s_load_dwordx2 s[0:1], s[4:5], 0x1c0
	s_waitcnt lgkmcnt(0)
	v_writelane_b32 v44, s0, 3
	v_writelane_b32 v44, s1, 4
	v_cmp_eq_u32_e64 s[0:1], 0, v0
	s_mov_b64 s[14:15], exec
	v_writelane_b32 v44, s0, 5
	v_writelane_b32 v44, s1, 6
	s_and_b64 s[0:1], s[14:15], s[0:1]
	s_mov_b64 exec, s[0:1]
; %bb.11:
	v_mov_b32_e32 v1, 0
	v_mov_b32_e32 v2, s28
	;; [unrolled: 1-line block ×3, first 2 shown]
	ds_write_b96 v1, v[1:3] offset:4096
; %bb.12:
	s_or_b64 exec, exec, s[14:15]
	s_load_dword s0, s[4:5], 0x22c
	v_mul_lo_u32 v5, s31, v0
	s_waitcnt lgkmcnt(0)
	s_barrier
	v_writelane_b32 v44, s0, 7
	s_mul_i32 s0, s7, s2
	s_add_i32 s0, s0, s3
	s_load_dword s2, s[10:11], 0xc
	s_ashr_i32 s1, s0, 31
	v_mov_b32_e32 v7, 0
	s_lshl_b64 s[0:1], s[0:1], 1
	v_mbcnt_lo_u32_b32 v1, -1, 0
	v_mov_b32_e32 v6, v7
	s_add_u32 s34, s8, s0
	v_mbcnt_hi_u32_b32 v15, -1, v1
	v_lshlrev_b64 v[1:2], 1, v[5:6]
	s_addc_u32 s18, s9, s1
	v_cmp_gt_u32_e32 vcc, 64, v0
	v_cmp_gt_i32_e64 s[4:5], 4, v15
	s_and_b64 s[42:43], vcc, s[4:5]
	v_mov_b32_e32 v18, s18
	v_add_co_u32_e32 v8, vcc, s34, v1
	s_waitcnt lgkmcnt(0)
	s_and_b32 s36, s2, 0xffff
	v_addc_co_u32_e32 v9, vcc, v18, v2, vcc
	v_lshlrev_b64 v[2:3], v15, -1
	s_add_i32 s1, s36, -1
	s_lshl_b32 s19, s36, 2
	s_bfe_u32 s0, s2, 0xa0006
	s_add_i32 s49, s1, s28
	v_not_b32_e32 v21, v2
	v_lshrrev_b32_e32 v2, 2, v0
	s_cmpk_gt_i32 s28, 0x600
	v_and_b32_e32 v2, 0xf0, v2
	v_writelane_b32 v44, s1, 8
	s_cselect_b64 s[44:45], -1, 0
	v_cmp_gt_u32_e64 s[8:9], s28, v0
	s_cmp_gt_u32 s36, 63
	v_or_b32_e32 v22, 0xc00, v2
	v_cvt_f32_u32_e32 v2, s19
	v_writelane_b32 v44, s8, 9
	s_cselect_b64 s[46:47], -1, 0
	s_cmp_lt_u32 s6, s12
	v_writelane_b32 v44, s9, 10
	v_cmp_gt_i32_e64 s[8:9], s28, v0
	s_cselect_b32 s1, 12, 18
	v_writelane_b32 v44, s8, 11
	s_add_u32 s6, s10, s1
	v_writelane_b32 v44, s9, 12
	s_addc_u32 s7, s11, 0
	v_rcp_iflag_f32_e32 v2, v2
	v_writelane_b32 v44, s6, 13
	s_add_i32 s1, s0, -1
	v_writelane_b32 v44, s7, 14
	s_bfe_u32 s6, s36, 0x30006
	s_and_b32 s1, s1, 0xffff
	s_cmp_gt_u32 s1, 6
	s_cselect_b64 s[8:9], -1, 0
	v_mul_f32_e32 v2, 0x4f7ffffe, v2
	v_writelane_b32 v44, s8, 15
	s_and_b32 s53, s0, 0x3f8
	v_cvt_u32_f32_e32 v2, v2
	v_writelane_b32 v44, s9, 16
	s_cmp_lg_u32 s6, 0
	v_writelane_b32 v44, s6, 17
	s_cselect_b64 s[0:1], -1, 0
	v_writelane_b32 v44, s0, 18
	v_writelane_b32 v44, s1, 19
	s_sub_i32 s0, 0, s19
	v_readfirstlane_b32 s1, v2
	s_mul_i32 s0, s0, s1
	s_mul_hi_u32 s0, s1, s0
	s_add_i32 s8, s1, s0
	s_mul_hi_u32 s0, s28, s8
	s_mul_i32 s0, s0, s19
	s_sub_i32 s0, s28, s0
	s_sub_i32 s1, s0, s19
	s_cmp_ge_u32 s0, s19
	s_cselect_b32 s0, s1, s0
	s_sub_i32 s1, s0, s19
	s_cmp_ge_u32 s0, s19
	s_cselect_b32 s0, s1, s0
	s_sub_i32 s9, s28, s0
	v_add_u32_e32 v23, s9, v0
	v_cvt_f32_u32_e32 v4, s36
	v_mul_lo_u32 v2, v23, s31
	v_not_b32_e32 v20, v3
	s_sub_i32 s7, 0, s36
	v_rcp_iflag_f32_e32 v4, v4
	v_ashrrev_i32_e32 v3, 31, v2
	v_lshlrev_b64 v[2:3], 1, v[2:3]
	s_abs_i32 s6, s49
	v_add_co_u32_e32 v10, vcc, s34, v2
	v_mul_f32_e32 v2, 0x4f7ffffe, v4
	v_cvt_u32_f32_e32 v2, v2
	s_ashr_i32 s1, s49, 31
	v_lshlrev_b32_e32 v14, 2, v0
	v_lshlrev_b32_e32 v16, 1, v0
	v_readfirstlane_b32 s16, v2
	s_mul_i32 s7, s7, s16
	s_mul_hi_u32 s7, s16, s7
	s_add_i32 s7, s16, s7
	v_writelane_b32 v44, s7, 20
	s_mul_hi_u32 s7, s6, s7
	s_mul_i32 s7, s7, s36
	s_sub_i32 s6, s6, s7
	s_sub_i32 s7, s6, s36
	s_cmp_ge_u32 s6, s36
	s_cselect_b32 s6, s7, s6
	s_sub_i32 s7, s6, s36
	v_mul_lo_u32 v2, s31, v14
	s_cmp_ge_u32 s6, s36
	s_cselect_b32 s6, s7, s6
	s_xor_b32 s6, s6, s1
	s_sub_i32 s1, s1, s6
	v_add_u32_e32 v24, s31, v2
	v_or_b32_e32 v2, 2, v14
	s_add_i32 s49, s49, s1
	v_mul_lo_u32 v25, s31, v2
	v_or_b32_e32 v2, 3, v14
	s_add_i32 s1, s36, s28
	v_mul_lo_u32 v26, s31, v2
	v_add_u32_e32 v2, s1, v0
	v_subrev_u32_e32 v2, s0, v2
	v_mul_lo_u32 v29, s31, v2
	v_lshlrev_b32_e32 v1, 2, v15
	v_mov_b32_e32 v6, s18
	v_cmp_gt_i32_e64 s[6:7], s49, v0
	s_mul_i32 s50, s31, s36
	v_cmp_eq_u32_e64 s[2:3], 0, v15
	v_cmp_gt_u32_e64 s[4:5], 2, v0
	v_add_u32_e32 v17, 0xc00, v16
	v_and_b32_e32 v19, 0x100, v1
	v_cmp_gt_i32_e64 s[10:11], s9, v14
	v_cmp_gt_u32_e64 s[12:13], s28, v23
	v_addc_co_u32_e32 v11, vcc, v6, v3, vcc
	v_cmp_gt_i32_e64 s[14:15], s28, v23
	v_writelane_b32 v44, s6, 21
	s_lshl_b32 s16, s50, 2
	v_lshlrev_b32_e32 v27, 2, v5
	v_lshlrev_b32_e32 v30, 3, v0
	s_lshl_b32 s17, s36, 3
	s_lshl_b32 s51, s36, 1
	v_or_b32_e32 v31, 0xc00, v1
	s_mov_b64 s[54:55], 0
	v_mov_b32_e32 v32, 14
	v_mov_b32_e32 v39, s29
	s_movk_i32 s29, 0x3f80
	v_mov_b32_e32 v33, 0xffff
	v_mov_b32_e32 v34, 0x8000
	v_mov_b32_e32 v35, -1
	v_mov_b32_e32 v36, 0x5040100
	v_mov_b32_e32 v38, 0
	;; [unrolled: 1-line block ×4, first 2 shown]
	v_writelane_b32 v44, s7, 22
                                        ; implicit-def: $sgpr56_sgpr57
                                        ; implicit-def: $sgpr60_sgpr61
                                        ; implicit-def: $sgpr58_sgpr59
                                        ; implicit-def: $sgpr64_sgpr65
                                        ; implicit-def: $sgpr66_sgpr67
                                        ; implicit-def: $sgpr62_sgpr63
	s_branch .LBB67_16
.LBB67_13:                              ;   in Loop: Header=BB67_16 Depth=1
	s_or_b64 exec, exec, s[40:41]
	s_and_b64 s[38:39], s[38:39], exec
	s_andn2_b64 s[26:27], s[26:27], exec
	s_andn2_b64 s[24:25], s[24:25], exec
	s_orn2_b64 s[20:21], s[20:21], exec
.LBB67_14:                              ;   in Loop: Header=BB67_16 Depth=1
	s_or_b64 exec, exec, s[22:23]
	s_andn2_b64 s[22:23], s[62:63], exec
	s_and_b64 s[38:39], s[38:39], exec
	s_or_b64 s[62:63], s[22:23], s[38:39]
	s_andn2_b64 s[22:23], s[66:67], exec
	s_and_b64 s[26:27], s[26:27], exec
	s_or_b64 s[66:67], s[22:23], s[26:27]
	;; [unrolled: 3-line block ×3, first 2 shown]
	s_orn2_b64 s[20:21], s[20:21], exec
.LBB67_15:                              ;   in Loop: Header=BB67_16 Depth=1
	s_or_b64 exec, exec, s[6:7]
	s_and_b64 s[6:7], exec, s[20:21]
	s_or_b64 s[54:55], s[6:7], s[54:55]
	s_andn2_b64 s[6:7], s[58:59], exec
	s_and_b64 s[20:21], s[62:63], exec
	s_or_b64 s[58:59], s[6:7], s[20:21]
	s_andn2_b64 s[6:7], s[60:61], exec
	s_and_b64 s[20:21], s[66:67], exec
	;; [unrolled: 3-line block ×3, first 2 shown]
	s_or_b64 s[56:57], s[6:7], s[20:21]
	s_mov_b32 s52, s0
	v_mov_b32_e32 v39, v12
	s_andn2_b64 exec, exec, s[54:55]
	s_cbranch_execz .LBB67_239
.LBB67_16:                              ; =>This Loop Header: Depth=1
                                        ;     Child Loop BB67_21 Depth 2
                                        ;     Child Loop BB67_36 Depth 2
	;; [unrolled: 1-line block ×16, first 2 shown]
	ds_read_b64 v[1:2], v7 offset:4096
	s_waitcnt lgkmcnt(0)
	v_readfirstlane_b32 s40, v1
	s_cmp_gt_i32 s40, 0
	s_cbranch_scc1 .LBB67_43
; %bb.17:                               ;   in Loop: Header=BB67_16 Depth=1
	s_and_b64 vcc, exec, s[44:45]
	s_cbranch_vccz .LBB67_29
; %bb.18:                               ;   in Loop: Header=BB67_16 Depth=1
	s_movk_i32 s0, 0x601
	v_cmp_gt_i32_e32 vcc, s0, v2
	s_mov_b64 s[20:21], 0
	s_mov_b64 s[6:7], 0
	s_cbranch_vccz .LBB67_30
; %bb.19:                               ;   in Loop: Header=BB67_16 Depth=1
	v_readlane_b32 s0, v44, 13
	v_readlane_b32 s1, v44, 14
	s_nop 4
	global_load_ushort v1, v7, s[0:1]
	global_load_ushort v4, v[8:9], off
	s_mov_b64 s[22:23], 0
	v_mov_b32_e32 v3, v0
	s_waitcnt vmcnt(1)
	v_add_u32_e32 v2, v0, v1
	v_mul_lo_u32 v6, s31, v2
	v_mul_lo_u32 v2, s31, v1
	s_branch .LBB67_21
.LBB67_20:                              ;   in Loop: Header=BB67_21 Depth=2
	s_or_b64 exec, exec, s[6:7]
	v_cmp_le_i32_e32 vcc, s28, v3
	v_add_u32_e32 v6, v6, v2
	s_or_b64 s[22:23], vcc, s[22:23]
	v_mov_b32_e32 v4, v12
	s_andn2_b64 exec, exec, s[22:23]
	s_cbranch_execz .LBB67_75
.LBB67_21:                              ;   Parent Loop BB67_16 Depth=1
                                        ; =>  This Inner Loop Header: Depth=2
	v_add_u32_e32 v3, v3, v1
	v_cmp_gt_u32_e32 vcc, s28, v3
	s_waitcnt lgkmcnt(0)
	v_mov_b32_e32 v13, 0
	v_mov_b32_e32 v12, 0
	s_and_saveexec_b64 s[6:7], vcc
	s_cbranch_execz .LBB67_23
; %bb.22:                               ;   in Loop: Header=BB67_21 Depth=2
	v_lshlrev_b64 v[40:41], 1, v[6:7]
	v_add_co_u32_e32 v40, vcc, s34, v40
	v_addc_co_u32_e32 v41, vcc, v18, v41, vcc
	global_load_ushort v12, v[40:41], off
.LBB67_23:                              ;   in Loop: Header=BB67_21 Depth=2
	s_or_b64 exec, exec, s[6:7]
	s_waitcnt vmcnt(0)
	v_cmp_lt_i16_e32 vcc, -1, v4
	v_cndmask_b32_e32 v40, v33, v34, vcc
	v_lshlrev_b32_e32 v41, 16, v4
	v_xor_b32_sdwa v40, v40, v4 dst_sel:DWORD dst_unused:UNUSED_PAD src0_sel:DWORD src1_sel:WORD_0
	v_cmp_o_f32_e32 vcc, v41, v41
	v_cndmask_b32_e32 v40, v33, v40, vcc
	v_and_b32_e32 v40, v40, v37
	v_cmp_eq_u32_e32 vcc, v40, v28
	s_cmp_lg_u64 vcc, 0
	s_cselect_b64 s[0:1], -1, 0
	s_and_b64 s[0:1], s[2:3], s[0:1]
	s_and_saveexec_b64 s[24:25], s[0:1]
	s_cbranch_execz .LBB67_27
; %bb.24:                               ;   in Loop: Header=BB67_21 Depth=2
	s_mov_b64 s[38:39], exec
	v_mbcnt_lo_u32_b32 v13, s38, 0
	v_mbcnt_hi_u32_b32 v13, s39, v13
	s_bcnt1_i32_b64 s0, vcc
	v_cmp_eq_u32_e64 s[6:7], 0, v13
                                        ; implicit-def: $vgpr40
	s_and_saveexec_b64 s[26:27], s[6:7]
; %bb.25:                               ;   in Loop: Header=BB67_21 Depth=2
	s_bcnt1_i32_b64 s1, s[38:39]
	s_mul_i32 s1, s0, s1
	v_mov_b32_e32 v40, s1
	ds_add_rtn_u32 v40, v7, v40 offset:4104
; %bb.26:                               ;   in Loop: Header=BB67_21 Depth=2
	s_or_b64 exec, exec, s[26:27]
	s_waitcnt lgkmcnt(0)
	v_readfirstlane_b32 s1, v40
	v_mov_b32_e32 v40, s1
	v_mad_u32_u24 v13, s0, v13, v40
.LBB67_27:                              ;   in Loop: Header=BB67_21 Depth=2
	s_or_b64 exec, exec, s[24:25]
	ds_bpermute_b32 v13, v19, v13
	s_and_saveexec_b64 s[6:7], vcc
	s_cbranch_execz .LBB67_20
; %bb.28:                               ;   in Loop: Header=BB67_21 Depth=2
	v_and_b32_e32 v41, vcc_lo, v21
	v_and_b32_e32 v40, vcc_hi, v20
	v_bcnt_u32_b32 v41, v41, 0
	v_bcnt_u32_b32 v40, v40, v41
	v_lshlrev_b32_e32 v40, 1, v40
	s_waitcnt lgkmcnt(0)
	v_lshl_add_u32 v13, v13, 1, v40
	ds_write_b16 v13, v4
	s_branch .LBB67_20
.LBB67_29:                              ;   in Loop: Header=BB67_16 Depth=1
	s_mov_b64 s[20:21], -1
	s_mov_b64 s[6:7], 0
.LBB67_30:                              ;   in Loop: Header=BB67_16 Depth=1
	s_and_b64 vcc, exec, s[20:21]
	s_cbranch_vccz .LBB67_41
.LBB67_31:                              ;   in Loop: Header=BB67_16 Depth=1
	v_mov_b32_e32 v1, 0
	s_mov_b64 s[6:7], exec
	v_readlane_b32 s0, v44, 9
	v_readlane_b32 s1, v44, 10
	s_and_b64 s[0:1], s[6:7], s[0:1]
	s_mov_b64 exec, s[0:1]
	s_cbranch_execz .LBB67_33
; %bb.32:                               ;   in Loop: Header=BB67_16 Depth=1
	global_load_ushort v1, v[8:9], off
.LBB67_33:                              ;   in Loop: Header=BB67_16 Depth=1
	s_or_b64 exec, exec, s[6:7]
	s_mov_b64 s[6:7], exec
	v_readlane_b32 s0, v44, 11
	v_readlane_b32 s1, v44, 12
	s_and_b64 s[0:1], s[6:7], s[0:1]
	s_mov_b64 exec, s[0:1]
	s_cbranch_execz .LBB67_38
; %bb.34:                               ;   in Loop: Header=BB67_16 Depth=1
	v_readlane_b32 s0, v44, 13
	v_readlane_b32 s1, v44, 14
	s_mov_b64 s[20:21], 0
	v_mov_b32_e32 v12, v16
	v_mov_b32_e32 v13, v0
	s_nop 1
	global_load_ushort v2, v7, s[0:1]
	s_waitcnt vmcnt(0)
	v_add_u32_e32 v4, v0, v2
	v_mul_lo_u32 v6, s31, v4
	v_mul_lo_u32 v4, s31, v2
	v_lshlrev_b32_e32 v3, 1, v2
	s_branch .LBB67_36
.LBB67_35:                              ;   in Loop: Header=BB67_36 Depth=2
	s_or_b64 exec, exec, s[22:23]
	v_cmp_le_i32_e32 vcc, s28, v13
	ds_write_b16 v12, v1
	v_add_u32_e32 v12, v12, v3
	v_add_u32_e32 v6, v6, v4
	s_or_b64 s[20:21], vcc, s[20:21]
	s_waitcnt vmcnt(0)
	v_mov_b32_e32 v1, v40
	s_andn2_b64 exec, exec, s[20:21]
	s_cbranch_execz .LBB67_38
.LBB67_36:                              ;   Parent Loop BB67_16 Depth=1
                                        ; =>  This Inner Loop Header: Depth=2
	v_add_u32_e32 v13, v13, v2
	v_cmp_gt_u32_e32 vcc, s28, v13
	v_mov_b32_e32 v40, 0
	s_and_saveexec_b64 s[22:23], vcc
	s_cbranch_execz .LBB67_35
; %bb.37:                               ;   in Loop: Header=BB67_36 Depth=2
	v_lshlrev_b64 v[40:41], 1, v[6:7]
	v_mov_b32_e32 v42, s18
	v_add_co_u32_e32 v40, vcc, s34, v40
	v_addc_co_u32_e32 v41, vcc, v42, v41, vcc
	global_load_ushort v40, v[40:41], off
	s_branch .LBB67_35
.LBB67_38:                              ;   in Loop: Header=BB67_16 Depth=1
	s_or_b64 exec, exec, s[6:7]
	s_waitcnt vmcnt(0) lgkmcnt(0)
	s_barrier
	s_mov_b64 s[6:7], exec
	v_readlane_b32 s0, v44, 5
	v_readlane_b32 s1, v44, 6
	s_and_b64 s[0:1], s[6:7], s[0:1]
	s_mov_b64 exec, s[0:1]
; %bb.39:                               ;   in Loop: Header=BB67_16 Depth=1
	v_mov_b32_e32 v1, s28
	ds_write_b32 v7, v1 offset:4096
; %bb.40:                               ;   in Loop: Header=BB67_16 Depth=1
	s_or_b64 exec, exec, s[6:7]
	s_mov_b64 s[6:7], -1
	s_waitcnt lgkmcnt(0)
	s_barrier
.LBB67_41:                              ;   in Loop: Header=BB67_16 Depth=1
	s_and_b64 vcc, exec, s[6:7]
	s_cbranch_vccz .LBB67_43
; %bb.42:                               ;   in Loop: Header=BB67_16 Depth=1
	ds_read_b32 v1, v7 offset:4096
	s_waitcnt lgkmcnt(0)
	v_readfirstlane_b32 s40, v1
.LBB67_43:                              ;   in Loop: Header=BB67_16 Depth=1
	s_cmp_lt_i32 s40, 1
	s_mov_b64 s[6:7], -1
                                        ; implicit-def: $vgpr1
	s_cbranch_scc1 .LBB67_53
; %bb.44:                               ;   in Loop: Header=BB67_16 Depth=1
	s_and_b64 vcc, exec, s[6:7]
	s_cbranch_vccnz .LBB67_66
.LBB67_45:                              ;   in Loop: Header=BB67_16 Depth=1
	s_lshl_b32 s0, s52, 6
	s_and_saveexec_b64 s[6:7], s[2:3]
.LBB67_46:                              ;   in Loop: Header=BB67_16 Depth=1
	v_lshl_add_u32 v6, s0, 2, v22
	ds_write_b128 v6, v[1:4]
.LBB67_47:                              ;   in Loop: Header=BB67_16 Depth=1
	s_or_b64 exec, exec, s[6:7]
	s_waitcnt vmcnt(0) lgkmcnt(0)
	s_barrier
	s_and_saveexec_b64 s[6:7], s[42:43]
	s_cbranch_execz .LBB67_83
; %bb.48:                               ;   in Loop: Header=BB67_16 Depth=1
	s_andn2_b64 vcc, exec, s[46:47]
	v_mov_b32_e32 v1, 0
	s_cbranch_vccnz .LBB67_82
; %bb.49:                               ;   in Loop: Header=BB67_16 Depth=1
	v_readlane_b32 s20, v44, 15
	v_readlane_b32 s21, v44, 16
	s_andn2_b64 vcc, exec, s[20:21]
	s_cbranch_vccnz .LBB67_78
; %bb.50:                               ;   in Loop: Header=BB67_16 Depth=1
	v_lshl_add_u32 v2, s52, 8, v31
	s_mov_b32 s1, 0
	v_mov_b32_e32 v1, 0
.LBB67_51:                              ;   Parent Loop BB67_16 Depth=1
                                        ; =>  This Inner Loop Header: Depth=2
	ds_read2_b32 v[3:4], v2 offset1:4
	ds_read2_b32 v[12:13], v2 offset0:8 offset1:12
	ds_read2_b32 v[40:41], v2 offset0:16 offset1:20
	;; [unrolled: 1-line block ×3, first 2 shown]
	s_add_i32 s1, s1, 8
	s_waitcnt lgkmcnt(3)
	v_add3_u32 v1, v3, v1, v4
	s_waitcnt lgkmcnt(2)
	v_add3_u32 v1, v12, v1, v13
	;; [unrolled: 2-line block ×3, first 2 shown]
	v_add_u32_e32 v2, 0x80, v2
	s_cmp_eq_u32 s53, s1
	s_waitcnt lgkmcnt(0)
	v_add3_u32 v1, v42, v1, v43
	s_cbranch_scc0 .LBB67_51
; %bb.52:                               ;   in Loop: Header=BB67_16 Depth=1
	s_mov_b32 s1, s53
	s_branch .LBB67_79
.LBB67_53:                              ;   in Loop: Header=BB67_16 Depth=1
	v_mov_b32_e32 v1, 0
	v_mov_b32_e32 v2, 0
	;; [unrolled: 1-line block ×4, first 2 shown]
	s_and_saveexec_b64 s[26:27], s[10:11]
	s_cbranch_execnz .LBB67_56
; %bb.54:                               ;   in Loop: Header=BB67_16 Depth=1
	s_or_b64 exec, exec, s[26:27]
	v_mov_b32_e32 v40, 0
	s_and_saveexec_b64 s[6:7], s[12:13]
	s_cbranch_execnz .LBB67_59
.LBB67_55:                              ;   in Loop: Header=BB67_16 Depth=1
	s_or_b64 exec, exec, s[6:7]
	s_and_saveexec_b64 s[20:21], s[14:15]
	s_cbranch_execnz .LBB67_60
	s_branch .LBB67_65
.LBB67_56:                              ;   in Loop: Header=BB67_16 Depth=1
	s_mov_b32 s38, 0
	s_mov_b64 s[68:69], 0
	s_mov_b32 s39, 0
	s_mov_b32 s41, 0
	s_mov_b32 s48, 0
	s_mov_b32 s70, 0
	v_mov_b32_e32 v6, v14
.LBB67_57:                              ;   Parent Loop BB67_16 Depth=1
                                        ; =>  This Inner Loop Header: Depth=2
	v_add_u32_e32 v1, s38, v27
	v_ashrrev_i32_e32 v2, 31, v1
	v_lshlrev_b64 v[1:2], 1, v[1:2]
	v_mov_b32_e32 v3, s18
	v_add_co_u32_e32 v1, vcc, s34, v1
	v_addc_co_u32_e32 v2, vcc, v3, v2, vcc
	global_load_ushort v4, v[1:2], off
	v_add_u32_e32 v1, s38, v24
	v_ashrrev_i32_e32 v2, 31, v1
	v_lshlrev_b64 v[1:2], 1, v[1:2]
	v_add_u32_e32 v6, s19, v6
	v_add_co_u32_e32 v1, vcc, s34, v1
	v_addc_co_u32_e32 v2, vcc, v3, v2, vcc
	global_load_ushort v12, v[1:2], off
	v_add_u32_e32 v1, s38, v25
	v_ashrrev_i32_e32 v2, 31, v1
	v_lshlrev_b64 v[1:2], 1, v[1:2]
	v_add_co_u32_e32 v1, vcc, s34, v1
	v_addc_co_u32_e32 v2, vcc, v3, v2, vcc
	global_load_ushort v13, v[1:2], off
	v_add_u32_e32 v1, s38, v26
	v_ashrrev_i32_e32 v2, 31, v1
	v_lshlrev_b64 v[1:2], 1, v[1:2]
	s_add_i32 s38, s38, s16
	v_add_co_u32_e32 v1, vcc, s34, v1
	v_addc_co_u32_e32 v2, vcc, v3, v2, vcc
	global_load_ushort v1, v[1:2], off
	s_waitcnt vmcnt(3)
	v_cmp_lt_i16_e32 vcc, -1, v4
	v_cndmask_b32_e32 v2, v33, v34, vcc
	v_lshlrev_b32_e32 v3, 16, v4
	v_cmp_o_f32_e32 vcc, v3, v3
	v_xor_b32_sdwa v2, v2, v4 dst_sel:DWORD dst_unused:UNUSED_PAD src0_sel:DWORD src1_sel:WORD_0
	v_cndmask_b32_e32 v2, v33, v2, vcc
	s_waitcnt vmcnt(2)
	v_cmp_lt_i16_e32 vcc, -1, v12
	v_cndmask_b32_e32 v3, v33, v34, vcc
	v_lshlrev_b32_e32 v4, 16, v12
	v_cmp_o_f32_e32 vcc, v4, v4
	v_xor_b32_sdwa v3, v3, v12 dst_sel:DWORD dst_unused:UNUSED_PAD src0_sel:DWORD src1_sel:WORD_0
	v_cndmask_b32_e32 v3, v33, v3, vcc
	;; [unrolled: 7-line block ×3, first 2 shown]
	s_waitcnt vmcnt(0)
	v_cmp_lt_i16_e32 vcc, -1, v1
	v_cndmask_b32_e32 v12, v33, v34, vcc
	v_lshlrev_b32_e32 v13, 16, v1
	v_cmp_o_f32_e32 vcc, v13, v13
	v_xor_b32_sdwa v1, v12, v1 dst_sel:DWORD dst_unused:UNUSED_PAD src0_sel:DWORD src1_sel:WORD_0
	v_and_b32_e32 v12, v2, v37
	v_bfe_u32 v2, v2, v32, 2
	v_cndmask_b32_e32 v1, v33, v1, vcc
	v_cmp_eq_u32_e32 vcc, v12, v28
	v_and_b32_e32 v12, v3, v37
	v_bfe_u32 v3, v3, v32, 2
	v_cmp_eq_u32_e64 s[24:25], 0, v2
	v_cmp_eq_u32_e64 s[6:7], v12, v28
	v_and_b32_e32 v12, v4, v37
	v_bfe_u32 v4, v4, v32, 2
	s_and_b64 s[0:1], vcc, s[24:25]
	v_cmp_eq_u32_e64 s[24:25], 0, v3
	v_cmp_eq_u32_e64 s[20:21], v12, v28
	v_and_b32_e32 v12, v1, v37
	v_bfe_u32 v1, v1, v32, 2
	s_and_b64 s[72:73], s[6:7], s[24:25]
	v_cmp_eq_u32_e64 s[24:25], 0, v4
	v_cmp_eq_u32_e64 s[22:23], v12, v28
	s_and_b64 s[74:75], s[20:21], s[24:25]
	v_cmp_eq_u32_e64 s[24:25], 0, v1
	v_cndmask_b32_e64 v12, 0, 1, s[0:1]
	s_and_b64 s[76:77], s[22:23], s[24:25]
	v_cmp_ne_u32_e64 s[24:25], 0, v12
	v_cndmask_b32_e64 v12, 0, 1, s[72:73]
	s_bcnt1_i32_b64 s0, s[24:25]
	v_cmp_ne_u32_e64 s[24:25], 0, v12
	v_cndmask_b32_e64 v12, 0, 1, s[74:75]
	s_bcnt1_i32_b64 s1, s[24:25]
	v_cmp_ne_u32_e64 s[24:25], 0, v12
	v_cndmask_b32_e64 v12, 0, 1, s[76:77]
	s_add_i32 s0, s70, s0
	s_bcnt1_i32_b64 s71, s[24:25]
	v_cmp_ne_u32_e64 s[24:25], 0, v12
	s_add_i32 s0, s0, s1
	s_bcnt1_i32_b64 s24, s[24:25]
	s_add_i32 s0, s0, s71
	s_add_i32 s70, s0, s24
	v_cmp_eq_u32_e64 s[24:25], 1, v2
	s_and_b64 s[0:1], vcc, s[24:25]
	v_cmp_eq_u32_e64 s[24:25], 1, v3
	s_and_b64 s[72:73], s[6:7], s[24:25]
	v_cmp_eq_u32_e64 s[24:25], 1, v4
	s_and_b64 s[74:75], s[20:21], s[24:25]
	v_cmp_eq_u32_e64 s[24:25], 1, v1
	v_cndmask_b32_e64 v12, 0, 1, s[0:1]
	s_and_b64 s[76:77], s[22:23], s[24:25]
	v_cmp_ne_u32_e64 s[24:25], 0, v12
	v_cndmask_b32_e64 v12, 0, 1, s[72:73]
	s_bcnt1_i32_b64 s0, s[24:25]
	v_cmp_ne_u32_e64 s[24:25], 0, v12
	v_cndmask_b32_e64 v12, 0, 1, s[74:75]
	s_bcnt1_i32_b64 s1, s[24:25]
	v_cmp_ne_u32_e64 s[24:25], 0, v12
	v_cndmask_b32_e64 v12, 0, 1, s[76:77]
	s_add_i32 s0, s48, s0
	s_bcnt1_i32_b64 s71, s[24:25]
	v_cmp_ne_u32_e64 s[24:25], 0, v12
	s_add_i32 s0, s0, s1
	s_bcnt1_i32_b64 s24, s[24:25]
	s_add_i32 s0, s0, s71
	s_add_i32 s48, s0, s24
	v_cmp_eq_u32_e64 s[24:25], 2, v2
	s_and_b64 s[0:1], vcc, s[24:25]
	v_cmp_eq_u32_e64 s[24:25], 2, v3
	s_and_b64 s[72:73], s[6:7], s[24:25]
	v_cmp_eq_u32_e64 s[24:25], 2, v4
	s_and_b64 s[74:75], s[20:21], s[24:25]
	v_cmp_eq_u32_e64 s[24:25], 2, v1
	v_cndmask_b32_e64 v12, 0, 1, s[0:1]
	s_and_b64 s[76:77], s[22:23], s[24:25]
	v_cmp_ne_u32_e64 s[24:25], 0, v12
	v_cndmask_b32_e64 v12, 0, 1, s[72:73]
	s_bcnt1_i32_b64 s0, s[24:25]
	v_cmp_ne_u32_e64 s[24:25], 0, v12
	v_cndmask_b32_e64 v12, 0, 1, s[74:75]
	s_bcnt1_i32_b64 s1, s[24:25]
	v_cmp_ne_u32_e64 s[24:25], 0, v12
	v_cndmask_b32_e64 v12, 0, 1, s[76:77]
	s_add_i32 s0, s41, s0
	s_bcnt1_i32_b64 s71, s[24:25]
	v_cmp_ne_u32_e64 s[24:25], 0, v12
	s_add_i32 s0, s0, s1
	s_bcnt1_i32_b64 s24, s[24:25]
	s_add_i32 s0, s0, s71
	s_add_i32 s41, s0, s24
	v_cmp_eq_u32_e64 s[24:25], 3, v2
	s_and_b64 s[0:1], vcc, s[24:25]
	v_cmp_eq_u32_e32 vcc, 3, v3
	s_and_b64 s[6:7], s[6:7], vcc
	v_cmp_eq_u32_e32 vcc, 3, v4
	s_and_b64 s[20:21], s[20:21], vcc
	v_cmp_eq_u32_e32 vcc, 3, v1
	v_cndmask_b32_e64 v1, 0, 1, s[0:1]
	s_and_b64 s[22:23], s[22:23], vcc
	v_cmp_ne_u32_e32 vcc, 0, v1
	v_cndmask_b32_e64 v1, 0, 1, s[6:7]
	s_bcnt1_i32_b64 s0, vcc
	v_cmp_ne_u32_e32 vcc, 0, v1
	v_cndmask_b32_e64 v1, 0, 1, s[20:21]
	s_bcnt1_i32_b64 s1, vcc
	v_cmp_ne_u32_e32 vcc, 0, v1
	v_cndmask_b32_e64 v1, 0, 1, s[22:23]
	s_add_i32 s0, s39, s0
	s_bcnt1_i32_b64 s6, vcc
	v_cmp_ne_u32_e32 vcc, 0, v1
	s_add_i32 s0, s0, s1
	s_bcnt1_i32_b64 s7, vcc
	s_add_i32 s0, s0, s6
	s_add_i32 s39, s0, s7
	v_cmp_le_i32_e32 vcc, s9, v6
	s_or_b64 s[68:69], vcc, s[68:69]
	v_mov_b32_e32 v1, s70
	v_mov_b32_e32 v2, s48
	;; [unrolled: 1-line block ×4, first 2 shown]
	s_andn2_b64 exec, exec, s[68:69]
	s_cbranch_execnz .LBB67_57
; %bb.58:                               ;   in Loop: Header=BB67_16 Depth=1
	s_or_b64 exec, exec, s[68:69]
	s_or_b64 exec, exec, s[26:27]
	v_mov_b32_e32 v40, 0
	s_and_saveexec_b64 s[6:7], s[12:13]
	s_cbranch_execz .LBB67_55
.LBB67_59:                              ;   in Loop: Header=BB67_16 Depth=1
	global_load_ushort v40, v[10:11], off
	s_or_b64 exec, exec, s[6:7]
	s_and_saveexec_b64 s[20:21], s[14:15]
	s_cbranch_execz .LBB67_65
.LBB67_60:                              ;   in Loop: Header=BB67_16 Depth=1
	s_mov_b64 s[22:23], 0
	v_mov_b32_e32 v12, v29
	v_mov_b32_e32 v6, v23
	s_branch .LBB67_62
.LBB67_61:                              ;   in Loop: Header=BB67_62 Depth=2
	s_or_b64 exec, exec, s[6:7]
	s_waitcnt vmcnt(0)
	v_cmp_lt_i16_e32 vcc, -1, v40
	v_cndmask_b32_e32 v41, v33, v34, vcc
	v_lshlrev_b32_e32 v42, 16, v40
	v_xor_b32_sdwa v40, v41, v40 dst_sel:DWORD dst_unused:UNUSED_PAD src0_sel:DWORD src1_sel:WORD_0
	v_cmp_o_f32_e32 vcc, v42, v42
	v_cndmask_b32_e32 v40, v33, v40, vcc
	v_and_b32_e32 v41, v40, v37
	v_bfe_u32 v40, v40, v32, 2
	v_cmp_eq_u32_e32 vcc, v41, v28
	v_cmp_eq_u32_e64 s[6:7], 0, v40
	s_and_b64 s[0:1], vcc, s[6:7]
	v_cndmask_b32_e64 v41, 0, 1, s[0:1]
	v_cmp_ne_u32_e64 s[6:7], 0, v41
	s_bcnt1_i32_b64 s0, s[6:7]
	v_cmp_eq_u32_e64 s[6:7], 1, v40
	v_add_u32_e32 v1, s0, v1
	s_and_b64 s[0:1], vcc, s[6:7]
	v_cndmask_b32_e64 v41, 0, 1, s[0:1]
	v_cmp_ne_u32_e64 s[6:7], 0, v41
	s_bcnt1_i32_b64 s0, s[6:7]
	v_cmp_eq_u32_e64 s[6:7], 2, v40
	v_add_u32_e32 v2, s0, v2
	s_and_b64 s[0:1], vcc, s[6:7]
	v_cndmask_b32_e64 v41, 0, 1, s[0:1]
	v_cmp_ne_u32_e64 s[6:7], 0, v41
	s_bcnt1_i32_b64 s0, s[6:7]
	v_cmp_eq_u32_e64 s[6:7], 3, v40
	v_add_u32_e32 v3, s0, v3
	s_and_b64 s[0:1], vcc, s[6:7]
	v_cndmask_b32_e64 v40, 0, 1, s[0:1]
	v_cmp_ne_u32_e32 vcc, 0, v40
	s_bcnt1_i32_b64 s0, vcc
	v_cmp_le_i32_e32 vcc, s28, v6
	v_add_u32_e32 v4, s0, v4
	v_add_u32_e32 v12, s50, v12
	s_or_b64 s[22:23], vcc, s[22:23]
	v_mov_b32_e32 v40, v13
	s_andn2_b64 exec, exec, s[22:23]
	s_cbranch_execz .LBB67_64
.LBB67_62:                              ;   Parent Loop BB67_16 Depth=1
                                        ; =>  This Inner Loop Header: Depth=2
	v_add_u32_e32 v6, s36, v6
	v_cmp_gt_u32_e32 vcc, s28, v6
	v_mov_b32_e32 v13, 0
	s_and_saveexec_b64 s[6:7], vcc
	s_cbranch_execz .LBB67_61
; %bb.63:                               ;   in Loop: Header=BB67_62 Depth=2
	v_ashrrev_i32_e32 v13, 31, v12
	v_lshlrev_b64 v[41:42], 1, v[12:13]
	v_mov_b32_e32 v13, s18
	v_add_co_u32_e32 v41, vcc, s34, v41
	v_addc_co_u32_e32 v42, vcc, v13, v42, vcc
	global_load_ushort v13, v[41:42], off
	s_branch .LBB67_61
.LBB67_64:                              ;   in Loop: Header=BB67_16 Depth=1
	s_or_b64 exec, exec, s[22:23]
.LBB67_65:                              ;   in Loop: Header=BB67_16 Depth=1
	s_or_b64 exec, exec, s[20:21]
	s_branch .LBB67_45
.LBB67_66:                              ;   in Loop: Header=BB67_16 Depth=1
	s_mul_hi_u32 s0, s40, s8
	s_mul_i32 s0, s0, s19
	s_sub_i32 s0, s40, s0
	s_sub_i32 s1, s0, s19
	s_cmp_ge_u32 s0, s19
	s_cselect_b32 s0, s1, s0
	s_sub_i32 s1, s0, s19
	s_cmp_ge_u32 s0, s19
	s_cselect_b32 s0, s1, s0
	s_sub_i32 s38, s40, s0
	v_cmp_gt_u32_e32 vcc, s38, v14
	v_mov_b32_e32 v1, 0
	v_mov_b32_e32 v2, 0
	;; [unrolled: 1-line block ×4, first 2 shown]
	s_and_saveexec_b64 s[26:27], vcc
	s_cbranch_execz .LBB67_70
; %bb.67:                               ;   in Loop: Header=BB67_16 Depth=1
	s_mov_b32 s39, 0
	s_mov_b64 s[68:69], 0
	v_mov_b32_e32 v6, v30
	s_mov_b32 s41, 0
	s_mov_b32 s48, 0
	;; [unrolled: 1-line block ×3, first 2 shown]
	v_mov_b32_e32 v12, v14
.LBB67_68:                              ;   Parent Loop BB67_16 Depth=1
                                        ; =>  This Inner Loop Header: Depth=2
	ds_read_b64 v[1:2], v6
	v_add_u32_e32 v12, s19, v12
	v_add_u32_e32 v6, s17, v6
	s_waitcnt lgkmcnt(0)
	v_cmp_lt_i16_e32 vcc, -1, v1
	v_cndmask_b32_e32 v3, v33, v34, vcc
	v_lshlrev_b32_e32 v4, 16, v1
	v_cmp_o_f32_e32 vcc, v4, v4
	v_xor_b32_sdwa v3, v3, v1 dst_sel:DWORD dst_unused:UNUSED_PAD src0_sel:DWORD src1_sel:WORD_0
	v_cndmask_b32_e32 v3, v33, v3, vcc
	v_cmp_gt_i16_sdwa vcc, v1, v35 src0_sel:WORD_1 src1_sel:DWORD
	v_cndmask_b32_e32 v4, v33, v34, vcc
	v_and_b32_e32 v13, 0xffff0000, v1
	v_cmp_o_f32_e32 vcc, v13, v13
	v_xor_b32_sdwa v1, v4, v1 dst_sel:DWORD dst_unused:UNUSED_PAD src0_sel:DWORD src1_sel:WORD_1
	v_cndmask_b32_e32 v1, v33, v1, vcc
	v_cmp_lt_i16_e32 vcc, -1, v2
	v_cndmask_b32_e32 v4, v33, v34, vcc
	v_lshlrev_b32_e32 v13, 16, v2
	v_cmp_o_f32_e32 vcc, v13, v13
	v_xor_b32_sdwa v4, v4, v2 dst_sel:DWORD dst_unused:UNUSED_PAD src0_sel:DWORD src1_sel:WORD_0
	v_cndmask_b32_e32 v4, v33, v4, vcc
	v_cmp_gt_i16_sdwa vcc, v2, v35 src0_sel:WORD_1 src1_sel:DWORD
	v_cndmask_b32_e32 v13, v33, v34, vcc
	s_waitcnt vmcnt(0)
	v_and_b32_e32 v40, 0xffff0000, v2
	v_cmp_o_f32_e32 vcc, v40, v40
	v_xor_b32_sdwa v2, v13, v2 dst_sel:DWORD dst_unused:UNUSED_PAD src0_sel:DWORD src1_sel:WORD_1
	v_and_b32_e32 v13, v3, v37
	v_bfe_u32 v3, v3, v32, 2
	v_cndmask_b32_e32 v2, v33, v2, vcc
	v_cmp_eq_u32_e32 vcc, v13, v28
	v_and_b32_e32 v13, v1, v37
	v_bfe_u32 v1, v1, v32, 2
	v_cmp_eq_u32_e64 s[24:25], 0, v3
	v_cmp_eq_u32_e64 s[6:7], v13, v28
	v_and_b32_e32 v13, v4, v37
	v_bfe_u32 v4, v4, v32, 2
	s_and_b64 s[0:1], vcc, s[24:25]
	v_cmp_eq_u32_e64 s[24:25], 0, v1
	v_cmp_eq_u32_e64 s[20:21], v13, v28
	v_and_b32_e32 v13, v2, v37
	v_bfe_u32 v2, v2, v32, 2
	s_and_b64 s[72:73], s[6:7], s[24:25]
	v_cmp_eq_u32_e64 s[24:25], 0, v4
	v_cmp_eq_u32_e64 s[22:23], v13, v28
	s_and_b64 s[74:75], s[20:21], s[24:25]
	v_cmp_eq_u32_e64 s[24:25], 0, v2
	v_cndmask_b32_e64 v13, 0, 1, s[0:1]
	s_and_b64 s[76:77], s[22:23], s[24:25]
	v_cmp_ne_u32_e64 s[24:25], 0, v13
	v_cndmask_b32_e64 v13, 0, 1, s[72:73]
	s_bcnt1_i32_b64 s0, s[24:25]
	v_cmp_ne_u32_e64 s[24:25], 0, v13
	v_cndmask_b32_e64 v13, 0, 1, s[74:75]
	s_bcnt1_i32_b64 s1, s[24:25]
	v_cmp_ne_u32_e64 s[24:25], 0, v13
	v_cndmask_b32_e64 v13, 0, 1, s[76:77]
	s_add_i32 s0, s70, s0
	s_bcnt1_i32_b64 s71, s[24:25]
	v_cmp_ne_u32_e64 s[24:25], 0, v13
	s_add_i32 s0, s0, s1
	s_bcnt1_i32_b64 s24, s[24:25]
	s_add_i32 s0, s0, s71
	s_add_i32 s70, s0, s24
	v_cmp_eq_u32_e64 s[24:25], 1, v3
	s_and_b64 s[0:1], vcc, s[24:25]
	v_cmp_eq_u32_e64 s[24:25], 1, v1
	s_and_b64 s[72:73], s[6:7], s[24:25]
	v_cmp_eq_u32_e64 s[24:25], 1, v4
	s_and_b64 s[74:75], s[20:21], s[24:25]
	v_cmp_eq_u32_e64 s[24:25], 1, v2
	v_cndmask_b32_e64 v13, 0, 1, s[0:1]
	s_and_b64 s[76:77], s[22:23], s[24:25]
	v_cmp_ne_u32_e64 s[24:25], 0, v13
	v_cndmask_b32_e64 v13, 0, 1, s[72:73]
	s_bcnt1_i32_b64 s0, s[24:25]
	v_cmp_ne_u32_e64 s[24:25], 0, v13
	v_cndmask_b32_e64 v13, 0, 1, s[74:75]
	s_bcnt1_i32_b64 s1, s[24:25]
	v_cmp_ne_u32_e64 s[24:25], 0, v13
	v_cndmask_b32_e64 v13, 0, 1, s[76:77]
	s_add_i32 s0, s48, s0
	s_bcnt1_i32_b64 s71, s[24:25]
	v_cmp_ne_u32_e64 s[24:25], 0, v13
	s_add_i32 s0, s0, s1
	s_bcnt1_i32_b64 s24, s[24:25]
	s_add_i32 s0, s0, s71
	s_add_i32 s48, s0, s24
	v_cmp_eq_u32_e64 s[24:25], 2, v3
	s_and_b64 s[0:1], vcc, s[24:25]
	v_cmp_eq_u32_e64 s[24:25], 2, v1
	s_and_b64 s[72:73], s[6:7], s[24:25]
	v_cmp_eq_u32_e64 s[24:25], 2, v4
	s_and_b64 s[74:75], s[20:21], s[24:25]
	v_cmp_eq_u32_e64 s[24:25], 2, v2
	v_cndmask_b32_e64 v13, 0, 1, s[0:1]
	s_and_b64 s[76:77], s[22:23], s[24:25]
	v_cmp_ne_u32_e64 s[24:25], 0, v13
	v_cndmask_b32_e64 v13, 0, 1, s[72:73]
	s_bcnt1_i32_b64 s0, s[24:25]
	v_cmp_ne_u32_e64 s[24:25], 0, v13
	v_cndmask_b32_e64 v13, 0, 1, s[74:75]
	s_bcnt1_i32_b64 s1, s[24:25]
	v_cmp_ne_u32_e64 s[24:25], 0, v13
	v_cndmask_b32_e64 v13, 0, 1, s[76:77]
	s_add_i32 s0, s41, s0
	s_bcnt1_i32_b64 s71, s[24:25]
	v_cmp_ne_u32_e64 s[24:25], 0, v13
	s_add_i32 s0, s0, s1
	s_bcnt1_i32_b64 s24, s[24:25]
	s_add_i32 s0, s0, s71
	s_add_i32 s41, s0, s24
	v_cmp_eq_u32_e64 s[24:25], 3, v3
	s_and_b64 s[0:1], vcc, s[24:25]
	v_cmp_eq_u32_e32 vcc, 3, v1
	s_and_b64 s[6:7], s[6:7], vcc
	v_cmp_eq_u32_e32 vcc, 3, v4
	s_and_b64 s[20:21], s[20:21], vcc
	v_cmp_eq_u32_e32 vcc, 3, v2
	v_cndmask_b32_e64 v1, 0, 1, s[0:1]
	s_and_b64 s[22:23], s[22:23], vcc
	v_cmp_ne_u32_e32 vcc, 0, v1
	v_cndmask_b32_e64 v1, 0, 1, s[6:7]
	s_bcnt1_i32_b64 s0, vcc
	v_cmp_ne_u32_e32 vcc, 0, v1
	v_cndmask_b32_e64 v1, 0, 1, s[20:21]
	s_bcnt1_i32_b64 s1, vcc
	v_cmp_ne_u32_e32 vcc, 0, v1
	v_cndmask_b32_e64 v1, 0, 1, s[22:23]
	s_add_i32 s0, s39, s0
	s_bcnt1_i32_b64 s6, vcc
	v_cmp_ne_u32_e32 vcc, 0, v1
	s_add_i32 s0, s0, s1
	s_bcnt1_i32_b64 s7, vcc
	s_add_i32 s0, s0, s6
	s_add_i32 s39, s0, s7
	v_cmp_le_i32_e32 vcc, s38, v12
	s_or_b64 s[68:69], vcc, s[68:69]
	v_mov_b32_e32 v1, s70
	v_mov_b32_e32 v2, s48
	;; [unrolled: 1-line block ×4, first 2 shown]
	s_andn2_b64 exec, exec, s[68:69]
	s_cbranch_execnz .LBB67_68
; %bb.69:                               ;   in Loop: Header=BB67_16 Depth=1
	s_or_b64 exec, exec, s[68:69]
.LBB67_70:                              ;   in Loop: Header=BB67_16 Depth=1
	s_or_b64 exec, exec, s[26:27]
	v_add_u32_e32 v6, s38, v0
	v_cmp_gt_i32_e32 vcc, s40, v6
	s_and_saveexec_b64 s[68:69], vcc
	s_cbranch_execz .LBB67_74
; %bb.71:                               ;   in Loop: Header=BB67_16 Depth=1
	v_lshlrev_b32_e32 v12, 1, v6
	s_mov_b64 s[70:71], 0
.LBB67_72:                              ;   Parent Loop BB67_16 Depth=1
                                        ; =>  This Inner Loop Header: Depth=2
	ds_read_u16 v13, v12
	v_add_u32_e32 v6, s36, v6
	v_cmp_le_i32_e32 vcc, s40, v6
	v_add_u32_e32 v12, s51, v12
	s_waitcnt lgkmcnt(0)
	v_cmp_lt_i16_e64 s[6:7], -1, v13
	s_waitcnt vmcnt(0)
	v_cndmask_b32_e64 v40, v33, v34, s[6:7]
	v_lshlrev_b32_e32 v41, 16, v13
	v_xor_b32_sdwa v13, v40, v13 dst_sel:DWORD dst_unused:UNUSED_PAD src0_sel:DWORD src1_sel:WORD_0
	v_cmp_o_f32_e64 s[6:7], v41, v41
	v_cndmask_b32_e64 v13, v33, v13, s[6:7]
	v_and_b32_e32 v40, v13, v37
	v_bfe_u32 v13, v13, v32, 2
	v_cmp_eq_u32_e64 s[6:7], v40, v28
	v_cmp_eq_u32_e64 s[20:21], 0, v13
	;; [unrolled: 1-line block ×3, first 2 shown]
	s_and_b64 s[0:1], s[6:7], s[20:21]
	v_cmp_eq_u32_e64 s[24:25], 2, v13
	v_cmp_eq_u32_e64 s[26:27], 3, v13
	v_cndmask_b32_e64 v13, 0, 1, s[0:1]
	s_and_b64 s[0:1], s[6:7], s[22:23]
	v_cndmask_b32_e64 v40, 0, 1, s[0:1]
	s_and_b64 s[0:1], s[6:7], s[24:25]
	;; [unrolled: 2-line block ×3, first 2 shown]
	v_cndmask_b32_e64 v42, 0, 1, s[0:1]
	v_cmp_ne_u32_e64 s[6:7], 0, v13
	v_cmp_ne_u32_e64 s[20:21], 0, v40
	;; [unrolled: 1-line block ×4, first 2 shown]
	s_bcnt1_i32_b64 s0, s[6:7]
	s_bcnt1_i32_b64 s1, s[20:21]
	;; [unrolled: 1-line block ×4, first 2 shown]
	v_add_u32_e32 v1, s0, v1
	v_add_u32_e32 v2, s1, v2
	;; [unrolled: 1-line block ×3, first 2 shown]
	s_or_b64 s[70:71], vcc, s[70:71]
	v_add_u32_e32 v4, s7, v4
	s_andn2_b64 exec, exec, s[70:71]
	s_cbranch_execnz .LBB67_72
; %bb.73:                               ;   in Loop: Header=BB67_16 Depth=1
	s_or_b64 exec, exec, s[70:71]
.LBB67_74:                              ;   in Loop: Header=BB67_16 Depth=1
	s_or_b64 exec, exec, s[68:69]
	s_lshl_b32 s0, s52, 6
	s_and_saveexec_b64 s[6:7], s[2:3]
	s_cbranch_execnz .LBB67_46
	s_branch .LBB67_47
.LBB67_75:                              ;   in Loop: Header=BB67_16 Depth=1
	s_or_b64 exec, exec, s[22:23]
	s_waitcnt lgkmcnt(0)
	s_barrier
	s_mov_b64 s[6:7], exec
	v_readlane_b32 s0, v44, 5
	v_readlane_b32 s1, v44, 6
	s_and_b64 s[0:1], s[6:7], s[0:1]
	s_mov_b64 exec, s[0:1]
	s_cbranch_execz .LBB67_77
; %bb.76:                               ;   in Loop: Header=BB67_16 Depth=1
	ds_read_b32 v1, v7 offset:4104
	s_waitcnt lgkmcnt(0)
	ds_write_b32 v7, v1 offset:4096
.LBB67_77:                              ;   in Loop: Header=BB67_16 Depth=1
	s_or_b64 exec, exec, s[6:7]
	s_waitcnt lgkmcnt(0)
	s_barrier
	s_mov_b64 s[6:7], -1
	s_and_b64 vcc, exec, s[20:21]
	s_cbranch_vccnz .LBB67_31
	s_branch .LBB67_41
.LBB67_78:                              ;   in Loop: Header=BB67_16 Depth=1
	v_mov_b32_e32 v1, 0
	s_mov_b32 s1, 0
.LBB67_79:                              ;   in Loop: Header=BB67_16 Depth=1
	v_readlane_b32 s20, v44, 18
	v_readlane_b32 s21, v44, 19
	s_andn2_b64 vcc, exec, s[20:21]
	s_cbranch_vccnz .LBB67_82
; %bb.80:                               ;   in Loop: Header=BB67_16 Depth=1
	s_lshl_b32 s20, s52, 8
	s_lshl_b32 s1, s1, 4
	s_add_i32 s20, s20, s1
	v_add_u32_e32 v2, s20, v31
	v_readlane_b32 s1, v44, 17
.LBB67_81:                              ;   Parent Loop BB67_16 Depth=1
                                        ; =>  This Inner Loop Header: Depth=2
	ds_read_b32 v3, v2
	s_add_i32 s1, s1, -1
	v_add_u32_e32 v2, 16, v2
	s_cmp_lg_u32 s1, 0
	s_waitcnt lgkmcnt(0)
	v_add_u32_e32 v1, v3, v1
	s_cbranch_scc1 .LBB67_81
.LBB67_82:                              ;   in Loop: Header=BB67_16 Depth=1
	v_add_lshl_u32 v2, s0, v15, 2
	ds_write_b32 v2, v1 offset:3072
.LBB67_83:                              ;   in Loop: Header=BB67_16 Depth=1
	s_or_b64 exec, exec, s[6:7]
	s_lshl_b32 s0, s0, 2
	v_mov_b32_e32 v1, s0
	s_waitcnt lgkmcnt(0)
	s_barrier
	ds_read_b128 v[1:4], v1 offset:3072
	v_cmp_eq_u32_e32 vcc, 1, v39
	s_mov_b64 s[20:21], -1
	s_mov_b64 s[68:69], -1
                                        ; implicit-def: $sgpr26_sgpr27
                                        ; implicit-def: $sgpr24_sgpr25
	s_waitcnt lgkmcnt(0)
	v_readfirstlane_b32 s78, v1
	s_cmp_eq_u32 s78, 1
	v_readfirstlane_b32 s40, v3
	v_lshlrev_b32_e64 v3, v32, 3
	s_cselect_b64 s[0:1], -1, 0
	v_readfirstlane_b32 s41, v2
	v_readfirstlane_b32 s48, v4
	v_not_b32_e32 v6, v3
	s_and_b64 s[22:23], s[0:1], vcc
	s_and_saveexec_b64 s[6:7], s[22:23]
	s_cbranch_execz .LBB67_109
; %bb.84:                               ;   in Loop: Header=BB67_16 Depth=1
	ds_read_b32 v1, v7 offset:4096
	s_waitcnt lgkmcnt(0)
	s_barrier
	v_readfirstlane_b32 s0, v1
	s_and_saveexec_b64 s[24:25], s[4:5]
; %bb.85:                               ;   in Loop: Header=BB67_16 Depth=1
	ds_write_b16 v17, v7
; %bb.86:                               ;   in Loop: Header=BB67_16 Depth=1
	s_or_b64 exec, exec, s[24:25]
	v_and_b32_e32 v28, v28, v6
	v_or_b32_e32 v37, v37, v3
	s_mov_b64 s[24:25], -1
	s_mov_b64 s[26:27], 0
	s_cmp_lt_i32 s0, 1
	s_mov_b64 s[68:69], 0
	s_mov_b64 s[70:71], -1
	s_waitcnt lgkmcnt(0)
	s_barrier
                                        ; implicit-def: $vgpr38
	s_cbranch_scc0 .LBB67_97
; %bb.87:                               ;   in Loop: Header=BB67_16 Depth=1
	s_mov_b64 s[70:71], 0
                                        ; implicit-def: $vgpr38
	s_mov_b64 s[72:73], exec
	v_readlane_b32 s38, v44, 21
	v_readlane_b32 s39, v44, 22
	s_and_b64 s[38:39], s[72:73], s[38:39]
	s_mov_b64 exec, s[38:39]
	s_cbranch_execz .LBB67_96
; %bb.88:                               ;   in Loop: Header=BB67_16 Depth=1
	v_mov_b32_e32 v1, v5
	v_mov_b32_e32 v4, v0
                                        ; implicit-def: $sgpr74_sgpr75
	s_branch .LBB67_91
.LBB67_89:                              ;   in Loop: Header=BB67_91 Depth=2
	s_or_b64 exec, exec, s[38:39]
	s_waitcnt lgkmcnt(0)
	s_barrier
	ds_read_b32 v2, v7 offset:3072
	s_mov_b64 s[38:39], -1
	s_mov_b64 s[76:77], -1
	s_waitcnt lgkmcnt(0)
	s_barrier
	v_and_b32_e32 v12, 0x7fff, v2
	v_cmp_ne_u32_e32 vcc, 0, v12
	s_cbranch_vccz .LBB67_94
.LBB67_90:                              ;   in Loop: Header=BB67_91 Depth=2
	s_and_b64 s[38:39], exec, s[38:39]
	s_or_b64 s[68:69], s[38:39], s[68:69]
	s_andn2_b64 s[38:39], s[74:75], exec
	s_and_b64 s[74:75], s[76:77], exec
	s_or_b64 s[74:75], s[38:39], s[74:75]
	s_andn2_b64 exec, exec, s[68:69]
	s_cbranch_execz .LBB67_95
.LBB67_91:                              ;   Parent Loop BB67_16 Depth=1
                                        ; =>  This Inner Loop Header: Depth=2
	v_cmp_gt_i32_e32 vcc, s28, v4
	s_and_saveexec_b64 s[38:39], vcc
	s_cbranch_execz .LBB67_89
; %bb.92:                               ;   in Loop: Header=BB67_91 Depth=2
	v_ashrrev_i32_e32 v2, 31, v1
	v_lshlrev_b64 v[12:13], 1, v[1:2]
	v_mov_b32_e32 v2, s18
	v_add_co_u32_e32 v12, vcc, s34, v12
	v_addc_co_u32_e32 v13, vcc, v2, v13, vcc
	global_load_ushort v2, v[12:13], off
	s_waitcnt vmcnt(0)
	v_cmp_lt_i16_e32 vcc, -1, v2
	v_cndmask_b32_e32 v12, v33, v34, vcc
	v_lshlrev_b32_e32 v13, 16, v2
	v_xor_b32_sdwa v12, v12, v2 dst_sel:DWORD dst_unused:UNUSED_PAD src0_sel:DWORD src1_sel:WORD_0
	v_cmp_o_f32_e32 vcc, v13, v13
	v_cndmask_b32_e32 v12, v33, v12, vcc
	v_and_b32_e32 v12, v12, v37
	v_cmp_eq_u32_e32 vcc, v12, v28
	s_and_b64 exec, exec, vcc
	s_cbranch_execz .LBB67_89
; %bb.93:                               ;   in Loop: Header=BB67_91 Depth=2
	v_perm_b32 v2, v2, s29, v36
	ds_write_b32 v7, v2 offset:3072
	s_branch .LBB67_89
.LBB67_94:                              ;   in Loop: Header=BB67_91 Depth=2
	v_add_u32_e32 v4, s36, v4
	v_cmp_le_i32_e32 vcc, s49, v4
	v_add_u32_e32 v1, s50, v1
	s_mov_b64 s[76:77], 0
	s_orn2_b64 s[38:39], vcc, exec
	s_branch .LBB67_90
.LBB67_95:                              ;   in Loop: Header=BB67_16 Depth=1
	s_or_b64 exec, exec, s[68:69]
	v_lshrrev_b32_e32 v38, 16, v2
	s_and_b64 s[68:69], s[74:75], exec
.LBB67_96:                              ;   in Loop: Header=BB67_16 Depth=1
	s_or_b64 exec, exec, s[72:73]
.LBB67_97:                              ;   in Loop: Header=BB67_16 Depth=1
	s_and_b64 vcc, exec, s[70:71]
	s_cbranch_vccz .LBB67_108
; %bb.98:                               ;   in Loop: Header=BB67_16 Depth=1
	v_readlane_b32 s1, v44, 8
	s_add_i32 s1, s0, s1
	s_abs_i32 s25, s1
	v_readlane_b32 s26, v44, 20
	s_mul_hi_u32 s26, s25, s26
	s_mul_i32 s26, s26, s36
	s_sub_i32 s25, s25, s26
	s_ashr_i32 s24, s1, 31
	s_sub_i32 s26, s25, s36
	s_cmp_ge_u32 s25, s36
	s_cselect_b32 s25, s26, s25
	s_sub_i32 s26, s25, s36
	s_cmp_ge_u32 s25, s36
	s_cselect_b32 s25, s26, s25
	s_xor_b32 s25, s25, s24
	s_sub_i32 s24, s24, s25
	s_add_i32 s1, s1, s24
	v_cmp_gt_i32_e32 vcc, s1, v0
                                        ; implicit-def: $vgpr38
	s_and_saveexec_b64 s[24:25], vcc
	s_cbranch_execz .LBB67_107
; %bb.99:                               ;   in Loop: Header=BB67_16 Depth=1
	s_mov_b64 s[26:27], 0
	v_mov_b32_e32 v1, v16
	v_mov_b32_e32 v2, v0
                                        ; implicit-def: $sgpr70_sgpr71
	s_branch .LBB67_102
.LBB67_100:                             ;   in Loop: Header=BB67_102 Depth=2
	s_or_b64 exec, exec, s[38:39]
	s_waitcnt lgkmcnt(0)
	s_barrier
	ds_read_b32 v4, v7 offset:3072
	s_mov_b64 s[38:39], -1
	s_mov_b64 s[72:73], -1
	s_waitcnt lgkmcnt(0)
	s_barrier
	v_and_b32_e32 v12, 0x7fff, v4
	v_cmp_ne_u32_e32 vcc, 0, v12
	s_cbranch_vccz .LBB67_105
.LBB67_101:                             ;   in Loop: Header=BB67_102 Depth=2
	s_and_b64 s[38:39], exec, s[38:39]
	s_or_b64 s[26:27], s[38:39], s[26:27]
	s_andn2_b64 s[38:39], s[70:71], exec
	s_and_b64 s[70:71], s[72:73], exec
	s_or_b64 s[70:71], s[38:39], s[70:71]
	s_andn2_b64 exec, exec, s[26:27]
	s_cbranch_execz .LBB67_106
.LBB67_102:                             ;   Parent Loop BB67_16 Depth=1
                                        ; =>  This Inner Loop Header: Depth=2
	v_cmp_gt_i32_e32 vcc, s0, v2
	s_and_saveexec_b64 s[38:39], vcc
	s_cbranch_execz .LBB67_100
; %bb.103:                              ;   in Loop: Header=BB67_102 Depth=2
	ds_read_u16 v4, v1
	s_waitcnt lgkmcnt(0)
	v_cmp_lt_i16_e32 vcc, -1, v4
	v_cndmask_b32_e32 v12, v33, v34, vcc
	v_lshlrev_b32_e32 v13, 16, v4
	v_xor_b32_sdwa v12, v12, v4 dst_sel:DWORD dst_unused:UNUSED_PAD src0_sel:DWORD src1_sel:WORD_0
	v_cmp_o_f32_e32 vcc, v13, v13
	v_cndmask_b32_e32 v12, v33, v12, vcc
	v_and_b32_e32 v12, v12, v37
	v_cmp_eq_u32_e32 vcc, v12, v28
	s_and_b64 exec, exec, vcc
	s_cbranch_execz .LBB67_100
; %bb.104:                              ;   in Loop: Header=BB67_102 Depth=2
	v_perm_b32 v4, v4, s29, v36
	ds_write_b32 v7, v4 offset:3072
	s_branch .LBB67_100
.LBB67_105:                             ;   in Loop: Header=BB67_102 Depth=2
	v_add_u32_e32 v2, s36, v2
	v_cmp_le_i32_e32 vcc, s1, v2
	v_add_u32_e32 v1, s51, v1
	s_mov_b64 s[72:73], 0
	s_orn2_b64 s[38:39], vcc, exec
	s_branch .LBB67_101
.LBB67_106:                             ;   in Loop: Header=BB67_16 Depth=1
	s_or_b64 exec, exec, s[26:27]
	s_andn2_b64 s[0:1], s[68:69], exec
	s_and_b64 s[26:27], s[70:71], exec
	v_lshrrev_b32_e32 v38, 16, v4
	s_or_b64 s[68:69], s[0:1], s[26:27]
.LBB67_107:                             ;   in Loop: Header=BB67_16 Depth=1
	s_or_b64 exec, exec, s[24:25]
	s_mov_b64 s[24:25], 0
	s_mov_b64 s[26:27], -1
.LBB67_108:                             ;   in Loop: Header=BB67_16 Depth=1
	s_orn2_b64 s[68:69], s[68:69], exec
.LBB67_109:                             ;   in Loop: Header=BB67_16 Depth=1
	s_or_b64 exec, exec, s[6:7]
	s_andn2_b64 s[6:7], s[66:67], exec
	s_and_b64 s[26:27], s[26:27], exec
	s_or_b64 s[66:67], s[6:7], s[26:27]
	s_andn2_b64 s[6:7], s[64:65], exec
	s_and_b64 s[24:25], s[24:25], exec
	v_readfirstlane_b32 s0, v0
	s_andn2_b64 s[62:63], s[62:63], exec
	s_or_b64 s[64:65], s[6:7], s[24:25]
                                        ; implicit-def: $vgpr12
	s_and_saveexec_b64 s[6:7], s[68:69]
	s_cbranch_execz .LBB67_15
; %bb.110:                              ;   in Loop: Header=BB67_16 Depth=1
	s_xor_b64 s[0:1], s[22:23], -1
	s_mov_b64 s[22:23], 0
	v_mov_b32_e32 v12, 1
	v_mov_b32_e32 v4, 1
	s_and_saveexec_b64 s[20:21], s[0:1]
	s_cbranch_execz .LBB67_119
; %bb.111:                              ;   in Loop: Header=BB67_16 Depth=1
	v_cmp_ge_i32_e32 vcc, s78, v39
	s_and_saveexec_b64 s[0:1], vcc
	s_xor_b64 s[22:23], exec, s[0:1]
	s_cbranch_execz .LBB67_116
; %bb.112:                              ;   in Loop: Header=BB67_16 Depth=1
	ds_read_b32 v1, v7 offset:4096
	v_and_b32_e32 v28, v28, v6
	v_or_b32_e32 v37, v37, v3
	s_waitcnt lgkmcnt(0)
	v_cmp_ne_u32_e32 vcc, 0, v1
	s_cbranch_vccnz .LBB67_116
; %bb.113:                              ;   in Loop: Header=BB67_16 Depth=1
	s_mov_b64 s[24:25], exec
	v_readlane_b32 s0, v44, 5
	v_readlane_b32 s1, v44, 6
	s_and_b64 s[0:1], s[24:25], s[0:1]
	s_mov_b64 exec, s[0:1]
; %bb.114:                              ;   in Loop: Header=BB67_16 Depth=1
	v_mov_b32_e32 v1, s78
	ds_write_b32 v7, v1 offset:4100
; %bb.115:                              ;   in Loop: Header=BB67_16 Depth=1
	s_or_b64 exec, exec, s[24:25]
	s_waitcnt lgkmcnt(0)
	s_barrier
.LBB67_116:                             ;   in Loop: Header=BB67_16 Depth=1
	s_or_saveexec_b64 s[22:23], s[22:23]
	s_mov_b64 s[24:25], 0
	v_mov_b32_e32 v4, 8
	s_xor_b64 exec, exec, s[22:23]
; %bb.117:                              ;   in Loop: Header=BB67_16 Depth=1
	s_mov_b64 s[24:25], exec
	v_subrev_u32_e32 v39, s78, v39
	v_mov_b32_e32 v4, 0
; %bb.118:                              ;   in Loop: Header=BB67_16 Depth=1
	s_or_b64 exec, exec, s[22:23]
	s_and_b64 s[22:23], s[24:25], exec
	v_mov_b32_e32 v12, v39
.LBB67_119:                             ;   in Loop: Header=BB67_16 Depth=1
	s_or_b64 exec, exec, s[20:21]
	s_mov_b64 s[20:21], -1
	s_mov_b64 s[68:69], -1
                                        ; implicit-def: $sgpr24_sgpr25
                                        ; implicit-def: $sgpr26_sgpr27
	s_and_saveexec_b64 s[0:1], s[22:23]
	s_xor_b64 s[22:23], exec, s[0:1]
	s_cbranch_execz .LBB67_236
; %bb.120:                              ;   in Loop: Header=BB67_16 Depth=1
	s_cmp_eq_u32 s41, 1
	s_cselect_b64 s[0:1], -1, 0
	v_cmp_eq_u32_e32 vcc, 1, v12
	s_and_b64 s[70:71], s[0:1], vcc
	s_mov_b64 s[72:73], -1
                                        ; implicit-def: $sgpr26_sgpr27
                                        ; implicit-def: $sgpr24_sgpr25
	s_and_saveexec_b64 s[68:69], s[70:71]
	s_cbranch_execz .LBB67_146
; %bb.121:                              ;   in Loop: Header=BB67_16 Depth=1
	ds_read_b32 v1, v7 offset:4096
	s_waitcnt lgkmcnt(0)
	s_barrier
	v_readfirstlane_b32 s0, v1
	s_and_saveexec_b64 s[24:25], s[4:5]
; %bb.122:                              ;   in Loop: Header=BB67_16 Depth=1
	ds_write_b16 v17, v7
; %bb.123:                              ;   in Loop: Header=BB67_16 Depth=1
	s_or_b64 exec, exec, s[24:25]
	v_and_b32_e32 v1, v28, v6
	v_lshl_or_b32 v28, 1, v32, v1
	v_or_b32_e32 v37, v37, v3
	s_mov_b64 s[24:25], -1
	s_mov_b64 s[26:27], 0
	s_cmp_gt_i32 s0, 0
	s_mov_b64 s[72:73], 0
	s_mov_b64 s[74:75], -1
	s_waitcnt lgkmcnt(0)
	s_barrier
                                        ; implicit-def: $vgpr38
	s_cbranch_scc1 .LBB67_134
; %bb.124:                              ;   in Loop: Header=BB67_16 Depth=1
	s_mov_b64 s[74:75], 0
                                        ; implicit-def: $vgpr38
	s_mov_b64 s[76:77], exec
	v_readlane_b32 s38, v44, 21
	v_readlane_b32 s39, v44, 22
	s_and_b64 s[38:39], s[76:77], s[38:39]
	s_mov_b64 exec, s[38:39]
	s_cbranch_execz .LBB67_133
; %bb.125:                              ;   in Loop: Header=BB67_16 Depth=1
	v_mov_b32_e32 v1, v5
	v_mov_b32_e32 v13, v0
                                        ; implicit-def: $sgpr78_sgpr79
	s_branch .LBB67_128
.LBB67_126:                             ;   in Loop: Header=BB67_128 Depth=2
	s_or_b64 exec, exec, s[80:81]
	s_waitcnt lgkmcnt(0)
	s_barrier
	ds_read_b32 v2, v7 offset:3072
	s_mov_b64 s[38:39], -1
	s_mov_b64 s[80:81], -1
	s_waitcnt lgkmcnt(0)
	s_barrier
	v_and_b32_e32 v38, 0x7fff, v2
	v_cmp_ne_u32_e32 vcc, 0, v38
	s_cbranch_vccz .LBB67_131
.LBB67_127:                             ;   in Loop: Header=BB67_128 Depth=2
	s_and_b64 s[38:39], exec, s[38:39]
	s_or_b64 s[72:73], s[38:39], s[72:73]
	s_andn2_b64 s[38:39], s[78:79], exec
	s_and_b64 s[78:79], s[80:81], exec
	s_or_b64 s[78:79], s[38:39], s[78:79]
	s_andn2_b64 exec, exec, s[72:73]
	s_cbranch_execz .LBB67_132
.LBB67_128:                             ;   Parent Loop BB67_16 Depth=1
                                        ; =>  This Inner Loop Header: Depth=2
	v_cmp_gt_i32_e32 vcc, s28, v13
	s_and_saveexec_b64 s[80:81], vcc
	s_cbranch_execz .LBB67_126
; %bb.129:                              ;   in Loop: Header=BB67_128 Depth=2
	v_ashrrev_i32_e32 v2, 31, v1
	v_lshlrev_b64 v[38:39], 1, v[1:2]
	v_mov_b32_e32 v2, s18
	v_add_co_u32_e32 v38, vcc, s34, v38
	v_addc_co_u32_e32 v39, vcc, v2, v39, vcc
	global_load_ushort v2, v[38:39], off
	s_waitcnt vmcnt(0)
	v_cmp_lt_i16_e32 vcc, -1, v2
	v_cndmask_b32_e32 v38, v33, v34, vcc
	v_lshlrev_b32_e32 v39, 16, v2
	v_xor_b32_sdwa v38, v38, v2 dst_sel:DWORD dst_unused:UNUSED_PAD src0_sel:DWORD src1_sel:WORD_0
	v_cmp_o_f32_e32 vcc, v39, v39
	v_cndmask_b32_e32 v38, v33, v38, vcc
	v_and_b32_e32 v38, v38, v37
	v_cmp_eq_u32_e32 vcc, v38, v28
	s_and_b64 exec, exec, vcc
	s_cbranch_execz .LBB67_126
; %bb.130:                              ;   in Loop: Header=BB67_128 Depth=2
	v_perm_b32 v2, v2, s29, v36
	ds_write_b32 v7, v2 offset:3072
	s_branch .LBB67_126
.LBB67_131:                             ;   in Loop: Header=BB67_128 Depth=2
	v_add_u32_e32 v13, s36, v13
	v_cmp_le_i32_e32 vcc, s49, v13
	v_add_u32_e32 v1, s50, v1
	s_mov_b64 s[80:81], 0
	s_orn2_b64 s[38:39], vcc, exec
	s_branch .LBB67_127
.LBB67_132:                             ;   in Loop: Header=BB67_16 Depth=1
	s_or_b64 exec, exec, s[72:73]
	v_lshrrev_b32_e32 v38, 16, v2
	s_and_b64 s[72:73], s[78:79], exec
.LBB67_133:                             ;   in Loop: Header=BB67_16 Depth=1
	s_or_b64 exec, exec, s[76:77]
.LBB67_134:                             ;   in Loop: Header=BB67_16 Depth=1
	s_and_b64 vcc, exec, s[74:75]
	s_cbranch_vccz .LBB67_145
; %bb.135:                              ;   in Loop: Header=BB67_16 Depth=1
	v_readlane_b32 s1, v44, 8
	s_add_i32 s1, s0, s1
	s_abs_i32 s25, s1
	v_readlane_b32 s26, v44, 20
	s_mul_hi_u32 s26, s25, s26
	s_mul_i32 s26, s26, s36
	s_sub_i32 s25, s25, s26
	s_ashr_i32 s24, s1, 31
	s_sub_i32 s26, s25, s36
	s_cmp_ge_u32 s25, s36
	s_cselect_b32 s25, s26, s25
	s_sub_i32 s26, s25, s36
	s_cmp_ge_u32 s25, s36
	s_cselect_b32 s25, s26, s25
	s_xor_b32 s25, s25, s24
	s_sub_i32 s24, s24, s25
	s_add_i32 s1, s1, s24
	v_cmp_gt_i32_e32 vcc, s1, v0
                                        ; implicit-def: $vgpr38
	s_and_saveexec_b64 s[24:25], vcc
	s_cbranch_execz .LBB67_144
; %bb.136:                              ;   in Loop: Header=BB67_16 Depth=1
	s_mov_b64 s[26:27], 0
	v_mov_b32_e32 v1, v16
	v_mov_b32_e32 v2, v0
                                        ; implicit-def: $sgpr74_sgpr75
	s_branch .LBB67_139
.LBB67_137:                             ;   in Loop: Header=BB67_139 Depth=2
	s_or_b64 exec, exec, s[38:39]
	s_waitcnt lgkmcnt(0)
	s_barrier
	ds_read_b32 v13, v7 offset:3072
	s_mov_b64 s[38:39], -1
	s_mov_b64 s[76:77], -1
	s_waitcnt lgkmcnt(0)
	s_barrier
	v_and_b32_e32 v38, 0x7fff, v13
	v_cmp_eq_u32_e32 vcc, 0, v38
	s_cbranch_vccnz .LBB67_142
.LBB67_138:                             ;   in Loop: Header=BB67_139 Depth=2
	s_and_b64 s[38:39], exec, s[38:39]
	s_or_b64 s[26:27], s[38:39], s[26:27]
	s_andn2_b64 s[38:39], s[74:75], exec
	s_and_b64 s[74:75], s[76:77], exec
	s_or_b64 s[74:75], s[38:39], s[74:75]
	s_andn2_b64 exec, exec, s[26:27]
	s_cbranch_execz .LBB67_143
.LBB67_139:                             ;   Parent Loop BB67_16 Depth=1
                                        ; =>  This Inner Loop Header: Depth=2
	v_cmp_gt_i32_e32 vcc, s0, v2
	s_and_saveexec_b64 s[38:39], vcc
	s_cbranch_execz .LBB67_137
; %bb.140:                              ;   in Loop: Header=BB67_139 Depth=2
	ds_read_u16 v13, v1
	s_waitcnt lgkmcnt(0)
	v_cmp_lt_i16_e32 vcc, -1, v13
	v_cndmask_b32_e32 v38, v33, v34, vcc
	v_lshlrev_b32_e32 v39, 16, v13
	v_xor_b32_sdwa v38, v38, v13 dst_sel:DWORD dst_unused:UNUSED_PAD src0_sel:DWORD src1_sel:WORD_0
	v_cmp_o_f32_e32 vcc, v39, v39
	v_cndmask_b32_e32 v38, v33, v38, vcc
	v_and_b32_e32 v38, v38, v37
	v_cmp_eq_u32_e32 vcc, v38, v28
	s_and_b64 exec, exec, vcc
	s_cbranch_execz .LBB67_137
; %bb.141:                              ;   in Loop: Header=BB67_139 Depth=2
	v_perm_b32 v13, v13, s29, v36
	ds_write_b32 v7, v13 offset:3072
	s_branch .LBB67_137
.LBB67_142:                             ;   in Loop: Header=BB67_139 Depth=2
	v_add_u32_e32 v2, s36, v2
	v_cmp_le_i32_e32 vcc, s1, v2
	v_add_u32_e32 v1, s51, v1
	s_mov_b64 s[76:77], 0
	s_orn2_b64 s[38:39], vcc, exec
	s_branch .LBB67_138
.LBB67_143:                             ;   in Loop: Header=BB67_16 Depth=1
	s_or_b64 exec, exec, s[26:27]
	s_andn2_b64 s[0:1], s[72:73], exec
	s_and_b64 s[26:27], s[74:75], exec
	v_lshrrev_b32_e32 v38, 16, v13
	s_or_b64 s[72:73], s[0:1], s[26:27]
.LBB67_144:                             ;   in Loop: Header=BB67_16 Depth=1
	s_or_b64 exec, exec, s[24:25]
	s_mov_b64 s[24:25], 0
	s_mov_b64 s[26:27], -1
.LBB67_145:                             ;   in Loop: Header=BB67_16 Depth=1
	s_orn2_b64 s[72:73], s[72:73], exec
.LBB67_146:                             ;   in Loop: Header=BB67_16 Depth=1
	s_or_b64 exec, exec, s[68:69]
	s_mov_b64 s[38:39], 0
	s_and_saveexec_b64 s[68:69], s[72:73]
	s_cbranch_execz .LBB67_235
; %bb.147:                              ;   in Loop: Header=BB67_16 Depth=1
	s_xor_b64 s[0:1], s[70:71], -1
	v_mov_b32_e32 v13, 1
	v_mov_b32_e32 v4, 1
	s_and_saveexec_b64 s[70:71], s[0:1]
	s_cbranch_execz .LBB67_156
; %bb.148:                              ;   in Loop: Header=BB67_16 Depth=1
	v_cmp_ge_i32_e32 vcc, s41, v12
	s_and_saveexec_b64 s[0:1], vcc
	s_xor_b64 s[72:73], exec, s[0:1]
	s_cbranch_execz .LBB67_153
; %bb.149:                              ;   in Loop: Header=BB67_16 Depth=1
	ds_read_b32 v1, v7 offset:4096
	v_and_b32_e32 v2, v28, v6
	v_lshl_or_b32 v28, 1, v32, v2
	v_or_b32_e32 v37, v37, v3
	s_waitcnt lgkmcnt(0)
	v_cmp_ne_u32_e32 vcc, 0, v1
	s_cbranch_vccnz .LBB67_153
; %bb.150:                              ;   in Loop: Header=BB67_16 Depth=1
	s_mov_b64 s[38:39], exec
	v_readlane_b32 s0, v44, 5
	v_readlane_b32 s1, v44, 6
	s_and_b64 s[0:1], s[38:39], s[0:1]
	s_mov_b64 exec, s[0:1]
; %bb.151:                              ;   in Loop: Header=BB67_16 Depth=1
	v_mov_b32_e32 v1, s41
	ds_write_b32 v7, v1 offset:4100
; %bb.152:                              ;   in Loop: Header=BB67_16 Depth=1
	s_or_b64 exec, exec, s[38:39]
	s_waitcnt lgkmcnt(0)
	s_barrier
.LBB67_153:                             ;   in Loop: Header=BB67_16 Depth=1
	s_or_saveexec_b64 s[38:39], s[72:73]
	s_mov_b64 s[72:73], 0
	v_mov_b32_e32 v4, 8
	s_xor_b64 exec, exec, s[38:39]
; %bb.154:                              ;   in Loop: Header=BB67_16 Depth=1
	s_mov_b64 s[72:73], exec
	v_subrev_u32_e32 v12, s41, v12
	v_mov_b32_e32 v4, 0
; %bb.155:                              ;   in Loop: Header=BB67_16 Depth=1
	s_or_b64 exec, exec, s[38:39]
	s_and_b64 s[38:39], s[72:73], exec
	v_mov_b32_e32 v13, v12
.LBB67_156:                             ;   in Loop: Header=BB67_16 Depth=1
	s_or_b64 exec, exec, s[70:71]
	s_mov_b64 s[76:77], -1
                                        ; implicit-def: $sgpr72_sgpr73
                                        ; implicit-def: $sgpr74_sgpr75
	s_and_saveexec_b64 s[70:71], s[38:39]
	s_cbranch_execz .LBB67_234
; %bb.157:                              ;   in Loop: Header=BB67_16 Depth=1
	s_cmp_eq_u32 s40, 1
	s_cselect_b64 s[0:1], -1, 0
	v_cmp_eq_u32_e32 vcc, 1, v13
	s_and_b64 s[78:79], s[0:1], vcc
	s_mov_b64 s[80:81], -1
                                        ; implicit-def: $sgpr74_sgpr75
                                        ; implicit-def: $sgpr72_sgpr73
	s_and_saveexec_b64 s[76:77], s[78:79]
	s_cbranch_execz .LBB67_183
; %bb.158:                              ;   in Loop: Header=BB67_16 Depth=1
	ds_read_b32 v1, v7 offset:4096
	s_waitcnt lgkmcnt(0)
	s_barrier
	v_readfirstlane_b32 s41, v1
	s_and_saveexec_b64 s[38:39], s[4:5]
; %bb.159:                              ;   in Loop: Header=BB67_16 Depth=1
	ds_write_b16 v17, v7
; %bb.160:                              ;   in Loop: Header=BB67_16 Depth=1
	s_or_b64 exec, exec, s[38:39]
	v_and_b32_e32 v1, v28, v6
	v_lshl_or_b32 v28, 2, v32, v1
	v_or_b32_e32 v37, v37, v3
	s_mov_b64 s[72:73], -1
	s_mov_b64 s[74:75], 0
	s_cmp_gt_i32 s41, 0
	s_mov_b64 s[80:81], 0
	s_mov_b64 s[82:83], -1
	s_waitcnt lgkmcnt(0)
	s_barrier
                                        ; implicit-def: $vgpr38
	s_cbranch_scc1 .LBB67_171
; %bb.161:                              ;   in Loop: Header=BB67_16 Depth=1
	s_mov_b64 s[82:83], 0
                                        ; implicit-def: $vgpr38
	s_mov_b64 s[84:85], exec
	v_readlane_b32 s0, v44, 21
	v_readlane_b32 s1, v44, 22
	s_and_b64 s[0:1], s[84:85], s[0:1]
	s_mov_b64 exec, s[0:1]
	s_cbranch_execz .LBB67_170
; %bb.162:                              ;   in Loop: Header=BB67_16 Depth=1
	v_mov_b32_e32 v1, v5
	v_mov_b32_e32 v12, v0
                                        ; implicit-def: $sgpr86_sgpr87
	s_branch .LBB67_165
.LBB67_163:                             ;   in Loop: Header=BB67_165 Depth=2
	s_or_b64 exec, exec, s[88:89]
	s_waitcnt lgkmcnt(0)
	s_barrier
	ds_read_b32 v2, v7 offset:3072
	s_mov_b64 s[38:39], -1
	s_mov_b64 s[88:89], -1
	s_waitcnt lgkmcnt(0)
	s_barrier
	v_and_b32_e32 v38, 0x7fff, v2
	v_cmp_ne_u32_e32 vcc, 0, v38
	s_cbranch_vccz .LBB67_168
.LBB67_164:                             ;   in Loop: Header=BB67_165 Depth=2
	s_and_b64 s[0:1], exec, s[38:39]
	s_or_b64 s[80:81], s[0:1], s[80:81]
	s_andn2_b64 s[0:1], s[86:87], exec
	s_and_b64 s[38:39], s[88:89], exec
	s_or_b64 s[86:87], s[0:1], s[38:39]
	s_andn2_b64 exec, exec, s[80:81]
	s_cbranch_execz .LBB67_169
.LBB67_165:                             ;   Parent Loop BB67_16 Depth=1
                                        ; =>  This Inner Loop Header: Depth=2
	v_cmp_gt_i32_e32 vcc, s28, v12
	s_and_saveexec_b64 s[88:89], vcc
	s_cbranch_execz .LBB67_163
; %bb.166:                              ;   in Loop: Header=BB67_165 Depth=2
	v_ashrrev_i32_e32 v2, 31, v1
	v_lshlrev_b64 v[38:39], 1, v[1:2]
	v_mov_b32_e32 v2, s18
	v_add_co_u32_e32 v38, vcc, s34, v38
	v_addc_co_u32_e32 v39, vcc, v2, v39, vcc
	global_load_ushort v2, v[38:39], off
	s_waitcnt vmcnt(0)
	v_cmp_lt_i16_e32 vcc, -1, v2
	v_cndmask_b32_e32 v38, v33, v34, vcc
	v_lshlrev_b32_e32 v39, 16, v2
	v_xor_b32_sdwa v38, v38, v2 dst_sel:DWORD dst_unused:UNUSED_PAD src0_sel:DWORD src1_sel:WORD_0
	v_cmp_o_f32_e32 vcc, v39, v39
	v_cndmask_b32_e32 v38, v33, v38, vcc
	v_and_b32_e32 v38, v38, v37
	v_cmp_eq_u32_e32 vcc, v38, v28
	s_and_b64 exec, exec, vcc
	s_cbranch_execz .LBB67_163
; %bb.167:                              ;   in Loop: Header=BB67_165 Depth=2
	v_perm_b32 v2, v2, s29, v36
	ds_write_b32 v7, v2 offset:3072
	s_branch .LBB67_163
.LBB67_168:                             ;   in Loop: Header=BB67_165 Depth=2
	v_add_u32_e32 v12, s36, v12
	v_cmp_le_i32_e32 vcc, s49, v12
	v_add_u32_e32 v1, s50, v1
	s_mov_b64 s[88:89], 0
	s_orn2_b64 s[38:39], vcc, exec
	s_branch .LBB67_164
.LBB67_169:                             ;   in Loop: Header=BB67_16 Depth=1
	s_or_b64 exec, exec, s[80:81]
	v_lshrrev_b32_e32 v38, 16, v2
	s_and_b64 s[80:81], s[86:87], exec
.LBB67_170:                             ;   in Loop: Header=BB67_16 Depth=1
	s_or_b64 exec, exec, s[84:85]
.LBB67_171:                             ;   in Loop: Header=BB67_16 Depth=1
	s_and_b64 vcc, exec, s[82:83]
	s_cbranch_vccz .LBB67_182
; %bb.172:                              ;   in Loop: Header=BB67_16 Depth=1
	v_readlane_b32 s0, v44, 8
	s_add_i32 s0, s41, s0
	s_abs_i32 s38, s0
	v_readlane_b32 s39, v44, 20
	s_mul_hi_u32 s39, s38, s39
	s_mul_i32 s39, s39, s36
	s_sub_i32 s38, s38, s39
	s_ashr_i32 s1, s0, 31
	s_sub_i32 s39, s38, s36
	s_cmp_ge_u32 s38, s36
	s_cselect_b32 s38, s39, s38
	s_sub_i32 s39, s38, s36
	s_cmp_ge_u32 s38, s36
	s_cselect_b32 s38, s39, s38
	s_xor_b32 s38, s38, s1
	s_sub_i32 s1, s1, s38
	s_add_i32 s0, s0, s1
	v_cmp_gt_i32_e32 vcc, s0, v0
                                        ; implicit-def: $vgpr38
	s_and_saveexec_b64 s[72:73], vcc
	s_cbranch_execz .LBB67_181
; %bb.173:                              ;   in Loop: Header=BB67_16 Depth=1
	s_mov_b64 s[74:75], 0
	v_mov_b32_e32 v1, v16
	v_mov_b32_e32 v2, v0
                                        ; implicit-def: $sgpr82_sgpr83
	s_branch .LBB67_176
.LBB67_174:                             ;   in Loop: Header=BB67_176 Depth=2
	s_or_b64 exec, exec, s[38:39]
	s_waitcnt lgkmcnt(0)
	s_barrier
	ds_read_b32 v12, v7 offset:3072
	s_mov_b64 s[38:39], -1
	s_mov_b64 s[84:85], -1
	s_waitcnt lgkmcnt(0)
	s_barrier
	v_and_b32_e32 v38, 0x7fff, v12
	v_cmp_eq_u32_e32 vcc, 0, v38
	s_cbranch_vccnz .LBB67_179
.LBB67_175:                             ;   in Loop: Header=BB67_176 Depth=2
	s_and_b64 s[38:39], exec, s[38:39]
	s_or_b64 s[74:75], s[38:39], s[74:75]
	s_andn2_b64 s[38:39], s[82:83], exec
	s_and_b64 s[82:83], s[84:85], exec
	s_or_b64 s[82:83], s[38:39], s[82:83]
	s_andn2_b64 exec, exec, s[74:75]
	s_cbranch_execz .LBB67_180
.LBB67_176:                             ;   Parent Loop BB67_16 Depth=1
                                        ; =>  This Inner Loop Header: Depth=2
	v_cmp_gt_i32_e32 vcc, s41, v2
	s_and_saveexec_b64 s[38:39], vcc
	s_cbranch_execz .LBB67_174
; %bb.177:                              ;   in Loop: Header=BB67_176 Depth=2
	ds_read_u16 v12, v1
	s_waitcnt lgkmcnt(0)
	v_cmp_lt_i16_e32 vcc, -1, v12
	v_cndmask_b32_e32 v38, v33, v34, vcc
	v_lshlrev_b32_e32 v39, 16, v12
	v_cmp_o_f32_e32 vcc, v39, v39
	v_xor_b32_sdwa v38, v38, v12 dst_sel:DWORD dst_unused:UNUSED_PAD src0_sel:DWORD src1_sel:WORD_0
	v_cndmask_b32_e32 v38, v33, v38, vcc
	v_and_b32_e32 v38, v38, v37
	v_cmp_eq_u32_e32 vcc, v38, v28
	s_and_b64 exec, exec, vcc
	s_cbranch_execz .LBB67_174
; %bb.178:                              ;   in Loop: Header=BB67_176 Depth=2
	v_perm_b32 v12, v12, s29, v36
	ds_write_b32 v7, v12 offset:3072
	s_branch .LBB67_174
.LBB67_179:                             ;   in Loop: Header=BB67_176 Depth=2
	v_add_u32_e32 v2, s36, v2
	v_cmp_le_i32_e32 vcc, s0, v2
	v_add_u32_e32 v1, s51, v1
	s_mov_b64 s[84:85], 0
	s_orn2_b64 s[38:39], vcc, exec
	s_branch .LBB67_175
.LBB67_180:                             ;   in Loop: Header=BB67_16 Depth=1
	s_or_b64 exec, exec, s[74:75]
	s_andn2_b64 s[0:1], s[80:81], exec
	s_and_b64 s[38:39], s[82:83], exec
	v_lshrrev_b32_e32 v38, 16, v12
	s_or_b64 s[80:81], s[0:1], s[38:39]
.LBB67_181:                             ;   in Loop: Header=BB67_16 Depth=1
	s_or_b64 exec, exec, s[72:73]
	s_mov_b64 s[72:73], 0
	s_mov_b64 s[74:75], -1
.LBB67_182:                             ;   in Loop: Header=BB67_16 Depth=1
	s_orn2_b64 s[80:81], s[80:81], exec
.LBB67_183:                             ;   in Loop: Header=BB67_16 Depth=1
	s_or_b64 exec, exec, s[76:77]
	s_mov_b64 s[38:39], 0
	s_and_saveexec_b64 s[76:77], s[80:81]
	s_cbranch_execz .LBB67_233
; %bb.184:                              ;   in Loop: Header=BB67_16 Depth=1
	s_xor_b64 s[0:1], s[78:79], -1
	v_mov_b32_e32 v12, 1
	v_mov_b32_e32 v4, 1
	s_and_saveexec_b64 s[78:79], s[0:1]
	s_cbranch_execz .LBB67_193
; %bb.185:                              ;   in Loop: Header=BB67_16 Depth=1
	v_cmp_ge_i32_e32 vcc, s40, v13
	s_and_saveexec_b64 s[0:1], vcc
	s_xor_b64 s[80:81], exec, s[0:1]
	s_cbranch_execz .LBB67_190
; %bb.186:                              ;   in Loop: Header=BB67_16 Depth=1
	ds_read_b32 v1, v7 offset:4096
	v_and_b32_e32 v2, v28, v6
	v_lshl_or_b32 v28, 2, v32, v2
	v_or_b32_e32 v37, v37, v3
	s_waitcnt lgkmcnt(0)
	v_cmp_ne_u32_e32 vcc, 0, v1
	s_cbranch_vccnz .LBB67_190
; %bb.187:                              ;   in Loop: Header=BB67_16 Depth=1
	s_mov_b64 s[38:39], exec
	v_readlane_b32 s0, v44, 5
	v_readlane_b32 s1, v44, 6
	s_and_b64 s[0:1], s[38:39], s[0:1]
	s_mov_b64 exec, s[0:1]
; %bb.188:                              ;   in Loop: Header=BB67_16 Depth=1
	v_mov_b32_e32 v1, s40
	ds_write_b32 v7, v1 offset:4100
; %bb.189:                              ;   in Loop: Header=BB67_16 Depth=1
	s_or_b64 exec, exec, s[38:39]
	s_waitcnt lgkmcnt(0)
	s_barrier
.LBB67_190:                             ;   in Loop: Header=BB67_16 Depth=1
	s_or_saveexec_b64 s[38:39], s[80:81]
	s_mov_b64 s[80:81], 0
	v_mov_b32_e32 v4, 8
	s_xor_b64 exec, exec, s[38:39]
; %bb.191:                              ;   in Loop: Header=BB67_16 Depth=1
	s_mov_b64 s[80:81], exec
	v_subrev_u32_e32 v13, s40, v13
	v_mov_b32_e32 v4, 0
; %bb.192:                              ;   in Loop: Header=BB67_16 Depth=1
	s_or_b64 exec, exec, s[38:39]
	s_and_b64 s[38:39], s[80:81], exec
	v_mov_b32_e32 v12, v13
.LBB67_193:                             ;   in Loop: Header=BB67_16 Depth=1
	s_or_b64 exec, exec, s[78:79]
	s_mov_b64 s[80:81], -1
                                        ; implicit-def: $sgpr84_sgpr85
                                        ; implicit-def: $sgpr82_sgpr83
	s_and_saveexec_b64 s[78:79], s[38:39]
	s_cbranch_execz .LBB67_232
; %bb.194:                              ;   in Loop: Header=BB67_16 Depth=1
	s_cmp_eq_u32 s48, 1
	s_cselect_b64 s[0:1], -1, 0
	v_cmp_eq_u32_e32 vcc, 1, v12
	s_and_b64 s[80:81], s[0:1], vcc
	s_mov_b64 s[38:39], -1
                                        ; implicit-def: $sgpr84_sgpr85
                                        ; implicit-def: $sgpr82_sgpr83
	s_and_saveexec_b64 s[86:87], s[80:81]
	s_cbranch_execz .LBB67_220
; %bb.195:                              ;   in Loop: Header=BB67_16 Depth=1
	ds_read_b32 v1, v7 offset:4096
	s_waitcnt lgkmcnt(0)
	s_barrier
	v_readfirstlane_b32 s0, v1
	s_and_saveexec_b64 s[38:39], s[4:5]
; %bb.196:                              ;   in Loop: Header=BB67_16 Depth=1
	ds_write_b16 v17, v7
; %bb.197:                              ;   in Loop: Header=BB67_16 Depth=1
	s_or_b64 exec, exec, s[38:39]
	v_or_b32_e32 v28, v28, v3
	v_or_b32_e32 v37, v37, v3
	s_mov_b64 s[82:83], -1
	s_mov_b64 s[84:85], 0
	s_cmp_gt_i32 s0, 0
	s_mov_b64 s[88:89], 0
	s_mov_b64 s[90:91], -1
	s_waitcnt lgkmcnt(0)
	s_barrier
                                        ; implicit-def: $vgpr38
	s_cbranch_scc1 .LBB67_208
; %bb.198:                              ;   in Loop: Header=BB67_16 Depth=1
	s_mov_b64 s[90:91], 0
                                        ; implicit-def: $vgpr38
	s_mov_b64 s[92:93], exec
	v_readlane_b32 s38, v44, 21
	v_readlane_b32 s39, v44, 22
	s_and_b64 s[38:39], s[92:93], s[38:39]
	s_mov_b64 exec, s[38:39]
	s_cbranch_execz .LBB67_207
; %bb.199:                              ;   in Loop: Header=BB67_16 Depth=1
	v_mov_b32_e32 v1, v5
	v_mov_b32_e32 v6, v0
                                        ; implicit-def: $sgpr94_sgpr95
	s_branch .LBB67_202
.LBB67_200:                             ;   in Loop: Header=BB67_202 Depth=2
	s_or_b64 exec, exec, s[38:39]
	s_waitcnt lgkmcnt(0)
	s_barrier
	ds_read_b32 v2, v7 offset:3072
	s_mov_b64 s[38:39], -1
	s_mov_b64 s[40:41], -1
	s_waitcnt lgkmcnt(0)
	s_barrier
	v_and_b32_e32 v13, 0x7fff, v2
	v_cmp_ne_u32_e32 vcc, 0, v13
	s_cbranch_vccz .LBB67_205
.LBB67_201:                             ;   in Loop: Header=BB67_202 Depth=2
	s_and_b64 s[38:39], exec, s[38:39]
	s_or_b64 s[88:89], s[38:39], s[88:89]
	s_andn2_b64 s[38:39], s[94:95], exec
	s_and_b64 s[40:41], s[40:41], exec
	s_or_b64 s[94:95], s[38:39], s[40:41]
	s_andn2_b64 exec, exec, s[88:89]
	s_cbranch_execz .LBB67_206
.LBB67_202:                             ;   Parent Loop BB67_16 Depth=1
                                        ; =>  This Inner Loop Header: Depth=2
	v_cmp_gt_i32_e32 vcc, s28, v6
	s_and_saveexec_b64 s[38:39], vcc
	s_cbranch_execz .LBB67_200
; %bb.203:                              ;   in Loop: Header=BB67_202 Depth=2
	v_ashrrev_i32_e32 v2, 31, v1
	v_lshlrev_b64 v[38:39], 1, v[1:2]
	v_mov_b32_e32 v2, s18
	v_add_co_u32_e32 v38, vcc, s34, v38
	v_addc_co_u32_e32 v39, vcc, v2, v39, vcc
	global_load_ushort v2, v[38:39], off
	s_waitcnt vmcnt(0)
	v_cmp_lt_i16_e32 vcc, -1, v2
	v_cndmask_b32_e32 v13, v33, v34, vcc
	v_lshlrev_b32_e32 v38, 16, v2
	v_xor_b32_sdwa v13, v13, v2 dst_sel:DWORD dst_unused:UNUSED_PAD src0_sel:DWORD src1_sel:WORD_0
	v_cmp_o_f32_e32 vcc, v38, v38
	v_cndmask_b32_e32 v13, v33, v13, vcc
	v_and_b32_e32 v13, v13, v37
	v_cmp_eq_u32_e32 vcc, v13, v28
	s_and_b64 exec, exec, vcc
	s_cbranch_execz .LBB67_200
; %bb.204:                              ;   in Loop: Header=BB67_202 Depth=2
	v_perm_b32 v2, v2, s29, v36
	ds_write_b32 v7, v2 offset:3072
	s_branch .LBB67_200
.LBB67_205:                             ;   in Loop: Header=BB67_202 Depth=2
	v_add_u32_e32 v6, s36, v6
	v_cmp_le_i32_e32 vcc, s49, v6
	v_add_u32_e32 v1, s50, v1
	s_mov_b64 s[40:41], 0
	s_orn2_b64 s[38:39], vcc, exec
	s_branch .LBB67_201
.LBB67_206:                             ;   in Loop: Header=BB67_16 Depth=1
	s_or_b64 exec, exec, s[88:89]
	v_lshrrev_b32_e32 v38, 16, v2
	s_and_b64 s[88:89], s[94:95], exec
.LBB67_207:                             ;   in Loop: Header=BB67_16 Depth=1
	s_or_b64 exec, exec, s[92:93]
.LBB67_208:                             ;   in Loop: Header=BB67_16 Depth=1
	s_and_b64 vcc, exec, s[90:91]
	s_cbranch_vccz .LBB67_219
; %bb.209:                              ;   in Loop: Header=BB67_16 Depth=1
	v_readlane_b32 s1, v44, 8
	s_add_i32 s1, s0, s1
	s_abs_i32 s39, s1
	v_readlane_b32 s40, v44, 20
	s_mul_hi_u32 s40, s39, s40
	s_mul_i32 s40, s40, s36
	s_sub_i32 s39, s39, s40
	s_ashr_i32 s38, s1, 31
	s_sub_i32 s40, s39, s36
	s_cmp_ge_u32 s39, s36
	s_cselect_b32 s39, s40, s39
	s_sub_i32 s40, s39, s36
	s_cmp_ge_u32 s39, s36
	s_cselect_b32 s39, s40, s39
	s_xor_b32 s39, s39, s38
	s_sub_i32 s38, s38, s39
	s_add_i32 s1, s1, s38
	v_cmp_gt_i32_e32 vcc, s1, v0
                                        ; implicit-def: $vgpr38
	s_and_saveexec_b64 s[82:83], vcc
	s_cbranch_execz .LBB67_218
; %bb.210:                              ;   in Loop: Header=BB67_16 Depth=1
	s_mov_b64 s[84:85], 0
	v_mov_b32_e32 v1, v16
	v_mov_b32_e32 v2, v0
                                        ; implicit-def: $sgpr90_sgpr91
	s_branch .LBB67_213
.LBB67_211:                             ;   in Loop: Header=BB67_213 Depth=2
	s_or_b64 exec, exec, s[38:39]
	s_waitcnt lgkmcnt(0)
	s_barrier
	ds_read_b32 v6, v7 offset:3072
	s_mov_b64 s[38:39], -1
	s_mov_b64 s[40:41], -1
	s_waitcnt lgkmcnt(0)
	s_barrier
	v_and_b32_e32 v13, 0x7fff, v6
	v_cmp_eq_u32_e32 vcc, 0, v13
	s_cbranch_vccnz .LBB67_216
.LBB67_212:                             ;   in Loop: Header=BB67_213 Depth=2
	s_and_b64 s[38:39], exec, s[38:39]
	s_or_b64 s[84:85], s[38:39], s[84:85]
	s_andn2_b64 s[38:39], s[90:91], exec
	s_and_b64 s[40:41], s[40:41], exec
	s_or_b64 s[90:91], s[38:39], s[40:41]
	s_andn2_b64 exec, exec, s[84:85]
	s_cbranch_execz .LBB67_217
.LBB67_213:                             ;   Parent Loop BB67_16 Depth=1
                                        ; =>  This Inner Loop Header: Depth=2
	v_cmp_gt_i32_e32 vcc, s0, v2
	s_and_saveexec_b64 s[38:39], vcc
	s_cbranch_execz .LBB67_211
; %bb.214:                              ;   in Loop: Header=BB67_213 Depth=2
	ds_read_u16 v6, v1
	s_waitcnt lgkmcnt(0)
	v_cmp_lt_i16_e32 vcc, -1, v6
	v_cndmask_b32_e32 v13, v33, v34, vcc
	v_lshlrev_b32_e32 v38, 16, v6
	v_cmp_o_f32_e32 vcc, v38, v38
	v_xor_b32_sdwa v13, v13, v6 dst_sel:DWORD dst_unused:UNUSED_PAD src0_sel:DWORD src1_sel:WORD_0
	v_cndmask_b32_e32 v13, v33, v13, vcc
	v_and_b32_e32 v13, v13, v37
	v_cmp_eq_u32_e32 vcc, v13, v28
	s_and_b64 exec, exec, vcc
	s_cbranch_execz .LBB67_211
; %bb.215:                              ;   in Loop: Header=BB67_213 Depth=2
	v_perm_b32 v6, v6, s29, v36
	ds_write_b32 v7, v6 offset:3072
	s_branch .LBB67_211
.LBB67_216:                             ;   in Loop: Header=BB67_213 Depth=2
	v_add_u32_e32 v2, s36, v2
	v_cmp_le_i32_e32 vcc, s1, v2
	v_add_u32_e32 v1, s51, v1
	s_mov_b64 s[40:41], 0
	s_orn2_b64 s[38:39], vcc, exec
	s_branch .LBB67_212
.LBB67_217:                             ;   in Loop: Header=BB67_16 Depth=1
	s_or_b64 exec, exec, s[84:85]
	s_andn2_b64 s[0:1], s[88:89], exec
	s_and_b64 s[38:39], s[90:91], exec
	v_lshrrev_b32_e32 v38, 16, v6
	s_or_b64 s[88:89], s[0:1], s[38:39]
.LBB67_218:                             ;   in Loop: Header=BB67_16 Depth=1
	s_or_b64 exec, exec, s[82:83]
	s_mov_b64 s[82:83], 0
	s_mov_b64 s[84:85], -1
.LBB67_219:                             ;   in Loop: Header=BB67_16 Depth=1
	s_orn2_b64 s[38:39], s[88:89], exec
.LBB67_220:                             ;   in Loop: Header=BB67_16 Depth=1
	s_or_b64 exec, exec, s[86:87]
	s_mov_b64 s[88:89], 0
	s_and_saveexec_b64 s[86:87], s[38:39]
	s_cbranch_execz .LBB67_231
; %bb.221:                              ;   in Loop: Header=BB67_16 Depth=1
	s_xor_b64 s[0:1], s[80:81], -1
	v_mov_b32_e32 v4, 1
	v_mov_b32_e32 v1, 1
	s_and_saveexec_b64 s[80:81], s[0:1]
	s_cbranch_execz .LBB67_230
; %bb.222:                              ;   in Loop: Header=BB67_16 Depth=1
	v_cmp_ge_i32_e32 vcc, s48, v12
	s_and_saveexec_b64 s[0:1], vcc
	s_xor_b64 s[88:89], exec, s[0:1]
	s_cbranch_execz .LBB67_227
; %bb.223:                              ;   in Loop: Header=BB67_16 Depth=1
	ds_read_b32 v1, v7 offset:4096
	v_or_b32_e32 v28, v28, v3
	v_or_b32_e32 v37, v37, v3
	s_waitcnt lgkmcnt(0)
	v_cmp_ne_u32_e32 vcc, 0, v1
	s_cbranch_vccnz .LBB67_227
; %bb.224:                              ;   in Loop: Header=BB67_16 Depth=1
	s_mov_b64 s[38:39], exec
	v_readlane_b32 s0, v44, 5
	v_readlane_b32 s1, v44, 6
	s_and_b64 s[0:1], s[38:39], s[0:1]
	s_mov_b64 exec, s[0:1]
; %bb.225:                              ;   in Loop: Header=BB67_16 Depth=1
	v_mov_b32_e32 v1, s48
	ds_write_b32 v7, v1 offset:4100
; %bb.226:                              ;   in Loop: Header=BB67_16 Depth=1
	s_or_b64 exec, exec, s[38:39]
	s_waitcnt lgkmcnt(0)
	s_barrier
.LBB67_227:                             ;   in Loop: Header=BB67_16 Depth=1
	s_andn2_saveexec_b64 s[38:39], s[88:89]
; %bb.228:                              ;   in Loop: Header=BB67_16 Depth=1
	v_subrev_u32_e32 v12, s48, v12
; %bb.229:                              ;   in Loop: Header=BB67_16 Depth=1
	s_or_b64 exec, exec, s[38:39]
	v_mov_b32_e32 v4, 8
	v_mov_b32_e32 v1, v12
.LBB67_230:                             ;   in Loop: Header=BB67_16 Depth=1
	s_or_b64 exec, exec, s[80:81]
	s_mov_b64 s[88:89], exec
	v_mov_b32_e32 v12, v1
.LBB67_231:                             ;   in Loop: Header=BB67_16 Depth=1
	s_or_b64 exec, exec, s[86:87]
	s_orn2_b64 s[80:81], s[88:89], exec
.LBB67_232:                             ;   in Loop: Header=BB67_16 Depth=1
	s_or_b64 exec, exec, s[78:79]
	s_andn2_b64 s[0:1], s[74:75], exec
	s_and_b64 s[38:39], s[84:85], exec
	s_or_b64 s[74:75], s[0:1], s[38:39]
	s_andn2_b64 s[0:1], s[72:73], exec
	s_and_b64 s[38:39], s[82:83], exec
	s_or_b64 s[72:73], s[0:1], s[38:39]
	s_and_b64 s[38:39], s[80:81], exec
	v_mov_b32_e32 v13, v12
.LBB67_233:                             ;   in Loop: Header=BB67_16 Depth=1
	s_or_b64 exec, exec, s[76:77]
	s_orn2_b64 s[76:77], s[38:39], exec
.LBB67_234:                             ;   in Loop: Header=BB67_16 Depth=1
	s_or_b64 exec, exec, s[70:71]
	s_andn2_b64 s[0:1], s[26:27], exec
	s_and_b64 s[26:27], s[74:75], exec
	s_or_b64 s[26:27], s[0:1], s[26:27]
	s_andn2_b64 s[0:1], s[24:25], exec
	s_and_b64 s[24:25], s[72:73], exec
	s_or_b64 s[24:25], s[0:1], s[24:25]
	s_and_b64 s[38:39], s[76:77], exec
	v_mov_b32_e32 v12, v13
.LBB67_235:                             ;   in Loop: Header=BB67_16 Depth=1
	s_or_b64 exec, exec, s[68:69]
	s_orn2_b64 s[68:69], s[38:39], exec
.LBB67_236:                             ;   in Loop: Header=BB67_16 Depth=1
	s_or_b64 exec, exec, s[22:23]
	s_mov_b64 s[38:39], 0
                                        ; implicit-def: $sgpr0
	s_and_saveexec_b64 s[22:23], s[68:69]
	s_xor_b64 s[22:23], exec, s[22:23]
	s_cbranch_execz .LBB67_14
; %bb.237:                              ;   in Loop: Header=BB67_16 Depth=1
	v_and_b32_e32 v1, 7, v4
	v_cmp_eq_u32_e32 vcc, 0, v1
	s_mov_b64 s[20:21], -1
	s_mov_b64 s[38:39], -1
                                        ; implicit-def: $sgpr0
	s_and_saveexec_b64 s[40:41], vcc
	s_cbranch_execz .LBB67_13
; %bb.238:                              ;   in Loop: Header=BB67_16 Depth=1
	v_add_u32_e32 v1, -2, v32
	v_cmp_eq_u32_e32 vcc, 0, v32
	s_xor_b32 s0, s52, 1
	s_xor_b64 s[38:39], exec, -1
	s_orn2_b64 s[20:21], vcc, exec
	v_mov_b32_e32 v32, v1
	s_branch .LBB67_13
.LBB67_239:
	s_or_b64 exec, exec, s[54:55]
	s_xor_b64 s[6:7], s[60:61], -1
	s_xor_b64 s[0:1], s[56:57], -1
	;; [unrolled: 1-line block ×3, first 2 shown]
	s_mov_b64 s[2:3], 0
	s_and_saveexec_b64 s[4:5], s[0:1]
	s_xor_b64 s[4:5], exec, s[4:5]
	s_cbranch_execnz .LBB67_244
; %bb.240:
	s_andn2_saveexec_b64 s[0:1], s[4:5]
	s_cbranch_execnz .LBB67_264
.LBB67_241:
	s_or_b64 exec, exec, s[0:1]
	s_and_saveexec_b64 s[0:1], s[2:3]
.LBB67_242:
	; divergent unreachable
.LBB67_243:
	s_endpgm
.LBB67_244:
	s_and_saveexec_b64 s[0:1], s[6:7]
	s_xor_b64 s[6:7], exec, s[0:1]
	s_cbranch_execz .LBB67_262
; %bb.245:
	s_and_saveexec_b64 s[0:1], s[8:9]
	s_xor_b64 s[2:3], exec, s[0:1]
; %bb.246:
	v_and_b32_e32 v1, 0x8000, v28
	v_mov_b32_e32 v2, 0x8000
	v_mov_b32_e32 v3, 0xffff
	v_cmp_eq_u32_e32 vcc, 0, v1
	v_cndmask_b32_e32 v1, v2, v3, vcc
	v_xor_b32_e32 v38, v1, v28
; %bb.247:
	s_or_b64 exec, exec, s[2:3]
	s_mov_b64 s[2:3], exec
	v_readlane_b32 s0, v44, 5
	v_readlane_b32 s1, v44, 6
	s_and_b64 s[0:1], s[2:3], s[0:1]
	s_mov_b64 exec, s[0:1]
; %bb.248:
	v_mov_b32_e32 v1, 0
	v_mov_b32_e32 v2, s28
	ds_write_b32 v1, v2 offset:4108
; %bb.249:
	s_or_b64 exec, exec, s[2:3]
	v_mov_b32_e32 v1, 0
	s_waitcnt lgkmcnt(0)
	s_barrier
	ds_read_b32 v1, v1 offset:4108
	s_waitcnt lgkmcnt(0)
	v_min_i32_e32 v1, s28, v1
	v_cmp_lt_i32_e32 vcc, v0, v1
	s_and_saveexec_b64 s[8:9], vcc
	s_cbranch_execz .LBB67_259
; %bb.250:
	v_lshlrev_b32_e32 v3, 16, v38
	v_cmp_u_f32_e32 vcc, v3, v3
	s_mov_b64 s[10:11], 0
	v_mov_b32_e32 v4, s18
	s_xor_b64 s[14:15], vcc, -1
                                        ; implicit-def: $sgpr12_sgpr13
                                        ; implicit-def: $sgpr18_sgpr19
                                        ; implicit-def: $sgpr16_sgpr17
	s_branch .LBB67_252
.LBB67_251:                             ;   in Loop: Header=BB67_252 Depth=1
	s_or_b64 exec, exec, s[2:3]
	s_and_b64 s[0:1], exec, s[18:19]
	s_or_b64 s[10:11], s[0:1], s[10:11]
	s_andn2_b64 s[0:1], s[12:13], exec
	s_and_b64 s[2:3], s[16:17], exec
	s_or_b64 s[12:13], s[0:1], s[2:3]
	s_andn2_b64 exec, exec, s[10:11]
	s_cbranch_execz .LBB67_254
.LBB67_252:                             ; =>This Inner Loop Header: Depth=1
	v_ashrrev_i32_e32 v6, 31, v5
	v_lshlrev_b64 v[6:7], 1, v[5:6]
	v_mov_b32_e32 v2, v0
	v_add_co_u32_e32 v6, vcc, s34, v6
	v_addc_co_u32_e32 v7, vcc, v4, v7, vcc
	global_load_ushort v6, v[6:7], off
	s_or_b64 s[16:17], s[16:17], exec
	s_or_b64 s[18:19], s[18:19], exec
	s_waitcnt vmcnt(0)
	v_lshlrev_b32_e32 v0, 16, v6
	v_cmp_o_f32_e64 s[2:3], v0, v0
	v_cmp_neq_f32_e32 vcc, v0, v3
	s_or_b64 s[0:1], s[14:15], s[2:3]
	s_and_b64 s[0:1], vcc, s[0:1]
                                        ; implicit-def: $vgpr0
	s_and_saveexec_b64 s[2:3], s[0:1]
	s_cbranch_execz .LBB67_251
; %bb.253:                              ;   in Loop: Header=BB67_252 Depth=1
	v_add_u32_e32 v0, s36, v2
	v_cmp_ge_i32_e32 vcc, v0, v1
	s_andn2_b64 s[0:1], s[18:19], exec
	s_and_b64 s[18:19], vcc, exec
	v_add_u32_e32 v5, s50, v5
	s_andn2_b64 s[16:17], s[16:17], exec
	s_or_b64 s[18:19], s[0:1], s[18:19]
	s_branch .LBB67_251
.LBB67_254:
	s_or_b64 exec, exec, s[10:11]
	s_and_saveexec_b64 s[0:1], s[12:13]
	s_xor_b64 s[0:1], exec, s[0:1]
	s_cbranch_execz .LBB67_259
; %bb.255:
	s_mov_b64 s[2:3], exec
	s_brev_b32 s0, -2
.LBB67_256:                             ; =>This Inner Loop Header: Depth=1
	s_ff1_i32_b64 s1, s[2:3]
	v_readlane_b32 s12, v2, s1
	s_lshl_b64 s[10:11], 1, s1
	s_min_i32 s0, s0, s12
	s_andn2_b64 s[2:3], s[2:3], s[10:11]
	s_cmp_lg_u64 s[2:3], 0
	s_cbranch_scc1 .LBB67_256
; %bb.257:
	v_mbcnt_lo_u32_b32 v0, exec_lo, 0
	v_mbcnt_hi_u32_b32 v0, exec_hi, v0
	v_cmp_eq_u32_e32 vcc, 0, v0
	s_and_saveexec_b64 s[2:3], vcc
	s_xor_b64 s[2:3], exec, s[2:3]
; %bb.258:
	v_mov_b32_e32 v0, 0
	v_mov_b32_e32 v1, s0
	ds_min_i32 v0, v1 offset:4108
.LBB67_259:
	s_or_b64 exec, exec, s[8:9]
	s_waitcnt lgkmcnt(0)
	s_barrier
	s_mov_b64 s[2:3], exec
	v_readlane_b32 s0, v44, 5
	v_readlane_b32 s1, v44, 6
	s_and_b64 s[0:1], s[2:3], s[0:1]
	s_mov_b64 exec, s[0:1]
	s_cbranch_execz .LBB67_261
; %bb.260:
	v_readlane_b32 s0, v44, 0
	s_mul_i32 s0, s0, s30
	v_readlane_b32 s1, v44, 7
	s_add_i32 s0, s0, s35
	s_mul_i32 s1, s1, s33
	s_add_i32 s8, s1, s37
	s_ashr_i32 s1, s0, 31
	v_mov_b32_e32 v2, 0
	s_lshl_b64 s[0:1], s[0:1], 1
	v_readlane_b32 s10, v44, 1
	ds_read_b32 v0, v2 offset:4108
	v_readlane_b32 s11, v44, 2
	s_add_u32 s0, s10, s0
	s_addc_u32 s1, s11, s1
	s_ashr_i32 s9, s8, 31
	s_lshl_b64 s[8:9], s[8:9], 3
	v_readlane_b32 s10, v44, 3
	v_readlane_b32 s11, v44, 4
	s_add_u32 s8, s10, s8
	s_addc_u32 s9, s11, s9
	s_waitcnt lgkmcnt(0)
	v_ashrrev_i32_e32 v1, 31, v0
	global_store_dwordx2 v2, v[0:1], s[8:9]
	global_store_short v2, v38, s[0:1]
.LBB67_261:
	s_or_b64 exec, exec, s[2:3]
.LBB67_262:
	s_or_saveexec_b64 s[0:1], s[6:7]
	s_mov_b64 s[2:3], 0
	s_xor_b64 exec, exec, s[0:1]
	s_cbranch_execnz .LBB67_265
.LBB67_263:
	s_or_b64 exec, exec, s[0:1]
	s_and_b64 s[2:3], s[2:3], exec
	s_andn2_saveexec_b64 s[0:1], s[4:5]
	s_cbranch_execz .LBB67_241
.LBB67_264:
	s_or_b64 s[2:3], s[2:3], exec
	s_trap 2
	s_or_b64 exec, exec, s[0:1]
	s_and_saveexec_b64 s[0:1], s[2:3]
	s_cbranch_execnz .LBB67_242
	s_branch .LBB67_243
.LBB67_265:
	s_mov_b64 s[2:3], exec
	s_trap 2
	s_branch .LBB67_263
	.section	.rodata,"a",@progbits
	.p2align	6, 0x0
	.amdhsa_kernel _ZN2at6native12_GLOBAL__N_114gatherKthValueIN3c108BFloat16EiLin1EEEvNS_4cuda6detail10TensorInfoIKT_T0_EESA_SA_SA_SA_NS7_IS8_SA_EENS7_IlSA_EE
		.amdhsa_group_segment_fixed_size 4112
		.amdhsa_private_segment_fixed_size 0
		.amdhsa_kernarg_size 920
		.amdhsa_user_sgpr_count 6
		.amdhsa_user_sgpr_private_segment_buffer 1
		.amdhsa_user_sgpr_dispatch_ptr 0
		.amdhsa_user_sgpr_queue_ptr 0
		.amdhsa_user_sgpr_kernarg_segment_ptr 1
		.amdhsa_user_sgpr_dispatch_id 0
		.amdhsa_user_sgpr_flat_scratch_init 0
		.amdhsa_user_sgpr_private_segment_size 0
		.amdhsa_uses_dynamic_stack 0
		.amdhsa_system_sgpr_private_segment_wavefront_offset 0
		.amdhsa_system_sgpr_workgroup_id_x 1
		.amdhsa_system_sgpr_workgroup_id_y 1
		.amdhsa_system_sgpr_workgroup_id_z 1
		.amdhsa_system_sgpr_workgroup_info 0
		.amdhsa_system_vgpr_workitem_id 0
		.amdhsa_next_free_vgpr 45
		.amdhsa_next_free_sgpr 96
		.amdhsa_reserve_vcc 1
		.amdhsa_reserve_flat_scratch 0
		.amdhsa_float_round_mode_32 0
		.amdhsa_float_round_mode_16_64 0
		.amdhsa_float_denorm_mode_32 3
		.amdhsa_float_denorm_mode_16_64 3
		.amdhsa_dx10_clamp 1
		.amdhsa_ieee_mode 1
		.amdhsa_fp16_overflow 0
		.amdhsa_exception_fp_ieee_invalid_op 0
		.amdhsa_exception_fp_denorm_src 0
		.amdhsa_exception_fp_ieee_div_zero 0
		.amdhsa_exception_fp_ieee_overflow 0
		.amdhsa_exception_fp_ieee_underflow 0
		.amdhsa_exception_fp_ieee_inexact 0
		.amdhsa_exception_int_div_zero 0
	.end_amdhsa_kernel
	.section	.text._ZN2at6native12_GLOBAL__N_114gatherKthValueIN3c108BFloat16EiLin1EEEvNS_4cuda6detail10TensorInfoIKT_T0_EESA_SA_SA_SA_NS7_IS8_SA_EENS7_IlSA_EE,"axG",@progbits,_ZN2at6native12_GLOBAL__N_114gatherKthValueIN3c108BFloat16EiLin1EEEvNS_4cuda6detail10TensorInfoIKT_T0_EESA_SA_SA_SA_NS7_IS8_SA_EENS7_IlSA_EE,comdat
.Lfunc_end67:
	.size	_ZN2at6native12_GLOBAL__N_114gatherKthValueIN3c108BFloat16EiLin1EEEvNS_4cuda6detail10TensorInfoIKT_T0_EESA_SA_SA_SA_NS7_IS8_SA_EENS7_IlSA_EE, .Lfunc_end67-_ZN2at6native12_GLOBAL__N_114gatherKthValueIN3c108BFloat16EiLin1EEEvNS_4cuda6detail10TensorInfoIKT_T0_EESA_SA_SA_SA_NS7_IS8_SA_EENS7_IlSA_EE
                                        ; -- End function
	.set _ZN2at6native12_GLOBAL__N_114gatherKthValueIN3c108BFloat16EiLin1EEEvNS_4cuda6detail10TensorInfoIKT_T0_EESA_SA_SA_SA_NS7_IS8_SA_EENS7_IlSA_EE.num_vgpr, 45
	.set _ZN2at6native12_GLOBAL__N_114gatherKthValueIN3c108BFloat16EiLin1EEEvNS_4cuda6detail10TensorInfoIKT_T0_EESA_SA_SA_SA_NS7_IS8_SA_EENS7_IlSA_EE.num_agpr, 0
	.set _ZN2at6native12_GLOBAL__N_114gatherKthValueIN3c108BFloat16EiLin1EEEvNS_4cuda6detail10TensorInfoIKT_T0_EESA_SA_SA_SA_NS7_IS8_SA_EENS7_IlSA_EE.numbered_sgpr, 96
	.set _ZN2at6native12_GLOBAL__N_114gatherKthValueIN3c108BFloat16EiLin1EEEvNS_4cuda6detail10TensorInfoIKT_T0_EESA_SA_SA_SA_NS7_IS8_SA_EENS7_IlSA_EE.num_named_barrier, 0
	.set _ZN2at6native12_GLOBAL__N_114gatherKthValueIN3c108BFloat16EiLin1EEEvNS_4cuda6detail10TensorInfoIKT_T0_EESA_SA_SA_SA_NS7_IS8_SA_EENS7_IlSA_EE.private_seg_size, 0
	.set _ZN2at6native12_GLOBAL__N_114gatherKthValueIN3c108BFloat16EiLin1EEEvNS_4cuda6detail10TensorInfoIKT_T0_EESA_SA_SA_SA_NS7_IS8_SA_EENS7_IlSA_EE.uses_vcc, 1
	.set _ZN2at6native12_GLOBAL__N_114gatherKthValueIN3c108BFloat16EiLin1EEEvNS_4cuda6detail10TensorInfoIKT_T0_EESA_SA_SA_SA_NS7_IS8_SA_EENS7_IlSA_EE.uses_flat_scratch, 0
	.set _ZN2at6native12_GLOBAL__N_114gatherKthValueIN3c108BFloat16EiLin1EEEvNS_4cuda6detail10TensorInfoIKT_T0_EESA_SA_SA_SA_NS7_IS8_SA_EENS7_IlSA_EE.has_dyn_sized_stack, 0
	.set _ZN2at6native12_GLOBAL__N_114gatherKthValueIN3c108BFloat16EiLin1EEEvNS_4cuda6detail10TensorInfoIKT_T0_EESA_SA_SA_SA_NS7_IS8_SA_EENS7_IlSA_EE.has_recursion, 0
	.set _ZN2at6native12_GLOBAL__N_114gatherKthValueIN3c108BFloat16EiLin1EEEvNS_4cuda6detail10TensorInfoIKT_T0_EESA_SA_SA_SA_NS7_IS8_SA_EENS7_IlSA_EE.has_indirect_call, 0
	.section	.AMDGPU.csdata,"",@progbits
; Kernel info:
; codeLenInByte = 10272
; TotalNumSgprs: 100
; NumVgprs: 45
; ScratchSize: 0
; MemoryBound: 0
; FloatMode: 240
; IeeeMode: 1
; LDSByteSize: 4112 bytes/workgroup (compile time only)
; SGPRBlocks: 12
; VGPRBlocks: 11
; NumSGPRsForWavesPerEU: 100
; NumVGPRsForWavesPerEU: 45
; Occupancy: 5
; WaveLimiterHint : 1
; COMPUTE_PGM_RSRC2:SCRATCH_EN: 0
; COMPUTE_PGM_RSRC2:USER_SGPR: 6
; COMPUTE_PGM_RSRC2:TRAP_HANDLER: 0
; COMPUTE_PGM_RSRC2:TGID_X_EN: 1
; COMPUTE_PGM_RSRC2:TGID_Y_EN: 1
; COMPUTE_PGM_RSRC2:TGID_Z_EN: 1
; COMPUTE_PGM_RSRC2:TIDIG_COMP_CNT: 0
	.section	.text._ZN2at6native12_GLOBAL__N_114gatherKthValueIN3c108BFloat16ElLi1EEEvNS_4cuda6detail10TensorInfoIKT_T0_EESA_SA_SA_SA_NS7_IS8_SA_EENS7_IlSA_EE,"axG",@progbits,_ZN2at6native12_GLOBAL__N_114gatherKthValueIN3c108BFloat16ElLi1EEEvNS_4cuda6detail10TensorInfoIKT_T0_EESA_SA_SA_SA_NS7_IS8_SA_EENS7_IlSA_EE,comdat
	.globl	_ZN2at6native12_GLOBAL__N_114gatherKthValueIN3c108BFloat16ElLi1EEEvNS_4cuda6detail10TensorInfoIKT_T0_EESA_SA_SA_SA_NS7_IS8_SA_EENS7_IlSA_EE ; -- Begin function _ZN2at6native12_GLOBAL__N_114gatherKthValueIN3c108BFloat16ElLi1EEEvNS_4cuda6detail10TensorInfoIKT_T0_EESA_SA_SA_SA_NS7_IS8_SA_EENS7_IlSA_EE
	.p2align	8
	.type	_ZN2at6native12_GLOBAL__N_114gatherKthValueIN3c108BFloat16ElLi1EEEvNS_4cuda6detail10TensorInfoIKT_T0_EESA_SA_SA_SA_NS7_IS8_SA_EENS7_IlSA_EE,@function
_ZN2at6native12_GLOBAL__N_114gatherKthValueIN3c108BFloat16ElLi1EEEvNS_4cuda6detail10TensorInfoIKT_T0_EESA_SA_SA_SA_NS7_IS8_SA_EENS7_IlSA_EE: ; @_ZN2at6native12_GLOBAL__N_114gatherKthValueIN3c108BFloat16ElLi1EEEvNS_4cuda6detail10TensorInfoIKT_T0_EESA_SA_SA_SA_NS7_IS8_SA_EENS7_IlSA_EE
; %bb.0:
	s_load_dwordx2 s[18:19], s[4:5], 0x500
	s_load_dwordx8 s[24:31], s[4:5], 0x1a0
	s_add_u32 s14, s4, 0x500
	s_addc_u32 s15, s5, 0
	s_mov_b32 s11, 0
	s_waitcnt lgkmcnt(0)
	s_mul_i32 s0, s19, s8
	s_add_i32 s0, s0, s7
	s_mul_i32 s0, s0, s18
	s_add_i32 s10, s0, s6
	v_mov_b32_e32 v1, s10
	v_mov_b32_e32 v2, s11
	v_cmp_le_i64_e32 vcc, s[28:29], v[1:2]
	s_cbranch_vccnz .LBB68_274
; %bb.1:
	s_load_dwordx2 s[0:1], s[4:5], 0x430
                                        ; implicit-def: $vgpr59 : SGPR spill to VGPR lane
	s_waitcnt lgkmcnt(0)
	v_writelane_b32 v59, s0, 0
	v_writelane_b32 v59, s1, 1
	s_load_dwordx2 s[94:95], s[4:5], 0x360
	s_load_dwordx2 s[0:1], s[4:5], 0x290
	;; [unrolled: 1-line block ×4, first 2 shown]
	s_waitcnt lgkmcnt(0)
	v_writelane_b32 v59, s0, 2
	v_writelane_b32 v59, s1, 3
	s_load_dwordx2 s[0:1], s[4:5], 0x1c0
	s_waitcnt lgkmcnt(0)
	v_writelane_b32 v59, s0, 4
	v_writelane_b32 v59, s1, 5
	v_cmp_eq_u32_e64 s[0:1], 0, v0
	s_mov_b64 s[4:5], exec
	v_writelane_b32 v59, s0, 6
	v_writelane_b32 v59, s1, 7
	s_and_b64 s[0:1], s[4:5], s[0:1]
	s_mov_b64 exec, s[0:1]
	s_cbranch_execz .LBB68_3
; %bb.2:
	v_mov_b32_e32 v1, 0
	v_mov_b32_e32 v3, s24
	v_mov_b32_e32 v4, s25
	v_mov_b32_e32 v2, v1
	ds_write_b32 v1, v1 offset:5136
	ds_write_b128 v1, v[1:4] offset:5120
.LBB68_3:
	s_or_b64 exec, exec, s[4:5]
	s_mul_i32 s0, s9, s10
	s_mul_hi_u32 s1, s8, s10
	s_add_i32 s1, s1, s0
	s_mov_b32 s0, s10
	v_writelane_b32 v59, s0, 8
	v_writelane_b32 v59, s1, 9
	s_mul_i32 s0, s8, s10
	s_lshl_b64 s[0:1], s[0:1], 1
	s_add_u32 s42, s2, s0
	s_addc_u32 s43, s3, s1
	v_mad_u64_u32 v[4:5], s[0:1], s30, v0, 0
	v_mbcnt_lo_u32_b32 v1, -1, 0
	v_cmp_gt_u32_e64 s[0:1], 2, v0
	v_mbcnt_hi_u32_b32 v30, -1, v1
	v_writelane_b32 v59, s0, 10
	v_mov_b32_e32 v1, v5
	v_writelane_b32 v59, s1, 11
	v_mad_u64_u32 v[5:6], s[0:1], s31, v0, v[1:2]
	v_mov_b32_e32 v6, 0x600
	v_mov_b32_e32 v7, 0
	v_cmp_gt_i64_e64 s[0:1], s[24:25], v[6:7]
	v_lshlrev_b64 v[6:7], 1, v[4:5]
	v_cmp_gt_u32_e32 vcc, 64, v0
	v_cmp_gt_i32_e64 s[2:3], 4, v30
	s_and_b64 s[48:49], vcc, s[2:3]
	v_mov_b32_e32 v2, s43
	v_add_co_u32_e32 v12, vcc, s42, v6
	v_mov_b32_e32 v3, 0
	v_addc_co_u32_e32 v13, vcc, v2, v7, vcc
	v_lshlrev_b64 v[6:7], v30, -1
	v_add_u32_e32 v2, 2, v0
	v_cmp_gt_i64_e32 vcc, s[24:25], v[2:3]
	v_not_b32_e32 v31, v7
	v_mov_b32_e32 v7, s25
	v_mov_b32_e32 v1, v3
	v_writelane_b32 v59, s0, 12
	v_cndmask_b32_e32 v8, 0, v7, vcc
	v_mov_b32_e32 v7, s24
	v_writelane_b32 v59, s1, 13
	v_cmp_gt_i64_e64 s[0:1], s[24:25], v[0:1]
	v_cndmask_b32_e32 v2, v2, v7, vcc
	v_not_b32_e32 v7, v0
	v_add_co_u32_e32 v7, vcc, v2, v7
	v_writelane_b32 v59, s0, 14
	v_addc_co_u32_e32 v8, vcc, -1, v8, vcc
	v_writelane_b32 v59, s1, 15
	v_cmp_lt_u64_e64 s[0:1], 1, v[7:8]
	v_and_b32_e32 v14, -2, v7
	v_writelane_b32 v59, s0, 16
	v_mov_b32_e32 v15, v8
	v_writelane_b32 v59, s1, 17
	v_cmp_ne_u64_e64 s[0:1], v[7:8], v[14:15]
	v_lshlrev_b32_e32 v32, 3, v0
	v_writelane_b32 v59, s0, 18
	v_or_b32_e32 v7, 6, v32
	v_writelane_b32 v59, s1, 19
	v_mad_u64_u32 v[16:17], s[0:1], s30, v7, 0
	v_or_b32_e32 v9, 4, v32
	v_mad_u64_u32 v[18:19], s[0:1], s30, v9, 0
	v_mov_b32_e32 v2, v17
	v_mad_u64_u32 v[7:8], s[0:1], s31, v7, v[2:3]
	v_mov_b32_e32 v2, v19
	v_mad_u64_u32 v[8:9], s[0:1], s31, v9, v[2:3]
	v_or_b32_e32 v9, 2, v32
	v_mad_u64_u32 v[19:20], s[0:1], s30, v9, 0
	v_not_b32_e32 v33, v6
	v_mov_b32_e32 v34, v7
	v_mov_b32_e32 v2, v20
	v_mad_u64_u32 v[6:7], s[0:1], s31, v9, v[2:3]
	s_waitcnt lgkmcnt(0)
	s_barrier
	s_load_dword s0, s[14:15], 0xc
	v_lshlrev_b32_e32 v2, 2, v30
	v_and_b32_e32 v37, 0x100, v2
	v_lshrrev_b32_e32 v2, 1, v0
	v_and_b32_e32 v2, 0x1e0, v2
	s_waitcnt lgkmcnt(0)
	s_and_b32 s33, s0, 0xffff
	s_bfe_u32 s1, s0, 0xa0006
	s_cmp_gt_u32 s33, 63
	s_cselect_b64 s[2:3], -1, 0
	v_writelane_b32 v59, s2, 20
	s_add_u32 s0, s33, -1
	v_writelane_b32 v59, s3, 21
	s_addc_u32 s2, 0, -1
	s_add_u32 s35, s0, s24
	s_addc_u32 s53, s2, s25
	s_cmp_lt_u32 s6, s18
	v_writelane_b32 v59, s0, 22
	s_cselect_b32 s0, 12, 18
	s_add_u32 s54, s14, s0
	v_writelane_b32 v59, s2, 23
	s_addc_u32 s55, s15, 0
	s_add_i32 s2, s1, -1
	s_bfe_u32 s3, s33, 0x30006
	s_and_b32 s2, s2, 0xffff
	s_cmp_gt_u32 s2, 6
	s_cselect_b64 s[6:7], -1, 0
	v_writelane_b32 v59, s6, 24
	s_and_b32 s1, s1, 0x3f8
	v_writelane_b32 v59, s7, 25
	s_cmp_lg_u32 s3, 0
	v_writelane_b32 v59, s3, 26
	s_cselect_b64 s[2:3], -1, 0
	v_writelane_b32 v59, s2, 27
	v_or_b32_e32 v38, 0xc00, v2
	v_writelane_b32 v59, s3, 28
	v_mov_b32_e32 v2, s25
	v_add_co_u32_e32 v39, vcc, s24, v0
	s_mul_i32 s2, s31, s33
	s_mul_hi_u32 s3, s30, s33
	v_lshlrev_b64 v[22:23], 3, v[4:5]
	v_addc_co_u32_e32 v40, vcc, 0, v2, vcc
	v_mov_b32_e32 v2, 0xc00
	s_add_i32 s3, s3, s2
	s_mul_i32 s2, s30, s33
	v_lshlrev_b32_e32 v43, 1, v0
	v_mov_b32_e32 v24, s26
	s_mov_b32 s47, 0
	v_cmp_eq_u32_e64 s[4:5], 0, v30
	v_mov_b32_e32 v35, v8
	v_lshlrev_b32_e32 v20, 2, v0
	v_mov_b32_e32 v21, v3
	v_mov_b32_e32 v36, v6
	s_mov_b32 s34, s30
	s_mov_b32 s0, s31
	s_lshl_b64 s[60:61], s[30:31], 1
	s_lshl_b64 s[62:63], s[30:31], 3
	v_lshl_or_b32 v41, v30, 3, v2
	s_lshl_b64 s[44:45], s[2:3], 1
	s_lshl_b32 s8, s33, 1
	s_mov_b32 s50, 14
	s_mov_b64 s[64:65], 0
	s_movk_i32 s9, 0x3f80
	s_mov_b32 s51, 0
	v_add_u32_e32 v44, 0xc00, v43
	v_mov_b32_e32 v45, 0xffff
	v_mov_b32_e32 v46, 0x8000
	v_mov_b32_e32 v47, -1
	v_mov_b32_e32 v48, 0x5040100
	v_mov_b32_e32 v50, 0
	;; [unrolled: 1-line block ×4, first 2 shown]
	v_add_co_u32_e32 v17, vcc, v14, v0
	v_mov_b32_e32 v25, s27
                                        ; implicit-def: $sgpr66_sgpr67
                                        ; implicit-def: $sgpr70_sgpr71
                                        ; implicit-def: $sgpr68_sgpr69
                                        ; implicit-def: $sgpr74_sgpr75
                                        ; implicit-def: $sgpr76_sgpr77
                                        ; implicit-def: $sgpr72_sgpr73
	s_branch .LBB68_7
.LBB68_4:                               ;   in Loop: Header=BB68_7 Depth=1
	s_or_b64 exec, exec, s[20:21]
	s_and_b64 s[12:13], s[12:13], exec
	s_andn2_b64 s[78:79], s[78:79], exec
	s_andn2_b64 s[6:7], s[6:7], exec
	s_orn2_b64 s[20:21], s[14:15], exec
.LBB68_5:                               ;   in Loop: Header=BB68_7 Depth=1
	s_or_b64 exec, exec, s[10:11]
	s_andn2_b64 s[2:3], s[72:73], exec
	s_and_b64 s[10:11], s[12:13], exec
	s_or_b64 s[72:73], s[2:3], s[10:11]
	s_andn2_b64 s[2:3], s[76:77], exec
	s_and_b64 s[10:11], s[78:79], exec
	s_or_b64 s[76:77], s[2:3], s[10:11]
	;; [unrolled: 3-line block ×3, first 2 shown]
	s_orn2_b64 s[6:7], s[20:21], exec
.LBB68_6:                               ;   in Loop: Header=BB68_7 Depth=1
	s_or_b64 exec, exec, s[18:19]
	s_and_b64 s[2:3], exec, s[6:7]
	s_or_b64 s[64:65], s[2:3], s[64:65]
	s_andn2_b64 s[2:3], s[68:69], exec
	s_and_b64 s[6:7], s[72:73], exec
	s_or_b64 s[68:69], s[2:3], s[6:7]
	s_andn2_b64 s[2:3], s[70:71], exec
	s_and_b64 s[6:7], s[76:77], exec
	;; [unrolled: 3-line block ×3, first 2 shown]
	v_mov_b32_e32 v25, v9
	s_or_b64 s[66:67], s[2:3], s[6:7]
	v_mov_b32_e32 v24, v8
	s_andn2_b64 exec, exec, s[64:65]
	s_cbranch_execz .LBB68_270
.LBB68_7:                               ; =>This Loop Header: Depth=1
                                        ;     Child Loop BB68_12 Depth 2
                                        ;     Child Loop BB68_26 Depth 2
	;; [unrolled: 1-line block ×17, first 2 shown]
	ds_read_b128 v[4:7], v3 offset:5120
	s_waitcnt lgkmcnt(0)
	v_readfirstlane_b32 s23, v5
	v_readfirstlane_b32 s22, v4
	v_cmp_gt_i64_e64 s[2:3], s[22:23], 0
	s_and_b64 vcc, exec, s[2:3]
	s_cbranch_vccnz .LBB68_39
; %bb.8:                                ;   in Loop: Header=BB68_7 Depth=1
	v_readlane_b32 s2, v59, 12
	v_readlane_b32 s3, v59, 13
	s_and_b64 vcc, exec, s[2:3]
	s_cbranch_vccz .LBB68_20
; %bb.9:                                ;   in Loop: Header=BB68_7 Depth=1
	s_mov_b64 s[2:3], 0x601
	v_cmp_gt_i64_e32 vcc, s[2:3], v[6:7]
	s_mov_b64 s[18:19], 0
	s_mov_b64 s[6:7], 0
	s_cbranch_vccz .LBB68_21
; %bb.10:                               ;   in Loop: Header=BB68_7 Depth=1
	global_load_ushort v6, v3, s[54:55]
	global_load_ushort v2, v[12:13], off
	v_mov_b32_e32 v4, s42
	v_mov_b32_e32 v5, s43
	s_mov_b64 s[20:21], 0
	s_waitcnt vmcnt(1)
	v_and_b32_e32 v8, 0xffff, v6
	v_readfirstlane_b32 s6, v6
	v_add_co_u32_e32 v6, vcc, v0, v8
	v_addc_co_u32_e64 v7, s[2:3], 0, 0, vcc
	v_mul_lo_u32 v7, s60, v7
	v_mul_lo_u32 v9, s61, v6
	v_mad_u64_u32 v[4:5], s[2:3], s60, v6, v[4:5]
	s_and_b32 s6, 0xffff, s6
	s_mul_i32 s2, s61, s6
	s_mul_hi_u32 s3, s60, s6
	v_add3_u32 v5, v9, v5, v7
	v_mov_b32_e32 v7, v1
	s_mul_i32 s16, s60, s6
	s_add_i32 s17, s3, s2
	v_mov_b32_e32 v6, v0
	s_branch .LBB68_12
.LBB68_11:                              ;   in Loop: Header=BB68_12 Depth=2
	s_or_b64 exec, exec, s[2:3]
	v_mov_b32_e32 v2, s17
	v_add_co_u32_e32 v4, vcc, s16, v4
	v_addc_co_u32_e32 v5, vcc, v5, v2, vcc
	v_mov_b32_e32 v2, v9
	s_andn2_b64 exec, exec, s[20:21]
	s_cbranch_execz .LBB68_73
.LBB68_12:                              ;   Parent Loop BB68_7 Depth=1
                                        ; =>  This Inner Loop Header: Depth=2
	v_add_co_u32_e32 v6, vcc, v6, v8
	v_addc_co_u32_e32 v7, vcc, 0, v7, vcc
	v_cmp_gt_i64_e64 s[6:7], s[24:25], v[6:7]
	v_cmp_le_i64_e32 vcc, s[24:25], v[6:7]
	s_waitcnt lgkmcnt(0)
	v_mov_b32_e32 v10, 0
	v_mov_b32_e32 v9, 0
	s_and_saveexec_b64 s[2:3], s[6:7]
	s_cbranch_execz .LBB68_14
; %bb.13:                               ;   in Loop: Header=BB68_12 Depth=2
	global_load_ushort v9, v[4:5], off
.LBB68_14:                              ;   in Loop: Header=BB68_12 Depth=2
	s_or_b64 exec, exec, s[2:3]
	s_waitcnt vmcnt(0)
	v_cmp_lt_i16_e64 s[6:7], -1, v2
	v_cndmask_b32_e64 v11, v45, v46, s[6:7]
	v_lshlrev_b32_e32 v26, 16, v2
	v_xor_b32_sdwa v11, v11, v2 dst_sel:DWORD dst_unused:UNUSED_PAD src0_sel:DWORD src1_sel:WORD_0
	v_cmp_o_f32_e64 s[6:7], v26, v26
	v_cndmask_b32_e64 v11, v45, v11, s[6:7]
	v_and_b32_e32 v11, v11, v49
	v_cmp_eq_u32_e64 s[14:15], v11, v42
	s_cmp_lg_u64 s[14:15], 0
	s_cselect_b64 s[2:3], -1, 0
	s_and_b64 s[2:3], s[4:5], s[2:3]
	s_and_saveexec_b64 s[10:11], s[2:3]
	s_cbranch_execz .LBB68_18
; %bb.15:                               ;   in Loop: Header=BB68_12 Depth=2
	s_mov_b64 s[12:13], exec
	v_mbcnt_lo_u32_b32 v10, s12, 0
	v_mbcnt_hi_u32_b32 v10, s13, v10
	s_bcnt1_i32_b64 s23, s[14:15]
	v_cmp_eq_u32_e64 s[6:7], 0, v10
                                        ; implicit-def: $vgpr11
	s_and_saveexec_b64 s[2:3], s[6:7]
; %bb.16:                               ;   in Loop: Header=BB68_12 Depth=2
	s_bcnt1_i32_b64 s6, s[12:13]
	s_mul_i32 s6, s23, s6
	v_mov_b32_e32 v11, s6
	ds_add_rtn_u32 v11, v3, v11 offset:5136
; %bb.17:                               ;   in Loop: Header=BB68_12 Depth=2
	s_or_b64 exec, exec, s[2:3]
	s_waitcnt lgkmcnt(0)
	v_readfirstlane_b32 s2, v11
	v_mov_b32_e32 v11, s2
	v_mad_u32_u24 v10, s23, v10, v11
.LBB68_18:                              ;   in Loop: Header=BB68_12 Depth=2
	s_or_b64 exec, exec, s[10:11]
	ds_bpermute_b32 v10, v37, v10
	s_and_b64 s[2:3], exec, vcc
	s_or_b64 s[20:21], s[2:3], s[20:21]
	s_and_saveexec_b64 s[2:3], s[14:15]
	s_cbranch_execz .LBB68_11
; %bb.19:                               ;   in Loop: Header=BB68_12 Depth=2
	v_and_b32_e32 v26, s14, v33
	v_and_b32_e32 v11, s15, v31
	v_bcnt_u32_b32 v26, v26, 0
	v_bcnt_u32_b32 v11, v11, v26
	v_lshlrev_b32_e32 v11, 1, v11
	s_waitcnt lgkmcnt(0)
	v_lshl_add_u32 v10, v10, 1, v11
	ds_write_b16 v10, v2
	s_branch .LBB68_11
.LBB68_20:                              ;   in Loop: Header=BB68_7 Depth=1
	s_mov_b64 s[18:19], -1
	s_mov_b64 s[6:7], 0
.LBB68_21:                              ;   in Loop: Header=BB68_7 Depth=1
	s_and_b64 vcc, exec, s[18:19]
	s_cbranch_vccz .LBB68_37
.LBB68_22:                              ;   in Loop: Header=BB68_7 Depth=1
	s_mov_b64 s[14:15], exec
	v_readlane_b32 s2, v59, 14
	v_readlane_b32 s3, v59, 15
	s_and_b64 s[2:3], s[14:15], s[2:3]
	s_mov_b64 exec, s[2:3]
	s_cbranch_execz .LBB68_34
; %bb.23:                               ;   in Loop: Header=BB68_7 Depth=1
	global_load_ushort v2, v3, s[54:55]
	global_load_ushort v11, v[12:13], off
	v_mov_b32_e32 v6, v0
	s_waitcnt vmcnt(1)
	v_readfirstlane_b32 s2, v2
	v_add_u32_sdwa v2, v2, v0 dst_sel:DWORD dst_unused:UNUSED_PAD src0_sel:WORD_0 src1_sel:DWORD
	v_cmp_gt_i64_e32 vcc, s[24:25], v[2:3]
	s_and_saveexec_b64 s[18:19], vcc
	s_cbranch_execz .LBB68_33
; %bb.24:                               ;   in Loop: Header=BB68_7 Depth=1
	s_and_b32 s2, s2, 0xffff
	s_cmp_eq_u32 s2, 1
	v_readlane_b32 s10, v59, 16
                                        ; implicit-def: $vgpr6_vgpr7
	s_cselect_b64 s[6:7], -1, 0
	v_readlane_b32 s11, v59, 17
	v_mov_b32_e32 v8, v1
	v_mov_b32_e32 v5, v3
	s_and_b64 s[10:11], s[10:11], s[6:7]
	s_mov_b64 s[12:13], -1
	v_mov_b32_e32 v7, v0
	v_mov_b32_e32 v4, v2
	s_and_saveexec_b64 s[6:7], s[10:11]
	s_cbranch_execz .LBB68_28
; %bb.25:                               ;   in Loop: Header=BB68_7 Depth=1
	v_add_co_u32_e32 v4, vcc, 1, v2
	v_addc_co_u32_e64 v5, s[10:11], 0, 0, vcc
	v_mov_b32_e32 v8, v14
	v_mov_b32_e32 v7, v5
	s_waitcnt vmcnt(0)
	v_lshlrev_b32_e32 v26, 16, v11
	s_mov_b64 s[10:11], 0
	v_mov_b32_e32 v9, v15
	v_mov_b32_e32 v10, v43
	;; [unrolled: 1-line block ×5, first 2 shown]
.LBB68_26:                              ;   Parent Loop BB68_7 Depth=1
                                        ; =>  This Inner Loop Header: Depth=2
	v_mul_lo_u32 v53, v5, s34
	v_mul_lo_u32 v54, v4, s0
	v_mad_u64_u32 v[51:52], s[12:13], v4, s34, 0
	v_mul_lo_u32 v11, v7, s30
	v_mul_lo_u32 v29, v6, s31
	v_mad_u64_u32 v[27:28], s[12:13], v6, s30, 0
	v_add3_u32 v52, v52, v54, v53
	v_lshlrev_b64 v[51:52], 1, v[51:52]
	v_add3_u32 v28, v28, v29, v11
	v_mov_b32_e32 v55, s43
	v_lshlrev_b64 v[27:28], 1, v[27:28]
	v_add_co_u32_e32 v51, vcc, s42, v51
	v_addc_co_u32_e32 v52, vcc, v55, v52, vcc
	v_mov_b32_e32 v56, s43
	v_add_co_u32_e32 v27, vcc, s42, v27
	v_addc_co_u32_e32 v28, vcc, v56, v28, vcc
	global_load_ushort v29, v[51:52], off
	global_load_ushort v11, v[27:28], off
	v_add_co_u32_e32 v6, vcc, 2, v6
	v_addc_co_u32_e32 v7, vcc, 0, v7, vcc
	v_add_co_u32_e32 v4, vcc, 2, v4
	v_addc_co_u32_e32 v5, vcc, 0, v5, vcc
	v_add_co_u32_e32 v8, vcc, -2, v8
	v_addc_co_u32_e32 v9, vcc, -1, v9, vcc
	s_mov_b32 s3, 0x5040100
	v_cmp_eq_u64_e32 vcc, 0, v[8:9]
	s_or_b64 s[10:11], vcc, s[10:11]
	s_waitcnt vmcnt(1)
	v_alignbit_b32 v26, v29, v26, 16
	s_waitcnt vmcnt(0)
	v_perm_b32 v27, v11, v29, s3
	ds_write_b32 v10, v26
	v_add_u32_e32 v10, 4, v10
	v_mov_b32_e32 v26, v27
	s_andn2_b64 exec, exec, s[10:11]
	s_cbranch_execnz .LBB68_26
; %bb.27:                               ;   in Loop: Header=BB68_7 Depth=1
	s_or_b64 exec, exec, s[10:11]
	v_readlane_b32 s10, v59, 18
	v_add_co_u32_e32 v4, vcc, v2, v14
	v_readlane_b32 s11, v59, 19
	v_addc_co_u32_e32 v5, vcc, 0, v15, vcc
	v_add_co_u32_e32 v6, vcc, -1, v4
	s_orn2_b64 s[12:13], s[10:11], exec
	v_mov_b32_e32 v7, v17
	v_mov_b32_e32 v8, v18
.LBB68_28:                              ;   in Loop: Header=BB68_7 Depth=1
	s_or_b64 exec, exec, s[6:7]
	s_and_saveexec_b64 s[10:11], s[12:13]
	s_cbranch_execz .LBB68_32
; %bb.29:                               ;   in Loop: Header=BB68_7 Depth=1
	v_mov_b32_e32 v8, s42
	v_mov_b32_e32 v9, s43
	v_mad_u64_u32 v[9:10], s[6:7], s60, v4, v[8:9]
	v_mul_lo_u32 v2, s60, v5
	v_mul_lo_u32 v6, s61, v4
	s_mul_i32 s6, s61, s2
	s_mul_hi_u32 s7, s60, s2
	s_mov_b64 s[12:13], 0
	s_sub_u32 s3, 0, s2
	v_add3_u32 v10, v6, v10, v2
	s_add_i32 s16, s7, s6
	s_mul_i32 s17, s60, s2
.LBB68_30:                              ;   Parent Loop BB68_7 Depth=1
                                        ; =>  This Inner Loop Header: Depth=2
	s_waitcnt vmcnt(0)
	v_mov_b32_e32 v2, v11
	global_load_ushort v11, v[9:10], off
	v_mov_b32_e32 v27, v5
	v_mov_b32_e32 v26, v4
	v_lshlrev_b32_e32 v4, 1, v7
	ds_write_b16 v4, v2
	v_add_co_u32_e32 v4, vcc, s2, v26
	v_addc_co_u32_e32 v5, vcc, 0, v27, vcc
	v_mov_b32_e32 v2, s16
	v_add_co_u32_e32 v9, vcc, s17, v9
	v_addc_co_u32_e32 v10, vcc, v10, v2, vcc
	v_cmp_le_i64_e32 vcc, s[24:25], v[4:5]
	v_add_co_u32_e64 v6, s[6:7], s3, v4
	s_or_b64 s[12:13], vcc, s[12:13]
	v_mov_b32_e32 v7, v26
	v_mov_b32_e32 v8, v27
	s_andn2_b64 exec, exec, s[12:13]
	s_cbranch_execnz .LBB68_30
; %bb.31:                               ;   in Loop: Header=BB68_7 Depth=1
	s_or_b64 exec, exec, s[12:13]
.LBB68_32:                              ;   in Loop: Header=BB68_7 Depth=1
	s_or_b64 exec, exec, s[10:11]
.LBB68_33:                              ;   in Loop: Header=BB68_7 Depth=1
	s_or_b64 exec, exec, s[18:19]
	v_lshlrev_b32_e32 v2, 1, v6
	s_waitcnt vmcnt(0)
	ds_write_b16 v2, v11
.LBB68_34:                              ;   in Loop: Header=BB68_7 Depth=1
	s_or_b64 exec, exec, s[14:15]
	s_waitcnt lgkmcnt(0)
	s_barrier
	s_mov_b64 s[2:3], exec
	v_readlane_b32 s6, v59, 6
	v_readlane_b32 s7, v59, 7
	s_and_b64 s[6:7], s[2:3], s[6:7]
	s_mov_b64 exec, s[6:7]
; %bb.35:                               ;   in Loop: Header=BB68_7 Depth=1
	v_mov_b32_e32 v4, s24
	v_mov_b32_e32 v5, s25
	ds_write_b64 v3, v[4:5] offset:5120
; %bb.36:                               ;   in Loop: Header=BB68_7 Depth=1
	s_or_b64 exec, exec, s[2:3]
	s_mov_b64 s[6:7], -1
	s_waitcnt lgkmcnt(0)
	s_barrier
.LBB68_37:                              ;   in Loop: Header=BB68_7 Depth=1
	s_and_b64 vcc, exec, s[6:7]
	s_cbranch_vccz .LBB68_39
; %bb.38:                               ;   in Loop: Header=BB68_7 Depth=1
	ds_read_b64 v[4:5], v3 offset:5120
	s_waitcnt lgkmcnt(0)
	v_readfirstlane_b32 s22, v4
.LBB68_39:                              ;   in Loop: Header=BB68_7 Depth=1
	s_cmp_lt_i32 s22, 1
	s_mov_b64 s[6:7], -1
                                        ; implicit-def: $vgpr4_vgpr5
                                        ; implicit-def: $vgpr8_vgpr9
	s_cbranch_scc1 .LBB68_49
; %bb.40:                               ;   in Loop: Header=BB68_7 Depth=1
	s_and_b64 vcc, exec, s[6:7]
	s_cbranch_vccnz .LBB68_63
.LBB68_41:                              ;   in Loop: Header=BB68_7 Depth=1
	s_lshl_b32 s2, s51, 6
	s_and_saveexec_b64 s[6:7], s[4:5]
	s_cbranch_execz .LBB68_43
.LBB68_42:                              ;   in Loop: Header=BB68_7 Depth=1
	v_lshl_add_u32 v2, s2, 3, v38
	ds_write_b128 v2, v[4:7]
	ds_write_b128 v2, v[8:11] offset:16
.LBB68_43:                              ;   in Loop: Header=BB68_7 Depth=1
	s_or_b64 exec, exec, s[6:7]
	s_waitcnt lgkmcnt(0)
	s_barrier
	s_and_saveexec_b64 s[6:7], s[48:49]
	s_cbranch_execz .LBB68_81
; %bb.44:                               ;   in Loop: Header=BB68_7 Depth=1
	v_readlane_b32 s10, v59, 20
	v_mov_b32_e32 v4, 0
	v_readlane_b32 s11, v59, 21
	v_mov_b32_e32 v5, 0
	s_andn2_b64 vcc, exec, s[10:11]
	s_cbranch_vccnz .LBB68_80
; %bb.45:                               ;   in Loop: Header=BB68_7 Depth=1
	v_readlane_b32 s10, v59, 24
	v_readlane_b32 s11, v59, 25
	s_andn2_b64 vcc, exec, s[10:11]
	s_cbranch_vccnz .LBB68_76
; %bb.46:                               ;   in Loop: Header=BB68_7 Depth=1
	v_mov_b32_e32 v4, 0
	v_lshl_add_u32 v2, s51, 9, v41
	v_mov_b32_e32 v5, 0
	s_mov_b32 s3, 0
.LBB68_47:                              ;   Parent Loop BB68_7 Depth=1
                                        ; =>  This Inner Loop Header: Depth=2
	ds_read2_b64 v[6:9], v2 offset1:4
	ds_read2_b64 v[26:29], v2 offset0:8 offset1:12
	ds_read2_b64 v[51:54], v2 offset0:16 offset1:20
	;; [unrolled: 1-line block ×3, first 2 shown]
	s_add_i32 s3, s3, 8
	s_waitcnt lgkmcnt(3)
	v_add_co_u32_e32 v4, vcc, v6, v4
	v_addc_co_u32_e32 v5, vcc, v7, v5, vcc
	v_add_co_u32_e32 v4, vcc, v8, v4
	v_addc_co_u32_e32 v5, vcc, v9, v5, vcc
	s_waitcnt lgkmcnt(2)
	v_add_co_u32_e32 v4, vcc, v26, v4
	v_addc_co_u32_e32 v5, vcc, v27, v5, vcc
	v_add_co_u32_e32 v4, vcc, v28, v4
	v_addc_co_u32_e32 v5, vcc, v29, v5, vcc
	;; [unrolled: 5-line block ×3, first 2 shown]
	s_waitcnt lgkmcnt(0)
	v_add_co_u32_e32 v4, vcc, v55, v4
	v_addc_co_u32_e32 v5, vcc, v56, v5, vcc
	v_add_co_u32_e32 v4, vcc, v57, v4
	v_add_u32_e32 v2, 0x100, v2
	s_cmp_eq_u32 s1, s3
	v_addc_co_u32_e32 v5, vcc, v58, v5, vcc
	s_cbranch_scc0 .LBB68_47
; %bb.48:                               ;   in Loop: Header=BB68_7 Depth=1
	s_mov_b32 s3, s1
	s_branch .LBB68_77
.LBB68_49:                              ;   in Loop: Header=BB68_7 Depth=1
	global_load_ushort v2, v3, s[54:55]
	s_mov_b32 s2, s47
	s_waitcnt vmcnt(0)
	v_readfirstlane_b32 s3, v2
	s_and_b32 s12, s3, 0xffff
	s_lshl_b32 s10, s12, 2
	s_mov_b32 s3, s25
	s_cmp_lg_u64 s[2:3], 0
	s_cbranch_scc0 .LBB68_72
; %bb.50:                               ;   in Loop: Header=BB68_7 Depth=1
	s_add_u32 s2, s10, 0
	s_addc_u32 s3, 0, 0
	s_xor_b64 s[6:7], s[2:3], 0
	v_cvt_f32_u32_e32 v2, s6
	v_cvt_f32_u32_e32 v4, s7
	s_sub_u32 s11, 0, s6
	s_subb_u32 s13, 0, s7
	v_mac_f32_e32 v2, 0x4f800000, v4
	v_rcp_f32_e32 v2, v2
	v_mul_f32_e32 v2, 0x5f7ffffc, v2
	v_mul_f32_e32 v4, 0x2f800000, v2
	v_trunc_f32_e32 v4, v4
	v_mac_f32_e32 v2, 0xcf800000, v4
	v_cvt_u32_f32_e32 v4, v4
	v_cvt_u32_f32_e32 v2, v2
	v_readfirstlane_b32 s14, v4
	v_readfirstlane_b32 s2, v2
	s_mul_i32 s3, s11, s14
	s_mul_hi_u32 s16, s11, s2
	s_mul_i32 s15, s13, s2
	s_add_i32 s3, s16, s3
	s_mul_i32 s17, s11, s2
	s_add_i32 s3, s3, s15
	s_mul_i32 s16, s2, s3
	s_mul_hi_u32 s18, s2, s17
	s_mul_hi_u32 s15, s2, s3
	s_add_u32 s16, s18, s16
	s_addc_u32 s15, 0, s15
	s_mul_hi_u32 s19, s14, s17
	s_mul_i32 s17, s14, s17
	s_add_u32 s16, s16, s17
	s_mul_hi_u32 s18, s14, s3
	s_addc_u32 s15, s15, s19
	s_addc_u32 s16, s18, 0
	s_mul_i32 s3, s14, s3
	s_add_u32 s3, s15, s3
	s_addc_u32 s15, 0, s16
	s_add_u32 s16, s2, s3
	s_cselect_b64 s[2:3], -1, 0
	s_cmp_lg_u64 s[2:3], 0
	s_addc_u32 s14, s14, s15
	s_mul_i32 s2, s11, s14
	s_mul_hi_u32 s3, s11, s16
	s_add_i32 s2, s3, s2
	s_mul_i32 s13, s13, s16
	s_add_i32 s2, s2, s13
	s_mul_i32 s11, s11, s16
	s_mul_hi_u32 s13, s14, s11
	s_mul_i32 s15, s14, s11
	s_mul_i32 s18, s16, s2
	s_mul_hi_u32 s11, s16, s11
	s_mul_hi_u32 s17, s16, s2
	s_add_u32 s11, s11, s18
	s_addc_u32 s17, 0, s17
	s_add_u32 s11, s11, s15
	s_mul_hi_u32 s3, s14, s2
	s_addc_u32 s11, s17, s13
	s_addc_u32 s3, s3, 0
	s_mul_i32 s2, s14, s2
	s_add_u32 s2, s11, s2
	s_addc_u32 s11, 0, s3
	s_add_u32 s13, s16, s2
	s_cselect_b64 s[2:3], -1, 0
	s_cmp_lg_u64 s[2:3], 0
	s_addc_u32 s11, s14, s11
	s_ashr_i32 s2, s25, 31
	s_add_u32 s14, s24, s2
	s_mov_b32 s3, s2
	s_addc_u32 s15, s25, s2
	s_xor_b64 s[14:15], s[14:15], s[2:3]
	s_mul_i32 s17, s14, s11
	s_mul_hi_u32 s18, s14, s13
	s_mul_hi_u32 s16, s14, s11
	s_add_u32 s17, s18, s17
	s_addc_u32 s16, 0, s16
	s_mul_hi_u32 s19, s15, s13
	s_mul_i32 s13, s15, s13
	s_add_u32 s13, s17, s13
	s_mul_hi_u32 s18, s15, s11
	s_addc_u32 s13, s16, s19
	s_addc_u32 s16, s18, 0
	s_mul_i32 s11, s15, s11
	s_add_u32 s11, s13, s11
	s_addc_u32 s13, 0, s16
	s_mul_i32 s13, s6, s13
	s_mul_hi_u32 s16, s6, s11
	s_add_i32 s13, s16, s13
	s_mul_i32 s16, s7, s11
	s_add_i32 s13, s13, s16
	s_sub_i32 s18, s15, s13
	s_mul_i32 s11, s6, s11
	s_sub_u32 s11, s14, s11
	s_cselect_b64 s[16:17], -1, 0
	s_cmp_lg_u64 s[16:17], 0
	s_subb_u32 s14, s18, s7
	s_sub_u32 s20, s11, s6
	s_cselect_b64 s[18:19], -1, 0
	s_cmp_lg_u64 s[18:19], 0
	s_subb_u32 s21, s14, 0
	s_cmp_ge_u32 s21, s7
	s_cselect_b32 s23, -1, 0
	s_cmp_ge_u32 s20, s6
	s_cselect_b32 s26, -1, 0
	s_cmp_eq_u32 s21, s7
	s_cselect_b32 s23, s26, s23
	s_cmp_lg_u64 s[18:19], 0
	s_subb_u32 s14, s14, s7
	s_sub_u32 s26, s20, s6
	s_cselect_b64 s[18:19], -1, 0
	s_cmp_lg_u64 s[18:19], 0
	s_subb_u32 s14, s14, 0
	s_cmp_lg_u32 s23, 0
	s_cselect_b32 s18, s26, s20
	s_cselect_b32 s14, s14, s21
	s_cmp_lg_u64 s[16:17], 0
	s_subb_u32 s13, s15, s13
	s_cmp_ge_u32 s13, s7
	s_cselect_b32 s15, -1, 0
	s_cmp_ge_u32 s11, s6
	s_cselect_b32 s6, -1, 0
	s_cmp_eq_u32 s13, s7
	s_cselect_b32 s6, s6, s15
	s_cmp_lg_u32 s6, 0
	s_cselect_b32 s7, s14, s13
	s_cselect_b32 s6, s18, s11
	s_xor_b64 s[6:7], s[6:7], s[2:3]
	s_sub_u32 s26, s6, s2
	s_subb_u32 s27, s7, s2
	s_cbranch_execnz .LBB68_52
.LBB68_51:                              ;   in Loop: Header=BB68_7 Depth=1
	v_cvt_f32_u32_e32 v2, s10
	s_sub_i32 s2, 0, s10
	v_rcp_iflag_f32_e32 v2, v2
	v_mul_f32_e32 v2, 0x4f7ffffe, v2
	v_cvt_u32_f32_e32 v2, v2
	v_readfirstlane_b32 s3, v2
	s_mul_i32 s2, s2, s3
	s_mul_hi_u32 s2, s3, s2
	s_add_i32 s3, s3, s2
	s_mul_hi_u32 s2, s24, s3
	s_mul_i32 s2, s2, s10
	s_sub_i32 s2, s24, s2
	s_sub_i32 s3, s2, s10
	s_cmp_ge_u32 s2, s10
	s_cselect_b32 s2, s3, s2
	s_sub_i32 s3, s2, s10
	s_cmp_ge_u32 s2, s10
	s_cselect_b32 s46, s3, s2
	s_mov_b64 s[26:27], s[46:47]
.LBB68_52:                              ;   in Loop: Header=BB68_7 Depth=1
	s_sub_u32 s78, s24, s26
	s_subb_u32 s79, s25, s27
	v_cmp_gt_i64_e32 vcc, s[78:79], v[20:21]
	v_mov_b32_e32 v4, 0
	v_mov_b32_e32 v6, 0
	;; [unrolled: 1-line block ×8, first 2 shown]
	s_and_saveexec_b64 s[80:81], vcc
	s_cbranch_execz .LBB68_56
; %bb.53:                               ;   in Loop: Header=BB68_7 Depth=1
	s_mul_i32 s2, s63, s12
	s_mul_hi_u32 s3, s62, s12
	v_mov_b32_e32 v27, v21
	s_add_i32 s2, s3, s2
	s_mov_b64 s[82:83], 0
	s_mov_b64 s[84:85], s[42:43]
	;; [unrolled: 1-line block ×6, first 2 shown]
	v_mov_b32_e32 v26, v20
.LBB68_54:                              ;   Parent Loop BB68_7 Depth=1
                                        ; =>  This Inner Loop Header: Depth=2
	v_add_co_u32_e32 v4, vcc, s84, v22
	v_mov_b32_e32 v2, s85
	v_addc_co_u32_e32 v5, vcc, v2, v23, vcc
	global_load_ushort v6, v[4:5], off
	v_add_co_u32_e32 v4, vcc, s84, v19
	v_addc_co_u32_e32 v5, vcc, v2, v36, vcc
	global_load_ushort v7, v[4:5], off
	v_add_co_u32_e32 v4, vcc, s84, v18
	;; [unrolled: 3-line block ×3, first 2 shown]
	v_addc_co_u32_e32 v5, vcc, v2, v34, vcc
	global_load_ushort v2, v[4:5], off
	s_waitcnt vmcnt(3)
	v_cmp_lt_i16_e32 vcc, -1, v6
	v_cndmask_b32_e32 v4, v45, v46, vcc
	v_lshlrev_b32_e32 v5, 16, v6
	v_cmp_o_f32_e32 vcc, v5, v5
	v_xor_b32_sdwa v4, v4, v6 dst_sel:DWORD dst_unused:UNUSED_PAD src0_sel:DWORD src1_sel:WORD_0
	v_cndmask_b32_e32 v4, v45, v4, vcc
	s_waitcnt vmcnt(2)
	v_cmp_lt_i16_e32 vcc, -1, v7
	v_cndmask_b32_e32 v5, v45, v46, vcc
	v_lshlrev_b32_e32 v6, 16, v7
	v_cmp_o_f32_e32 vcc, v6, v6
	v_xor_b32_sdwa v5, v5, v7 dst_sel:DWORD dst_unused:UNUSED_PAD src0_sel:DWORD src1_sel:WORD_0
	v_cndmask_b32_e32 v5, v45, v5, vcc
	;; [unrolled: 7-line block ×3, first 2 shown]
	s_waitcnt vmcnt(0)
	v_cmp_lt_i16_e32 vcc, -1, v2
	v_cndmask_b32_e32 v7, v45, v46, vcc
	v_lshlrev_b32_e32 v8, 16, v2
	v_cmp_o_f32_e32 vcc, v8, v8
	v_xor_b32_sdwa v2, v7, v2 dst_sel:DWORD dst_unused:UNUSED_PAD src0_sel:DWORD src1_sel:WORD_0
	v_and_b32_e32 v7, v4, v49
	v_bfe_u32 v4, v4, s50, 2
	v_cndmask_b32_e32 v2, v45, v2, vcc
	v_cmp_eq_u32_e32 vcc, v7, v42
	v_and_b32_e32 v7, v5, v49
	v_bfe_u32 v5, v5, s50, 2
	v_cmp_eq_u32_e64 s[20:21], 0, v4
	v_cmp_eq_u32_e64 s[6:7], v7, v42
	v_and_b32_e32 v7, v6, v49
	v_bfe_u32 v6, v6, s50, 2
	s_and_b64 s[16:17], vcc, s[20:21]
	v_cmp_eq_u32_e64 s[20:21], 0, v5
	v_cmp_eq_u32_e64 s[14:15], v7, v42
	v_and_b32_e32 v7, v2, v49
	v_bfe_u32 v2, v2, s50, 2
	s_and_b64 s[28:29], s[6:7], s[20:21]
	v_cmp_eq_u32_e64 s[20:21], 0, v6
	v_cmp_eq_u32_e64 s[18:19], v7, v42
	s_and_b64 s[36:37], s[14:15], s[20:21]
	v_cmp_eq_u32_e64 s[20:21], 0, v2
	v_cndmask_b32_e64 v7, 0, 1, s[16:17]
	s_and_b64 s[38:39], s[18:19], s[20:21]
	v_cmp_ne_u32_e64 s[20:21], 0, v7
	v_cndmask_b32_e64 v7, 0, 1, s[28:29]
	s_bcnt1_i32_b64 s3, s[20:21]
	v_cmp_ne_u32_e64 s[20:21], 0, v7
	v_cndmask_b32_e64 v7, 0, 1, s[36:37]
	s_bcnt1_i32_b64 s11, s[20:21]
	;; [unrolled: 3-line block ×3, first 2 shown]
	v_cmp_ne_u32_e64 s[20:21], 0, v7
	s_bcnt1_i32_b64 s16, s[20:21]
	s_add_u32 s3, s3, s92
	s_addc_u32 s17, 0, s93
	s_add_u32 s3, s3, s11
	s_addc_u32 s11, s17, 0
	;; [unrolled: 2-line block ×3, first 2 shown]
	s_add_u32 s92, s3, s16
	v_cmp_eq_u32_e64 s[20:21], 1, v4
	s_addc_u32 s93, s11, 0
	s_and_b64 s[16:17], vcc, s[20:21]
	v_cmp_eq_u32_e64 s[20:21], 1, v5
	s_and_b64 s[28:29], s[6:7], s[20:21]
	v_cmp_eq_u32_e64 s[20:21], 1, v6
	s_and_b64 s[36:37], s[14:15], s[20:21]
	v_cmp_eq_u32_e64 s[20:21], 1, v2
	v_cndmask_b32_e64 v7, 0, 1, s[16:17]
	s_and_b64 s[38:39], s[18:19], s[20:21]
	v_cmp_ne_u32_e64 s[20:21], 0, v7
	v_cndmask_b32_e64 v7, 0, 1, s[28:29]
	s_bcnt1_i32_b64 s3, s[20:21]
	v_cmp_ne_u32_e64 s[20:21], 0, v7
	v_cndmask_b32_e64 v7, 0, 1, s[36:37]
	s_bcnt1_i32_b64 s11, s[20:21]
	v_cmp_ne_u32_e64 s[20:21], 0, v7
	v_cndmask_b32_e64 v7, 0, 1, s[38:39]
	s_bcnt1_i32_b64 s13, s[20:21]
	v_cmp_ne_u32_e64 s[20:21], 0, v7
	s_bcnt1_i32_b64 s16, s[20:21]
	s_add_u32 s3, s3, s90
	s_addc_u32 s17, 0, s91
	s_add_u32 s3, s3, s11
	s_addc_u32 s11, s17, 0
	;; [unrolled: 2-line block ×3, first 2 shown]
	s_add_u32 s90, s3, s16
	v_cmp_eq_u32_e64 s[20:21], 2, v4
	s_addc_u32 s91, s11, 0
	s_and_b64 s[16:17], vcc, s[20:21]
	v_cmp_eq_u32_e64 s[20:21], 2, v5
	s_and_b64 s[28:29], s[6:7], s[20:21]
	v_cmp_eq_u32_e64 s[20:21], 2, v6
	s_and_b64 s[36:37], s[14:15], s[20:21]
	v_cmp_eq_u32_e64 s[20:21], 2, v2
	v_cndmask_b32_e64 v7, 0, 1, s[16:17]
	s_and_b64 s[38:39], s[18:19], s[20:21]
	v_cmp_ne_u32_e64 s[20:21], 0, v7
	v_cndmask_b32_e64 v7, 0, 1, s[28:29]
	s_bcnt1_i32_b64 s3, s[20:21]
	v_cmp_ne_u32_e64 s[20:21], 0, v7
	v_cndmask_b32_e64 v7, 0, 1, s[36:37]
	s_bcnt1_i32_b64 s11, s[20:21]
	;; [unrolled: 3-line block ×3, first 2 shown]
	v_cmp_ne_u32_e64 s[20:21], 0, v7
	s_bcnt1_i32_b64 s16, s[20:21]
	s_add_u32 s3, s3, s88
	s_addc_u32 s17, 0, s89
	s_add_u32 s3, s3, s11
	s_addc_u32 s11, s17, 0
	;; [unrolled: 2-line block ×3, first 2 shown]
	s_add_u32 s88, s3, s16
	v_cmp_eq_u32_e64 s[20:21], 3, v4
	s_addc_u32 s89, s11, 0
	s_and_b64 s[16:17], vcc, s[20:21]
	v_cmp_eq_u32_e32 vcc, 3, v5
	s_and_b64 s[6:7], s[6:7], vcc
	v_cmp_eq_u32_e32 vcc, 3, v6
	s_and_b64 s[14:15], s[14:15], vcc
	v_cmp_eq_u32_e32 vcc, 3, v2
	v_cndmask_b32_e64 v2, 0, 1, s[16:17]
	s_and_b64 s[18:19], s[18:19], vcc
	v_cmp_ne_u32_e32 vcc, 0, v2
	v_cndmask_b32_e64 v2, 0, 1, s[6:7]
	s_bcnt1_i32_b64 s3, vcc
	v_cmp_ne_u32_e32 vcc, 0, v2
	v_cndmask_b32_e64 v2, 0, 1, s[14:15]
	s_bcnt1_i32_b64 s6, vcc
	;; [unrolled: 3-line block ×3, first 2 shown]
	v_cmp_ne_u32_e32 vcc, 0, v2
	s_bcnt1_i32_b64 s11, vcc
	s_add_u32 s3, s3, s86
	s_addc_u32 s13, 0, s87
	s_add_u32 s3, s3, s6
	s_addc_u32 s6, s13, 0
	;; [unrolled: 2-line block ×3, first 2 shown]
	s_add_u32 s86, s3, s11
	v_add_co_u32_e32 v26, vcc, s10, v26
	s_addc_u32 s87, s6, 0
	v_addc_co_u32_e32 v27, vcc, 0, v27, vcc
	s_mul_i32 s3, s62, s12
	s_add_u32 s84, s84, s3
	v_cmp_le_i64_e32 vcc, s[78:79], v[26:27]
	s_addc_u32 s85, s85, s2
	v_mov_b32_e32 v4, s92
	v_mov_b32_e32 v6, s90
	;; [unrolled: 1-line block ×4, first 2 shown]
	s_or_b64 s[82:83], vcc, s[82:83]
	v_mov_b32_e32 v5, s93
	v_mov_b32_e32 v7, s91
	;; [unrolled: 1-line block ×4, first 2 shown]
	s_andn2_b64 exec, exec, s[82:83]
	s_cbranch_execnz .LBB68_54
; %bb.55:                               ;   in Loop: Header=BB68_7 Depth=1
	s_or_b64 exec, exec, s[82:83]
.LBB68_56:                              ;   in Loop: Header=BB68_7 Depth=1
	s_or_b64 exec, exec, s[80:81]
	v_mov_b32_e32 v2, s79
	v_add_co_u32_e32 v26, vcc, s78, v0
	v_addc_co_u32_e32 v27, vcc, 0, v2, vcc
	v_cmp_gt_i64_e32 vcc, s[24:25], v[26:27]
	s_and_saveexec_b64 s[14:15], vcc
	s_cbranch_execz .LBB68_62
; %bb.57:                               ;   in Loop: Header=BB68_7 Depth=1
	v_mul_lo_u32 v2, v27, s30
	v_mul_lo_u32 v51, v26, s31
	v_mad_u64_u32 v[28:29], s[2:3], v26, s30, 0
	s_mul_i32 s16, s60, s12
	s_mov_b64 s[10:11], 0
	v_add3_u32 v29, v29, v51, v2
	v_lshlrev_b64 v[28:29], 1, v[28:29]
	v_mov_b32_e32 v2, s43
	v_add_co_u32_e32 v28, vcc, s42, v28
	v_addc_co_u32_e32 v29, vcc, v2, v29, vcc
	global_load_ushort v51, v[28:29], off
	v_add_co_u32_e32 v2, vcc, s12, v39
	v_addc_co_u32_e32 v28, vcc, 0, v40, vcc
	v_mov_b32_e32 v29, s27
	v_subrev_co_u32_e32 v2, vcc, s26, v2
	v_subb_co_u32_e32 v28, vcc, v28, v29, vcc
	v_mul_lo_u32 v52, s60, v28
	v_mov_b32_e32 v28, s42
	v_mov_b32_e32 v29, s43
	v_mul_lo_u32 v53, s61, v2
	v_mad_u64_u32 v[28:29], s[2:3], s60, v2, v[28:29]
	s_mul_i32 s2, s61, s12
	s_mul_hi_u32 s3, s60, s12
	v_add3_u32 v29, v53, v29, v52
	s_add_i32 s13, s3, s2
	s_branch .LBB68_59
.LBB68_58:                              ;   in Loop: Header=BB68_59 Depth=2
	s_or_b64 exec, exec, s[2:3]
	s_and_b64 s[2:3], exec, vcc
	s_waitcnt vmcnt(0)
	v_cmp_lt_i16_e32 vcc, -1, v51
	v_cndmask_b32_e32 v52, v45, v46, vcc
	v_lshlrev_b32_e32 v53, 16, v51
	v_xor_b32_sdwa v51, v52, v51 dst_sel:DWORD dst_unused:UNUSED_PAD src0_sel:DWORD src1_sel:WORD_0
	v_cmp_o_f32_e32 vcc, v53, v53
	v_cndmask_b32_e32 v51, v45, v51, vcc
	v_and_b32_e32 v52, v51, v49
	v_bfe_u32 v51, v51, s50, 2
	s_or_b64 s[10:11], s[2:3], s[10:11]
	v_cmp_eq_u32_e32 vcc, v52, v42
	v_cmp_eq_u32_e64 s[6:7], 0, v51
	s_and_b64 s[2:3], vcc, s[6:7]
	v_cndmask_b32_e64 v52, 0, 1, s[2:3]
	v_cmp_ne_u32_e64 s[6:7], 0, v52
	s_bcnt1_i32_b64 s2, s[6:7]
	v_add_co_u32_e64 v4, s[6:7], s2, v4
	v_addc_co_u32_e64 v5, s[6:7], 0, v5, s[6:7]
	v_cmp_eq_u32_e64 s[6:7], 1, v51
	s_and_b64 s[2:3], vcc, s[6:7]
	v_cndmask_b32_e64 v52, 0, 1, s[2:3]
	v_cmp_ne_u32_e64 s[6:7], 0, v52
	s_bcnt1_i32_b64 s2, s[6:7]
	v_add_co_u32_e64 v6, s[6:7], s2, v6
	v_addc_co_u32_e64 v7, s[6:7], 0, v7, s[6:7]
	;; [unrolled: 7-line block ×3, first 2 shown]
	v_cmp_eq_u32_e64 s[6:7], 3, v51
	s_and_b64 s[2:3], vcc, s[6:7]
	v_cndmask_b32_e64 v51, 0, 1, s[2:3]
	v_cmp_ne_u32_e32 vcc, 0, v51
	s_bcnt1_i32_b64 s2, vcc
	v_add_co_u32_e32 v10, vcc, s2, v10
	v_addc_co_u32_e32 v11, vcc, 0, v11, vcc
	v_mov_b32_e32 v51, s13
	v_add_co_u32_e32 v28, vcc, s16, v28
	v_addc_co_u32_e32 v29, vcc, v29, v51, vcc
	v_mov_b32_e32 v51, v2
	s_andn2_b64 exec, exec, s[10:11]
	s_cbranch_execz .LBB68_61
.LBB68_59:                              ;   Parent Loop BB68_7 Depth=1
                                        ; =>  This Inner Loop Header: Depth=2
	v_add_co_u32_e32 v26, vcc, s12, v26
	v_addc_co_u32_e32 v27, vcc, 0, v27, vcc
	v_cmp_gt_i64_e64 s[6:7], s[24:25], v[26:27]
	v_cmp_le_i64_e32 vcc, s[24:25], v[26:27]
	v_mov_b32_e32 v2, 0
	s_and_saveexec_b64 s[2:3], s[6:7]
	s_cbranch_execz .LBB68_58
; %bb.60:                               ;   in Loop: Header=BB68_59 Depth=2
	global_load_ushort v2, v[28:29], off
	s_branch .LBB68_58
.LBB68_61:                              ;   in Loop: Header=BB68_7 Depth=1
	s_or_b64 exec, exec, s[10:11]
.LBB68_62:                              ;   in Loop: Header=BB68_7 Depth=1
	s_or_b64 exec, exec, s[14:15]
	s_branch .LBB68_41
.LBB68_63:                              ;   in Loop: Header=BB68_7 Depth=1
	global_load_ushort v2, v3, s[54:55]
	v_mov_b32_e32 v8, 0
	v_mov_b32_e32 v9, 0
	s_waitcnt vmcnt(0)
	v_readfirstlane_b32 s2, v2
	s_and_b32 s2, 0xffff, s2
	s_lshl_b32 s3, s2, 2
	v_cvt_f32_u32_e32 v4, s3
	s_sub_i32 s6, 0, s3
	v_rcp_iflag_f32_e32 v6, v4
	v_mov_b32_e32 v4, 0
	v_mov_b32_e32 v5, 0
	v_mul_f32_e32 v6, 0x4f7ffffe, v6
	v_cvt_u32_f32_e32 v10, v6
	v_mov_b32_e32 v6, 0
	v_mov_b32_e32 v7, 0
	v_readfirstlane_b32 s7, v10
	s_mul_i32 s6, s6, s7
	s_mul_hi_u32 s6, s7, s6
	s_add_i32 s7, s7, s6
	s_mul_hi_u32 s6, s22, s7
	s_mul_i32 s7, s6, s3
	s_sub_i32 s7, s22, s7
	s_add_i32 s10, s6, 1
	s_sub_i32 s11, s7, s3
	s_cmp_ge_u32 s7, s3
	s_cselect_b32 s6, s10, s6
	s_cselect_b32 s7, s11, s7
	s_add_i32 s10, s6, 1
	s_cmp_ge_u32 s7, s3
	s_cselect_b32 s6, s10, s6
	s_mul_hi_u32 s27, s2, s6
	s_mul_i32 s26, s2, s6
	s_lshl_b64 s[78:79], s[26:27], 2
	v_cmp_gt_u64_e32 vcc, s[78:79], v[20:21]
	v_mov_b32_e32 v10, 0
	v_mov_b32_e32 v11, 0
	s_and_saveexec_b64 s[80:81], vcc
	s_cbranch_execz .LBB68_67
; %bb.64:                               ;   in Loop: Header=BB68_7 Depth=1
	v_mov_b32_e32 v27, v21
	s_lshl_b32 s10, s2, 3
	s_mov_b64 s[82:83], 0
	v_mov_b32_e32 v28, v32
	s_mov_b64 s[84:85], 0
	s_mov_b64 s[86:87], 0
	;; [unrolled: 1-line block ×4, first 2 shown]
	v_mov_b32_e32 v26, v20
.LBB68_65:                              ;   Parent Loop BB68_7 Depth=1
                                        ; =>  This Inner Loop Header: Depth=2
	ds_read_b64 v[4:5], v28
	v_add_u32_e32 v28, s10, v28
	s_waitcnt lgkmcnt(0)
	v_cmp_lt_i16_e32 vcc, -1, v4
	v_cndmask_b32_e32 v6, v45, v46, vcc
	v_lshlrev_b32_e32 v7, 16, v4
	v_cmp_o_f32_e32 vcc, v7, v7
	v_xor_b32_sdwa v6, v6, v4 dst_sel:DWORD dst_unused:UNUSED_PAD src0_sel:DWORD src1_sel:WORD_0
	v_cndmask_b32_e32 v6, v45, v6, vcc
	v_cmp_gt_i16_sdwa vcc, v4, v47 src0_sel:WORD_1 src1_sel:DWORD
	v_cndmask_b32_e32 v7, v45, v46, vcc
	v_and_b32_e32 v8, 0xffff0000, v4
	v_cmp_o_f32_e32 vcc, v8, v8
	v_xor_b32_sdwa v4, v7, v4 dst_sel:DWORD dst_unused:UNUSED_PAD src0_sel:DWORD src1_sel:WORD_1
	v_cndmask_b32_e32 v4, v45, v4, vcc
	v_cmp_lt_i16_e32 vcc, -1, v5
	v_cndmask_b32_e32 v7, v45, v46, vcc
	v_lshlrev_b32_e32 v8, 16, v5
	v_cmp_o_f32_e32 vcc, v8, v8
	v_xor_b32_sdwa v7, v7, v5 dst_sel:DWORD dst_unused:UNUSED_PAD src0_sel:DWORD src1_sel:WORD_0
	v_cndmask_b32_e32 v7, v45, v7, vcc
	v_cmp_gt_i16_sdwa vcc, v5, v47 src0_sel:WORD_1 src1_sel:DWORD
	v_cndmask_b32_e32 v8, v45, v46, vcc
	v_and_b32_e32 v9, 0xffff0000, v5
	v_cmp_o_f32_e32 vcc, v9, v9
	v_xor_b32_sdwa v5, v8, v5 dst_sel:DWORD dst_unused:UNUSED_PAD src0_sel:DWORD src1_sel:WORD_1
	v_and_b32_e32 v8, v6, v49
	v_bfe_u32 v6, v6, s50, 2
	v_cndmask_b32_e32 v5, v45, v5, vcc
	v_cmp_eq_u32_e32 vcc, v8, v42
	v_and_b32_e32 v8, v4, v49
	v_bfe_u32 v4, v4, s50, 2
	v_cmp_eq_u32_e64 s[20:21], 0, v6
	v_cmp_eq_u32_e64 s[6:7], v8, v42
	v_and_b32_e32 v8, v7, v49
	v_bfe_u32 v7, v7, s50, 2
	s_and_b64 s[12:13], vcc, s[20:21]
	v_cmp_eq_u32_e64 s[20:21], 0, v4
	v_cmp_eq_u32_e64 s[14:15], v8, v42
	v_and_b32_e32 v8, v5, v49
	v_bfe_u32 v5, v5, s50, 2
	s_and_b64 s[16:17], s[6:7], s[20:21]
	v_cmp_eq_u32_e64 s[20:21], 0, v7
	v_cmp_eq_u32_e64 s[18:19], v8, v42
	s_and_b64 s[28:29], s[14:15], s[20:21]
	v_cmp_eq_u32_e64 s[20:21], 0, v5
	v_cndmask_b32_e64 v8, 0, 1, s[12:13]
	s_and_b64 s[36:37], s[18:19], s[20:21]
	v_cmp_ne_u32_e64 s[20:21], 0, v8
	v_cndmask_b32_e64 v8, 0, 1, s[16:17]
	s_bcnt1_i32_b64 s11, s[20:21]
	v_cmp_ne_u32_e64 s[20:21], 0, v8
	v_cndmask_b32_e64 v8, 0, 1, s[28:29]
	s_bcnt1_i32_b64 s12, s[20:21]
	;; [unrolled: 3-line block ×3, first 2 shown]
	v_cmp_ne_u32_e64 s[20:21], 0, v8
	s_bcnt1_i32_b64 s16, s[20:21]
	s_add_u32 s11, s11, s90
	s_addc_u32 s17, 0, s91
	s_add_u32 s11, s11, s12
	s_addc_u32 s12, s17, 0
	;; [unrolled: 2-line block ×3, first 2 shown]
	s_add_u32 s90, s11, s16
	v_cmp_eq_u32_e64 s[20:21], 1, v6
	s_addc_u32 s91, s12, 0
	s_and_b64 s[12:13], vcc, s[20:21]
	v_cmp_eq_u32_e64 s[20:21], 1, v4
	s_and_b64 s[16:17], s[6:7], s[20:21]
	v_cmp_eq_u32_e64 s[20:21], 1, v7
	s_and_b64 s[28:29], s[14:15], s[20:21]
	v_cmp_eq_u32_e64 s[20:21], 1, v5
	v_cndmask_b32_e64 v8, 0, 1, s[12:13]
	s_and_b64 s[36:37], s[18:19], s[20:21]
	v_cmp_ne_u32_e64 s[20:21], 0, v8
	v_cndmask_b32_e64 v8, 0, 1, s[16:17]
	s_bcnt1_i32_b64 s11, s[20:21]
	v_cmp_ne_u32_e64 s[20:21], 0, v8
	v_cndmask_b32_e64 v8, 0, 1, s[28:29]
	s_bcnt1_i32_b64 s12, s[20:21]
	;; [unrolled: 3-line block ×3, first 2 shown]
	v_cmp_ne_u32_e64 s[20:21], 0, v8
	s_bcnt1_i32_b64 s16, s[20:21]
	s_add_u32 s11, s11, s88
	s_addc_u32 s17, 0, s89
	s_add_u32 s11, s11, s12
	s_addc_u32 s12, s17, 0
	;; [unrolled: 2-line block ×3, first 2 shown]
	s_add_u32 s88, s11, s16
	v_cmp_eq_u32_e64 s[20:21], 2, v6
	s_addc_u32 s89, s12, 0
	s_and_b64 s[12:13], vcc, s[20:21]
	v_cmp_eq_u32_e64 s[20:21], 2, v4
	s_and_b64 s[16:17], s[6:7], s[20:21]
	v_cmp_eq_u32_e64 s[20:21], 2, v7
	s_and_b64 s[28:29], s[14:15], s[20:21]
	v_cmp_eq_u32_e64 s[20:21], 2, v5
	v_cndmask_b32_e64 v8, 0, 1, s[12:13]
	s_and_b64 s[36:37], s[18:19], s[20:21]
	v_cmp_ne_u32_e64 s[20:21], 0, v8
	v_cndmask_b32_e64 v8, 0, 1, s[16:17]
	s_bcnt1_i32_b64 s11, s[20:21]
	v_cmp_ne_u32_e64 s[20:21], 0, v8
	v_cndmask_b32_e64 v8, 0, 1, s[28:29]
	s_bcnt1_i32_b64 s12, s[20:21]
	;; [unrolled: 3-line block ×3, first 2 shown]
	v_cmp_ne_u32_e64 s[20:21], 0, v8
	s_bcnt1_i32_b64 s16, s[20:21]
	s_add_u32 s11, s11, s86
	s_addc_u32 s17, 0, s87
	s_add_u32 s11, s11, s12
	s_addc_u32 s12, s17, 0
	;; [unrolled: 2-line block ×3, first 2 shown]
	s_add_u32 s86, s11, s16
	v_cmp_eq_u32_e64 s[20:21], 3, v6
	s_addc_u32 s87, s12, 0
	s_and_b64 s[12:13], vcc, s[20:21]
	v_cmp_eq_u32_e32 vcc, 3, v4
	s_and_b64 s[6:7], s[6:7], vcc
	v_cmp_eq_u32_e32 vcc, 3, v7
	s_and_b64 s[14:15], s[14:15], vcc
	v_cmp_eq_u32_e32 vcc, 3, v5
	v_cndmask_b32_e64 v4, 0, 1, s[12:13]
	s_and_b64 s[16:17], s[18:19], vcc
	v_cmp_ne_u32_e32 vcc, 0, v4
	v_cndmask_b32_e64 v4, 0, 1, s[6:7]
	s_bcnt1_i32_b64 s11, vcc
	v_cmp_ne_u32_e32 vcc, 0, v4
	v_cndmask_b32_e64 v4, 0, 1, s[14:15]
	s_bcnt1_i32_b64 s6, vcc
	;; [unrolled: 3-line block ×3, first 2 shown]
	v_cmp_ne_u32_e32 vcc, 0, v4
	s_bcnt1_i32_b64 s12, vcc
	s_add_u32 s11, s11, s84
	s_addc_u32 s13, 0, s85
	s_add_u32 s6, s11, s6
	s_addc_u32 s11, s13, 0
	s_add_u32 s6, s6, s7
	v_add_co_u32_e32 v26, vcc, s3, v26
	s_addc_u32 s7, s11, 0
	v_addc_co_u32_e32 v27, vcc, 0, v27, vcc
	s_add_u32 s84, s6, s12
	v_cmp_le_u64_e32 vcc, s[78:79], v[26:27]
	s_addc_u32 s85, s7, 0
	v_mov_b32_e32 v4, s90
	v_mov_b32_e32 v6, s88
	v_mov_b32_e32 v8, s86
	v_mov_b32_e32 v10, s84
	s_or_b64 s[82:83], vcc, s[82:83]
	v_mov_b32_e32 v5, s91
	v_mov_b32_e32 v7, s89
	;; [unrolled: 1-line block ×4, first 2 shown]
	s_andn2_b64 exec, exec, s[82:83]
	s_cbranch_execnz .LBB68_65
; %bb.66:                               ;   in Loop: Header=BB68_7 Depth=1
	s_or_b64 exec, exec, s[82:83]
.LBB68_67:                              ;   in Loop: Header=BB68_7 Depth=1
	s_or_b64 exec, exec, s[80:81]
	v_mov_b32_e32 v27, s79
	v_add_co_u32_e32 v26, vcc, s78, v0
	s_and_b32 s46, s22, 0x7fffffff
	v_addc_co_u32_e32 v27, vcc, 0, v27, vcc
	v_cmp_gt_u64_e32 vcc, s[46:47], v[26:27]
	s_and_saveexec_b64 s[28:29], vcc
	s_cbranch_execz .LBB68_71
; %bb.68:                               ;   in Loop: Header=BB68_7 Depth=1
	v_lshl_add_u32 v28, s26, 3, v43
	s_lshl_b32 s2, s2, 1
	s_mov_b64 s[26:27], 0
.LBB68_69:                              ;   Parent Loop BB68_7 Depth=1
                                        ; =>  This Inner Loop Header: Depth=2
	ds_read_u16 v29, v28
	v_add_co_u32_sdwa v26, vcc, v26, v2 dst_sel:DWORD dst_unused:UNUSED_PAD src0_sel:DWORD src1_sel:WORD_0
	v_addc_co_u32_e32 v27, vcc, 0, v27, vcc
	s_waitcnt lgkmcnt(0)
	v_cmp_lt_i16_e64 s[6:7], -1, v29
	v_cndmask_b32_e64 v51, v45, v46, s[6:7]
	v_lshlrev_b32_e32 v52, 16, v29
	v_xor_b32_sdwa v29, v51, v29 dst_sel:DWORD dst_unused:UNUSED_PAD src0_sel:DWORD src1_sel:WORD_0
	v_cmp_o_f32_e64 s[6:7], v52, v52
	v_cndmask_b32_e64 v29, v45, v29, s[6:7]
	v_and_b32_e32 v51, v29, v49
	v_bfe_u32 v29, v29, s50, 2
	v_cmp_eq_u32_e64 s[6:7], v51, v42
	v_cmp_eq_u32_e64 s[14:15], 0, v29
	;; [unrolled: 1-line block ×3, first 2 shown]
	s_and_b64 s[10:11], s[6:7], s[14:15]
	v_cmp_eq_u32_e64 s[20:21], 2, v29
	v_cmp_eq_u32_e64 s[22:23], 3, v29
	v_cndmask_b32_e64 v29, 0, 1, s[10:11]
	s_and_b64 s[10:11], s[6:7], s[18:19]
	v_cndmask_b32_e64 v51, 0, 1, s[10:11]
	s_and_b64 s[10:11], s[6:7], s[20:21]
	s_and_b64 s[6:7], s[6:7], s[22:23]
	v_cndmask_b32_e64 v53, 0, 1, s[6:7]
	v_cmp_ne_u32_e64 s[6:7], 0, v29
	s_bcnt1_i32_b64 s3, s[6:7]
	v_cmp_ne_u32_e64 s[14:15], 0, v51
	v_add_co_u32_e64 v4, s[6:7], s3, v4
	v_cndmask_b32_e64 v52, 0, 1, s[10:11]
	s_bcnt1_i32_b64 s10, s[14:15]
	v_addc_co_u32_e64 v5, s[6:7], 0, v5, s[6:7]
	v_cmp_le_u64_e32 vcc, s[46:47], v[26:27]
	v_cmp_ne_u32_e64 s[18:19], 0, v52
	v_cmp_ne_u32_e64 s[20:21], 0, v53
	v_add_co_u32_e64 v6, s[6:7], s10, v6
	s_bcnt1_i32_b64 s11, s[18:19]
	s_bcnt1_i32_b64 s12, s[20:21]
	v_addc_co_u32_e64 v7, s[6:7], 0, v7, s[6:7]
	v_add_co_u32_e64 v8, s[6:7], s11, v8
	s_or_b64 s[26:27], vcc, s[26:27]
	v_add_co_u32_e32 v10, vcc, s12, v10
	v_add_u32_e32 v28, s2, v28
	v_addc_co_u32_e64 v9, s[6:7], 0, v9, s[6:7]
	v_addc_co_u32_e32 v11, vcc, 0, v11, vcc
	s_andn2_b64 exec, exec, s[26:27]
	s_cbranch_execnz .LBB68_69
; %bb.70:                               ;   in Loop: Header=BB68_7 Depth=1
	s_or_b64 exec, exec, s[26:27]
.LBB68_71:                              ;   in Loop: Header=BB68_7 Depth=1
	s_or_b64 exec, exec, s[28:29]
	s_lshl_b32 s2, s51, 6
	s_and_saveexec_b64 s[6:7], s[4:5]
	s_cbranch_execnz .LBB68_42
	s_branch .LBB68_43
.LBB68_72:                              ;   in Loop: Header=BB68_7 Depth=1
                                        ; implicit-def: $sgpr26_sgpr27
	s_branch .LBB68_51
.LBB68_73:                              ;   in Loop: Header=BB68_7 Depth=1
	s_or_b64 exec, exec, s[20:21]
	s_waitcnt lgkmcnt(0)
	s_barrier
	s_mov_b64 s[2:3], exec
	v_readlane_b32 s6, v59, 6
	v_readlane_b32 s7, v59, 7
	s_and_b64 s[6:7], s[2:3], s[6:7]
	s_mov_b64 exec, s[6:7]
	s_cbranch_execz .LBB68_75
; %bb.74:                               ;   in Loop: Header=BB68_7 Depth=1
	ds_read_b32 v4, v3 offset:5136
	s_waitcnt lgkmcnt(0)
	v_ashrrev_i32_e32 v5, 31, v4
	ds_write_b64 v3, v[4:5] offset:5120
.LBB68_75:                              ;   in Loop: Header=BB68_7 Depth=1
	s_or_b64 exec, exec, s[2:3]
	s_waitcnt lgkmcnt(0)
	s_barrier
	s_mov_b64 s[6:7], -1
	s_and_b64 vcc, exec, s[18:19]
	s_cbranch_vccnz .LBB68_22
	s_branch .LBB68_37
.LBB68_76:                              ;   in Loop: Header=BB68_7 Depth=1
	v_mov_b32_e32 v4, 0
	v_mov_b32_e32 v5, 0
	s_mov_b32 s3, 0
.LBB68_77:                              ;   in Loop: Header=BB68_7 Depth=1
	v_readlane_b32 s10, v59, 27
	v_readlane_b32 s11, v59, 28
	s_andn2_b64 vcc, exec, s[10:11]
	s_cbranch_vccnz .LBB68_80
; %bb.78:                               ;   in Loop: Header=BB68_7 Depth=1
	s_lshl_b32 s10, s51, 9
	s_lshl_b32 s3, s3, 5
	s_add_i32 s10, s10, s3
	v_add_u32_e32 v2, s10, v41
	v_readlane_b32 s3, v59, 26
.LBB68_79:                              ;   Parent Loop BB68_7 Depth=1
                                        ; =>  This Inner Loop Header: Depth=2
	ds_read_b64 v[6:7], v2
	s_add_i32 s3, s3, -1
	v_add_u32_e32 v2, 32, v2
	s_cmp_lg_u32 s3, 0
	s_waitcnt lgkmcnt(0)
	v_add_co_u32_e32 v4, vcc, v6, v4
	v_addc_co_u32_e32 v5, vcc, v7, v5, vcc
	s_cbranch_scc1 .LBB68_79
.LBB68_80:                              ;   in Loop: Header=BB68_7 Depth=1
	v_add_lshl_u32 v2, s2, v30, 3
	ds_write_b64 v2, v[4:5] offset:3072
.LBB68_81:                              ;   in Loop: Header=BB68_7 Depth=1
	s_or_b64 exec, exec, s[6:7]
	s_lshl_b32 s2, s2, 3
	v_mov_b32_e32 v2, s2
	s_waitcnt lgkmcnt(0)
	s_barrier
	ds_read_b128 v[8:11], v2 offset:3088
	ds_read_b128 v[4:7], v2 offset:3072
	v_cmp_eq_u64_e64 s[6:7], 1, v[24:25]
	s_lshl_b32 s16, 3, s50
	s_not_b32 s17, s16
	s_waitcnt lgkmcnt(1)
	v_readfirstlane_b32 s26, v8
	s_waitcnt lgkmcnt(0)
	v_cmp_eq_u64_e32 vcc, 1, v[4:5]
	v_readfirstlane_b32 s27, v9
	v_readfirstlane_b32 s14, v10
	;; [unrolled: 1-line block ×3, first 2 shown]
	s_and_b64 s[20:21], vcc, s[6:7]
	s_mov_b64 s[6:7], -1
	s_mov_b64 s[10:11], -1
                                        ; implicit-def: $sgpr36_sgpr37
                                        ; implicit-def: $sgpr28_sgpr29
	s_and_saveexec_b64 s[18:19], s[20:21]
	s_cbranch_execz .LBB68_113
; %bb.82:                               ;   in Loop: Header=BB68_7 Depth=1
	ds_read_b64 v[8:9], v3 offset:5120
	s_waitcnt lgkmcnt(0)
	s_barrier
	v_readfirstlane_b32 s22, v8
	v_readfirstlane_b32 s23, v9
	s_mov_b64 s[2:3], exec
	v_readlane_b32 s10, v59, 10
	v_readlane_b32 s11, v59, 11
	s_and_b64 s[10:11], s[2:3], s[10:11]
	s_mov_b64 exec, s[10:11]
; %bb.83:                               ;   in Loop: Header=BB68_7 Depth=1
	ds_write_b16 v44, v3
; %bb.84:                               ;   in Loop: Header=BB68_7 Depth=1
	s_or_b64 exec, exec, s[2:3]
	v_cmp_lt_i64_e64 s[2:3], s[22:23], 1
	v_and_b32_e32 v42, s17, v42
	v_or_b32_e32 v49, s16, v49
	s_mov_b64 s[28:29], -1
	s_mov_b64 s[36:37], 0
	s_and_b64 vcc, exec, s[2:3]
	s_mov_b64 s[38:39], 0
	s_mov_b64 s[40:41], -1
	s_waitcnt lgkmcnt(0)
	s_barrier
                                        ; implicit-def: $vgpr50
	s_cbranch_vccz .LBB68_98
; %bb.85:                               ;   in Loop: Header=BB68_7 Depth=1
	s_mov_b32 s52, s47
	s_cmp_lg_u64 s[52:53], 0
	s_cbranch_scc0 .LBB68_139
; %bb.86:                               ;   in Loop: Header=BB68_7 Depth=1
	s_add_u32 s2, s33, 0
	s_addc_u32 s3, 0, 0
	s_xor_b64 s[38:39], s[2:3], 0
	v_cvt_f32_u32_e32 v2, s38
	v_cvt_f32_u32_e32 v8, s39
	s_sub_u32 s10, 0, s38
	s_subb_u32 s11, 0, s39
	v_mac_f32_e32 v2, 0x4f800000, v8
	v_rcp_f32_e32 v2, v2
	v_mul_f32_e32 v2, 0x5f7ffffc, v2
	v_mul_f32_e32 v8, 0x2f800000, v2
	v_trunc_f32_e32 v8, v8
	v_mac_f32_e32 v2, 0xcf800000, v8
	v_cvt_u32_f32_e32 v8, v8
	v_cvt_u32_f32_e32 v2, v2
	v_readfirstlane_b32 s12, v8
	v_readfirstlane_b32 s2, v2
	s_mul_i32 s3, s10, s12
	s_mul_hi_u32 s40, s10, s2
	s_mul_i32 s13, s11, s2
	s_add_i32 s3, s40, s3
	s_mul_i32 s41, s10, s2
	s_add_i32 s3, s3, s13
	s_mul_i32 s40, s2, s3
	s_mul_hi_u32 s46, s2, s41
	s_mul_hi_u32 s13, s2, s3
	s_add_u32 s40, s46, s40
	s_addc_u32 s13, 0, s13
	s_mul_hi_u32 s52, s12, s41
	s_mul_i32 s41, s12, s41
	s_add_u32 s40, s40, s41
	s_mul_hi_u32 s46, s12, s3
	s_addc_u32 s13, s13, s52
	s_addc_u32 s40, s46, 0
	s_mul_i32 s3, s12, s3
	s_add_u32 s3, s13, s3
	s_addc_u32 s13, 0, s40
	s_add_u32 s40, s2, s3
	s_cselect_b64 s[2:3], -1, 0
	s_cmp_lg_u64 s[2:3], 0
	s_addc_u32 s12, s12, s13
	s_mul_i32 s2, s10, s12
	s_mul_hi_u32 s3, s10, s40
	s_add_i32 s2, s3, s2
	s_mul_i32 s11, s11, s40
	s_add_i32 s2, s2, s11
	s_mul_i32 s10, s10, s40
	s_mul_hi_u32 s11, s12, s10
	s_mul_i32 s13, s12, s10
	s_mul_i32 s46, s40, s2
	s_mul_hi_u32 s10, s40, s10
	s_mul_hi_u32 s41, s40, s2
	s_add_u32 s10, s10, s46
	s_addc_u32 s41, 0, s41
	s_add_u32 s10, s10, s13
	s_mul_hi_u32 s3, s12, s2
	s_addc_u32 s10, s41, s11
	s_addc_u32 s3, s3, 0
	s_mul_i32 s2, s12, s2
	s_add_u32 s2, s10, s2
	s_addc_u32 s10, 0, s3
	s_add_u32 s13, s40, s2
	s_cselect_b64 s[2:3], -1, 0
	s_cmp_lg_u64 s[2:3], 0
	s_addc_u32 s12, s12, s10
	s_ashr_i32 s2, s53, 31
	s_add_u32 s10, s35, s2
	s_mov_b32 s3, s2
	s_addc_u32 s11, s53, s2
	s_xor_b64 s[10:11], s[10:11], s[2:3]
	s_mul_i32 s41, s10, s12
	s_mul_hi_u32 s46, s10, s13
	s_mul_hi_u32 s40, s10, s12
	s_add_u32 s41, s46, s41
	s_addc_u32 s40, 0, s40
	s_mul_hi_u32 s52, s11, s13
	s_mul_i32 s13, s11, s13
	s_add_u32 s13, s41, s13
	s_mul_hi_u32 s46, s11, s12
	s_addc_u32 s13, s40, s52
	s_addc_u32 s40, s46, 0
	s_mul_i32 s12, s11, s12
	s_add_u32 s12, s13, s12
	s_addc_u32 s13, 0, s40
	s_mul_i32 s13, s38, s13
	s_mul_hi_u32 s40, s38, s12
	s_add_i32 s13, s40, s13
	s_mul_i32 s40, s39, s12
	s_add_i32 s46, s13, s40
	s_sub_i32 s40, s11, s46
	s_mul_i32 s12, s38, s12
	s_sub_u32 s10, s10, s12
	s_cselect_b64 s[12:13], -1, 0
	s_cmp_lg_u64 s[12:13], 0
	s_subb_u32 s52, s40, s39
	s_sub_u32 s56, s10, s38
	s_cselect_b64 s[40:41], -1, 0
	s_cmp_lg_u64 s[40:41], 0
	s_subb_u32 s57, s52, 0
	s_cmp_ge_u32 s57, s39
	s_cselect_b32 s58, -1, 0
	s_cmp_ge_u32 s56, s38
	s_cselect_b32 s59, -1, 0
	s_cmp_eq_u32 s57, s39
	s_cselect_b32 s58, s59, s58
	s_cmp_lg_u64 s[40:41], 0
	s_subb_u32 s52, s52, s39
	s_sub_u32 s59, s56, s38
	s_cselect_b64 s[40:41], -1, 0
	s_cmp_lg_u64 s[40:41], 0
	s_subb_u32 s40, s52, 0
	s_cmp_lg_u32 s58, 0
	s_cselect_b32 s41, s59, s56
	s_cselect_b32 s40, s40, s57
	s_cmp_lg_u64 s[12:13], 0
	s_subb_u32 s11, s11, s46
	s_cmp_ge_u32 s11, s39
	s_cselect_b32 s12, -1, 0
	s_cmp_ge_u32 s10, s38
	s_cselect_b32 s13, -1, 0
	s_cmp_eq_u32 s11, s39
	s_cselect_b32 s12, s13, s12
	s_cmp_lg_u32 s12, 0
	s_cselect_b32 s11, s40, s11
	s_cselect_b32 s10, s41, s10
	s_xor_b64 s[10:11], s[10:11], s[2:3]
	s_sub_u32 s10, s10, s2
	s_subb_u32 s11, s11, s2
	s_cbranch_execnz .LBB68_88
.LBB68_87:                              ;   in Loop: Header=BB68_7 Depth=1
	v_cvt_f32_u32_e32 v2, s33
	s_sub_i32 s2, 0, s33
	v_rcp_iflag_f32_e32 v2, v2
	v_mul_f32_e32 v2, 0x4f7ffffe, v2
	v_cvt_u32_f32_e32 v2, v2
	v_readfirstlane_b32 s3, v2
	s_mul_i32 s2, s2, s3
	s_mul_hi_u32 s2, s3, s2
	s_add_i32 s3, s3, s2
	s_mul_hi_u32 s2, s35, s3
	s_mul_i32 s2, s2, s33
	s_sub_i32 s2, s35, s2
	s_sub_i32 s3, s2, s33
	s_cmp_ge_u32 s2, s33
	s_cselect_b32 s2, s3, s2
	s_sub_i32 s3, s2, s33
	s_cmp_ge_u32 s2, s33
	s_cselect_b32 s46, s3, s2
	s_mov_b64 s[10:11], s[46:47]
.LBB68_88:                              ;   in Loop: Header=BB68_7 Depth=1
	s_sub_u32 s10, s35, s10
	s_subb_u32 s11, s53, s11
	v_cmp_gt_i64_e32 vcc, s[10:11], v[0:1]
	s_mov_b64 s[40:41], 0
	s_mov_b64 s[38:39], 0
                                        ; implicit-def: $vgpr50
	s_and_saveexec_b64 s[12:13], vcc
	s_cbranch_execz .LBB68_97
; %bb.89:                               ;   in Loop: Header=BB68_7 Depth=1
	v_mov_b32_e32 v8, v12
	v_mov_b32_e32 v11, v1
	;; [unrolled: 1-line block ×4, first 2 shown]
                                        ; implicit-def: $sgpr56_sgpr57
	s_branch .LBB68_92
.LBB68_90:                              ;   in Loop: Header=BB68_92 Depth=2
	s_or_b64 exec, exec, s[58:59]
	s_waitcnt lgkmcnt(0)
	s_barrier
	ds_read_b32 v2, v3 offset:3072
	s_mov_b64 s[58:59], -1
	s_mov_b64 s[78:79], -1
	s_waitcnt lgkmcnt(0)
	s_barrier
	v_and_b32_e32 v26, 0x7fff, v2
	v_cmp_ne_u32_e32 vcc, 0, v26
	s_cbranch_vccz .LBB68_95
.LBB68_91:                              ;   in Loop: Header=BB68_92 Depth=2
	s_and_b64 s[2:3], exec, s[58:59]
	s_or_b64 s[38:39], s[2:3], s[38:39]
	s_andn2_b64 s[2:3], s[56:57], exec
	s_and_b64 s[56:57], s[78:79], exec
	s_or_b64 s[56:57], s[2:3], s[56:57]
	s_andn2_b64 exec, exec, s[38:39]
	s_cbranch_execz .LBB68_96
.LBB68_92:                              ;   Parent Loop BB68_7 Depth=1
                                        ; =>  This Inner Loop Header: Depth=2
	v_cmp_gt_i64_e32 vcc, s[24:25], v[10:11]
	s_and_saveexec_b64 s[58:59], vcc
	s_cbranch_execz .LBB68_90
; %bb.93:                               ;   in Loop: Header=BB68_92 Depth=2
	global_load_ushort v2, v[8:9], off
	s_waitcnt vmcnt(0)
	v_cmp_lt_i16_e32 vcc, -1, v2
	v_cndmask_b32_e32 v26, v45, v46, vcc
	v_lshlrev_b32_e32 v27, 16, v2
	v_cmp_o_f32_e32 vcc, v27, v27
	v_xor_b32_sdwa v26, v26, v2 dst_sel:DWORD dst_unused:UNUSED_PAD src0_sel:DWORD src1_sel:WORD_0
	v_cndmask_b32_e32 v26, v45, v26, vcc
	v_and_b32_e32 v26, v26, v49
	v_cmp_eq_u32_e32 vcc, v26, v42
	s_and_b64 exec, exec, vcc
	s_cbranch_execz .LBB68_90
; %bb.94:                               ;   in Loop: Header=BB68_92 Depth=2
	v_perm_b32 v2, v2, s9, v48
	ds_write_b32 v3, v2 offset:3072
	s_branch .LBB68_90
.LBB68_95:                              ;   in Loop: Header=BB68_92 Depth=2
	v_add_co_u32_e32 v10, vcc, s33, v10
	v_addc_co_u32_e32 v11, vcc, 0, v11, vcc
	v_mov_b32_e32 v26, s45
	v_add_co_u32_e32 v8, vcc, s44, v8
	v_addc_co_u32_e32 v9, vcc, v9, v26, vcc
	v_cmp_le_i64_e32 vcc, s[10:11], v[10:11]
	s_mov_b64 s[78:79], 0
	s_orn2_b64 s[58:59], vcc, exec
	s_branch .LBB68_91
.LBB68_96:                              ;   in Loop: Header=BB68_7 Depth=1
	s_or_b64 exec, exec, s[38:39]
	v_lshrrev_b32_e32 v50, 16, v2
	s_and_b64 s[38:39], s[56:57], exec
.LBB68_97:                              ;   in Loop: Header=BB68_7 Depth=1
	s_or_b64 exec, exec, s[12:13]
.LBB68_98:                              ;   in Loop: Header=BB68_7 Depth=1
	s_and_b64 vcc, exec, s[40:41]
	s_cbranch_vccz .LBB68_112
; %bb.99:                               ;   in Loop: Header=BB68_7 Depth=1
	v_readlane_b32 s2, v59, 22
	s_add_u32 s12, s22, s2
	v_readlane_b32 s2, v59, 23
	s_addc_u32 s29, s23, s2
	s_mov_b32 s28, s47
	s_cmp_lg_u64 s[28:29], 0
	s_cbranch_scc0 .LBB68_140
; %bb.100:                              ;   in Loop: Header=BB68_7 Depth=1
	s_add_u32 s2, s33, 0
	s_addc_u32 s3, 0, 0
	s_xor_b64 s[36:37], s[2:3], 0
	v_cvt_f32_u32_e32 v2, s36
	v_cvt_f32_u32_e32 v8, s37
	s_sub_u32 s10, 0, s36
	s_subb_u32 s11, 0, s37
	v_mac_f32_e32 v2, 0x4f800000, v8
	v_rcp_f32_e32 v2, v2
	v_mul_f32_e32 v2, 0x5f7ffffc, v2
	v_mul_f32_e32 v8, 0x2f800000, v2
	v_trunc_f32_e32 v8, v8
	v_mac_f32_e32 v2, 0xcf800000, v8
	v_cvt_u32_f32_e32 v8, v8
	v_cvt_u32_f32_e32 v2, v2
	v_readfirstlane_b32 s13, v8
	v_readfirstlane_b32 s2, v2
	s_mul_i32 s3, s10, s13
	s_mul_hi_u32 s40, s10, s2
	s_mul_i32 s28, s11, s2
	s_add_i32 s3, s40, s3
	s_mul_i32 s41, s10, s2
	s_add_i32 s3, s3, s28
	s_mul_i32 s40, s2, s3
	s_mul_hi_u32 s46, s2, s41
	s_mul_hi_u32 s28, s2, s3
	s_add_u32 s40, s46, s40
	s_addc_u32 s28, 0, s28
	s_mul_hi_u32 s52, s13, s41
	s_mul_i32 s41, s13, s41
	s_add_u32 s40, s40, s41
	s_mul_hi_u32 s46, s13, s3
	s_addc_u32 s28, s28, s52
	s_addc_u32 s40, s46, 0
	s_mul_i32 s3, s13, s3
	s_add_u32 s3, s28, s3
	s_addc_u32 s28, 0, s40
	s_add_u32 s40, s2, s3
	s_cselect_b64 s[2:3], -1, 0
	s_cmp_lg_u64 s[2:3], 0
	s_addc_u32 s13, s13, s28
	s_mul_i32 s2, s10, s13
	s_mul_hi_u32 s3, s10, s40
	s_add_i32 s2, s3, s2
	s_mul_i32 s11, s11, s40
	s_add_i32 s2, s2, s11
	s_mul_i32 s10, s10, s40
	s_mul_hi_u32 s11, s13, s10
	s_mul_i32 s28, s13, s10
	s_mul_i32 s46, s40, s2
	s_mul_hi_u32 s10, s40, s10
	s_mul_hi_u32 s41, s40, s2
	s_add_u32 s10, s10, s46
	s_addc_u32 s41, 0, s41
	s_add_u32 s10, s10, s28
	s_mul_hi_u32 s3, s13, s2
	s_addc_u32 s10, s41, s11
	s_addc_u32 s3, s3, 0
	s_mul_i32 s2, s13, s2
	s_add_u32 s2, s10, s2
	s_addc_u32 s10, 0, s3
	s_add_u32 s28, s40, s2
	s_cselect_b64 s[2:3], -1, 0
	s_cmp_lg_u64 s[2:3], 0
	s_addc_u32 s13, s13, s10
	s_ashr_i32 s2, s29, 31
	s_add_u32 s10, s12, s2
	s_mov_b32 s3, s2
	s_addc_u32 s11, s29, s2
	s_xor_b64 s[10:11], s[10:11], s[2:3]
	s_mul_i32 s41, s10, s13
	s_mul_hi_u32 s46, s10, s28
	s_mul_hi_u32 s40, s10, s13
	s_add_u32 s41, s46, s41
	s_addc_u32 s40, 0, s40
	s_mul_hi_u32 s52, s11, s28
	s_mul_i32 s28, s11, s28
	s_add_u32 s28, s41, s28
	s_mul_hi_u32 s46, s11, s13
	s_addc_u32 s28, s40, s52
	s_addc_u32 s40, s46, 0
	s_mul_i32 s13, s11, s13
	s_add_u32 s13, s28, s13
	s_addc_u32 s28, 0, s40
	s_mul_i32 s28, s36, s28
	s_mul_hi_u32 s40, s36, s13
	s_add_i32 s28, s40, s28
	s_mul_i32 s40, s37, s13
	s_add_i32 s28, s28, s40
	s_sub_i32 s46, s11, s28
	s_mul_i32 s13, s36, s13
	s_sub_u32 s10, s10, s13
	s_cselect_b64 s[40:41], -1, 0
	s_cmp_lg_u64 s[40:41], 0
	s_subb_u32 s13, s46, s37
	s_sub_u32 s46, s10, s36
	s_cselect_b64 s[56:57], -1, 0
	s_cmp_lg_u64 s[56:57], 0
	s_subb_u32 s52, s13, 0
	s_cmp_ge_u32 s52, s37
	s_cselect_b32 s58, -1, 0
	s_cmp_ge_u32 s46, s36
	s_cselect_b32 s59, -1, 0
	s_cmp_eq_u32 s52, s37
	s_cselect_b32 s58, s59, s58
	s_cmp_lg_u64 s[56:57], 0
	s_subb_u32 s13, s13, s37
	s_sub_u32 s59, s46, s36
	s_cselect_b64 s[56:57], -1, 0
	s_cmp_lg_u64 s[56:57], 0
	s_subb_u32 s13, s13, 0
	s_cmp_lg_u32 s58, 0
	s_cselect_b32 s46, s59, s46
	s_cselect_b32 s13, s13, s52
	s_cmp_lg_u64 s[40:41], 0
	s_subb_u32 s11, s11, s28
	s_cmp_ge_u32 s11, s37
	s_cselect_b32 s28, -1, 0
	s_cmp_ge_u32 s10, s36
	s_cselect_b32 s36, -1, 0
	s_cmp_eq_u32 s11, s37
	s_cselect_b32 s28, s36, s28
	s_cmp_lg_u32 s28, 0
	s_cselect_b32 s11, s13, s11
	s_cselect_b32 s10, s46, s10
	s_xor_b64 s[10:11], s[10:11], s[2:3]
	s_sub_u32 s10, s10, s2
	s_subb_u32 s11, s11, s2
	s_cbranch_execnz .LBB68_102
.LBB68_101:                             ;   in Loop: Header=BB68_7 Depth=1
	v_cvt_f32_u32_e32 v2, s33
	s_sub_i32 s2, 0, s33
	v_rcp_iflag_f32_e32 v2, v2
	v_mul_f32_e32 v2, 0x4f7ffffe, v2
	v_cvt_u32_f32_e32 v2, v2
	v_readfirstlane_b32 s3, v2
	s_mul_i32 s2, s2, s3
	s_mul_hi_u32 s2, s3, s2
	s_add_i32 s3, s3, s2
	s_mul_hi_u32 s2, s12, s3
	s_mul_i32 s2, s2, s33
	s_sub_i32 s2, s12, s2
	s_sub_i32 s3, s2, s33
	s_cmp_ge_u32 s2, s33
	s_cselect_b32 s2, s3, s2
	s_sub_i32 s3, s2, s33
	s_cmp_ge_u32 s2, s33
	s_cselect_b32 s46, s3, s2
	s_mov_b64 s[10:11], s[46:47]
.LBB68_102:                             ;   in Loop: Header=BB68_7 Depth=1
	s_sub_u32 s12, s12, s10
	s_subb_u32 s13, s29, s11
	v_cmp_gt_i64_e32 vcc, s[12:13], v[0:1]
                                        ; implicit-def: $vgpr50
	s_and_saveexec_b64 s[10:11], vcc
	s_cbranch_execz .LBB68_111
; %bb.103:                              ;   in Loop: Header=BB68_7 Depth=1
	v_mov_b32_e32 v9, v1
	s_mov_b64 s[28:29], 0
	v_mov_b32_e32 v2, v43
	v_mov_b32_e32 v8, v0
                                        ; implicit-def: $sgpr36_sgpr37
	s_branch .LBB68_106
.LBB68_104:                             ;   in Loop: Header=BB68_106 Depth=2
	s_or_b64 exec, exec, s[40:41]
	s_waitcnt lgkmcnt(0)
	s_barrier
	ds_read_b32 v10, v3 offset:3072
	s_mov_b64 s[40:41], -1
	s_mov_b64 s[56:57], -1
	s_waitcnt lgkmcnt(0)
	s_barrier
	v_and_b32_e32 v11, 0x7fff, v10
	v_cmp_ne_u32_e32 vcc, 0, v11
	s_cbranch_vccz .LBB68_109
.LBB68_105:                             ;   in Loop: Header=BB68_106 Depth=2
	s_and_b64 s[2:3], exec, s[40:41]
	s_or_b64 s[28:29], s[2:3], s[28:29]
	s_andn2_b64 s[2:3], s[36:37], exec
	s_and_b64 s[36:37], s[56:57], exec
	s_or_b64 s[36:37], s[2:3], s[36:37]
	s_andn2_b64 exec, exec, s[28:29]
	s_cbranch_execz .LBB68_110
.LBB68_106:                             ;   Parent Loop BB68_7 Depth=1
                                        ; =>  This Inner Loop Header: Depth=2
	v_cmp_gt_u64_e32 vcc, s[22:23], v[8:9]
	s_and_saveexec_b64 s[40:41], vcc
	s_cbranch_execz .LBB68_104
; %bb.107:                              ;   in Loop: Header=BB68_106 Depth=2
	ds_read_u16 v10, v2
	s_waitcnt lgkmcnt(0)
	v_cmp_lt_i16_e32 vcc, -1, v10
	v_cndmask_b32_e32 v11, v45, v46, vcc
	v_lshlrev_b32_e32 v26, 16, v10
	v_cmp_o_f32_e32 vcc, v26, v26
	v_xor_b32_sdwa v11, v11, v10 dst_sel:DWORD dst_unused:UNUSED_PAD src0_sel:DWORD src1_sel:WORD_0
	v_cndmask_b32_e32 v11, v45, v11, vcc
	v_and_b32_e32 v11, v11, v49
	v_cmp_eq_u32_e32 vcc, v11, v42
	s_and_b64 exec, exec, vcc
	s_cbranch_execz .LBB68_104
; %bb.108:                              ;   in Loop: Header=BB68_106 Depth=2
	v_perm_b32 v10, v10, s9, v48
	ds_write_b32 v3, v10 offset:3072
	s_branch .LBB68_104
.LBB68_109:                             ;   in Loop: Header=BB68_106 Depth=2
	v_add_co_u32_e32 v8, vcc, s33, v8
	v_addc_co_u32_e32 v9, vcc, 0, v9, vcc
	v_cmp_le_i64_e32 vcc, s[12:13], v[8:9]
	v_add_u32_e32 v2, s8, v2
	s_mov_b64 s[56:57], 0
	s_orn2_b64 s[40:41], vcc, exec
	s_branch .LBB68_105
.LBB68_110:                             ;   in Loop: Header=BB68_7 Depth=1
	s_or_b64 exec, exec, s[28:29]
	s_andn2_b64 s[2:3], s[38:39], exec
	s_and_b64 s[12:13], s[36:37], exec
	v_lshrrev_b32_e32 v50, 16, v10
	s_or_b64 s[38:39], s[2:3], s[12:13]
.LBB68_111:                             ;   in Loop: Header=BB68_7 Depth=1
	s_or_b64 exec, exec, s[10:11]
	s_mov_b64 s[28:29], 0
	s_mov_b64 s[36:37], -1
.LBB68_112:                             ;   in Loop: Header=BB68_7 Depth=1
	s_orn2_b64 s[10:11], s[38:39], exec
.LBB68_113:                             ;   in Loop: Header=BB68_7 Depth=1
	s_or_b64 exec, exec, s[18:19]
	s_andn2_b64 s[2:3], s[76:77], exec
	s_and_b64 s[12:13], s[36:37], exec
	s_or_b64 s[76:77], s[2:3], s[12:13]
	s_andn2_b64 s[2:3], s[74:75], exec
	s_and_b64 s[12:13], s[28:29], exec
	s_andn2_b64 s[72:73], s[72:73], exec
	s_or_b64 s[74:75], s[2:3], s[12:13]
                                        ; implicit-def: $vgpr8_vgpr9
	s_and_saveexec_b64 s[18:19], s[10:11]
	s_cbranch_execz .LBB68_6
; %bb.114:                              ;   in Loop: Header=BB68_7 Depth=1
	v_mov_b32_e32 v8, 1
	s_xor_b64 s[2:3], s[20:21], -1
	v_mov_b32_e32 v2, 1
	v_mov_b32_e32 v9, 0
	s_mov_b64 s[12:13], 0
	s_and_saveexec_b64 s[6:7], s[2:3]
	s_cbranch_execz .LBB68_123
; %bb.115:                              ;   in Loop: Header=BB68_7 Depth=1
	v_cmp_le_i64_e32 vcc, v[24:25], v[4:5]
	s_and_saveexec_b64 s[2:3], vcc
	s_xor_b64 s[10:11], exec, s[2:3]
	s_cbranch_execz .LBB68_120
; %bb.116:                              ;   in Loop: Header=BB68_7 Depth=1
	ds_read_b64 v[8:9], v3 offset:5120
	v_and_b32_e32 v42, s17, v42
	v_or_b32_e32 v49, s16, v49
	s_waitcnt lgkmcnt(0)
	v_cmp_ne_u64_e32 vcc, 0, v[8:9]
	s_cbranch_vccnz .LBB68_120
; %bb.117:                              ;   in Loop: Header=BB68_7 Depth=1
	s_mov_b64 s[2:3], exec
	v_readlane_b32 s12, v59, 6
	v_readlane_b32 s13, v59, 7
	s_and_b64 s[12:13], s[2:3], s[12:13]
	s_mov_b64 exec, s[12:13]
; %bb.118:                              ;   in Loop: Header=BB68_7 Depth=1
	ds_write_b64 v3, v[4:5] offset:5128
; %bb.119:                              ;   in Loop: Header=BB68_7 Depth=1
	s_or_b64 exec, exec, s[2:3]
	s_waitcnt lgkmcnt(0)
	s_barrier
.LBB68_120:                             ;   in Loop: Header=BB68_7 Depth=1
	s_or_saveexec_b64 s[10:11], s[10:11]
	s_mov_b64 s[12:13], 0
	v_mov_b32_e32 v2, 8
	s_xor_b64 exec, exec, s[10:11]
; %bb.121:                              ;   in Loop: Header=BB68_7 Depth=1
	v_sub_co_u32_e32 v24, vcc, v24, v4
	s_mov_b64 s[12:13], exec
	v_subb_co_u32_e32 v25, vcc, v25, v5, vcc
	v_mov_b32_e32 v2, 0
; %bb.122:                              ;   in Loop: Header=BB68_7 Depth=1
	s_or_b64 exec, exec, s[10:11]
	v_mov_b32_e32 v8, v24
	s_and_b64 s[12:13], s[12:13], exec
	v_mov_b32_e32 v9, v25
.LBB68_123:                             ;   in Loop: Header=BB68_7 Depth=1
	s_or_b64 exec, exec, s[6:7]
	s_mov_b64 s[20:21], -1
	s_mov_b64 s[10:11], -1
                                        ; implicit-def: $sgpr6_sgpr7
                                        ; implicit-def: $sgpr78_sgpr79
	s_and_saveexec_b64 s[2:3], s[12:13]
	s_xor_b64 s[22:23], exec, s[2:3]
	s_cbranch_execz .LBB68_265
; %bb.124:                              ;   in Loop: Header=BB68_7 Depth=1
	v_cmp_eq_u64_e32 vcc, 1, v[6:7]
	v_cmp_eq_u64_e64 s[6:7], 1, v[8:9]
                                        ; implicit-def: $sgpr78_sgpr79
	s_and_b64 s[82:83], vcc, s[6:7]
                                        ; implicit-def: $sgpr6_sgpr7
	s_and_saveexec_b64 s[80:81], s[82:83]
	s_cbranch_execz .LBB68_158
; %bb.125:                              ;   in Loop: Header=BB68_7 Depth=1
	ds_read_b64 v[4:5], v3 offset:5120
	s_waitcnt lgkmcnt(0)
	s_barrier
	v_readfirstlane_b32 s84, v4
	v_readfirstlane_b32 s85, v5
	s_mov_b64 s[2:3], exec
	v_readlane_b32 s6, v59, 10
	v_readlane_b32 s7, v59, 11
	s_and_b64 s[6:7], s[2:3], s[6:7]
	s_mov_b64 exec, s[6:7]
; %bb.126:                              ;   in Loop: Header=BB68_7 Depth=1
	ds_write_b16 v44, v3
; %bb.127:                              ;   in Loop: Header=BB68_7 Depth=1
	s_or_b64 exec, exec, s[2:3]
	v_cmp_gt_i64_e64 s[2:3], s[84:85], 0
	v_and_b32_e32 v4, s17, v42
	v_lshl_or_b32 v42, 1, s50, v4
	v_or_b32_e32 v49, s16, v49
	s_mov_b64 s[6:7], -1
	s_mov_b64 s[78:79], 0
	s_and_b64 vcc, exec, s[2:3]
	s_mov_b64 s[28:29], 0
	s_mov_b64 s[36:37], -1
	s_waitcnt lgkmcnt(0)
	s_barrier
                                        ; implicit-def: $vgpr50
	s_cbranch_vccnz .LBB68_143
; %bb.128:                              ;   in Loop: Header=BB68_7 Depth=1
	s_mov_b32 s52, s47
	s_cmp_lg_u64 s[52:53], 0
	s_cbranch_scc0 .LBB68_185
; %bb.129:                              ;   in Loop: Header=BB68_7 Depth=1
	s_add_u32 s2, s33, 0
	s_addc_u32 s3, 0, 0
	s_xor_b64 s[28:29], s[2:3], 0
	v_cvt_f32_u32_e32 v4, s28
	v_cvt_f32_u32_e32 v5, s29
	s_sub_u32 s10, 0, s28
	s_subb_u32 s11, 0, s29
	v_mac_f32_e32 v4, 0x4f800000, v5
	v_rcp_f32_e32 v4, v4
	v_mul_f32_e32 v4, 0x5f7ffffc, v4
	v_mul_f32_e32 v5, 0x2f800000, v4
	v_trunc_f32_e32 v5, v5
	v_mac_f32_e32 v4, 0xcf800000, v5
	v_cvt_u32_f32_e32 v5, v5
	v_cvt_u32_f32_e32 v4, v4
	v_readfirstlane_b32 s12, v5
	v_readfirstlane_b32 s2, v4
	s_mul_i32 s3, s10, s12
	s_mul_hi_u32 s36, s10, s2
	s_mul_i32 s13, s11, s2
	s_add_i32 s3, s36, s3
	s_mul_i32 s37, s10, s2
	s_add_i32 s3, s3, s13
	s_mul_i32 s36, s2, s3
	s_mul_hi_u32 s38, s2, s37
	s_mul_hi_u32 s13, s2, s3
	s_add_u32 s36, s38, s36
	s_addc_u32 s13, 0, s13
	s_mul_hi_u32 s39, s12, s37
	s_mul_i32 s37, s12, s37
	s_add_u32 s36, s36, s37
	s_mul_hi_u32 s38, s12, s3
	s_addc_u32 s13, s13, s39
	s_addc_u32 s36, s38, 0
	s_mul_i32 s3, s12, s3
	s_add_u32 s3, s13, s3
	s_addc_u32 s13, 0, s36
	s_add_u32 s36, s2, s3
	s_cselect_b64 s[2:3], -1, 0
	s_cmp_lg_u64 s[2:3], 0
	s_addc_u32 s12, s12, s13
	s_mul_i32 s2, s10, s12
	s_mul_hi_u32 s3, s10, s36
	s_add_i32 s2, s3, s2
	s_mul_i32 s11, s11, s36
	s_add_i32 s2, s2, s11
	s_mul_i32 s10, s10, s36
	s_mul_hi_u32 s11, s12, s10
	s_mul_i32 s13, s12, s10
	s_mul_i32 s38, s36, s2
	s_mul_hi_u32 s10, s36, s10
	s_mul_hi_u32 s37, s36, s2
	s_add_u32 s10, s10, s38
	s_addc_u32 s37, 0, s37
	s_add_u32 s10, s10, s13
	s_mul_hi_u32 s3, s12, s2
	s_addc_u32 s10, s37, s11
	s_addc_u32 s3, s3, 0
	s_mul_i32 s2, s12, s2
	s_add_u32 s2, s10, s2
	s_addc_u32 s10, 0, s3
	s_add_u32 s13, s36, s2
	s_cselect_b64 s[2:3], -1, 0
	s_cmp_lg_u64 s[2:3], 0
	s_addc_u32 s12, s12, s10
	s_ashr_i32 s2, s53, 31
	s_add_u32 s10, s35, s2
	s_mov_b32 s3, s2
	s_addc_u32 s11, s53, s2
	s_xor_b64 s[10:11], s[10:11], s[2:3]
	s_mul_i32 s37, s10, s12
	s_mul_hi_u32 s38, s10, s13
	s_mul_hi_u32 s36, s10, s12
	s_add_u32 s37, s38, s37
	s_addc_u32 s36, 0, s36
	s_mul_hi_u32 s39, s11, s13
	s_mul_i32 s13, s11, s13
	s_add_u32 s13, s37, s13
	s_mul_hi_u32 s38, s11, s12
	s_addc_u32 s13, s36, s39
	s_addc_u32 s36, s38, 0
	s_mul_i32 s12, s11, s12
	s_add_u32 s12, s13, s12
	s_addc_u32 s13, 0, s36
	s_mul_i32 s13, s28, s13
	s_mul_hi_u32 s36, s28, s12
	s_add_i32 s13, s36, s13
	s_mul_i32 s36, s29, s12
	s_add_i32 s38, s13, s36
	s_sub_i32 s36, s11, s38
	s_mul_i32 s12, s28, s12
	s_sub_u32 s10, s10, s12
	s_cselect_b64 s[12:13], -1, 0
	s_cmp_lg_u64 s[12:13], 0
	s_subb_u32 s39, s36, s29
	s_sub_u32 s40, s10, s28
	s_cselect_b64 s[36:37], -1, 0
	s_cmp_lg_u64 s[36:37], 0
	s_subb_u32 s41, s39, 0
	s_cmp_ge_u32 s41, s29
	s_cselect_b32 s46, -1, 0
	s_cmp_ge_u32 s40, s28
	s_cselect_b32 s52, -1, 0
	s_cmp_eq_u32 s41, s29
	s_cselect_b32 s46, s52, s46
	s_cmp_lg_u64 s[36:37], 0
	s_subb_u32 s39, s39, s29
	s_sub_u32 s52, s40, s28
	s_cselect_b64 s[36:37], -1, 0
	s_cmp_lg_u64 s[36:37], 0
	s_subb_u32 s36, s39, 0
	s_cmp_lg_u32 s46, 0
	s_cselect_b32 s37, s52, s40
	s_cselect_b32 s36, s36, s41
	s_cmp_lg_u64 s[12:13], 0
	s_subb_u32 s11, s11, s38
	s_cmp_ge_u32 s11, s29
	s_cselect_b32 s12, -1, 0
	s_cmp_ge_u32 s10, s28
	s_cselect_b32 s13, -1, 0
	s_cmp_eq_u32 s11, s29
	s_cselect_b32 s12, s13, s12
	s_cmp_lg_u32 s12, 0
	s_cselect_b32 s11, s36, s11
	s_cselect_b32 s10, s37, s10
	s_xor_b64 s[10:11], s[10:11], s[2:3]
	s_sub_u32 s10, s10, s2
	s_subb_u32 s11, s11, s2
	s_cbranch_execnz .LBB68_131
.LBB68_130:                             ;   in Loop: Header=BB68_7 Depth=1
	v_cvt_f32_u32_e32 v4, s33
	s_sub_i32 s2, 0, s33
	v_rcp_iflag_f32_e32 v4, v4
	v_mul_f32_e32 v4, 0x4f7ffffe, v4
	v_cvt_u32_f32_e32 v4, v4
	v_readfirstlane_b32 s3, v4
	s_mul_i32 s2, s2, s3
	s_mul_hi_u32 s2, s3, s2
	s_add_i32 s3, s3, s2
	s_mul_hi_u32 s2, s35, s3
	s_mul_i32 s2, s2, s33
	s_sub_i32 s2, s35, s2
	s_sub_i32 s3, s2, s33
	s_cmp_ge_u32 s2, s33
	s_cselect_b32 s2, s3, s2
	s_sub_i32 s3, s2, s33
	s_cmp_ge_u32 s2, s33
	s_cselect_b32 s46, s3, s2
	s_mov_b64 s[10:11], s[46:47]
.LBB68_131:                             ;   in Loop: Header=BB68_7 Depth=1
	s_sub_u32 s12, s35, s10
	s_subb_u32 s13, s53, s11
	v_cmp_gt_i64_e32 vcc, s[12:13], v[0:1]
	s_mov_b64 s[36:37], 0
	s_mov_b64 s[28:29], 0
                                        ; implicit-def: $vgpr50
	s_and_saveexec_b64 s[38:39], vcc
	s_cbranch_execz .LBB68_142
; %bb.132:                              ;   in Loop: Header=BB68_7 Depth=1
	v_mov_b32_e32 v4, v12
	v_mov_b32_e32 v11, v1
	s_mov_b64 s[10:11], 0
	v_mov_b32_e32 v5, v13
	v_mov_b32_e32 v10, v0
                                        ; implicit-def: $sgpr28_sgpr29
	s_branch .LBB68_135
.LBB68_133:                             ;   in Loop: Header=BB68_135 Depth=2
	s_or_b64 exec, exec, s[40:41]
	s_waitcnt lgkmcnt(0)
	s_barrier
	ds_read_b32 v24, v3 offset:3072
	s_mov_b64 s[40:41], -1
	s_mov_b64 s[56:57], -1
	s_waitcnt lgkmcnt(0)
	s_barrier
	v_and_b32_e32 v25, 0x7fff, v24
	v_cmp_ne_u32_e32 vcc, 0, v25
	s_cbranch_vccz .LBB68_138
.LBB68_134:                             ;   in Loop: Header=BB68_135 Depth=2
	s_and_b64 s[2:3], exec, s[40:41]
	s_or_b64 s[10:11], s[2:3], s[10:11]
	s_andn2_b64 s[2:3], s[28:29], exec
	s_and_b64 s[28:29], s[56:57], exec
	s_or_b64 s[28:29], s[2:3], s[28:29]
	s_andn2_b64 exec, exec, s[10:11]
	s_cbranch_execz .LBB68_141
.LBB68_135:                             ;   Parent Loop BB68_7 Depth=1
                                        ; =>  This Inner Loop Header: Depth=2
	v_cmp_gt_i64_e32 vcc, s[24:25], v[10:11]
	s_and_saveexec_b64 s[40:41], vcc
	s_cbranch_execz .LBB68_133
; %bb.136:                              ;   in Loop: Header=BB68_135 Depth=2
	global_load_ushort v24, v[4:5], off
	s_waitcnt vmcnt(0)
	v_cmp_lt_i16_e32 vcc, -1, v24
	v_cndmask_b32_e32 v25, v45, v46, vcc
	v_lshlrev_b32_e32 v26, 16, v24
	v_cmp_o_f32_e32 vcc, v26, v26
	v_xor_b32_sdwa v25, v25, v24 dst_sel:DWORD dst_unused:UNUSED_PAD src0_sel:DWORD src1_sel:WORD_0
	v_cndmask_b32_e32 v25, v45, v25, vcc
	v_and_b32_e32 v25, v25, v49
	v_cmp_eq_u32_e32 vcc, v25, v42
	s_and_b64 exec, exec, vcc
	s_cbranch_execz .LBB68_133
; %bb.137:                              ;   in Loop: Header=BB68_135 Depth=2
	v_perm_b32 v24, v24, s9, v48
	ds_write_b32 v3, v24 offset:3072
	s_branch .LBB68_133
.LBB68_138:                             ;   in Loop: Header=BB68_135 Depth=2
	v_add_co_u32_e32 v10, vcc, s33, v10
	v_addc_co_u32_e32 v11, vcc, 0, v11, vcc
	v_mov_b32_e32 v25, s45
	v_add_co_u32_e32 v4, vcc, s44, v4
	v_addc_co_u32_e32 v5, vcc, v5, v25, vcc
	v_cmp_le_i64_e32 vcc, s[12:13], v[10:11]
	s_mov_b64 s[56:57], 0
	s_orn2_b64 s[40:41], vcc, exec
	s_branch .LBB68_134
.LBB68_139:                             ;   in Loop: Header=BB68_7 Depth=1
                                        ; implicit-def: $sgpr10_sgpr11
	s_branch .LBB68_87
.LBB68_140:                             ;   in Loop: Header=BB68_7 Depth=1
                                        ; implicit-def: $sgpr10_sgpr11
	s_branch .LBB68_101
.LBB68_141:                             ;   in Loop: Header=BB68_7 Depth=1
	s_or_b64 exec, exec, s[10:11]
	v_lshrrev_b32_e32 v50, 16, v24
	s_and_b64 s[28:29], s[28:29], exec
.LBB68_142:                             ;   in Loop: Header=BB68_7 Depth=1
	s_or_b64 exec, exec, s[38:39]
.LBB68_143:                             ;   in Loop: Header=BB68_7 Depth=1
	s_and_b64 vcc, exec, s[36:37]
	s_cbranch_vccz .LBB68_157
; %bb.144:                              ;   in Loop: Header=BB68_7 Depth=1
	v_readlane_b32 s2, v59, 22
	s_add_u32 s12, s84, s2
	v_readlane_b32 s2, v59, 23
	s_addc_u32 s7, s85, s2
	s_mov_b32 s6, s47
	s_cmp_lg_u64 s[6:7], 0
	s_cbranch_scc0 .LBB68_186
; %bb.145:                              ;   in Loop: Header=BB68_7 Depth=1
	s_add_u32 s2, s33, 0
	s_addc_u32 s3, 0, 0
	s_xor_b64 s[36:37], s[2:3], 0
	v_cvt_f32_u32_e32 v4, s36
	v_cvt_f32_u32_e32 v5, s37
	s_sub_u32 s6, 0, s36
	s_subb_u32 s10, 0, s37
	v_mac_f32_e32 v4, 0x4f800000, v5
	v_rcp_f32_e32 v4, v4
	v_mul_f32_e32 v4, 0x5f7ffffc, v4
	v_mul_f32_e32 v5, 0x2f800000, v4
	v_trunc_f32_e32 v5, v5
	v_mac_f32_e32 v4, 0xcf800000, v5
	v_cvt_u32_f32_e32 v5, v5
	v_cvt_u32_f32_e32 v4, v4
	v_readfirstlane_b32 s11, v5
	v_readfirstlane_b32 s2, v4
	s_mul_i32 s3, s6, s11
	s_mul_hi_u32 s38, s6, s2
	s_mul_i32 s13, s10, s2
	s_add_i32 s3, s38, s3
	s_mul_i32 s39, s6, s2
	s_add_i32 s3, s3, s13
	s_mul_i32 s38, s2, s3
	s_mul_hi_u32 s40, s2, s39
	s_mul_hi_u32 s13, s2, s3
	s_add_u32 s38, s40, s38
	s_addc_u32 s13, 0, s13
	s_mul_hi_u32 s41, s11, s39
	s_mul_i32 s39, s11, s39
	s_add_u32 s38, s38, s39
	s_mul_hi_u32 s40, s11, s3
	s_addc_u32 s13, s13, s41
	s_addc_u32 s38, s40, 0
	s_mul_i32 s3, s11, s3
	s_add_u32 s3, s13, s3
	s_addc_u32 s13, 0, s38
	s_add_u32 s38, s2, s3
	s_cselect_b64 s[2:3], -1, 0
	s_cmp_lg_u64 s[2:3], 0
	s_addc_u32 s11, s11, s13
	s_mul_i32 s2, s6, s11
	s_mul_hi_u32 s3, s6, s38
	s_add_i32 s2, s3, s2
	s_mul_i32 s10, s10, s38
	s_add_i32 s2, s2, s10
	s_mul_i32 s6, s6, s38
	s_mul_hi_u32 s10, s11, s6
	s_mul_i32 s13, s11, s6
	s_mul_i32 s40, s38, s2
	s_mul_hi_u32 s6, s38, s6
	s_mul_hi_u32 s39, s38, s2
	s_add_u32 s6, s6, s40
	s_addc_u32 s39, 0, s39
	s_add_u32 s6, s6, s13
	s_mul_hi_u32 s3, s11, s2
	s_addc_u32 s6, s39, s10
	s_addc_u32 s3, s3, 0
	s_mul_i32 s2, s11, s2
	s_add_u32 s2, s6, s2
	s_addc_u32 s6, 0, s3
	s_add_u32 s13, s38, s2
	s_cselect_b64 s[2:3], -1, 0
	s_cmp_lg_u64 s[2:3], 0
	s_addc_u32 s6, s11, s6
	s_ashr_i32 s2, s7, 31
	s_add_u32 s10, s12, s2
	s_mov_b32 s3, s2
	s_addc_u32 s11, s7, s2
	s_xor_b64 s[10:11], s[10:11], s[2:3]
	s_mul_i32 s39, s10, s6
	s_mul_hi_u32 s40, s10, s13
	s_mul_hi_u32 s38, s10, s6
	s_add_u32 s39, s40, s39
	s_addc_u32 s38, 0, s38
	s_mul_hi_u32 s41, s11, s13
	s_mul_i32 s13, s11, s13
	s_add_u32 s13, s39, s13
	s_mul_hi_u32 s40, s11, s6
	s_addc_u32 s13, s38, s41
	s_addc_u32 s38, s40, 0
	s_mul_i32 s6, s11, s6
	s_add_u32 s6, s13, s6
	s_addc_u32 s13, 0, s38
	s_mul_i32 s13, s36, s13
	s_mul_hi_u32 s38, s36, s6
	s_add_i32 s13, s38, s13
	s_mul_i32 s38, s37, s6
	s_add_i32 s13, s13, s38
	s_sub_i32 s40, s11, s13
	s_mul_i32 s6, s36, s6
	s_sub_u32 s6, s10, s6
	s_cselect_b64 s[38:39], -1, 0
	s_cmp_lg_u64 s[38:39], 0
	s_subb_u32 s10, s40, s37
	s_sub_u32 s46, s6, s36
	s_cselect_b64 s[40:41], -1, 0
	s_cmp_lg_u64 s[40:41], 0
	s_subb_u32 s52, s10, 0
	s_cmp_ge_u32 s52, s37
	s_cselect_b32 s56, -1, 0
	s_cmp_ge_u32 s46, s36
	s_cselect_b32 s57, -1, 0
	s_cmp_eq_u32 s52, s37
	s_cselect_b32 s56, s57, s56
	s_cmp_lg_u64 s[40:41], 0
	s_subb_u32 s10, s10, s37
	s_sub_u32 s57, s46, s36
	s_cselect_b64 s[40:41], -1, 0
	s_cmp_lg_u64 s[40:41], 0
	s_subb_u32 s10, s10, 0
	s_cmp_lg_u32 s56, 0
	s_cselect_b32 s40, s57, s46
	s_cselect_b32 s10, s10, s52
	s_cmp_lg_u64 s[38:39], 0
	s_subb_u32 s11, s11, s13
	s_cmp_ge_u32 s11, s37
	s_cselect_b32 s13, -1, 0
	s_cmp_ge_u32 s6, s36
	s_cselect_b32 s36, -1, 0
	s_cmp_eq_u32 s11, s37
	s_cselect_b32 s13, s36, s13
	s_cmp_lg_u32 s13, 0
	s_cselect_b32 s11, s10, s11
	s_cselect_b32 s10, s40, s6
	s_xor_b64 s[10:11], s[10:11], s[2:3]
	s_sub_u32 s10, s10, s2
	s_subb_u32 s11, s11, s2
	s_cbranch_execnz .LBB68_147
.LBB68_146:                             ;   in Loop: Header=BB68_7 Depth=1
	v_cvt_f32_u32_e32 v4, s33
	s_sub_i32 s2, 0, s33
	v_rcp_iflag_f32_e32 v4, v4
	v_mul_f32_e32 v4, 0x4f7ffffe, v4
	v_cvt_u32_f32_e32 v4, v4
	v_readfirstlane_b32 s3, v4
	s_mul_i32 s2, s2, s3
	s_mul_hi_u32 s2, s3, s2
	s_add_i32 s3, s3, s2
	s_mul_hi_u32 s2, s12, s3
	s_mul_i32 s2, s2, s33
	s_sub_i32 s2, s12, s2
	s_sub_i32 s3, s2, s33
	s_cmp_ge_u32 s2, s33
	s_cselect_b32 s2, s3, s2
	s_sub_i32 s3, s2, s33
	s_cmp_ge_u32 s2, s33
	s_cselect_b32 s46, s3, s2
	s_mov_b64 s[10:11], s[46:47]
.LBB68_147:                             ;   in Loop: Header=BB68_7 Depth=1
	s_sub_u32 s10, s12, s10
	s_subb_u32 s11, s7, s11
	v_cmp_gt_i64_e32 vcc, s[10:11], v[0:1]
                                        ; implicit-def: $vgpr50
	s_and_saveexec_b64 s[6:7], vcc
	s_cbranch_execz .LBB68_156
; %bb.148:                              ;   in Loop: Header=BB68_7 Depth=1
	v_mov_b32_e32 v5, v1
	s_mov_b64 s[12:13], 0
	v_mov_b32_e32 v10, v43
	v_mov_b32_e32 v4, v0
                                        ; implicit-def: $sgpr36_sgpr37
	s_branch .LBB68_151
.LBB68_149:                             ;   in Loop: Header=BB68_151 Depth=2
	s_or_b64 exec, exec, s[38:39]
	s_waitcnt lgkmcnt(0)
	s_barrier
	ds_read_b32 v11, v3 offset:3072
	s_mov_b64 s[38:39], -1
	s_mov_b64 s[40:41], -1
	s_waitcnt lgkmcnt(0)
	s_barrier
	v_and_b32_e32 v24, 0x7fff, v11
	v_cmp_eq_u32_e32 vcc, 0, v24
	s_cbranch_vccnz .LBB68_154
.LBB68_150:                             ;   in Loop: Header=BB68_151 Depth=2
	s_and_b64 s[2:3], exec, s[38:39]
	s_or_b64 s[12:13], s[2:3], s[12:13]
	s_andn2_b64 s[2:3], s[36:37], exec
	s_and_b64 s[36:37], s[40:41], exec
	s_or_b64 s[36:37], s[2:3], s[36:37]
	s_andn2_b64 exec, exec, s[12:13]
	s_cbranch_execz .LBB68_155
.LBB68_151:                             ;   Parent Loop BB68_7 Depth=1
                                        ; =>  This Inner Loop Header: Depth=2
	v_cmp_gt_u64_e32 vcc, s[84:85], v[4:5]
	s_and_saveexec_b64 s[38:39], vcc
	s_cbranch_execz .LBB68_149
; %bb.152:                              ;   in Loop: Header=BB68_151 Depth=2
	ds_read_u16 v11, v10
	s_waitcnt lgkmcnt(0)
	v_cmp_lt_i16_e32 vcc, -1, v11
	v_cndmask_b32_e32 v24, v45, v46, vcc
	v_lshlrev_b32_e32 v25, 16, v11
	v_cmp_o_f32_e32 vcc, v25, v25
	v_xor_b32_sdwa v24, v24, v11 dst_sel:DWORD dst_unused:UNUSED_PAD src0_sel:DWORD src1_sel:WORD_0
	v_cndmask_b32_e32 v24, v45, v24, vcc
	v_and_b32_e32 v24, v24, v49
	v_cmp_eq_u32_e32 vcc, v24, v42
	s_and_b64 exec, exec, vcc
	s_cbranch_execz .LBB68_149
; %bb.153:                              ;   in Loop: Header=BB68_151 Depth=2
	v_perm_b32 v11, v11, s9, v48
	ds_write_b32 v3, v11 offset:3072
	s_branch .LBB68_149
.LBB68_154:                             ;   in Loop: Header=BB68_151 Depth=2
	v_add_co_u32_e32 v4, vcc, s33, v4
	v_addc_co_u32_e32 v5, vcc, 0, v5, vcc
	v_cmp_le_i64_e32 vcc, s[10:11], v[4:5]
	v_add_u32_e32 v10, s8, v10
	s_mov_b64 s[40:41], 0
	s_orn2_b64 s[38:39], vcc, exec
	s_branch .LBB68_150
.LBB68_155:                             ;   in Loop: Header=BB68_7 Depth=1
	s_or_b64 exec, exec, s[12:13]
	s_andn2_b64 s[2:3], s[28:29], exec
	s_and_b64 s[10:11], s[36:37], exec
	v_lshrrev_b32_e32 v50, 16, v11
	s_or_b64 s[28:29], s[2:3], s[10:11]
.LBB68_156:                             ;   in Loop: Header=BB68_7 Depth=1
	s_or_b64 exec, exec, s[6:7]
	s_mov_b64 s[6:7], 0
	s_mov_b64 s[78:79], -1
.LBB68_157:                             ;   in Loop: Header=BB68_7 Depth=1
	s_orn2_b64 s[10:11], s[28:29], exec
.LBB68_158:                             ;   in Loop: Header=BB68_7 Depth=1
	s_or_b64 exec, exec, s[80:81]
	s_mov_b64 s[12:13], 0
	s_and_saveexec_b64 s[80:81], s[10:11]
	s_cbranch_execz .LBB68_264
; %bb.159:                              ;   in Loop: Header=BB68_7 Depth=1
	v_mov_b32_e32 v4, 1
	s_xor_b64 s[2:3], s[82:83], -1
	v_mov_b32_e32 v2, 1
	v_mov_b32_e32 v5, 0
	s_and_saveexec_b64 s[28:29], s[2:3]
	s_cbranch_execz .LBB68_169
; %bb.160:                              ;   in Loop: Header=BB68_7 Depth=1
	v_cmp_le_i64_e32 vcc, v[8:9], v[6:7]
	s_and_saveexec_b64 s[2:3], vcc
	s_xor_b64 s[10:11], exec, s[2:3]
	s_cbranch_execz .LBB68_166
; %bb.161:                              ;   in Loop: Header=BB68_7 Depth=1
	ds_read_b64 v[4:5], v3 offset:5120
	v_and_b32_e32 v2, s17, v42
	v_lshl_or_b32 v42, 1, s50, v2
	v_or_b32_e32 v49, s16, v49
	s_waitcnt lgkmcnt(0)
	v_cmp_ne_u64_e32 vcc, 0, v[4:5]
	s_cbranch_vccnz .LBB68_165
; %bb.162:                              ;   in Loop: Header=BB68_7 Depth=1
	s_mov_b64 s[2:3], exec
	v_readlane_b32 s12, v59, 6
	v_readlane_b32 s13, v59, 7
	s_and_b64 s[12:13], s[2:3], s[12:13]
	s_mov_b64 exec, s[12:13]
; %bb.163:                              ;   in Loop: Header=BB68_7 Depth=1
	ds_write_b64 v3, v[6:7] offset:5128
; %bb.164:                              ;   in Loop: Header=BB68_7 Depth=1
	s_or_b64 exec, exec, s[2:3]
	s_waitcnt lgkmcnt(0)
	s_barrier
.LBB68_165:                             ;   in Loop: Header=BB68_7 Depth=1
                                        ; implicit-def: $vgpr4_vgpr5_vgpr6_vgpr7
.LBB68_166:                             ;   in Loop: Header=BB68_7 Depth=1
	s_or_saveexec_b64 s[10:11], s[10:11]
	s_mov_b64 s[12:13], 0
	v_mov_b32_e32 v2, 8
	s_xor_b64 exec, exec, s[10:11]
; %bb.167:                              ;   in Loop: Header=BB68_7 Depth=1
	v_sub_co_u32_e32 v8, vcc, v8, v6
	v_subb_co_u32_e32 v9, vcc, v9, v7, vcc
	v_mov_b32_e32 v2, 0
	s_mov_b64 s[12:13], exec
; %bb.168:                              ;   in Loop: Header=BB68_7 Depth=1
	s_or_b64 exec, exec, s[10:11]
	v_mov_b32_e32 v4, v8
	s_and_b64 s[12:13], s[12:13], exec
	v_mov_b32_e32 v5, v9
.LBB68_169:                             ;   in Loop: Header=BB68_7 Depth=1
	s_or_b64 exec, exec, s[28:29]
	s_mov_b64 s[10:11], -1
                                        ; implicit-def: $sgpr84_sgpr85
                                        ; implicit-def: $sgpr86_sgpr87
	s_and_saveexec_b64 s[82:83], s[12:13]
	s_cbranch_execz .LBB68_263
; %bb.170:                              ;   in Loop: Header=BB68_7 Depth=1
	s_cmp_eq_u64 s[26:27], 1
	v_cmp_eq_u64_e32 vcc, 1, v[4:5]
	s_cselect_b64 s[2:3], -1, 0
	s_and_b64 s[90:91], s[2:3], vcc
                                        ; implicit-def: $sgpr86_sgpr87
                                        ; implicit-def: $sgpr84_sgpr85
	s_and_saveexec_b64 s[88:89], s[90:91]
	s_cbranch_execz .LBB68_204
; %bb.171:                              ;   in Loop: Header=BB68_7 Depth=1
	ds_read_b64 v[6:7], v3 offset:5120
	s_waitcnt lgkmcnt(0)
	s_barrier
	v_readfirstlane_b32 s92, v6
	v_readfirstlane_b32 s93, v7
	s_mov_b64 s[2:3], exec
	v_readlane_b32 s10, v59, 10
	v_readlane_b32 s11, v59, 11
	s_and_b64 s[10:11], s[2:3], s[10:11]
	s_mov_b64 exec, s[10:11]
; %bb.172:                              ;   in Loop: Header=BB68_7 Depth=1
	ds_write_b16 v44, v3
; %bb.173:                              ;   in Loop: Header=BB68_7 Depth=1
	s_or_b64 exec, exec, s[2:3]
	v_cmp_gt_i64_e64 s[2:3], s[92:93], 0
	v_and_b32_e32 v6, s17, v42
	v_lshl_or_b32 v42, 2, s50, v6
	v_or_b32_e32 v49, s16, v49
	s_mov_b64 s[84:85], -1
	s_mov_b64 s[86:87], 0
	s_and_b64 vcc, exec, s[2:3]
	s_mov_b64 s[28:29], 0
	s_mov_b64 s[36:37], -1
	s_waitcnt lgkmcnt(0)
	s_barrier
                                        ; implicit-def: $vgpr50
	s_cbranch_vccnz .LBB68_189
; %bb.174:                              ;   in Loop: Header=BB68_7 Depth=1
	s_mov_b32 s52, s47
	s_cmp_lg_u64 s[52:53], 0
	s_cbranch_scc0 .LBB68_230
; %bb.175:                              ;   in Loop: Header=BB68_7 Depth=1
	s_add_u32 s2, s33, 0
	s_addc_u32 s3, 0, 0
	s_xor_b64 s[28:29], s[2:3], 0
	v_cvt_f32_u32_e32 v6, s28
	v_cvt_f32_u32_e32 v7, s29
	s_sub_u32 s10, 0, s28
	s_subb_u32 s11, 0, s29
	v_mac_f32_e32 v6, 0x4f800000, v7
	v_rcp_f32_e32 v6, v6
	v_mul_f32_e32 v6, 0x5f7ffffc, v6
	v_mul_f32_e32 v7, 0x2f800000, v6
	v_trunc_f32_e32 v7, v7
	v_mac_f32_e32 v6, 0xcf800000, v7
	v_cvt_u32_f32_e32 v7, v7
	v_cvt_u32_f32_e32 v6, v6
	v_readfirstlane_b32 s12, v7
	v_readfirstlane_b32 s2, v6
	s_mul_i32 s3, s10, s12
	s_mul_hi_u32 s36, s10, s2
	s_mul_i32 s13, s11, s2
	s_add_i32 s3, s36, s3
	s_mul_i32 s37, s10, s2
	s_add_i32 s3, s3, s13
	s_mul_i32 s36, s2, s3
	s_mul_hi_u32 s38, s2, s37
	s_mul_hi_u32 s13, s2, s3
	s_add_u32 s36, s38, s36
	s_addc_u32 s13, 0, s13
	s_mul_hi_u32 s39, s12, s37
	s_mul_i32 s37, s12, s37
	s_add_u32 s36, s36, s37
	s_mul_hi_u32 s38, s12, s3
	s_addc_u32 s13, s13, s39
	s_addc_u32 s36, s38, 0
	s_mul_i32 s3, s12, s3
	s_add_u32 s3, s13, s3
	s_addc_u32 s13, 0, s36
	s_add_u32 s36, s2, s3
	s_cselect_b64 s[2:3], -1, 0
	s_cmp_lg_u64 s[2:3], 0
	s_addc_u32 s12, s12, s13
	s_mul_i32 s2, s10, s12
	s_mul_hi_u32 s3, s10, s36
	s_add_i32 s2, s3, s2
	s_mul_i32 s11, s11, s36
	s_add_i32 s2, s2, s11
	s_mul_i32 s10, s10, s36
	s_mul_hi_u32 s11, s12, s10
	s_mul_i32 s13, s12, s10
	s_mul_i32 s38, s36, s2
	s_mul_hi_u32 s10, s36, s10
	s_mul_hi_u32 s37, s36, s2
	s_add_u32 s10, s10, s38
	s_addc_u32 s37, 0, s37
	s_add_u32 s10, s10, s13
	s_mul_hi_u32 s3, s12, s2
	s_addc_u32 s10, s37, s11
	s_addc_u32 s3, s3, 0
	s_mul_i32 s2, s12, s2
	s_add_u32 s2, s10, s2
	s_addc_u32 s10, 0, s3
	s_add_u32 s13, s36, s2
	s_cselect_b64 s[2:3], -1, 0
	s_cmp_lg_u64 s[2:3], 0
	s_addc_u32 s12, s12, s10
	s_ashr_i32 s2, s53, 31
	s_add_u32 s10, s35, s2
	s_mov_b32 s3, s2
	s_addc_u32 s11, s53, s2
	s_xor_b64 s[10:11], s[10:11], s[2:3]
	s_mul_i32 s37, s10, s12
	s_mul_hi_u32 s38, s10, s13
	s_mul_hi_u32 s36, s10, s12
	s_add_u32 s37, s38, s37
	s_addc_u32 s36, 0, s36
	s_mul_hi_u32 s39, s11, s13
	s_mul_i32 s13, s11, s13
	s_add_u32 s13, s37, s13
	s_mul_hi_u32 s38, s11, s12
	s_addc_u32 s13, s36, s39
	s_addc_u32 s36, s38, 0
	s_mul_i32 s12, s11, s12
	s_add_u32 s12, s13, s12
	s_addc_u32 s13, 0, s36
	s_mul_i32 s13, s28, s13
	s_mul_hi_u32 s36, s28, s12
	s_add_i32 s13, s36, s13
	s_mul_i32 s36, s29, s12
	s_add_i32 s38, s13, s36
	s_sub_i32 s36, s11, s38
	s_mul_i32 s12, s28, s12
	s_sub_u32 s10, s10, s12
	s_cselect_b64 s[12:13], -1, 0
	s_cmp_lg_u64 s[12:13], 0
	s_subb_u32 s39, s36, s29
	s_sub_u32 s40, s10, s28
	s_cselect_b64 s[36:37], -1, 0
	s_cmp_lg_u64 s[36:37], 0
	s_subb_u32 s41, s39, 0
	s_cmp_ge_u32 s41, s29
	s_cselect_b32 s46, -1, 0
	s_cmp_ge_u32 s40, s28
	s_cselect_b32 s52, -1, 0
	s_cmp_eq_u32 s41, s29
	s_cselect_b32 s46, s52, s46
	s_cmp_lg_u64 s[36:37], 0
	s_subb_u32 s39, s39, s29
	s_sub_u32 s52, s40, s28
	s_cselect_b64 s[36:37], -1, 0
	s_cmp_lg_u64 s[36:37], 0
	s_subb_u32 s36, s39, 0
	s_cmp_lg_u32 s46, 0
	s_cselect_b32 s37, s52, s40
	s_cselect_b32 s36, s36, s41
	s_cmp_lg_u64 s[12:13], 0
	s_subb_u32 s11, s11, s38
	s_cmp_ge_u32 s11, s29
	s_cselect_b32 s12, -1, 0
	s_cmp_ge_u32 s10, s28
	s_cselect_b32 s13, -1, 0
	s_cmp_eq_u32 s11, s29
	s_cselect_b32 s12, s13, s12
	s_cmp_lg_u32 s12, 0
	s_cselect_b32 s11, s36, s11
	s_cselect_b32 s10, s37, s10
	s_xor_b64 s[10:11], s[10:11], s[2:3]
	s_sub_u32 s10, s10, s2
	s_subb_u32 s11, s11, s2
	s_cbranch_execnz .LBB68_177
.LBB68_176:                             ;   in Loop: Header=BB68_7 Depth=1
	v_cvt_f32_u32_e32 v6, s33
	s_sub_i32 s2, 0, s33
	v_rcp_iflag_f32_e32 v6, v6
	v_mul_f32_e32 v6, 0x4f7ffffe, v6
	v_cvt_u32_f32_e32 v6, v6
	v_readfirstlane_b32 s3, v6
	s_mul_i32 s2, s2, s3
	s_mul_hi_u32 s2, s3, s2
	s_add_i32 s3, s3, s2
	s_mul_hi_u32 s2, s35, s3
	s_mul_i32 s2, s2, s33
	s_sub_i32 s2, s35, s2
	s_sub_i32 s3, s2, s33
	s_cmp_ge_u32 s2, s33
	s_cselect_b32 s2, s3, s2
	s_sub_i32 s3, s2, s33
	s_cmp_ge_u32 s2, s33
	s_cselect_b32 s46, s3, s2
	s_mov_b64 s[10:11], s[46:47]
.LBB68_177:                             ;   in Loop: Header=BB68_7 Depth=1
	s_sub_u32 s12, s35, s10
	s_subb_u32 s13, s53, s11
	v_cmp_gt_i64_e32 vcc, s[12:13], v[0:1]
	s_mov_b64 s[36:37], 0
	s_mov_b64 s[28:29], 0
                                        ; implicit-def: $vgpr50
	s_and_saveexec_b64 s[38:39], vcc
	s_cbranch_execz .LBB68_188
; %bb.178:                              ;   in Loop: Header=BB68_7 Depth=1
	v_mov_b32_e32 v6, v12
	v_mov_b32_e32 v9, v1
	s_mov_b64 s[10:11], 0
	v_mov_b32_e32 v7, v13
	v_mov_b32_e32 v8, v0
                                        ; implicit-def: $sgpr28_sgpr29
	s_branch .LBB68_181
.LBB68_179:                             ;   in Loop: Header=BB68_181 Depth=2
	s_or_b64 exec, exec, s[40:41]
	s_waitcnt lgkmcnt(0)
	s_barrier
	ds_read_b32 v10, v3 offset:3072
	s_mov_b64 s[40:41], -1
	s_mov_b64 s[56:57], -1
	s_waitcnt lgkmcnt(0)
	s_barrier
	v_and_b32_e32 v11, 0x7fff, v10
	v_cmp_ne_u32_e32 vcc, 0, v11
	s_cbranch_vccz .LBB68_184
.LBB68_180:                             ;   in Loop: Header=BB68_181 Depth=2
	s_and_b64 s[2:3], exec, s[40:41]
	s_or_b64 s[10:11], s[2:3], s[10:11]
	s_andn2_b64 s[2:3], s[28:29], exec
	s_and_b64 s[28:29], s[56:57], exec
	s_or_b64 s[28:29], s[2:3], s[28:29]
	s_andn2_b64 exec, exec, s[10:11]
	s_cbranch_execz .LBB68_187
.LBB68_181:                             ;   Parent Loop BB68_7 Depth=1
                                        ; =>  This Inner Loop Header: Depth=2
	v_cmp_gt_i64_e32 vcc, s[24:25], v[8:9]
	s_and_saveexec_b64 s[40:41], vcc
	s_cbranch_execz .LBB68_179
; %bb.182:                              ;   in Loop: Header=BB68_181 Depth=2
	global_load_ushort v10, v[6:7], off
	s_waitcnt vmcnt(0)
	v_cmp_lt_i16_e32 vcc, -1, v10
	v_cndmask_b32_e32 v11, v45, v46, vcc
	v_lshlrev_b32_e32 v24, 16, v10
	v_cmp_o_f32_e32 vcc, v24, v24
	v_xor_b32_sdwa v11, v11, v10 dst_sel:DWORD dst_unused:UNUSED_PAD src0_sel:DWORD src1_sel:WORD_0
	v_cndmask_b32_e32 v11, v45, v11, vcc
	v_and_b32_e32 v11, v11, v49
	v_cmp_eq_u32_e32 vcc, v11, v42
	s_and_b64 exec, exec, vcc
	s_cbranch_execz .LBB68_179
; %bb.183:                              ;   in Loop: Header=BB68_181 Depth=2
	v_perm_b32 v10, v10, s9, v48
	ds_write_b32 v3, v10 offset:3072
	s_branch .LBB68_179
.LBB68_184:                             ;   in Loop: Header=BB68_181 Depth=2
	v_add_co_u32_e32 v8, vcc, s33, v8
	v_addc_co_u32_e32 v9, vcc, 0, v9, vcc
	v_mov_b32_e32 v11, s45
	v_add_co_u32_e32 v6, vcc, s44, v6
	v_addc_co_u32_e32 v7, vcc, v7, v11, vcc
	v_cmp_le_i64_e32 vcc, s[12:13], v[8:9]
	s_mov_b64 s[56:57], 0
	s_orn2_b64 s[40:41], vcc, exec
	s_branch .LBB68_180
.LBB68_185:                             ;   in Loop: Header=BB68_7 Depth=1
                                        ; implicit-def: $sgpr10_sgpr11
	s_branch .LBB68_130
.LBB68_186:                             ;   in Loop: Header=BB68_7 Depth=1
                                        ; implicit-def: $sgpr10_sgpr11
	s_branch .LBB68_146
.LBB68_187:                             ;   in Loop: Header=BB68_7 Depth=1
	s_or_b64 exec, exec, s[10:11]
	v_lshrrev_b32_e32 v50, 16, v10
	s_and_b64 s[28:29], s[28:29], exec
.LBB68_188:                             ;   in Loop: Header=BB68_7 Depth=1
	s_or_b64 exec, exec, s[38:39]
.LBB68_189:                             ;   in Loop: Header=BB68_7 Depth=1
	s_and_b64 vcc, exec, s[36:37]
	s_cbranch_vccz .LBB68_203
; %bb.190:                              ;   in Loop: Header=BB68_7 Depth=1
	v_readlane_b32 s2, v59, 22
	s_add_u32 s12, s92, s2
	v_readlane_b32 s2, v59, 23
	s_addc_u32 s37, s93, s2
	s_mov_b32 s36, s47
	s_cmp_lg_u64 s[36:37], 0
	s_cbranch_scc0 .LBB68_231
; %bb.191:                              ;   in Loop: Header=BB68_7 Depth=1
	s_add_u32 s2, s33, 0
	s_addc_u32 s3, 0, 0
	s_xor_b64 s[38:39], s[2:3], 0
	v_cvt_f32_u32_e32 v6, s38
	v_cvt_f32_u32_e32 v7, s39
	s_sub_u32 s10, 0, s38
	s_subb_u32 s11, 0, s39
	v_mac_f32_e32 v6, 0x4f800000, v7
	v_rcp_f32_e32 v6, v6
	v_mul_f32_e32 v6, 0x5f7ffffc, v6
	v_mul_f32_e32 v7, 0x2f800000, v6
	v_trunc_f32_e32 v7, v7
	v_mac_f32_e32 v6, 0xcf800000, v7
	v_cvt_u32_f32_e32 v7, v7
	v_cvt_u32_f32_e32 v6, v6
	v_readfirstlane_b32 s13, v7
	v_readfirstlane_b32 s2, v6
	s_mul_i32 s3, s10, s13
	s_mul_hi_u32 s40, s10, s2
	s_mul_i32 s36, s11, s2
	s_add_i32 s3, s40, s3
	s_mul_i32 s41, s10, s2
	s_add_i32 s3, s3, s36
	s_mul_i32 s40, s2, s3
	s_mul_hi_u32 s46, s2, s41
	s_mul_hi_u32 s36, s2, s3
	s_add_u32 s40, s46, s40
	s_addc_u32 s36, 0, s36
	s_mul_hi_u32 s52, s13, s41
	s_mul_i32 s41, s13, s41
	s_add_u32 s40, s40, s41
	s_mul_hi_u32 s46, s13, s3
	s_addc_u32 s36, s36, s52
	s_addc_u32 s40, s46, 0
	s_mul_i32 s3, s13, s3
	s_add_u32 s3, s36, s3
	s_addc_u32 s36, 0, s40
	s_add_u32 s40, s2, s3
	s_cselect_b64 s[2:3], -1, 0
	s_cmp_lg_u64 s[2:3], 0
	s_addc_u32 s13, s13, s36
	s_mul_i32 s2, s10, s13
	s_mul_hi_u32 s3, s10, s40
	s_add_i32 s2, s3, s2
	s_mul_i32 s11, s11, s40
	s_add_i32 s2, s2, s11
	s_mul_i32 s10, s10, s40
	s_mul_hi_u32 s11, s13, s10
	s_mul_i32 s36, s13, s10
	s_mul_i32 s46, s40, s2
	s_mul_hi_u32 s10, s40, s10
	s_mul_hi_u32 s41, s40, s2
	s_add_u32 s10, s10, s46
	s_addc_u32 s41, 0, s41
	s_add_u32 s10, s10, s36
	s_mul_hi_u32 s3, s13, s2
	s_addc_u32 s10, s41, s11
	s_addc_u32 s3, s3, 0
	s_mul_i32 s2, s13, s2
	s_add_u32 s2, s10, s2
	s_addc_u32 s10, 0, s3
	s_add_u32 s36, s40, s2
	s_cselect_b64 s[2:3], -1, 0
	s_cmp_lg_u64 s[2:3], 0
	s_addc_u32 s13, s13, s10
	s_ashr_i32 s2, s37, 31
	s_add_u32 s10, s12, s2
	s_mov_b32 s3, s2
	s_addc_u32 s11, s37, s2
	s_xor_b64 s[10:11], s[10:11], s[2:3]
	s_mul_i32 s41, s10, s13
	s_mul_hi_u32 s46, s10, s36
	s_mul_hi_u32 s40, s10, s13
	s_add_u32 s41, s46, s41
	s_addc_u32 s40, 0, s40
	s_mul_hi_u32 s52, s11, s36
	s_mul_i32 s36, s11, s36
	s_add_u32 s36, s41, s36
	s_mul_hi_u32 s46, s11, s13
	s_addc_u32 s36, s40, s52
	s_addc_u32 s40, s46, 0
	s_mul_i32 s13, s11, s13
	s_add_u32 s13, s36, s13
	s_addc_u32 s36, 0, s40
	s_mul_i32 s36, s38, s36
	s_mul_hi_u32 s40, s38, s13
	s_add_i32 s36, s40, s36
	s_mul_i32 s40, s39, s13
	s_add_i32 s36, s36, s40
	s_sub_i32 s46, s11, s36
	s_mul_i32 s13, s38, s13
	s_sub_u32 s10, s10, s13
	s_cselect_b64 s[40:41], -1, 0
	s_cmp_lg_u64 s[40:41], 0
	s_subb_u32 s13, s46, s39
	s_sub_u32 s46, s10, s38
	s_cselect_b64 s[56:57], -1, 0
	s_cmp_lg_u64 s[56:57], 0
	s_subb_u32 s52, s13, 0
	s_cmp_ge_u32 s52, s39
	s_cselect_b32 s58, -1, 0
	s_cmp_ge_u32 s46, s38
	s_cselect_b32 s59, -1, 0
	s_cmp_eq_u32 s52, s39
	s_cselect_b32 s58, s59, s58
	s_cmp_lg_u64 s[56:57], 0
	s_subb_u32 s13, s13, s39
	s_sub_u32 s59, s46, s38
	s_cselect_b64 s[56:57], -1, 0
	s_cmp_lg_u64 s[56:57], 0
	s_subb_u32 s13, s13, 0
	s_cmp_lg_u32 s58, 0
	s_cselect_b32 s46, s59, s46
	s_cselect_b32 s13, s13, s52
	s_cmp_lg_u64 s[40:41], 0
	s_subb_u32 s11, s11, s36
	s_cmp_ge_u32 s11, s39
	s_cselect_b32 s36, -1, 0
	s_cmp_ge_u32 s10, s38
	s_cselect_b32 s38, -1, 0
	s_cmp_eq_u32 s11, s39
	s_cselect_b32 s36, s38, s36
	s_cmp_lg_u32 s36, 0
	s_cselect_b32 s11, s13, s11
	s_cselect_b32 s10, s46, s10
	s_xor_b64 s[10:11], s[10:11], s[2:3]
	s_sub_u32 s10, s10, s2
	s_subb_u32 s11, s11, s2
	s_cbranch_execnz .LBB68_193
.LBB68_192:                             ;   in Loop: Header=BB68_7 Depth=1
	v_cvt_f32_u32_e32 v6, s33
	s_sub_i32 s2, 0, s33
	v_rcp_iflag_f32_e32 v6, v6
	v_mul_f32_e32 v6, 0x4f7ffffe, v6
	v_cvt_u32_f32_e32 v6, v6
	v_readfirstlane_b32 s3, v6
	s_mul_i32 s2, s2, s3
	s_mul_hi_u32 s2, s3, s2
	s_add_i32 s3, s3, s2
	s_mul_hi_u32 s2, s12, s3
	s_mul_i32 s2, s2, s33
	s_sub_i32 s2, s12, s2
	s_sub_i32 s3, s2, s33
	s_cmp_ge_u32 s2, s33
	s_cselect_b32 s2, s3, s2
	s_sub_i32 s3, s2, s33
	s_cmp_ge_u32 s2, s33
	s_cselect_b32 s46, s3, s2
	s_mov_b64 s[10:11], s[46:47]
.LBB68_193:                             ;   in Loop: Header=BB68_7 Depth=1
	s_sub_u32 s12, s12, s10
	s_subb_u32 s13, s37, s11
	v_cmp_gt_i64_e32 vcc, s[12:13], v[0:1]
                                        ; implicit-def: $vgpr50
	s_and_saveexec_b64 s[10:11], vcc
	s_cbranch_execz .LBB68_202
; %bb.194:                              ;   in Loop: Header=BB68_7 Depth=1
	v_mov_b32_e32 v7, v1
	s_mov_b64 s[36:37], 0
	v_mov_b32_e32 v8, v43
	v_mov_b32_e32 v6, v0
                                        ; implicit-def: $sgpr38_sgpr39
	s_branch .LBB68_197
.LBB68_195:                             ;   in Loop: Header=BB68_197 Depth=2
	s_or_b64 exec, exec, s[40:41]
	s_waitcnt lgkmcnt(0)
	s_barrier
	ds_read_b32 v9, v3 offset:3072
	s_mov_b64 s[40:41], -1
	s_mov_b64 s[56:57], -1
	s_waitcnt lgkmcnt(0)
	s_barrier
	v_and_b32_e32 v10, 0x7fff, v9
	v_cmp_eq_u32_e32 vcc, 0, v10
	s_cbranch_vccnz .LBB68_200
.LBB68_196:                             ;   in Loop: Header=BB68_197 Depth=2
	s_and_b64 s[2:3], exec, s[40:41]
	s_or_b64 s[36:37], s[2:3], s[36:37]
	s_andn2_b64 s[2:3], s[38:39], exec
	s_and_b64 s[38:39], s[56:57], exec
	s_or_b64 s[38:39], s[2:3], s[38:39]
	s_andn2_b64 exec, exec, s[36:37]
	s_cbranch_execz .LBB68_201
.LBB68_197:                             ;   Parent Loop BB68_7 Depth=1
                                        ; =>  This Inner Loop Header: Depth=2
	v_cmp_gt_u64_e32 vcc, s[92:93], v[6:7]
	s_and_saveexec_b64 s[40:41], vcc
	s_cbranch_execz .LBB68_195
; %bb.198:                              ;   in Loop: Header=BB68_197 Depth=2
	ds_read_u16 v9, v8
	s_waitcnt lgkmcnt(0)
	v_cmp_lt_i16_e32 vcc, -1, v9
	v_cndmask_b32_e32 v10, v45, v46, vcc
	v_lshlrev_b32_e32 v11, 16, v9
	v_cmp_o_f32_e32 vcc, v11, v11
	v_xor_b32_sdwa v10, v10, v9 dst_sel:DWORD dst_unused:UNUSED_PAD src0_sel:DWORD src1_sel:WORD_0
	v_cndmask_b32_e32 v10, v45, v10, vcc
	v_and_b32_e32 v10, v10, v49
	v_cmp_eq_u32_e32 vcc, v10, v42
	s_and_b64 exec, exec, vcc
	s_cbranch_execz .LBB68_195
; %bb.199:                              ;   in Loop: Header=BB68_197 Depth=2
	v_perm_b32 v9, v9, s9, v48
	ds_write_b32 v3, v9 offset:3072
	s_branch .LBB68_195
.LBB68_200:                             ;   in Loop: Header=BB68_197 Depth=2
	v_add_co_u32_e32 v6, vcc, s33, v6
	v_addc_co_u32_e32 v7, vcc, 0, v7, vcc
	v_cmp_le_i64_e32 vcc, s[12:13], v[6:7]
	v_add_u32_e32 v8, s8, v8
	s_mov_b64 s[56:57], 0
	s_orn2_b64 s[40:41], vcc, exec
	s_branch .LBB68_196
.LBB68_201:                             ;   in Loop: Header=BB68_7 Depth=1
	s_or_b64 exec, exec, s[36:37]
	s_andn2_b64 s[2:3], s[28:29], exec
	s_and_b64 s[12:13], s[38:39], exec
	v_lshrrev_b32_e32 v50, 16, v9
	s_or_b64 s[28:29], s[2:3], s[12:13]
.LBB68_202:                             ;   in Loop: Header=BB68_7 Depth=1
	s_or_b64 exec, exec, s[10:11]
	s_mov_b64 s[84:85], 0
	s_mov_b64 s[86:87], -1
.LBB68_203:                             ;   in Loop: Header=BB68_7 Depth=1
	s_orn2_b64 s[10:11], s[28:29], exec
.LBB68_204:                             ;   in Loop: Header=BB68_7 Depth=1
	s_or_b64 exec, exec, s[88:89]
	s_mov_b64 s[12:13], 0
	s_and_saveexec_b64 s[88:89], s[10:11]
	s_cbranch_execz .LBB68_262
; %bb.205:                              ;   in Loop: Header=BB68_7 Depth=1
	v_mov_b32_e32 v6, 1
	s_xor_b64 s[2:3], s[90:91], -1
	v_mov_b32_e32 v2, 1
	v_mov_b32_e32 v7, 0
	s_and_saveexec_b64 s[28:29], s[2:3]
	s_cbranch_execz .LBB68_214
; %bb.206:                              ;   in Loop: Header=BB68_7 Depth=1
	v_cmp_ge_i64_e32 vcc, s[26:27], v[4:5]
	s_and_saveexec_b64 s[2:3], vcc
	s_xor_b64 s[10:11], exec, s[2:3]
	s_cbranch_execz .LBB68_211
; %bb.207:                              ;   in Loop: Header=BB68_7 Depth=1
	ds_read_b64 v[6:7], v3 offset:5120
	v_and_b32_e32 v2, s17, v42
	v_lshl_or_b32 v42, 2, s50, v2
	v_or_b32_e32 v49, s16, v49
	s_waitcnt lgkmcnt(0)
	v_cmp_ne_u64_e32 vcc, 0, v[6:7]
	s_cbranch_vccnz .LBB68_211
; %bb.208:                              ;   in Loop: Header=BB68_7 Depth=1
	s_mov_b64 s[2:3], exec
	v_readlane_b32 s12, v59, 6
	v_readlane_b32 s13, v59, 7
	s_and_b64 s[12:13], s[2:3], s[12:13]
	s_mov_b64 exec, s[12:13]
; %bb.209:                              ;   in Loop: Header=BB68_7 Depth=1
	v_mov_b32_e32 v6, s26
	v_mov_b32_e32 v7, s27
	ds_write_b64 v3, v[6:7] offset:5128
; %bb.210:                              ;   in Loop: Header=BB68_7 Depth=1
	s_or_b64 exec, exec, s[2:3]
	s_waitcnt lgkmcnt(0)
	s_barrier
.LBB68_211:                             ;   in Loop: Header=BB68_7 Depth=1
	s_or_saveexec_b64 s[10:11], s[10:11]
	s_mov_b64 s[12:13], 0
	v_mov_b32_e32 v2, 8
	s_xor_b64 exec, exec, s[10:11]
; %bb.212:                              ;   in Loop: Header=BB68_7 Depth=1
	v_subrev_co_u32_e32 v4, vcc, s26, v4
	v_mov_b32_e32 v2, s27
	v_subb_co_u32_e32 v5, vcc, v5, v2, vcc
	v_mov_b32_e32 v2, 0
	s_mov_b64 s[12:13], exec
; %bb.213:                              ;   in Loop: Header=BB68_7 Depth=1
	s_or_b64 exec, exec, s[10:11]
	v_mov_b32_e32 v7, v5
	s_and_b64 s[12:13], s[12:13], exec
	v_mov_b32_e32 v6, v4
.LBB68_214:                             ;   in Loop: Header=BB68_7 Depth=1
	s_or_b64 exec, exec, s[28:29]
	s_mov_b64 s[10:11], -1
                                        ; implicit-def: $sgpr36_sgpr37
                                        ; implicit-def: $sgpr28_sgpr29
	s_and_saveexec_b64 s[26:27], s[12:13]
	s_cbranch_execz .LBB68_261
; %bb.215:                              ;   in Loop: Header=BB68_7 Depth=1
	s_cmp_eq_u64 s[14:15], 1
	v_cmp_eq_u64_e32 vcc, 1, v[6:7]
	s_cselect_b64 s[2:3], -1, 0
	s_and_b64 s[90:91], s[2:3], vcc
                                        ; implicit-def: $sgpr36_sgpr37
                                        ; implicit-def: $sgpr28_sgpr29
	s_and_saveexec_b64 s[92:93], s[90:91]
	s_cbranch_execz .LBB68_249
; %bb.216:                              ;   in Loop: Header=BB68_7 Depth=1
	ds_read_b64 v[4:5], v3 offset:5120
	v_writelane_b32 v59, s94, 29
	v_writelane_b32 v59, s95, 30
	s_waitcnt lgkmcnt(0)
	s_barrier
	v_readfirstlane_b32 s94, v4
	v_readfirstlane_b32 s95, v5
	s_mov_b64 s[2:3], exec
	v_readlane_b32 s10, v59, 10
	v_readlane_b32 s11, v59, 11
	s_and_b64 s[10:11], s[2:3], s[10:11]
	s_mov_b64 exec, s[10:11]
; %bb.217:                              ;   in Loop: Header=BB68_7 Depth=1
	ds_write_b16 v44, v3
; %bb.218:                              ;   in Loop: Header=BB68_7 Depth=1
	s_or_b64 exec, exec, s[2:3]
	v_cmp_gt_i64_e64 s[2:3], s[94:95], 0
	v_or_b32_e32 v42, s16, v42
	v_or_b32_e32 v49, s16, v49
	s_mov_b64 s[28:29], -1
	s_mov_b64 s[36:37], 0
	s_and_b64 vcc, exec, s[2:3]
	s_mov_b64 s[38:39], 0
	s_mov_b64 s[40:41], -1
	s_waitcnt lgkmcnt(0)
	s_barrier
                                        ; implicit-def: $vgpr50
	s_cbranch_vccnz .LBB68_234
; %bb.219:                              ;   in Loop: Header=BB68_7 Depth=1
	s_mov_b32 s52, s47
	s_cmp_lg_u64 s[52:53], 0
	s_cbranch_scc0 .LBB68_268
; %bb.220:                              ;   in Loop: Header=BB68_7 Depth=1
	s_add_u32 s2, s33, 0
	s_addc_u32 s3, 0, 0
	s_xor_b64 s[38:39], s[2:3], 0
	v_cvt_f32_u32_e32 v4, s38
	v_cvt_f32_u32_e32 v5, s39
	s_sub_u32 s10, 0, s38
	s_subb_u32 s11, 0, s39
	v_mac_f32_e32 v4, 0x4f800000, v5
	v_rcp_f32_e32 v4, v4
	v_mul_f32_e32 v4, 0x5f7ffffc, v4
	v_mul_f32_e32 v5, 0x2f800000, v4
	v_trunc_f32_e32 v5, v5
	v_mac_f32_e32 v4, 0xcf800000, v5
	v_cvt_u32_f32_e32 v5, v5
	v_cvt_u32_f32_e32 v4, v4
	v_readfirstlane_b32 s12, v5
	v_readfirstlane_b32 s2, v4
	s_mul_i32 s3, s10, s12
	s_mul_hi_u32 s17, s10, s2
	s_mul_i32 s13, s11, s2
	s_add_i32 s3, s17, s3
	s_mul_i32 s40, s10, s2
	s_add_i32 s3, s3, s13
	s_mul_i32 s17, s2, s3
	s_mul_hi_u32 s41, s2, s40
	s_mul_hi_u32 s13, s2, s3
	s_add_u32 s17, s41, s17
	s_addc_u32 s13, 0, s13
	s_mul_hi_u32 s46, s12, s40
	s_mul_i32 s40, s12, s40
	s_add_u32 s17, s17, s40
	s_mul_hi_u32 s41, s12, s3
	s_addc_u32 s13, s13, s46
	s_addc_u32 s17, s41, 0
	s_mul_i32 s3, s12, s3
	s_add_u32 s3, s13, s3
	s_addc_u32 s13, 0, s17
	s_add_u32 s17, s2, s3
	s_cselect_b64 s[2:3], -1, 0
	s_cmp_lg_u64 s[2:3], 0
	s_addc_u32 s12, s12, s13
	s_mul_i32 s2, s10, s12
	s_mul_hi_u32 s3, s10, s17
	s_add_i32 s2, s3, s2
	s_mul_i32 s11, s11, s17
	s_add_i32 s2, s2, s11
	s_mul_i32 s10, s10, s17
	s_mul_hi_u32 s11, s12, s10
	s_mul_i32 s13, s12, s10
	s_mul_i32 s41, s17, s2
	s_mul_hi_u32 s10, s17, s10
	s_mul_hi_u32 s40, s17, s2
	s_add_u32 s10, s10, s41
	s_addc_u32 s40, 0, s40
	s_add_u32 s10, s10, s13
	s_mul_hi_u32 s3, s12, s2
	s_addc_u32 s10, s40, s11
	s_addc_u32 s3, s3, 0
	s_mul_i32 s2, s12, s2
	s_add_u32 s2, s10, s2
	s_addc_u32 s10, 0, s3
	s_add_u32 s13, s17, s2
	s_cselect_b64 s[2:3], -1, 0
	s_cmp_lg_u64 s[2:3], 0
	s_addc_u32 s12, s12, s10
	s_ashr_i32 s2, s53, 31
	s_add_u32 s10, s35, s2
	s_mov_b32 s3, s2
	s_addc_u32 s11, s53, s2
	s_xor_b64 s[10:11], s[10:11], s[2:3]
	s_mul_i32 s40, s10, s12
	s_mul_hi_u32 s41, s10, s13
	s_mul_hi_u32 s17, s10, s12
	s_add_u32 s40, s41, s40
	s_addc_u32 s17, 0, s17
	s_mul_hi_u32 s46, s11, s13
	s_mul_i32 s13, s11, s13
	s_add_u32 s13, s40, s13
	s_mul_hi_u32 s41, s11, s12
	s_addc_u32 s13, s17, s46
	s_addc_u32 s17, s41, 0
	s_mul_i32 s12, s11, s12
	s_add_u32 s12, s13, s12
	s_addc_u32 s13, 0, s17
	s_mul_i32 s13, s38, s13
	s_mul_hi_u32 s17, s38, s12
	s_add_i32 s13, s17, s13
	s_mul_i32 s17, s39, s12
	s_add_i32 s17, s13, s17
	s_sub_i32 s40, s11, s17
	s_mul_i32 s12, s38, s12
	s_sub_u32 s10, s10, s12
	s_cselect_b64 s[12:13], -1, 0
	s_cmp_lg_u64 s[12:13], 0
	s_subb_u32 s46, s40, s39
	s_sub_u32 s52, s10, s38
	s_cselect_b64 s[40:41], -1, 0
	s_cmp_lg_u64 s[40:41], 0
	s_subb_u32 s56, s46, 0
	s_cmp_ge_u32 s56, s39
	s_cselect_b32 s57, -1, 0
	s_cmp_ge_u32 s52, s38
	s_cselect_b32 s58, -1, 0
	s_cmp_eq_u32 s56, s39
	s_cselect_b32 s57, s58, s57
	s_cmp_lg_u64 s[40:41], 0
	s_subb_u32 s46, s46, s39
	s_sub_u32 s58, s52, s38
	s_cselect_b64 s[40:41], -1, 0
	s_cmp_lg_u64 s[40:41], 0
	s_subb_u32 s40, s46, 0
	s_cmp_lg_u32 s57, 0
	s_cselect_b32 s41, s58, s52
	s_cselect_b32 s40, s40, s56
	s_cmp_lg_u64 s[12:13], 0
	s_subb_u32 s11, s11, s17
	s_cmp_ge_u32 s11, s39
	s_cselect_b32 s12, -1, 0
	s_cmp_ge_u32 s10, s38
	s_cselect_b32 s13, -1, 0
	s_cmp_eq_u32 s11, s39
	s_cselect_b32 s12, s13, s12
	s_cmp_lg_u32 s12, 0
	s_cselect_b32 s11, s40, s11
	s_cselect_b32 s10, s41, s10
	s_xor_b64 s[10:11], s[10:11], s[2:3]
	s_sub_u32 s10, s10, s2
	s_subb_u32 s11, s11, s2
	s_cbranch_execnz .LBB68_222
.LBB68_221:                             ;   in Loop: Header=BB68_7 Depth=1
	v_cvt_f32_u32_e32 v4, s33
	s_sub_i32 s2, 0, s33
	v_rcp_iflag_f32_e32 v4, v4
	v_mul_f32_e32 v4, 0x4f7ffffe, v4
	v_cvt_u32_f32_e32 v4, v4
	v_readfirstlane_b32 s3, v4
	s_mul_i32 s2, s2, s3
	s_mul_hi_u32 s2, s3, s2
	s_add_i32 s3, s3, s2
	s_mul_hi_u32 s2, s35, s3
	s_mul_i32 s2, s2, s33
	s_sub_i32 s2, s35, s2
	s_sub_i32 s3, s2, s33
	s_cmp_ge_u32 s2, s33
	s_cselect_b32 s2, s3, s2
	s_sub_i32 s3, s2, s33
	s_cmp_ge_u32 s2, s33
	s_cselect_b32 s46, s3, s2
	s_mov_b64 s[10:11], s[46:47]
.LBB68_222:                             ;   in Loop: Header=BB68_7 Depth=1
	s_sub_u32 s10, s35, s10
	s_subb_u32 s11, s53, s11
	v_cmp_gt_i64_e32 vcc, s[10:11], v[0:1]
	s_mov_b64 s[40:41], 0
	s_mov_b64 s[38:39], 0
                                        ; implicit-def: $vgpr50
	s_and_saveexec_b64 s[12:13], vcc
	s_cbranch_execz .LBB68_233
; %bb.223:                              ;   in Loop: Header=BB68_7 Depth=1
	v_mov_b32_e32 v4, v12
	v_mov_b32_e32 v9, v1
	;; [unrolled: 1-line block ×4, first 2 shown]
                                        ; implicit-def: $sgpr56_sgpr57
	s_branch .LBB68_226
.LBB68_224:                             ;   in Loop: Header=BB68_226 Depth=2
	s_or_b64 exec, exec, s[58:59]
	s_waitcnt lgkmcnt(0)
	s_barrier
	ds_read_b32 v10, v3 offset:3072
	s_mov_b64 s[58:59], -1
	s_mov_b64 s[2:3], -1
	s_waitcnt lgkmcnt(0)
	s_barrier
	v_and_b32_e32 v11, 0x7fff, v10
	v_cmp_ne_u32_e32 vcc, 0, v11
	s_cbranch_vccz .LBB68_229
.LBB68_225:                             ;   in Loop: Header=BB68_226 Depth=2
	s_and_b64 s[58:59], exec, s[58:59]
	s_or_b64 s[38:39], s[58:59], s[38:39]
	s_andn2_b64 s[56:57], s[56:57], exec
	s_and_b64 s[2:3], s[2:3], exec
	s_or_b64 s[56:57], s[56:57], s[2:3]
	s_andn2_b64 exec, exec, s[38:39]
	s_cbranch_execz .LBB68_232
.LBB68_226:                             ;   Parent Loop BB68_7 Depth=1
                                        ; =>  This Inner Loop Header: Depth=2
	v_cmp_gt_i64_e32 vcc, s[24:25], v[8:9]
	s_and_saveexec_b64 s[58:59], vcc
	s_cbranch_execz .LBB68_224
; %bb.227:                              ;   in Loop: Header=BB68_226 Depth=2
	global_load_ushort v10, v[4:5], off
	s_waitcnt vmcnt(0)
	v_cmp_lt_i16_e32 vcc, -1, v10
	v_cndmask_b32_e32 v11, v45, v46, vcc
	v_lshlrev_b32_e32 v24, 16, v10
	v_cmp_o_f32_e32 vcc, v24, v24
	v_xor_b32_sdwa v11, v11, v10 dst_sel:DWORD dst_unused:UNUSED_PAD src0_sel:DWORD src1_sel:WORD_0
	v_cndmask_b32_e32 v11, v45, v11, vcc
	v_and_b32_e32 v11, v11, v49
	v_cmp_eq_u32_e32 vcc, v11, v42
	s_and_b64 exec, exec, vcc
	s_cbranch_execz .LBB68_224
; %bb.228:                              ;   in Loop: Header=BB68_226 Depth=2
	v_perm_b32 v10, v10, s9, v48
	ds_write_b32 v3, v10 offset:3072
	s_branch .LBB68_224
.LBB68_229:                             ;   in Loop: Header=BB68_226 Depth=2
	v_add_co_u32_e32 v8, vcc, s33, v8
	v_addc_co_u32_e32 v9, vcc, 0, v9, vcc
	v_mov_b32_e32 v11, s45
	v_add_co_u32_e32 v4, vcc, s44, v4
	v_addc_co_u32_e32 v5, vcc, v5, v11, vcc
	v_cmp_le_i64_e32 vcc, s[10:11], v[8:9]
	s_mov_b64 s[2:3], 0
	s_orn2_b64 s[58:59], vcc, exec
	s_branch .LBB68_225
.LBB68_230:                             ;   in Loop: Header=BB68_7 Depth=1
                                        ; implicit-def: $sgpr10_sgpr11
	s_branch .LBB68_176
.LBB68_231:                             ;   in Loop: Header=BB68_7 Depth=1
                                        ; implicit-def: $sgpr10_sgpr11
	s_branch .LBB68_192
.LBB68_232:                             ;   in Loop: Header=BB68_7 Depth=1
	s_or_b64 exec, exec, s[38:39]
	v_lshrrev_b32_e32 v50, 16, v10
	s_and_b64 s[38:39], s[56:57], exec
.LBB68_233:                             ;   in Loop: Header=BB68_7 Depth=1
	s_or_b64 exec, exec, s[12:13]
.LBB68_234:                             ;   in Loop: Header=BB68_7 Depth=1
	s_and_b64 vcc, exec, s[40:41]
	s_cbranch_vccz .LBB68_248
; %bb.235:                              ;   in Loop: Header=BB68_7 Depth=1
	v_readlane_b32 s2, v59, 22
	s_add_u32 s12, s94, s2
	v_readlane_b32 s2, v59, 23
	s_addc_u32 s29, s95, s2
	s_mov_b32 s28, s47
	s_cmp_lg_u64 s[28:29], 0
	s_cbranch_scc0 .LBB68_269
; %bb.236:                              ;   in Loop: Header=BB68_7 Depth=1
	s_add_u32 s2, s33, 0
	s_addc_u32 s3, 0, 0
	s_xor_b64 s[36:37], s[2:3], 0
	v_cvt_f32_u32_e32 v4, s36
	v_cvt_f32_u32_e32 v5, s37
	s_sub_u32 s10, 0, s36
	s_subb_u32 s11, 0, s37
	v_mac_f32_e32 v4, 0x4f800000, v5
	v_rcp_f32_e32 v4, v4
	v_mul_f32_e32 v4, 0x5f7ffffc, v4
	v_mul_f32_e32 v5, 0x2f800000, v4
	v_trunc_f32_e32 v5, v5
	v_mac_f32_e32 v4, 0xcf800000, v5
	v_cvt_u32_f32_e32 v5, v5
	v_cvt_u32_f32_e32 v4, v4
	v_readfirstlane_b32 s13, v5
	v_readfirstlane_b32 s2, v4
	s_mul_i32 s3, s10, s13
	s_mul_hi_u32 s28, s10, s2
	s_mul_i32 s17, s11, s2
	s_add_i32 s3, s28, s3
	s_mul_i32 s40, s10, s2
	s_add_i32 s3, s3, s17
	s_mul_i32 s28, s2, s3
	s_mul_hi_u32 s41, s2, s40
	s_mul_hi_u32 s17, s2, s3
	s_add_u32 s28, s41, s28
	s_addc_u32 s17, 0, s17
	s_mul_hi_u32 s46, s13, s40
	s_mul_i32 s40, s13, s40
	s_add_u32 s28, s28, s40
	s_mul_hi_u32 s41, s13, s3
	s_addc_u32 s17, s17, s46
	s_addc_u32 s28, s41, 0
	s_mul_i32 s3, s13, s3
	s_add_u32 s3, s17, s3
	s_addc_u32 s17, 0, s28
	s_add_u32 s28, s2, s3
	s_cselect_b64 s[2:3], -1, 0
	s_cmp_lg_u64 s[2:3], 0
	s_addc_u32 s13, s13, s17
	s_mul_i32 s2, s10, s13
	s_mul_hi_u32 s3, s10, s28
	s_add_i32 s2, s3, s2
	s_mul_i32 s11, s11, s28
	s_add_i32 s2, s2, s11
	s_mul_i32 s10, s10, s28
	s_mul_hi_u32 s11, s13, s10
	s_mul_i32 s17, s13, s10
	s_mul_i32 s41, s28, s2
	s_mul_hi_u32 s10, s28, s10
	s_mul_hi_u32 s40, s28, s2
	s_add_u32 s10, s10, s41
	s_addc_u32 s40, 0, s40
	s_add_u32 s10, s10, s17
	s_mul_hi_u32 s3, s13, s2
	s_addc_u32 s10, s40, s11
	s_addc_u32 s3, s3, 0
	s_mul_i32 s2, s13, s2
	s_add_u32 s2, s10, s2
	s_addc_u32 s10, 0, s3
	s_add_u32 s17, s28, s2
	s_cselect_b64 s[2:3], -1, 0
	s_cmp_lg_u64 s[2:3], 0
	s_addc_u32 s13, s13, s10
	s_ashr_i32 s2, s29, 31
	s_add_u32 s10, s12, s2
	s_mov_b32 s3, s2
	s_addc_u32 s11, s29, s2
	s_xor_b64 s[10:11], s[10:11], s[2:3]
	s_mul_i32 s40, s10, s13
	s_mul_hi_u32 s41, s10, s17
	s_mul_hi_u32 s28, s10, s13
	s_add_u32 s40, s41, s40
	s_addc_u32 s28, 0, s28
	s_mul_hi_u32 s46, s11, s17
	s_mul_i32 s17, s11, s17
	s_add_u32 s17, s40, s17
	s_mul_hi_u32 s41, s11, s13
	s_addc_u32 s17, s28, s46
	s_addc_u32 s28, s41, 0
	s_mul_i32 s13, s11, s13
	s_add_u32 s13, s17, s13
	s_addc_u32 s17, 0, s28
	s_mul_i32 s17, s36, s17
	s_mul_hi_u32 s28, s36, s13
	s_add_i32 s17, s28, s17
	s_mul_i32 s28, s37, s13
	s_add_i32 s17, s17, s28
	s_sub_i32 s28, s11, s17
	s_mul_i32 s13, s36, s13
	s_sub_u32 s10, s10, s13
	s_cselect_b64 s[40:41], -1, 0
	s_cmp_lg_u64 s[40:41], 0
	s_subb_u32 s13, s28, s37
	s_sub_u32 s28, s10, s36
	s_cselect_b64 s[56:57], -1, 0
	s_cmp_lg_u64 s[56:57], 0
	s_subb_u32 s46, s13, 0
	s_cmp_ge_u32 s46, s37
	s_cselect_b32 s52, -1, 0
	s_cmp_ge_u32 s28, s36
	s_cselect_b32 s58, -1, 0
	s_cmp_eq_u32 s46, s37
	s_cselect_b32 s52, s58, s52
	s_cmp_lg_u64 s[56:57], 0
	s_subb_u32 s13, s13, s37
	s_sub_u32 s58, s28, s36
	s_cselect_b64 s[56:57], -1, 0
	s_cmp_lg_u64 s[56:57], 0
	s_subb_u32 s13, s13, 0
	s_cmp_lg_u32 s52, 0
	s_cselect_b32 s28, s58, s28
	s_cselect_b32 s13, s13, s46
	s_cmp_lg_u64 s[40:41], 0
	s_subb_u32 s11, s11, s17
	s_cmp_ge_u32 s11, s37
	s_cselect_b32 s17, -1, 0
	s_cmp_ge_u32 s10, s36
	s_cselect_b32 s36, -1, 0
	s_cmp_eq_u32 s11, s37
	s_cselect_b32 s17, s36, s17
	s_cmp_lg_u32 s17, 0
	s_cselect_b32 s11, s13, s11
	s_cselect_b32 s10, s28, s10
	s_xor_b64 s[10:11], s[10:11], s[2:3]
	s_sub_u32 s10, s10, s2
	s_subb_u32 s11, s11, s2
	s_cbranch_execnz .LBB68_238
.LBB68_237:                             ;   in Loop: Header=BB68_7 Depth=1
	v_cvt_f32_u32_e32 v4, s33
	s_sub_i32 s2, 0, s33
	v_rcp_iflag_f32_e32 v4, v4
	v_mul_f32_e32 v4, 0x4f7ffffe, v4
	v_cvt_u32_f32_e32 v4, v4
	v_readfirstlane_b32 s3, v4
	s_mul_i32 s2, s2, s3
	s_mul_hi_u32 s2, s3, s2
	s_add_i32 s3, s3, s2
	s_mul_hi_u32 s2, s12, s3
	s_mul_i32 s2, s2, s33
	s_sub_i32 s2, s12, s2
	s_sub_i32 s3, s2, s33
	s_cmp_ge_u32 s2, s33
	s_cselect_b32 s2, s3, s2
	s_sub_i32 s3, s2, s33
	s_cmp_ge_u32 s2, s33
	s_cselect_b32 s46, s3, s2
	s_mov_b64 s[10:11], s[46:47]
.LBB68_238:                             ;   in Loop: Header=BB68_7 Depth=1
	s_sub_u32 s12, s12, s10
	s_subb_u32 s13, s29, s11
	v_cmp_gt_i64_e32 vcc, s[12:13], v[0:1]
                                        ; implicit-def: $vgpr50
	s_and_saveexec_b64 s[10:11], vcc
	s_cbranch_execz .LBB68_247
; %bb.239:                              ;   in Loop: Header=BB68_7 Depth=1
	v_mov_b32_e32 v5, v1
	s_mov_b64 s[28:29], 0
	v_mov_b32_e32 v8, v43
	v_mov_b32_e32 v4, v0
                                        ; implicit-def: $sgpr36_sgpr37
	s_branch .LBB68_242
.LBB68_240:                             ;   in Loop: Header=BB68_242 Depth=2
	s_or_b64 exec, exec, s[40:41]
	s_waitcnt lgkmcnt(0)
	s_barrier
	ds_read_b32 v9, v3 offset:3072
	s_mov_b64 s[40:41], -1
	s_mov_b64 s[2:3], -1
	s_waitcnt lgkmcnt(0)
	s_barrier
	v_and_b32_e32 v10, 0x7fff, v9
	v_cmp_eq_u32_e32 vcc, 0, v10
	s_cbranch_vccnz .LBB68_245
.LBB68_241:                             ;   in Loop: Header=BB68_242 Depth=2
	s_and_b64 s[40:41], exec, s[40:41]
	s_or_b64 s[28:29], s[40:41], s[28:29]
	s_andn2_b64 s[36:37], s[36:37], exec
	s_and_b64 s[2:3], s[2:3], exec
	s_or_b64 s[36:37], s[36:37], s[2:3]
	s_andn2_b64 exec, exec, s[28:29]
	s_cbranch_execz .LBB68_246
.LBB68_242:                             ;   Parent Loop BB68_7 Depth=1
                                        ; =>  This Inner Loop Header: Depth=2
	v_cmp_gt_u64_e32 vcc, s[94:95], v[4:5]
	s_and_saveexec_b64 s[40:41], vcc
	s_cbranch_execz .LBB68_240
; %bb.243:                              ;   in Loop: Header=BB68_242 Depth=2
	ds_read_u16 v9, v8
	s_waitcnt lgkmcnt(0)
	v_cmp_lt_i16_e32 vcc, -1, v9
	v_cndmask_b32_e32 v10, v45, v46, vcc
	v_lshlrev_b32_e32 v11, 16, v9
	v_cmp_o_f32_e32 vcc, v11, v11
	v_xor_b32_sdwa v10, v10, v9 dst_sel:DWORD dst_unused:UNUSED_PAD src0_sel:DWORD src1_sel:WORD_0
	v_cndmask_b32_e32 v10, v45, v10, vcc
	v_and_b32_e32 v10, v10, v49
	v_cmp_eq_u32_e32 vcc, v10, v42
	s_and_b64 exec, exec, vcc
	s_cbranch_execz .LBB68_240
; %bb.244:                              ;   in Loop: Header=BB68_242 Depth=2
	v_perm_b32 v9, v9, s9, v48
	ds_write_b32 v3, v9 offset:3072
	s_branch .LBB68_240
.LBB68_245:                             ;   in Loop: Header=BB68_242 Depth=2
	v_add_co_u32_e32 v4, vcc, s33, v4
	v_addc_co_u32_e32 v5, vcc, 0, v5, vcc
	v_cmp_le_i64_e32 vcc, s[12:13], v[4:5]
	v_add_u32_e32 v8, s8, v8
	s_mov_b64 s[2:3], 0
	s_orn2_b64 s[40:41], vcc, exec
	s_branch .LBB68_241
.LBB68_246:                             ;   in Loop: Header=BB68_7 Depth=1
	s_or_b64 exec, exec, s[28:29]
	s_andn2_b64 s[2:3], s[38:39], exec
	s_and_b64 s[12:13], s[36:37], exec
	v_lshrrev_b32_e32 v50, 16, v9
	s_or_b64 s[38:39], s[2:3], s[12:13]
.LBB68_247:                             ;   in Loop: Header=BB68_7 Depth=1
	s_or_b64 exec, exec, s[10:11]
	s_mov_b64 s[28:29], 0
	s_mov_b64 s[36:37], -1
.LBB68_248:                             ;   in Loop: Header=BB68_7 Depth=1
	v_readlane_b32 s94, v59, 29
	s_orn2_b64 s[10:11], s[38:39], exec
	v_readlane_b32 s95, v59, 30
.LBB68_249:                             ;   in Loop: Header=BB68_7 Depth=1
	s_or_b64 exec, exec, s[92:93]
	s_mov_b64 s[12:13], 0
	s_and_saveexec_b64 s[38:39], s[10:11]
	s_cbranch_execz .LBB68_260
; %bb.250:                              ;   in Loop: Header=BB68_7 Depth=1
	v_mov_b32_e32 v4, 1
	s_xor_b64 s[2:3], s[90:91], -1
	v_mov_b32_e32 v5, 0
	v_mov_b32_e32 v2, 1
	s_and_saveexec_b64 s[10:11], s[2:3]
	s_cbranch_execz .LBB68_259
; %bb.251:                              ;   in Loop: Header=BB68_7 Depth=1
	v_cmp_ge_i64_e32 vcc, s[14:15], v[6:7]
	s_and_saveexec_b64 s[2:3], vcc
	s_xor_b64 s[12:13], exec, s[2:3]
	s_cbranch_execz .LBB68_256
; %bb.252:                              ;   in Loop: Header=BB68_7 Depth=1
	ds_read_b64 v[4:5], v3 offset:5120
	v_or_b32_e32 v42, s16, v42
	v_or_b32_e32 v49, s16, v49
	s_waitcnt lgkmcnt(0)
	v_cmp_ne_u64_e32 vcc, 0, v[4:5]
	s_cbranch_vccnz .LBB68_256
; %bb.253:                              ;   in Loop: Header=BB68_7 Depth=1
	s_mov_b64 s[2:3], exec
	v_readlane_b32 s16, v59, 6
	v_readlane_b32 s17, v59, 7
	s_and_b64 s[16:17], s[2:3], s[16:17]
	s_mov_b64 exec, s[16:17]
; %bb.254:                              ;   in Loop: Header=BB68_7 Depth=1
	v_mov_b32_e32 v4, s14
	v_mov_b32_e32 v5, s15
	ds_write_b64 v3, v[4:5] offset:5128
; %bb.255:                              ;   in Loop: Header=BB68_7 Depth=1
	s_or_b64 exec, exec, s[2:3]
	s_waitcnt lgkmcnt(0)
	s_barrier
.LBB68_256:                             ;   in Loop: Header=BB68_7 Depth=1
	s_andn2_saveexec_b64 s[12:13], s[12:13]
; %bb.257:                              ;   in Loop: Header=BB68_7 Depth=1
	v_mov_b32_e32 v2, s15
	v_subrev_co_u32_e32 v6, vcc, s14, v6
	v_subb_co_u32_e32 v7, vcc, v7, v2, vcc
; %bb.258:                              ;   in Loop: Header=BB68_7 Depth=1
	s_or_b64 exec, exec, s[12:13]
	v_mov_b32_e32 v4, v6
	v_mov_b32_e32 v2, 8
	;; [unrolled: 1-line block ×3, first 2 shown]
.LBB68_259:                             ;   in Loop: Header=BB68_7 Depth=1
	s_or_b64 exec, exec, s[10:11]
	v_mov_b32_e32 v7, v5
	s_mov_b64 s[12:13], exec
	v_mov_b32_e32 v6, v4
.LBB68_260:                             ;   in Loop: Header=BB68_7 Depth=1
	s_or_b64 exec, exec, s[38:39]
	s_orn2_b64 s[10:11], s[12:13], exec
.LBB68_261:                             ;   in Loop: Header=BB68_7 Depth=1
	s_or_b64 exec, exec, s[26:27]
	s_andn2_b64 s[2:3], s[86:87], exec
	s_and_b64 s[12:13], s[36:37], exec
	s_or_b64 s[86:87], s[2:3], s[12:13]
	s_andn2_b64 s[2:3], s[84:85], exec
	s_and_b64 s[12:13], s[28:29], exec
	v_mov_b32_e32 v4, v6
	s_or_b64 s[84:85], s[2:3], s[12:13]
	s_and_b64 s[12:13], s[10:11], exec
	v_mov_b32_e32 v5, v7
.LBB68_262:                             ;   in Loop: Header=BB68_7 Depth=1
	s_or_b64 exec, exec, s[88:89]
	s_orn2_b64 s[10:11], s[12:13], exec
.LBB68_263:                             ;   in Loop: Header=BB68_7 Depth=1
	s_or_b64 exec, exec, s[82:83]
	s_andn2_b64 s[2:3], s[78:79], exec
	s_and_b64 s[12:13], s[86:87], exec
	s_or_b64 s[78:79], s[2:3], s[12:13]
	s_andn2_b64 s[2:3], s[6:7], exec
	s_and_b64 s[6:7], s[84:85], exec
	v_mov_b32_e32 v9, v5
	s_or_b64 s[6:7], s[2:3], s[6:7]
	s_and_b64 s[12:13], s[10:11], exec
	v_mov_b32_e32 v8, v4
.LBB68_264:                             ;   in Loop: Header=BB68_7 Depth=1
	s_or_b64 exec, exec, s[80:81]
	s_orn2_b64 s[10:11], s[12:13], exec
.LBB68_265:                             ;   in Loop: Header=BB68_7 Depth=1
	s_or_b64 exec, exec, s[22:23]
	s_mov_b64 s[12:13], 0
	s_and_saveexec_b64 s[2:3], s[10:11]
	s_xor_b64 s[10:11], exec, s[2:3]
	s_cbranch_execz .LBB68_5
; %bb.266:                              ;   in Loop: Header=BB68_7 Depth=1
	v_and_b32_e32 v2, 7, v2
	v_cmp_eq_u32_e32 vcc, 0, v2
	s_mov_b64 s[14:15], -1
	s_mov_b64 s[12:13], -1
	s_and_saveexec_b64 s[20:21], vcc
	s_cbranch_execz .LBB68_4
; %bb.267:                              ;   in Loop: Header=BB68_7 Depth=1
	s_xor_b32 s51, s51, 1
	s_add_i32 s16, s50, -2
	s_cmp_eq_u32 s50, 0
	s_cselect_b64 s[2:3], -1, 0
	s_xor_b64 s[12:13], exec, -1
	s_orn2_b64 s[14:15], s[2:3], exec
	s_mov_b32 s50, s16
	s_branch .LBB68_4
.LBB68_268:                             ;   in Loop: Header=BB68_7 Depth=1
                                        ; implicit-def: $sgpr10_sgpr11
	s_branch .LBB68_221
.LBB68_269:                             ;   in Loop: Header=BB68_7 Depth=1
                                        ; implicit-def: $sgpr10_sgpr11
	s_branch .LBB68_237
.LBB68_270:
	s_or_b64 exec, exec, s[64:65]
	s_xor_b64 s[2:3], s[70:71], -1
	s_xor_b64 s[0:1], s[66:67], -1
	;; [unrolled: 1-line block ×3, first 2 shown]
	s_mov_b64 s[6:7], 0
	s_and_saveexec_b64 s[4:5], s[0:1]
	s_xor_b64 s[4:5], exec, s[4:5]
	s_cbranch_execnz .LBB68_275
; %bb.271:
	s_andn2_saveexec_b64 s[0:1], s[4:5]
	s_cbranch_execnz .LBB68_297
.LBB68_272:
	s_or_b64 exec, exec, s[0:1]
	s_and_saveexec_b64 s[0:1], s[6:7]
.LBB68_273:
	; divergent unreachable
.LBB68_274:
	s_endpgm
.LBB68_275:
	s_and_saveexec_b64 s[0:1], s[2:3]
	s_xor_b64 s[6:7], exec, s[0:1]
	s_cbranch_execz .LBB68_295
; %bb.276:
	s_and_saveexec_b64 s[0:1], s[8:9]
	s_xor_b64 s[2:3], exec, s[0:1]
; %bb.277:
	v_and_b32_e32 v2, 0x8000, v42
	v_mov_b32_e32 v3, 0x8000
	v_mov_b32_e32 v4, 0xffff
	v_cmp_eq_u32_e32 vcc, 0, v2
	v_cndmask_b32_e32 v2, v3, v4, vcc
	v_xor_b32_e32 v50, v2, v42
; %bb.278:
	s_or_b64 exec, exec, s[2:3]
	s_mov_b64 s[2:3], exec
	v_readlane_b32 s0, v59, 6
	v_readlane_b32 s1, v59, 7
	s_and_b64 s[0:1], s[2:3], s[0:1]
	v_readlane_b32 s30, v59, 8
	v_readlane_b32 s31, v59, 9
	s_mov_b64 exec, s[0:1]
; %bb.279:
	v_mov_b32_e32 v2, 0
	v_mov_b32_e32 v3, s24
	ds_write_b32 v2, v3 offset:5140
; %bb.280:
	s_or_b64 exec, exec, s[2:3]
	s_waitcnt lgkmcnt(0)
	s_barrier
	s_mov_b64 s[8:9], exec
	v_readlane_b32 s0, v59, 14
	v_readlane_b32 s1, v59, 15
	s_and_b64 s[0:1], s[8:9], s[0:1]
	s_mov_b64 exec, s[0:1]
	s_cbranch_execz .LBB68_292
; %bb.281:
	v_mov_b32_e32 v2, 0
	ds_read_b32 v4, v2 offset:5140
	v_lshlrev_b32_e32 v6, 16, v50
	v_cmp_u_f32_e32 vcc, v6, v6
	s_mov_b64 s[10:11], 0
	s_xor_b64 s[12:13], vcc, -1
	s_waitcnt lgkmcnt(0)
	v_ashrrev_i32_e32 v5, 31, v4
                                        ; implicit-def: $sgpr14_sgpr15
                                        ; implicit-def: $sgpr16_sgpr17
                                        ; implicit-def: $sgpr18_sgpr19
	s_branch .LBB68_284
.LBB68_282:                             ;   in Loop: Header=BB68_284 Depth=1
	s_or_b64 exec, exec, s[28:29]
	s_andn2_b64 s[0:1], s[18:19], exec
	s_and_b64 s[2:3], s[22:23], exec
	s_or_b64 s[18:19], s[0:1], s[2:3]
	s_andn2_b64 s[0:1], s[16:17], exec
	s_and_b64 s[2:3], s[26:27], exec
	s_or_b64 s[16:17], s[0:1], s[2:3]
.LBB68_283:                             ;   in Loop: Header=BB68_284 Depth=1
	s_or_b64 exec, exec, s[20:21]
	s_and_b64 s[0:1], exec, s[16:17]
	s_or_b64 s[10:11], s[0:1], s[10:11]
	s_andn2_b64 s[0:1], s[14:15], exec
	s_and_b64 s[2:3], s[18:19], exec
	s_or_b64 s[14:15], s[0:1], s[2:3]
	s_andn2_b64 exec, exec, s[10:11]
	s_cbranch_execz .LBB68_287
.LBB68_284:                             ; =>This Inner Loop Header: Depth=1
	v_mov_b32_e32 v3, v1
	v_mov_b32_e32 v2, v0
	v_cmp_lt_i64_e32 vcc, v[2:3], v[4:5]
	s_or_b64 s[18:19], s[18:19], exec
	s_or_b64 s[16:17], s[16:17], exec
                                        ; implicit-def: $vgpr0_vgpr1
	s_and_saveexec_b64 s[20:21], vcc
	s_cbranch_execz .LBB68_283
; %bb.285:                              ;   in Loop: Header=BB68_284 Depth=1
	global_load_ushort v0, v[12:13], off
	s_mov_b64 s[26:27], -1
	s_mov_b64 s[22:23], 0
	s_waitcnt vmcnt(0)
	v_lshlrev_b32_e32 v0, 16, v0
	v_cmp_o_f32_e64 s[2:3], v0, v0
	v_cmp_neq_f32_e32 vcc, v0, v6
	s_or_b64 s[0:1], s[12:13], s[2:3]
	s_and_b64 s[0:1], vcc, s[0:1]
                                        ; implicit-def: $vgpr0_vgpr1
	s_and_saveexec_b64 s[28:29], s[0:1]
	s_cbranch_execz .LBB68_282
; %bb.286:                              ;   in Loop: Header=BB68_284 Depth=1
	v_add_co_u32_e32 v0, vcc, s33, v2
	v_addc_co_u32_e32 v1, vcc, 0, v3, vcc
	v_cmp_le_i64_e32 vcc, s[24:25], v[0:1]
	v_mov_b32_e32 v3, s45
	v_add_co_u32_e64 v12, s[2:3], s44, v12
	s_mov_b64 s[22:23], exec
	v_addc_co_u32_e64 v13, s[2:3], v13, v3, s[2:3]
	s_orn2_b64 s[26:27], vcc, exec
	s_branch .LBB68_282
.LBB68_287:
	s_or_b64 exec, exec, s[10:11]
	s_xor_b64 s[0:1], s[14:15], -1
	s_and_saveexec_b64 s[2:3], s[0:1]
	s_xor_b64 s[2:3], exec, s[2:3]
	s_cbranch_execz .LBB68_292
; %bb.288:
	s_mov_b64 s[2:3], exec
	s_brev_b32 s0, -2
.LBB68_289:                             ; =>This Inner Loop Header: Depth=1
	s_ff1_i32_b64 s1, s[2:3]
	v_readlane_b32 s12, v2, s1
	s_lshl_b64 s[10:11], 1, s1
	s_min_i32 s0, s0, s12
	s_andn2_b64 s[2:3], s[2:3], s[10:11]
	s_cmp_lg_u64 s[2:3], 0
	s_cbranch_scc1 .LBB68_289
; %bb.290:
	v_mbcnt_lo_u32_b32 v0, exec_lo, 0
	v_mbcnt_hi_u32_b32 v0, exec_hi, v0
	v_cmp_eq_u32_e32 vcc, 0, v0
	s_and_saveexec_b64 s[2:3], vcc
	s_xor_b64 s[2:3], exec, s[2:3]
; %bb.291:
	v_mov_b32_e32 v0, 0
	v_mov_b32_e32 v1, s0
	ds_min_i32 v0, v1 offset:5140
.LBB68_292:
	s_or_b64 exec, exec, s[8:9]
	s_waitcnt lgkmcnt(0)
	s_barrier
	s_mov_b64 s[2:3], exec
	v_readlane_b32 s0, v59, 6
	v_readlane_b32 s1, v59, 7
	s_and_b64 s[0:1], s[2:3], s[0:1]
	s_mov_b64 exec, s[0:1]
	s_cbranch_execz .LBB68_294
; %bb.293:
	v_readlane_b32 s8, v59, 2
	v_readlane_b32 s9, v59, 3
	;; [unrolled: 1-line block ×3, first 2 shown]
	s_mul_i32 s0, s9, s30
	s_mul_hi_u32 s1, s8, s30
	v_readlane_b32 s11, v59, 1
	v_mov_b32_e32 v2, 0
	s_add_i32 s1, s1, s0
	s_mul_i32 s0, s8, s30
	s_mul_i32 s8, s11, s30
	s_mul_hi_u32 s9, s10, s30
	ds_read_b32 v0, v2 offset:5140
	s_add_i32 s9, s9, s8
	s_mul_i32 s8, s10, s30
	s_lshl_b64 s[0:1], s[0:1], 1
	v_readlane_b32 s10, v59, 4
	v_readlane_b32 s11, v59, 5
	s_add_u32 s0, s10, s0
	s_addc_u32 s1, s11, s1
	s_lshl_b64 s[8:9], s[8:9], 3
	s_add_u32 s8, s94, s8
	s_addc_u32 s9, s95, s9
	s_waitcnt lgkmcnt(0)
	v_ashrrev_i32_e32 v1, 31, v0
	global_store_dwordx2 v2, v[0:1], s[8:9]
	global_store_short v2, v50, s[0:1]
.LBB68_294:
	s_or_b64 exec, exec, s[2:3]
.LBB68_295:
	s_or_saveexec_b64 s[0:1], s[6:7]
	s_mov_b64 s[2:3], 0
	s_xor_b64 exec, exec, s[0:1]
	s_cbranch_execnz .LBB68_298
.LBB68_296:
	s_or_b64 exec, exec, s[0:1]
	s_and_b64 s[6:7], s[2:3], exec
	s_andn2_saveexec_b64 s[0:1], s[4:5]
	s_cbranch_execz .LBB68_272
.LBB68_297:
	s_or_b64 s[6:7], s[6:7], exec
	s_trap 2
	s_or_b64 exec, exec, s[0:1]
	s_and_saveexec_b64 s[0:1], s[6:7]
	s_cbranch_execnz .LBB68_273
	s_branch .LBB68_274
.LBB68_298:
	s_mov_b64 s[2:3], exec
	s_trap 2
	s_branch .LBB68_296
	.section	.rodata,"a",@progbits
	.p2align	6, 0x0
	.amdhsa_kernel _ZN2at6native12_GLOBAL__N_114gatherKthValueIN3c108BFloat16ElLi1EEEvNS_4cuda6detail10TensorInfoIKT_T0_EESA_SA_SA_SA_NS7_IS8_SA_EENS7_IlSA_EE
		.amdhsa_group_segment_fixed_size 5144
		.amdhsa_private_segment_fixed_size 0
		.amdhsa_kernarg_size 1536
		.amdhsa_user_sgpr_count 6
		.amdhsa_user_sgpr_private_segment_buffer 1
		.amdhsa_user_sgpr_dispatch_ptr 0
		.amdhsa_user_sgpr_queue_ptr 0
		.amdhsa_user_sgpr_kernarg_segment_ptr 1
		.amdhsa_user_sgpr_dispatch_id 0
		.amdhsa_user_sgpr_flat_scratch_init 0
		.amdhsa_user_sgpr_private_segment_size 0
		.amdhsa_uses_dynamic_stack 0
		.amdhsa_system_sgpr_private_segment_wavefront_offset 0
		.amdhsa_system_sgpr_workgroup_id_x 1
		.amdhsa_system_sgpr_workgroup_id_y 1
		.amdhsa_system_sgpr_workgroup_id_z 1
		.amdhsa_system_sgpr_workgroup_info 0
		.amdhsa_system_vgpr_workitem_id 0
		.amdhsa_next_free_vgpr 60
		.amdhsa_next_free_sgpr 96
		.amdhsa_reserve_vcc 1
		.amdhsa_reserve_flat_scratch 0
		.amdhsa_float_round_mode_32 0
		.amdhsa_float_round_mode_16_64 0
		.amdhsa_float_denorm_mode_32 3
		.amdhsa_float_denorm_mode_16_64 3
		.amdhsa_dx10_clamp 1
		.amdhsa_ieee_mode 1
		.amdhsa_fp16_overflow 0
		.amdhsa_exception_fp_ieee_invalid_op 0
		.amdhsa_exception_fp_denorm_src 0
		.amdhsa_exception_fp_ieee_div_zero 0
		.amdhsa_exception_fp_ieee_overflow 0
		.amdhsa_exception_fp_ieee_underflow 0
		.amdhsa_exception_fp_ieee_inexact 0
		.amdhsa_exception_int_div_zero 0
	.end_amdhsa_kernel
	.section	.text._ZN2at6native12_GLOBAL__N_114gatherKthValueIN3c108BFloat16ElLi1EEEvNS_4cuda6detail10TensorInfoIKT_T0_EESA_SA_SA_SA_NS7_IS8_SA_EENS7_IlSA_EE,"axG",@progbits,_ZN2at6native12_GLOBAL__N_114gatherKthValueIN3c108BFloat16ElLi1EEEvNS_4cuda6detail10TensorInfoIKT_T0_EESA_SA_SA_SA_NS7_IS8_SA_EENS7_IlSA_EE,comdat
.Lfunc_end68:
	.size	_ZN2at6native12_GLOBAL__N_114gatherKthValueIN3c108BFloat16ElLi1EEEvNS_4cuda6detail10TensorInfoIKT_T0_EESA_SA_SA_SA_NS7_IS8_SA_EENS7_IlSA_EE, .Lfunc_end68-_ZN2at6native12_GLOBAL__N_114gatherKthValueIN3c108BFloat16ElLi1EEEvNS_4cuda6detail10TensorInfoIKT_T0_EESA_SA_SA_SA_NS7_IS8_SA_EENS7_IlSA_EE
                                        ; -- End function
	.set _ZN2at6native12_GLOBAL__N_114gatherKthValueIN3c108BFloat16ElLi1EEEvNS_4cuda6detail10TensorInfoIKT_T0_EESA_SA_SA_SA_NS7_IS8_SA_EENS7_IlSA_EE.num_vgpr, 60
	.set _ZN2at6native12_GLOBAL__N_114gatherKthValueIN3c108BFloat16ElLi1EEEvNS_4cuda6detail10TensorInfoIKT_T0_EESA_SA_SA_SA_NS7_IS8_SA_EENS7_IlSA_EE.num_agpr, 0
	.set _ZN2at6native12_GLOBAL__N_114gatherKthValueIN3c108BFloat16ElLi1EEEvNS_4cuda6detail10TensorInfoIKT_T0_EESA_SA_SA_SA_NS7_IS8_SA_EENS7_IlSA_EE.numbered_sgpr, 96
	.set _ZN2at6native12_GLOBAL__N_114gatherKthValueIN3c108BFloat16ElLi1EEEvNS_4cuda6detail10TensorInfoIKT_T0_EESA_SA_SA_SA_NS7_IS8_SA_EENS7_IlSA_EE.num_named_barrier, 0
	.set _ZN2at6native12_GLOBAL__N_114gatherKthValueIN3c108BFloat16ElLi1EEEvNS_4cuda6detail10TensorInfoIKT_T0_EESA_SA_SA_SA_NS7_IS8_SA_EENS7_IlSA_EE.private_seg_size, 0
	.set _ZN2at6native12_GLOBAL__N_114gatherKthValueIN3c108BFloat16ElLi1EEEvNS_4cuda6detail10TensorInfoIKT_T0_EESA_SA_SA_SA_NS7_IS8_SA_EENS7_IlSA_EE.uses_vcc, 1
	.set _ZN2at6native12_GLOBAL__N_114gatherKthValueIN3c108BFloat16ElLi1EEEvNS_4cuda6detail10TensorInfoIKT_T0_EESA_SA_SA_SA_NS7_IS8_SA_EENS7_IlSA_EE.uses_flat_scratch, 0
	.set _ZN2at6native12_GLOBAL__N_114gatherKthValueIN3c108BFloat16ElLi1EEEvNS_4cuda6detail10TensorInfoIKT_T0_EESA_SA_SA_SA_NS7_IS8_SA_EENS7_IlSA_EE.has_dyn_sized_stack, 0
	.set _ZN2at6native12_GLOBAL__N_114gatherKthValueIN3c108BFloat16ElLi1EEEvNS_4cuda6detail10TensorInfoIKT_T0_EESA_SA_SA_SA_NS7_IS8_SA_EENS7_IlSA_EE.has_recursion, 0
	.set _ZN2at6native12_GLOBAL__N_114gatherKthValueIN3c108BFloat16ElLi1EEEvNS_4cuda6detail10TensorInfoIKT_T0_EESA_SA_SA_SA_NS7_IS8_SA_EENS7_IlSA_EE.has_indirect_call, 0
	.section	.AMDGPU.csdata,"",@progbits
; Kernel info:
; codeLenInByte = 16448
; TotalNumSgprs: 100
; NumVgprs: 60
; ScratchSize: 0
; MemoryBound: 0
; FloatMode: 240
; IeeeMode: 1
; LDSByteSize: 5144 bytes/workgroup (compile time only)
; SGPRBlocks: 12
; VGPRBlocks: 14
; NumSGPRsForWavesPerEU: 100
; NumVGPRsForWavesPerEU: 60
; Occupancy: 4
; WaveLimiterHint : 1
; COMPUTE_PGM_RSRC2:SCRATCH_EN: 0
; COMPUTE_PGM_RSRC2:USER_SGPR: 6
; COMPUTE_PGM_RSRC2:TRAP_HANDLER: 0
; COMPUTE_PGM_RSRC2:TGID_X_EN: 1
; COMPUTE_PGM_RSRC2:TGID_Y_EN: 1
; COMPUTE_PGM_RSRC2:TGID_Z_EN: 1
; COMPUTE_PGM_RSRC2:TIDIG_COMP_CNT: 0
	.section	.text._ZN2at6native12_GLOBAL__N_114gatherKthValueIN3c108BFloat16ElLi2EEEvNS_4cuda6detail10TensorInfoIKT_T0_EESA_SA_SA_SA_NS7_IS8_SA_EENS7_IlSA_EE,"axG",@progbits,_ZN2at6native12_GLOBAL__N_114gatherKthValueIN3c108BFloat16ElLi2EEEvNS_4cuda6detail10TensorInfoIKT_T0_EESA_SA_SA_SA_NS7_IS8_SA_EENS7_IlSA_EE,comdat
	.globl	_ZN2at6native12_GLOBAL__N_114gatherKthValueIN3c108BFloat16ElLi2EEEvNS_4cuda6detail10TensorInfoIKT_T0_EESA_SA_SA_SA_NS7_IS8_SA_EENS7_IlSA_EE ; -- Begin function _ZN2at6native12_GLOBAL__N_114gatherKthValueIN3c108BFloat16ElLi2EEEvNS_4cuda6detail10TensorInfoIKT_T0_EESA_SA_SA_SA_NS7_IS8_SA_EENS7_IlSA_EE
	.p2align	8
	.type	_ZN2at6native12_GLOBAL__N_114gatherKthValueIN3c108BFloat16ElLi2EEEvNS_4cuda6detail10TensorInfoIKT_T0_EESA_SA_SA_SA_NS7_IS8_SA_EENS7_IlSA_EE,@function
_ZN2at6native12_GLOBAL__N_114gatherKthValueIN3c108BFloat16ElLi2EEEvNS_4cuda6detail10TensorInfoIKT_T0_EESA_SA_SA_SA_NS7_IS8_SA_EENS7_IlSA_EE: ; @_ZN2at6native12_GLOBAL__N_114gatherKthValueIN3c108BFloat16ElLi2EEEvNS_4cuda6detail10TensorInfoIKT_T0_EESA_SA_SA_SA_NS7_IS8_SA_EENS7_IlSA_EE
; %bb.0:
	s_load_dwordx2 s[14:15], s[4:5], 0x500
	s_load_dwordx8 s[24:31], s[4:5], 0x1a0
	s_add_u32 s12, s4, 0x500
	s_addc_u32 s13, s5, 0
	s_mov_b32 s67, 0
	s_waitcnt lgkmcnt(0)
	s_mul_i32 s0, s15, s8
	s_add_i32 s0, s0, s7
	s_mul_i32 s0, s0, s14
	s_add_i32 s66, s0, s6
	v_mov_b32_e32 v1, s66
	v_mov_b32_e32 v2, s67
	v_cmp_le_i64_e32 vcc, s[28:29], v[1:2]
	s_cbranch_vccnz .LBB69_283
; %bb.1:
	s_load_dwordx2 s[2:3], s[4:5], 0x10
	s_load_dwordx2 s[0:1], s[4:5], 0x1d0
                                        ; implicit-def: $vgpr61 : SGPR spill to VGPR lane
	s_waitcnt lgkmcnt(0)
	v_writelane_b32 v61, s0, 0
	v_writelane_b32 v61, s1, 1
	s_mov_b32 s0, s67
	s_mov_b32 s1, s3
	s_cmp_lg_u64 s[0:1], 0
	s_cbranch_scc0 .LBB69_296
; %bb.2:
	s_ashr_i32 s0, s3, 31
	s_add_u32 s8, s2, s0
	s_mov_b32 s1, s0
	s_addc_u32 s9, s3, s0
	s_xor_b64 s[10:11], s[8:9], s[0:1]
	v_cvt_f32_u32_e32 v1, s10
	v_cvt_f32_u32_e32 v2, s11
	s_sub_u32 s7, 0, s10
	s_subb_u32 s15, 0, s11
	v_madmk_f32 v1, v2, 0x4f800000, v1
	v_rcp_f32_e32 v1, v1
	v_mul_f32_e32 v1, 0x5f7ffffc, v1
	v_mul_f32_e32 v2, 0x2f800000, v1
	v_trunc_f32_e32 v2, v2
	v_madmk_f32 v1, v2, 0xcf800000, v1
	v_cvt_u32_f32_e32 v2, v2
	v_cvt_u32_f32_e32 v1, v1
	v_readfirstlane_b32 s18, v2
	v_readfirstlane_b32 s16, v1
	s_mul_i32 s17, s7, s18
	s_mul_hi_u32 s20, s7, s16
	s_mul_i32 s19, s15, s16
	s_add_i32 s17, s20, s17
	s_add_i32 s17, s17, s19
	s_mul_i32 s21, s7, s16
	s_mul_i32 s20, s16, s17
	s_mul_hi_u32 s22, s16, s21
	s_mul_hi_u32 s19, s16, s17
	s_add_u32 s20, s22, s20
	s_addc_u32 s19, 0, s19
	s_mul_hi_u32 s23, s18, s21
	s_mul_i32 s21, s18, s21
	s_add_u32 s20, s20, s21
	s_mul_hi_u32 s22, s18, s17
	s_addc_u32 s19, s19, s23
	s_addc_u32 s20, s22, 0
	s_mul_i32 s17, s18, s17
	s_add_u32 s17, s19, s17
	s_addc_u32 s19, 0, s20
	s_add_u32 s20, s16, s17
	s_cselect_b64 s[16:17], -1, 0
	s_cmp_lg_u64 s[16:17], 0
	s_addc_u32 s18, s18, s19
	s_mul_i32 s16, s7, s18
	s_mul_hi_u32 s17, s7, s20
	s_add_i32 s16, s17, s16
	s_mul_i32 s15, s15, s20
	s_add_i32 s16, s16, s15
	s_mul_i32 s7, s7, s20
	s_mul_hi_u32 s17, s18, s7
	s_mul_i32 s19, s18, s7
	s_mul_i32 s22, s20, s16
	s_mul_hi_u32 s7, s20, s7
	s_mul_hi_u32 s21, s20, s16
	s_add_u32 s7, s7, s22
	s_addc_u32 s21, 0, s21
	s_add_u32 s7, s7, s19
	s_mul_hi_u32 s15, s18, s16
	s_addc_u32 s7, s21, s17
	s_addc_u32 s15, s15, 0
	s_mul_i32 s16, s18, s16
	s_add_u32 s7, s7, s16
	s_addc_u32 s15, 0, s15
	s_add_u32 s7, s20, s7
	s_cselect_b64 s[16:17], -1, 0
	s_cmp_lg_u64 s[16:17], 0
	s_addc_u32 s15, s18, s15
	s_add_u32 s16, s66, 0
	s_addc_u32 s17, 0, 0
	s_xor_b64 s[16:17], s[16:17], 0
	s_mul_i32 s19, s16, s15
	s_mul_hi_u32 s20, s16, s7
	s_mul_hi_u32 s18, s16, s15
	s_add_u32 s19, s20, s19
	s_addc_u32 s18, 0, s18
	s_mul_hi_u32 s21, s17, s7
	s_mul_i32 s7, s17, s7
	s_add_u32 s7, s19, s7
	s_mul_hi_u32 s20, s17, s15
	s_addc_u32 s7, s18, s21
	s_addc_u32 s18, s20, 0
	s_mul_i32 s15, s17, s15
	s_add_u32 s7, s7, s15
	s_addc_u32 s15, 0, s18
	s_mul_i32 s18, s10, s15
	s_mul_hi_u32 s19, s10, s7
	s_add_i32 s18, s19, s18
	s_mul_i32 s19, s11, s7
	s_add_i32 s22, s18, s19
	s_sub_i32 s20, s17, s22
	s_mul_i32 s18, s10, s7
	s_sub_u32 s16, s16, s18
	s_cselect_b64 s[18:19], -1, 0
	s_cmp_lg_u64 s[18:19], 0
	s_subb_u32 s23, s20, s11
	s_sub_u32 s28, s16, s10
	s_cselect_b64 s[20:21], -1, 0
	s_cmp_lg_u64 s[20:21], 0
	s_subb_u32 s20, s23, 0
	s_cmp_ge_u32 s20, s11
	s_cselect_b32 s21, -1, 0
	s_cmp_ge_u32 s28, s10
	s_cselect_b32 s23, -1, 0
	s_cmp_eq_u32 s20, s11
	s_cselect_b32 s20, s23, s21
	s_add_u32 s21, s7, 1
	s_addc_u32 s23, s15, 0
	s_add_u32 s28, s7, 2
	s_addc_u32 s29, s15, 0
	s_cmp_lg_u32 s20, 0
	s_cselect_b32 s20, s28, s21
	s_cselect_b32 s21, s29, s23
	s_cmp_lg_u64 s[18:19], 0
	s_subb_u32 s17, s17, s22
	s_cmp_ge_u32 s17, s11
	s_cselect_b32 s18, -1, 0
	s_cmp_ge_u32 s16, s10
	s_cselect_b32 s10, -1, 0
	s_cmp_eq_u32 s17, s11
	s_cselect_b32 s10, s10, s18
	s_cmp_lg_u32 s10, 0
	s_cselect_b32 s11, s21, s15
	s_cselect_b32 s10, s20, s7
	s_xor_b64 s[0:1], 0, s[0:1]
	s_xor_b64 s[10:11], s[10:11], s[0:1]
	s_sub_u32 s16, s10, s0
	s_subb_u32 s17, s11, s1
	s_cbranch_execnz .LBB69_4
.LBB69_3:
	v_cvt_f32_u32_e32 v1, s2
	s_sub_i32 s0, 0, s2
	s_mov_b32 s17, 0
	v_rcp_iflag_f32_e32 v1, v1
	v_mul_f32_e32 v1, 0x4f7ffffe, v1
	v_cvt_u32_f32_e32 v1, v1
	v_readfirstlane_b32 s1, v1
	s_mul_i32 s0, s0, s1
	s_mul_hi_u32 s0, s1, s0
	s_add_i32 s1, s1, s0
	s_mul_hi_u32 s0, s66, s1
	s_mul_i32 s7, s0, s2
	s_sub_i32 s7, s66, s7
	s_add_i32 s1, s0, 1
	s_sub_i32 s8, s7, s2
	s_cmp_ge_u32 s7, s2
	s_cselect_b32 s0, s1, s0
	s_cselect_b32 s7, s8, s7
	s_add_i32 s1, s0, 1
	s_cmp_ge_u32 s7, s2
	s_cselect_b32 s16, s1, s0
.LBB69_4:
	s_load_dwordx2 s[0:1], s[4:5], 0x370
	s_load_dwordx2 s[8:9], s[4:5], 0x1d0
	s_waitcnt lgkmcnt(0)
	v_writelane_b32 v61, s0, 2
	v_writelane_b32 v61, s1, 3
	s_mov_b32 s0, 0
	s_mov_b32 s1, s9
	s_cmp_lg_u64 s[0:1], 0
	s_cbranch_scc0 .LBB69_297
; %bb.5:
	s_ashr_i32 s0, s9, 31
	s_add_u32 s8, s8, s0
	s_mov_b32 s1, s0
	s_addc_u32 s9, s9, s0
	s_xor_b64 s[10:11], s[8:9], s[0:1]
	v_cvt_f32_u32_e32 v1, s10
	v_cvt_f32_u32_e32 v2, s11
	s_sub_u32 s7, 0, s10
	s_subb_u32 s15, 0, s11
	v_madmk_f32 v1, v2, 0x4f800000, v1
	v_rcp_f32_e32 v1, v1
	v_mul_f32_e32 v1, 0x5f7ffffc, v1
	v_mul_f32_e32 v2, 0x2f800000, v1
	v_trunc_f32_e32 v2, v2
	v_madmk_f32 v1, v2, 0xcf800000, v1
	v_cvt_u32_f32_e32 v2, v2
	v_cvt_u32_f32_e32 v1, v1
	v_readfirstlane_b32 s20, v2
	v_readfirstlane_b32 s18, v1
	s_mul_i32 s19, s7, s20
	s_mul_hi_u32 s22, s7, s18
	s_mul_i32 s21, s15, s18
	s_add_i32 s19, s22, s19
	s_add_i32 s19, s19, s21
	s_mul_i32 s23, s7, s18
	s_mul_i32 s22, s18, s19
	s_mul_hi_u32 s28, s18, s23
	s_mul_hi_u32 s21, s18, s19
	s_add_u32 s22, s28, s22
	s_addc_u32 s21, 0, s21
	s_mul_hi_u32 s29, s20, s23
	s_mul_i32 s23, s20, s23
	s_add_u32 s22, s22, s23
	s_mul_hi_u32 s28, s20, s19
	s_addc_u32 s21, s21, s29
	s_addc_u32 s22, s28, 0
	s_mul_i32 s19, s20, s19
	s_add_u32 s19, s21, s19
	s_addc_u32 s21, 0, s22
	s_add_u32 s22, s18, s19
	s_cselect_b64 s[18:19], -1, 0
	s_cmp_lg_u64 s[18:19], 0
	s_addc_u32 s20, s20, s21
	s_mul_i32 s18, s7, s20
	s_mul_hi_u32 s19, s7, s22
	s_add_i32 s18, s19, s18
	s_mul_i32 s15, s15, s22
	s_add_i32 s18, s18, s15
	s_mul_i32 s7, s7, s22
	s_mul_hi_u32 s19, s20, s7
	s_mul_i32 s21, s20, s7
	s_mul_i32 s28, s22, s18
	s_mul_hi_u32 s7, s22, s7
	s_mul_hi_u32 s23, s22, s18
	s_add_u32 s7, s7, s28
	s_addc_u32 s23, 0, s23
	s_add_u32 s7, s7, s21
	s_mul_hi_u32 s15, s20, s18
	s_addc_u32 s7, s23, s19
	s_addc_u32 s15, s15, 0
	s_mul_i32 s18, s20, s18
	s_add_u32 s7, s7, s18
	s_addc_u32 s15, 0, s15
	s_add_u32 s7, s22, s7
	s_cselect_b64 s[18:19], -1, 0
	s_cmp_lg_u64 s[18:19], 0
	s_addc_u32 s15, s20, s15
	s_add_u32 s18, s66, 0
	s_addc_u32 s19, 0, 0
	s_xor_b64 s[18:19], s[18:19], 0
	s_mul_i32 s21, s18, s15
	s_mul_hi_u32 s22, s18, s7
	s_mul_hi_u32 s20, s18, s15
	s_add_u32 s21, s22, s21
	s_addc_u32 s20, 0, s20
	s_mul_hi_u32 s23, s19, s7
	s_mul_i32 s7, s19, s7
	s_add_u32 s7, s21, s7
	s_mul_hi_u32 s22, s19, s15
	s_addc_u32 s7, s20, s23
	s_addc_u32 s20, s22, 0
	s_mul_i32 s15, s19, s15
	s_add_u32 s7, s7, s15
	s_addc_u32 s15, 0, s20
	s_mul_i32 s20, s10, s15
	s_mul_hi_u32 s21, s10, s7
	s_add_i32 s20, s21, s20
	s_mul_i32 s21, s11, s7
	s_add_i32 s28, s20, s21
	s_sub_i32 s22, s19, s28
	s_mul_i32 s20, s10, s7
	s_sub_u32 s18, s18, s20
	s_cselect_b64 s[20:21], -1, 0
	s_cmp_lg_u64 s[20:21], 0
	s_subb_u32 s29, s22, s11
	s_sub_u32 s33, s18, s10
	s_cselect_b64 s[22:23], -1, 0
	s_cmp_lg_u64 s[22:23], 0
	s_subb_u32 s22, s29, 0
	s_cmp_ge_u32 s22, s11
	s_cselect_b32 s23, -1, 0
	s_cmp_ge_u32 s33, s10
	s_cselect_b32 s29, -1, 0
	s_cmp_eq_u32 s22, s11
	s_cselect_b32 s22, s29, s23
	s_add_u32 s23, s7, 1
	s_addc_u32 s29, s15, 0
	s_add_u32 s33, s7, 2
	s_addc_u32 s34, s15, 0
	s_cmp_lg_u32 s22, 0
	s_cselect_b32 s22, s33, s23
	s_cselect_b32 s23, s34, s29
	s_cmp_lg_u64 s[20:21], 0
	s_subb_u32 s19, s19, s28
	s_cmp_ge_u32 s19, s11
	s_cselect_b32 s20, -1, 0
	s_cmp_ge_u32 s18, s10
	s_cselect_b32 s10, -1, 0
	s_cmp_eq_u32 s19, s11
	s_cselect_b32 s10, s10, s20
	s_cmp_lg_u32 s10, 0
	s_cselect_b32 s11, s23, s15
	s_cselect_b32 s10, s22, s7
	s_xor_b64 s[0:1], 0, s[0:1]
	s_xor_b64 s[10:11], s[10:11], s[0:1]
	s_sub_u32 s0, s10, s0
	s_subb_u32 s1, s11, s1
	v_writelane_b32 v61, s0, 4
	v_writelane_b32 v61, s1, 5
	s_cbranch_execnz .LBB69_7
.LBB69_6:
	s_load_dwordx2 s[10:11], s[4:5], 0x1d0
	s_mov_b32 s9, 0
	s_waitcnt lgkmcnt(0)
	v_cvt_f32_u32_e32 v1, s10
	s_sub_i32 s0, 0, s10
	v_rcp_iflag_f32_e32 v1, v1
	v_mul_f32_e32 v1, 0x4f7ffffe, v1
	v_cvt_u32_f32_e32 v1, v1
	v_readfirstlane_b32 s1, v1
	s_mul_i32 s0, s0, s1
	s_mul_hi_u32 s0, s1, s0
	s_add_i32 s1, s1, s0
	s_mul_hi_u32 s0, s66, s1
	s_mul_i32 s7, s0, s10
	s_sub_i32 s7, s66, s7
	s_add_i32 s1, s0, 1
	s_sub_i32 s8, s7, s10
	s_cmp_ge_u32 s7, s10
	s_cselect_b32 s0, s1, s0
	s_cselect_b32 s7, s8, s7
	s_add_i32 s1, s0, 1
	s_cmp_ge_u32 s7, s10
	s_cselect_b32 s8, s1, s0
	v_writelane_b32 v61, s8, 4
	v_writelane_b32 v61, s9, 5
.LBB69_7:
	s_load_dwordx2 s[8:9], s[4:5], 0x370
	s_mov_b32 s0, 0
	s_waitcnt lgkmcnt(0)
	s_mov_b32 s1, s9
	s_cmp_lg_u64 s[0:1], 0
	s_cbranch_scc0 .LBB69_298
; %bb.8:
	s_load_dwordx2 s[0:1], s[4:5], 0x370
	s_load_dwordx2 s[10:11], s[4:5], 0x370
	s_waitcnt lgkmcnt(0)
	s_ashr_i32 s8, s1, 31
	s_load_dwordx2 s[0:1], s[4:5], 0x370
	s_mov_b32 s9, s8
	s_waitcnt lgkmcnt(0)
	s_add_u32 s0, s0, s8
	s_addc_u32 s1, s11, s8
	s_xor_b64 s[10:11], s[0:1], s[8:9]
	v_cvt_f32_u32_e32 v1, s10
	v_cvt_f32_u32_e32 v2, s11
	s_sub_u32 s7, 0, s10
	s_subb_u32 s15, 0, s11
	v_madmk_f32 v1, v2, 0x4f800000, v1
	v_rcp_f32_e32 v1, v1
	v_mul_f32_e32 v1, 0x5f7ffffc, v1
	v_mul_f32_e32 v2, 0x2f800000, v1
	v_trunc_f32_e32 v2, v2
	v_madmk_f32 v1, v2, 0xcf800000, v1
	v_cvt_u32_f32_e32 v2, v2
	v_cvt_u32_f32_e32 v1, v1
	v_readfirstlane_b32 s20, v2
	v_readfirstlane_b32 s18, v1
	s_mul_i32 s19, s7, s20
	s_mul_hi_u32 s22, s7, s18
	s_mul_i32 s21, s15, s18
	s_add_i32 s19, s22, s19
	s_add_i32 s19, s19, s21
	s_mul_i32 s23, s7, s18
	s_mul_i32 s22, s18, s19
	s_mul_hi_u32 s28, s18, s23
	s_mul_hi_u32 s21, s18, s19
	s_add_u32 s22, s28, s22
	s_addc_u32 s21, 0, s21
	s_mul_hi_u32 s29, s20, s23
	s_mul_i32 s23, s20, s23
	s_add_u32 s22, s22, s23
	s_mul_hi_u32 s28, s20, s19
	s_addc_u32 s21, s21, s29
	s_addc_u32 s22, s28, 0
	s_mul_i32 s19, s20, s19
	s_add_u32 s19, s21, s19
	s_addc_u32 s21, 0, s22
	s_add_u32 s22, s18, s19
	s_cselect_b64 s[18:19], -1, 0
	s_cmp_lg_u64 s[18:19], 0
	s_addc_u32 s20, s20, s21
	s_mul_i32 s18, s7, s20
	s_mul_hi_u32 s19, s7, s22
	s_add_i32 s18, s19, s18
	s_mul_i32 s15, s15, s22
	s_add_i32 s18, s18, s15
	s_mul_i32 s7, s7, s22
	s_mul_hi_u32 s19, s20, s7
	s_mul_i32 s21, s20, s7
	s_mul_i32 s28, s22, s18
	s_mul_hi_u32 s7, s22, s7
	s_mul_hi_u32 s23, s22, s18
	s_add_u32 s7, s7, s28
	s_addc_u32 s23, 0, s23
	s_add_u32 s7, s7, s21
	s_mul_hi_u32 s15, s20, s18
	s_addc_u32 s7, s23, s19
	s_addc_u32 s15, s15, 0
	s_mul_i32 s18, s20, s18
	s_add_u32 s7, s7, s18
	s_addc_u32 s15, 0, s15
	s_add_u32 s7, s22, s7
	s_cselect_b64 s[18:19], -1, 0
	s_cmp_lg_u64 s[18:19], 0
	s_addc_u32 s15, s20, s15
	s_add_u32 s18, s66, 0
	s_addc_u32 s19, 0, 0
	s_xor_b64 s[18:19], s[18:19], 0
	s_mul_i32 s21, s18, s15
	s_mul_hi_u32 s22, s18, s7
	s_mul_hi_u32 s20, s18, s15
	s_add_u32 s21, s22, s21
	s_addc_u32 s20, 0, s20
	s_mul_hi_u32 s23, s19, s7
	s_mul_i32 s7, s19, s7
	s_add_u32 s7, s21, s7
	s_mul_hi_u32 s22, s19, s15
	s_addc_u32 s7, s20, s23
	s_addc_u32 s20, s22, 0
	s_mul_i32 s15, s19, s15
	s_add_u32 s7, s7, s15
	s_addc_u32 s15, 0, s20
	s_mul_i32 s20, s10, s15
	s_mul_hi_u32 s21, s10, s7
	s_add_i32 s20, s21, s20
	s_mul_i32 s21, s11, s7
	s_add_i32 s28, s20, s21
	s_sub_i32 s22, s19, s28
	s_mul_i32 s20, s10, s7
	s_sub_u32 s18, s18, s20
	s_cselect_b64 s[20:21], -1, 0
	s_cmp_lg_u64 s[20:21], 0
	s_subb_u32 s29, s22, s11
	s_sub_u32 s33, s18, s10
	s_cselect_b64 s[22:23], -1, 0
	s_cmp_lg_u64 s[22:23], 0
	s_subb_u32 s22, s29, 0
	s_cmp_ge_u32 s22, s11
	s_cselect_b32 s23, -1, 0
	s_cmp_ge_u32 s33, s10
	s_cselect_b32 s29, -1, 0
	s_cmp_eq_u32 s22, s11
	s_cselect_b32 s22, s29, s23
	s_add_u32 s23, s7, 1
	s_addc_u32 s29, s15, 0
	s_add_u32 s33, s7, 2
	s_addc_u32 s34, s15, 0
	s_cmp_lg_u32 s22, 0
	s_cselect_b32 s22, s33, s23
	s_cselect_b32 s23, s34, s29
	s_cmp_lg_u64 s[20:21], 0
	s_subb_u32 s19, s19, s28
	s_cmp_ge_u32 s19, s11
	s_cselect_b32 s20, -1, 0
	s_cmp_ge_u32 s18, s10
	s_cselect_b32 s10, -1, 0
	s_cmp_eq_u32 s19, s11
	s_cselect_b32 s10, s10, s20
	s_cmp_lg_u32 s10, 0
	s_cselect_b32 s11, s23, s15
	s_cselect_b32 s10, s22, s7
	s_xor_b64 s[8:9], 0, s[8:9]
	s_xor_b64 s[10:11], s[10:11], s[8:9]
	s_sub_u32 s8, s10, s8
	s_subb_u32 s9, s11, s9
	v_writelane_b32 v61, s8, 6
	v_writelane_b32 v61, s9, 7
	s_load_dwordx2 s[8:9], s[4:5], 0x370
	s_load_dwordx2 s[18:19], s[4:5], 0x0
	s_cbranch_execnz .LBB69_10
.LBB69_9:
	s_waitcnt lgkmcnt(0)
	v_cvt_f32_u32_e32 v1, s8
	s_sub_i32 s0, 0, s8
	s_mov_b32 s21, 0
	s_load_dwordx2 s[10:11], s[4:5], 0x370
	v_rcp_iflag_f32_e32 v1, v1
	v_mul_f32_e32 v1, 0x4f7ffffe, v1
	v_cvt_u32_f32_e32 v1, v1
	v_readfirstlane_b32 s1, v1
	s_mul_i32 s0, s0, s1
	s_mul_hi_u32 s0, s1, s0
	s_add_i32 s1, s1, s0
	s_mul_hi_u32 s0, s66, s1
	s_mul_i32 s7, s0, s8
	s_load_dwordx2 s[8:9], s[4:5], 0x370
	s_sub_i32 s7, s66, s7
	s_add_i32 s1, s0, 1
	s_waitcnt lgkmcnt(0)
	s_sub_i32 s8, s7, s8
	s_cmp_ge_u32 s7, s10
	s_cselect_b32 s7, s8, s7
	s_load_dwordx2 s[8:9], s[4:5], 0x370
	s_cselect_b32 s0, s1, s0
	s_add_i32 s1, s0, 1
	s_waitcnt lgkmcnt(0)
	s_cmp_ge_u32 s7, s8
	s_cselect_b32 s20, s1, s0
	v_writelane_b32 v61, s20, 6
	v_writelane_b32 v61, s21, 7
.LBB69_10:
	s_load_dwordx2 s[0:1], s[4:5], 0x360
	s_mov_b32 s53, 0
	s_waitcnt lgkmcnt(0)
	s_load_dwordx4 s[8:11], s[4:5], 0xd0
	v_writelane_b32 v61, s0, 8
	v_writelane_b32 v61, s1, 9
	s_load_dwordx2 s[0:1], s[4:5], 0x1c0
	s_waitcnt lgkmcnt(0)
	v_writelane_b32 v61, s0, 10
	v_writelane_b32 v61, s1, 11
	v_cmp_eq_u32_e64 s[0:1], 0, v0
	s_mov_b64 s[20:21], exec
	v_writelane_b32 v61, s0, 12
	v_writelane_b32 v61, s1, 13
	s_and_b64 s[0:1], s[20:21], s[0:1]
	s_mov_b64 exec, s[0:1]
	s_cbranch_execz .LBB69_12
; %bb.11:
	v_mov_b32_e32 v1, 0
	v_mov_b32_e32 v3, s24
	;; [unrolled: 1-line block ×4, first 2 shown]
	ds_write_b32 v1, v1 offset:5136
	ds_write_b128 v1, v[1:4] offset:5120
.LBB69_12:
	s_or_b64 exec, exec, s[20:21]
	s_mul_i32 s0, s16, s3
	s_mul_hi_u32 s1, s16, s2
	s_add_i32 s0, s1, s0
	s_mul_i32 s1, s17, s2
	s_add_i32 s0, s0, s1
	s_mul_i32 s1, s16, s2
	s_sub_u32 s2, s66, s1
	s_subb_u32 s0, 0, s0
	s_mul_i32 s1, s2, s11
	s_mul_hi_u32 s3, s2, s10
	s_add_i32 s1, s3, s1
	s_mul_i32 s0, s0, s10
	s_add_i32 s1, s1, s0
	s_mul_i32 s0, s2, s10
	s_mul_i32 s2, s16, s9
	s_mul_hi_u32 s3, s16, s8
	s_add_i32 s2, s3, s2
	s_mul_i32 s3, s17, s8
	s_add_i32 s3, s2, s3
	s_mul_i32 s2, s16, s8
	s_lshl_b64 s[8:9], s[2:3], 1
	s_add_u32 s2, s18, s8
	s_addc_u32 s3, s19, s9
	s_lshl_b64 s[10:11], s[0:1], 1
	v_mad_u64_u32 v[4:5], s[0:1], s30, v0, 0
	v_mbcnt_lo_u32_b32 v1, -1, 0
	v_mbcnt_hi_u32_b32 v32, -1, v1
	v_mov_b32_e32 v1, v5
	v_mov_b32_e32 v5, 0x600
	v_mad_u64_u32 v[1:2], s[0:1], s31, v0, v[1:2]
	v_mov_b32_e32 v6, 0
	v_cmp_gt_i64_e64 s[0:1], s[24:25], v[5:6]
	s_waitcnt lgkmcnt(0)
	v_writelane_b32 v61, s0, 14
	s_barrier
	v_writelane_b32 v61, s1, 15
	s_load_dword s0, s[12:13], 0xc
	s_add_u32 s54, s2, s10
	v_mov_b32_e32 v5, v1
	s_addc_u32 s55, s3, s11
	v_cmp_gt_u32_e32 vcc, 64, v0
	v_cmp_gt_i32_e64 s[2:3], 4, v32
	v_lshlrev_b64 v[6:7], 1, v[4:5]
	s_and_b64 s[58:59], vcc, s[2:3]
	v_lshlrev_b64 v[1:2], v32, -1
	s_waitcnt lgkmcnt(0)
	s_and_b32 s33, s0, 0xffff
	s_bfe_u32 s1, s0, 0xa0006
	v_mov_b32_e32 v8, s55
	v_add_co_u32_e32 v14, vcc, s54, v6
	s_cmp_gt_u32 s33, 63
	v_mov_b32_e32 v3, 0
	v_addc_co_u32_e32 v15, vcc, v8, v7, vcc
	v_not_b32_e32 v33, v2
	s_cselect_b64 s[2:3], -1, 0
	v_add_u32_e32 v2, 2, v0
	v_writelane_b32 v61, s2, 16
	s_add_u32 s0, s33, -1
	v_cmp_gt_i64_e32 vcc, s[24:25], v[2:3]
	v_not_b32_e32 v34, v1
	v_writelane_b32 v61, s3, 17
	s_addc_u32 s2, 0, -1
	v_mov_b32_e32 v1, s25
	v_writelane_b32 v61, s0, 18
	s_add_u32 s0, s0, s24
	v_cndmask_b32_e32 v8, 0, v1, vcc
	v_mov_b32_e32 v1, s24
	s_addc_u32 s63, s2, s25
	v_cndmask_b32_e32 v1, v2, v1, vcc
	v_not_b32_e32 v2, v0
	s_cmp_lt_u32 s6, s14
	v_add_co_u32_e32 v1, vcc, v1, v2
	v_writelane_b32 v61, s2, 19
	s_cselect_b32 s2, 12, 18
	v_addc_co_u32_e32 v2, vcc, -1, v8, vcc
	s_add_u32 s64, s12, s2
	v_cmp_lt_u64_e64 s[2:3], 1, v[1:2]
	v_and_b32_e32 v16, -2, v1
	v_writelane_b32 v61, s2, 20
	v_mov_b32_e32 v17, v2
	v_writelane_b32 v61, s3, 21
	v_cmp_ne_u64_e64 s[2:3], v[1:2], v[16:17]
	s_addc_u32 s65, s13, 0
	v_writelane_b32 v61, s2, 22
	v_writelane_b32 v61, s3, 23
	s_add_i32 s2, s1, -1
	s_bfe_u32 s3, s33, 0x30006
	s_and_b32 s2, s2, 0xffff
	s_cmp_gt_u32 s2, 6
	s_cselect_b64 s[6:7], -1, 0
	v_writelane_b32 v61, s6, 24
	v_lshlrev_b32_e32 v35, 3, v0
	v_writelane_b32 v61, s7, 25
	s_and_b32 s1, s1, 0x3f8
	v_or_b32_e32 v2, 6, v35
	v_writelane_b32 v61, s3, 26
	s_cmp_lg_u32 s3, 0
	v_mad_u64_u32 v[18:19], s[2:3], s30, v2, 0
	s_cselect_b64 s[2:3], -1, 0
	v_writelane_b32 v61, s2, 27
	v_mov_b32_e32 v1, v19
	v_writelane_b32 v61, s3, 28
	v_mad_u64_u32 v[1:2], s[2:3], s31, v2, v[1:2]
	v_or_b32_e32 v2, 4, v35
	v_mad_u64_u32 v[19:20], s[2:3], s30, v2, 0
	s_add_u32 s6, s8, s10
	s_addc_u32 s7, s9, s11
	s_load_dwordx4 s[8:11], s[4:5], 0x430
	s_add_u32 s6, s18, s6
	v_mov_b32_e32 v36, v1
	v_mov_b32_e32 v1, v20
	s_addc_u32 s7, s19, s7
	v_mad_u64_u32 v[1:2], s[2:3], s31, v2, v[1:2]
	v_mov_b32_e32 v2, s7
	v_writelane_b32 v61, s6, 29
	v_writelane_b32 v61, s7, 30
	s_waitcnt lgkmcnt(0)
	v_writelane_b32 v61, s8, 31
	v_writelane_b32 v61, s9, 32
	v_writelane_b32 v61, s10, 33
	v_writelane_b32 v61, s11, 34
	s_load_dwordx4 s[8:11], s[4:5], 0x290
	v_or_b32_e32 v8, 2, v35
	v_mad_u64_u32 v[20:21], s[2:3], s30, v8, 0
	v_add_co_u32_e32 v12, vcc, s6, v6
	s_waitcnt lgkmcnt(0)
	v_writelane_b32 v61, s8, 35
	v_mov_b32_e32 v37, v1
	v_mov_b32_e32 v1, v21
	v_writelane_b32 v61, s9, 36
	v_addc_co_u32_e32 v13, vcc, v2, v7, vcc
	v_mad_u64_u32 v[6:7], s[2:3], s31, v8, v[1:2]
	v_writelane_b32 v61, s10, 37
	v_writelane_b32 v61, s11, 38
	v_cmp_gt_u32_e64 s[2:3], 2, v0
	v_lshlrev_b32_e32 v2, 2, v32
	v_writelane_b32 v61, s2, 39
	v_mov_b32_e32 v1, v3
	v_and_b32_e32 v39, 0x100, v2
	v_lshrrev_b32_e32 v2, 1, v0
	v_writelane_b32 v61, s3, 40
	v_cmp_gt_i64_e64 s[2:3], s[24:25], v[0:1]
	v_and_b32_e32 v2, 0x1e0, v2
	v_or_b32_e32 v40, 0xc00, v2
	v_mov_b32_e32 v2, s25
	v_add_co_u32_e32 v41, vcc, s24, v0
	s_mul_i32 s4, s31, s33
	s_mul_hi_u32 s5, s30, s33
	v_writelane_b32 v61, s2, 41
	v_lshlrev_b64 v[23:24], 3, v[4:5]
	v_addc_co_u32_e32 v42, vcc, 0, v2, vcc
	v_mov_b32_e32 v2, 0xc00
	s_add_i32 s5, s5, s4
	s_mul_i32 s4, s30, s33
	v_lshlrev_b32_e32 v45, 1, v0
	v_mov_b32_e32 v26, s26
	v_cmp_eq_u32_e64 s[10:11], 0, v32
	v_writelane_b32 v61, s3, 42
	v_mov_b32_e32 v38, v6
	v_lshlrev_b32_e32 v21, 2, v0
	v_mov_b32_e32 v22, v3
	s_mov_b32 s2, s30
	s_mov_b32 s3, s31
	s_lshl_b64 s[72:73], s[30:31], 1
	s_lshl_b64 s[74:75], s[30:31], 3
	v_lshl_or_b32 v43, v32, 3, v2
	s_lshl_b64 s[56:57], s[4:5], 1
	s_lshl_b32 s60, s33, 1
	s_mov_b32 s70, 14
	s_mov_b64 s[76:77], 0
	s_movk_i32 s61, 0x3f80
	s_mov_b32 s71, 0
	v_add_u32_e32 v46, 0xc00, v45
	v_mov_b32_e32 v47, 0xffff
	v_mov_b32_e32 v48, 0x8000
	v_mov_b32_e32 v49, -1
	v_mov_b32_e32 v50, 0x5040100
	v_mov_b32_e32 v52, 0
	;; [unrolled: 1-line block ×4, first 2 shown]
	v_add_co_u32_e32 v25, vcc, v16, v0
	v_mov_b32_e32 v27, s27
                                        ; implicit-def: $sgpr78_sgpr79
                                        ; implicit-def: $sgpr82_sgpr83
                                        ; implicit-def: $sgpr80_sgpr81
                                        ; implicit-def: $sgpr86_sgpr87
                                        ; implicit-def: $sgpr88_sgpr89
                                        ; implicit-def: $sgpr84_sgpr85
	s_branch .LBB69_16
.LBB69_13:                              ;   in Loop: Header=BB69_16 Depth=1
	s_or_b64 exec, exec, s[16:17]
	s_and_b64 s[14:15], s[14:15], exec
	s_andn2_b64 s[92:93], s[92:93], exec
	s_andn2_b64 s[4:5], s[4:5], exec
	s_orn2_b64 s[20:21], s[8:9], exec
.LBB69_14:                              ;   in Loop: Header=BB69_16 Depth=1
	s_or_b64 exec, exec, s[6:7]
	s_andn2_b64 s[6:7], s[84:85], exec
	s_and_b64 s[8:9], s[14:15], exec
	s_or_b64 s[84:85], s[6:7], s[8:9]
	s_andn2_b64 s[6:7], s[88:89], exec
	s_and_b64 s[8:9], s[92:93], exec
	s_or_b64 s[88:89], s[6:7], s[8:9]
	;; [unrolled: 3-line block ×3, first 2 shown]
	s_orn2_b64 s[4:5], s[20:21], exec
.LBB69_15:                              ;   in Loop: Header=BB69_16 Depth=1
	s_or_b64 exec, exec, s[18:19]
	s_and_b64 s[4:5], exec, s[4:5]
	s_or_b64 s[76:77], s[4:5], s[76:77]
	s_andn2_b64 s[4:5], s[80:81], exec
	s_and_b64 s[6:7], s[84:85], exec
	s_or_b64 s[80:81], s[4:5], s[6:7]
	s_andn2_b64 s[4:5], s[82:83], exec
	s_and_b64 s[6:7], s[88:89], exec
	;; [unrolled: 3-line block ×3, first 2 shown]
	v_mov_b32_e32 v27, v9
	s_or_b64 s[78:79], s[4:5], s[6:7]
	v_mov_b32_e32 v26, v8
	s_andn2_b64 exec, exec, s[76:77]
	s_cbranch_execz .LBB69_279
.LBB69_16:                              ; =>This Loop Header: Depth=1
                                        ;     Child Loop BB69_21 Depth 2
                                        ;     Child Loop BB69_35 Depth 2
	;; [unrolled: 1-line block ×17, first 2 shown]
	ds_read_b128 v[4:7], v3 offset:5120
	s_waitcnt lgkmcnt(0)
	v_readfirstlane_b32 s27, v5
	v_readfirstlane_b32 s26, v4
	v_cmp_gt_i64_e64 s[4:5], s[26:27], 0
	s_and_b64 vcc, exec, s[4:5]
	s_cbranch_vccnz .LBB69_48
; %bb.17:                               ;   in Loop: Header=BB69_16 Depth=1
	v_readlane_b32 s4, v61, 14
	v_readlane_b32 s5, v61, 15
	s_and_b64 vcc, exec, s[4:5]
	s_cbranch_vccz .LBB69_29
; %bb.18:                               ;   in Loop: Header=BB69_16 Depth=1
	s_mov_b64 s[4:5], 0x601
	v_cmp_gt_i64_e32 vcc, s[4:5], v[6:7]
	s_mov_b64 s[6:7], 0
	s_mov_b64 s[4:5], 0
	s_cbranch_vccz .LBB69_30
; %bb.19:                               ;   in Loop: Header=BB69_16 Depth=1
	global_load_ushort v6, v3, s[64:65]
	global_load_ushort v2, v[14:15], off
	v_readlane_b32 s4, v61, 29
	v_readlane_b32 s5, v61, 30
	v_mov_b32_e32 v4, s4
	v_mov_b32_e32 v5, s5
	s_mov_b64 s[14:15], 0
	s_waitcnt vmcnt(1)
	v_and_b32_e32 v8, 0xffff, v6
	v_readfirstlane_b32 s8, v6
	v_add_co_u32_e32 v6, vcc, v0, v8
	v_addc_co_u32_e64 v7, s[4:5], 0, 0, vcc
	v_mul_lo_u32 v7, s72, v7
	v_mul_lo_u32 v9, s73, v6
	v_mad_u64_u32 v[4:5], s[4:5], s72, v6, v[4:5]
	s_and_b32 s8, 0xffff, s8
	s_mul_i32 s4, s73, s8
	s_mul_hi_u32 s5, s72, s8
	v_add3_u32 v5, v9, v5, v7
	v_mov_b32_e32 v7, v1
	s_mul_i32 s12, s72, s8
	s_add_i32 s13, s5, s4
	v_mov_b32_e32 v6, v0
	s_branch .LBB69_21
.LBB69_20:                              ;   in Loop: Header=BB69_21 Depth=2
	s_or_b64 exec, exec, s[8:9]
	v_mov_b32_e32 v2, s13
	v_add_co_u32_e32 v4, vcc, s12, v4
	v_addc_co_u32_e32 v5, vcc, v5, v2, vcc
	v_mov_b32_e32 v2, v9
	s_andn2_b64 exec, exec, s[14:15]
	s_cbranch_execz .LBB69_82
.LBB69_21:                              ;   Parent Loop BB69_16 Depth=1
                                        ; =>  This Inner Loop Header: Depth=2
	v_add_co_u32_e32 v6, vcc, v6, v8
	v_addc_co_u32_e32 v7, vcc, 0, v7, vcc
	v_cmp_gt_i64_e64 s[4:5], s[24:25], v[6:7]
	v_cmp_le_i64_e32 vcc, s[24:25], v[6:7]
	s_waitcnt lgkmcnt(0)
	v_mov_b32_e32 v10, 0
	v_mov_b32_e32 v9, 0
	s_and_saveexec_b64 s[8:9], s[4:5]
	s_cbranch_execz .LBB69_23
; %bb.22:                               ;   in Loop: Header=BB69_21 Depth=2
	global_load_ushort v9, v[4:5], off
.LBB69_23:                              ;   in Loop: Header=BB69_21 Depth=2
	s_or_b64 exec, exec, s[8:9]
	s_waitcnt vmcnt(0)
	v_cmp_lt_i16_e64 s[4:5], -1, v2
	v_cndmask_b32_e64 v11, v47, v48, s[4:5]
	v_lshlrev_b32_e32 v28, 16, v2
	v_cmp_o_f32_e64 s[4:5], v28, v28
	v_xor_b32_sdwa v11, v11, v2 dst_sel:DWORD dst_unused:UNUSED_PAD src0_sel:DWORD src1_sel:WORD_0
	v_cndmask_b32_e64 v11, v47, v11, s[4:5]
	v_and_b32_e32 v11, v11, v51
	v_cmp_eq_u32_e64 s[4:5], v11, v44
	s_cmp_lg_u64 s[4:5], 0
	s_cselect_b64 s[8:9], -1, 0
	s_and_b64 s[8:9], s[10:11], s[8:9]
	s_and_saveexec_b64 s[18:19], s[8:9]
	s_cbranch_execz .LBB69_27
; %bb.24:                               ;   in Loop: Header=BB69_21 Depth=2
	s_mov_b64 s[20:21], exec
	v_mbcnt_lo_u32_b32 v10, s20, 0
	v_mbcnt_hi_u32_b32 v10, s21, v10
	s_bcnt1_i32_b64 s22, s[4:5]
	v_cmp_eq_u32_e64 s[16:17], 0, v10
                                        ; implicit-def: $vgpr11
	s_and_saveexec_b64 s[8:9], s[16:17]
; %bb.25:                               ;   in Loop: Header=BB69_21 Depth=2
	s_bcnt1_i32_b64 s16, s[20:21]
	s_mul_i32 s16, s22, s16
	v_mov_b32_e32 v11, s16
	ds_add_rtn_u32 v11, v3, v11 offset:5136
; %bb.26:                               ;   in Loop: Header=BB69_21 Depth=2
	s_or_b64 exec, exec, s[8:9]
	s_waitcnt lgkmcnt(0)
	v_readfirstlane_b32 s8, v11
	v_mov_b32_e32 v11, s8
	v_mad_u32_u24 v10, s22, v10, v11
.LBB69_27:                              ;   in Loop: Header=BB69_21 Depth=2
	s_or_b64 exec, exec, s[18:19]
	ds_bpermute_b32 v10, v39, v10
	s_and_b64 s[8:9], exec, vcc
	s_or_b64 s[14:15], s[8:9], s[14:15]
	s_and_saveexec_b64 s[8:9], s[4:5]
	s_cbranch_execz .LBB69_20
; %bb.28:                               ;   in Loop: Header=BB69_21 Depth=2
	v_and_b32_e32 v28, s4, v34
	v_and_b32_e32 v11, s5, v33
	v_bcnt_u32_b32 v28, v28, 0
	v_bcnt_u32_b32 v11, v11, v28
	v_lshlrev_b32_e32 v11, 1, v11
	s_waitcnt lgkmcnt(0)
	v_lshl_add_u32 v10, v10, 1, v11
	ds_write_b16 v10, v2
	s_branch .LBB69_20
.LBB69_29:                              ;   in Loop: Header=BB69_16 Depth=1
	s_mov_b64 s[6:7], -1
	s_mov_b64 s[4:5], 0
.LBB69_30:                              ;   in Loop: Header=BB69_16 Depth=1
	s_and_b64 vcc, exec, s[6:7]
	s_cbranch_vccz .LBB69_46
.LBB69_31:                              ;   in Loop: Header=BB69_16 Depth=1
	s_mov_b64 s[6:7], exec
	v_readlane_b32 s4, v61, 41
	v_readlane_b32 s5, v61, 42
	s_and_b64 s[4:5], s[6:7], s[4:5]
	s_mov_b64 exec, s[4:5]
	s_cbranch_execz .LBB69_43
; %bb.32:                               ;   in Loop: Header=BB69_16 Depth=1
	global_load_ushort v2, v3, s[64:65]
	global_load_ushort v11, v[14:15], off
	v_mov_b32_e32 v6, v0
	s_waitcnt vmcnt(1)
	v_readfirstlane_b32 s4, v2
	v_add_u32_sdwa v2, v2, v0 dst_sel:DWORD dst_unused:UNUSED_PAD src0_sel:WORD_0 src1_sel:DWORD
	v_cmp_gt_i64_e32 vcc, s[24:25], v[2:3]
	s_and_saveexec_b64 s[14:15], vcc
	s_cbranch_execz .LBB69_42
; %bb.33:                               ;   in Loop: Header=BB69_16 Depth=1
	s_and_b32 s12, s4, 0xffff
	s_cmp_eq_u32 s12, 1
	v_readlane_b32 s8, v61, 20
                                        ; implicit-def: $vgpr6_vgpr7
	s_cselect_b64 s[4:5], -1, 0
	v_readlane_b32 s9, v61, 21
	v_mov_b32_e32 v8, v1
	v_mov_b32_e32 v5, v3
	s_and_b64 s[16:17], s[8:9], s[4:5]
	s_mov_b64 s[8:9], -1
	v_mov_b32_e32 v7, v0
	v_mov_b32_e32 v4, v2
	s_and_saveexec_b64 s[4:5], s[16:17]
	s_cbranch_execz .LBB69_37
; %bb.34:                               ;   in Loop: Header=BB69_16 Depth=1
	v_add_co_u32_e32 v4, vcc, 1, v2
	v_addc_co_u32_e64 v5, s[8:9], 0, 0, vcc
	v_mov_b32_e32 v8, v16
	v_mov_b32_e32 v7, v5
	s_waitcnt vmcnt(0)
	v_lshlrev_b32_e32 v28, 16, v11
	s_mov_b64 s[16:17], 0
	v_mov_b32_e32 v9, v17
	v_mov_b32_e32 v10, v45
	;; [unrolled: 1-line block ×5, first 2 shown]
.LBB69_35:                              ;   Parent Loop BB69_16 Depth=1
                                        ; =>  This Inner Loop Header: Depth=2
	v_mul_lo_u32 v11, v7, s30
	v_mul_lo_u32 v31, v6, s31
	v_mad_u64_u32 v[29:30], s[8:9], v6, s30, 0
	v_mad_u64_u32 v[53:54], s[8:9], v4, s2, 0
	v_add3_u32 v30, v30, v31, v11
	v_mul_lo_u32 v11, v5, s2
	v_mul_lo_u32 v31, v4, s3
	v_lshlrev_b64 v[29:30], 1, v[29:30]
	s_mov_b32 s8, 0x5040100
	v_add3_u32 v54, v54, v31, v11
	v_lshlrev_b64 v[53:54], 1, v[53:54]
	v_mov_b32_e32 v11, s55
	v_add_co_u32_e32 v53, vcc, s54, v53
	v_addc_co_u32_e32 v54, vcc, v11, v54, vcc
	v_add_co_u32_e32 v29, vcc, s54, v29
	v_addc_co_u32_e32 v30, vcc, v11, v30, vcc
	global_load_ushort v31, v[53:54], off
	global_load_ushort v11, v[29:30], off
	v_add_co_u32_e32 v6, vcc, 2, v6
	v_addc_co_u32_e32 v7, vcc, 0, v7, vcc
	v_add_co_u32_e32 v4, vcc, 2, v4
	v_addc_co_u32_e32 v5, vcc, 0, v5, vcc
	v_add_co_u32_e32 v8, vcc, -2, v8
	v_addc_co_u32_e32 v9, vcc, -1, v9, vcc
	v_cmp_eq_u64_e32 vcc, 0, v[8:9]
	s_or_b64 s[16:17], vcc, s[16:17]
	s_waitcnt vmcnt(1)
	v_alignbit_b32 v28, v31, v28, 16
	s_waitcnt vmcnt(0)
	v_perm_b32 v29, v11, v31, s8
	ds_write_b32 v10, v28
	v_add_u32_e32 v10, 4, v10
	v_mov_b32_e32 v28, v29
	s_andn2_b64 exec, exec, s[16:17]
	s_cbranch_execnz .LBB69_35
; %bb.36:                               ;   in Loop: Header=BB69_16 Depth=1
	s_or_b64 exec, exec, s[16:17]
	v_readlane_b32 s8, v61, 22
	v_add_co_u32_e32 v4, vcc, v2, v16
	v_readlane_b32 s9, v61, 23
	v_addc_co_u32_e32 v5, vcc, 0, v17, vcc
	v_add_co_u32_e32 v6, vcc, -1, v4
	s_orn2_b64 s[8:9], s[8:9], exec
	v_mov_b32_e32 v7, v25
	v_mov_b32_e32 v8, v26
.LBB69_37:                              ;   in Loop: Header=BB69_16 Depth=1
	s_or_b64 exec, exec, s[4:5]
	s_and_saveexec_b64 s[16:17], s[8:9]
	s_cbranch_execz .LBB69_41
; %bb.38:                               ;   in Loop: Header=BB69_16 Depth=1
	v_readlane_b32 s4, v61, 29
	v_readlane_b32 s5, v61, 30
	v_mov_b32_e32 v9, s5
	v_mov_b32_e32 v8, s4
	v_mad_u64_u32 v[9:10], s[4:5], s72, v4, v[8:9]
	v_mul_lo_u32 v2, s72, v5
	v_mul_lo_u32 v6, s73, v4
	s_mul_i32 s4, s73, s12
	s_mul_hi_u32 s5, s72, s12
	s_mov_b64 s[18:19], 0
	s_sub_u32 s8, 0, s12
	v_add3_u32 v10, v6, v10, v2
	s_add_i32 s9, s5, s4
.LBB69_39:                              ;   Parent Loop BB69_16 Depth=1
                                        ; =>  This Inner Loop Header: Depth=2
	s_waitcnt vmcnt(0)
	v_mov_b32_e32 v2, v11
	global_load_ushort v11, v[9:10], off
	v_mov_b32_e32 v29, v5
	v_mov_b32_e32 v28, v4
	v_lshlrev_b32_e32 v4, 1, v7
	ds_write_b16 v4, v2
	v_add_co_u32_e32 v4, vcc, s12, v28
	v_addc_co_u32_e32 v5, vcc, 0, v29, vcc
	s_mul_i32 s4, s72, s12
	v_mov_b32_e32 v2, s9
	v_add_co_u32_e32 v9, vcc, s4, v9
	v_addc_co_u32_e32 v10, vcc, v10, v2, vcc
	v_cmp_le_i64_e32 vcc, s[24:25], v[4:5]
	v_add_co_u32_e64 v6, s[4:5], s8, v4
	s_or_b64 s[18:19], vcc, s[18:19]
	v_mov_b32_e32 v7, v28
	v_mov_b32_e32 v8, v29
	s_andn2_b64 exec, exec, s[18:19]
	s_cbranch_execnz .LBB69_39
; %bb.40:                               ;   in Loop: Header=BB69_16 Depth=1
	s_or_b64 exec, exec, s[18:19]
.LBB69_41:                              ;   in Loop: Header=BB69_16 Depth=1
	s_or_b64 exec, exec, s[16:17]
.LBB69_42:                              ;   in Loop: Header=BB69_16 Depth=1
	s_or_b64 exec, exec, s[14:15]
	v_lshlrev_b32_e32 v2, 1, v6
	s_waitcnt vmcnt(0)
	ds_write_b16 v2, v11
.LBB69_43:                              ;   in Loop: Header=BB69_16 Depth=1
	s_or_b64 exec, exec, s[6:7]
	s_waitcnt lgkmcnt(0)
	s_barrier
	s_mov_b64 s[4:5], exec
	v_readlane_b32 s6, v61, 12
	v_readlane_b32 s7, v61, 13
	s_and_b64 s[6:7], s[4:5], s[6:7]
	s_mov_b64 exec, s[6:7]
; %bb.44:                               ;   in Loop: Header=BB69_16 Depth=1
	v_mov_b32_e32 v4, s24
	v_mov_b32_e32 v5, s25
	ds_write_b64 v3, v[4:5] offset:5120
; %bb.45:                               ;   in Loop: Header=BB69_16 Depth=1
	s_or_b64 exec, exec, s[4:5]
	s_mov_b64 s[4:5], -1
	s_waitcnt lgkmcnt(0)
	s_barrier
.LBB69_46:                              ;   in Loop: Header=BB69_16 Depth=1
	s_and_b64 vcc, exec, s[4:5]
	s_cbranch_vccz .LBB69_48
; %bb.47:                               ;   in Loop: Header=BB69_16 Depth=1
	ds_read_b64 v[4:5], v3 offset:5120
	s_waitcnt lgkmcnt(0)
	v_readfirstlane_b32 s26, v4
.LBB69_48:                              ;   in Loop: Header=BB69_16 Depth=1
	s_cmp_lt_i32 s26, 1
	s_mov_b64 s[4:5], -1
                                        ; implicit-def: $vgpr4_vgpr5
                                        ; implicit-def: $vgpr8_vgpr9
	s_cbranch_scc1 .LBB69_58
; %bb.49:                               ;   in Loop: Header=BB69_16 Depth=1
	s_and_b64 vcc, exec, s[4:5]
	s_cbranch_vccnz .LBB69_72
.LBB69_50:                              ;   in Loop: Header=BB69_16 Depth=1
	s_lshl_b32 s6, s71, 6
	s_and_saveexec_b64 s[4:5], s[10:11]
	s_cbranch_execz .LBB69_52
.LBB69_51:                              ;   in Loop: Header=BB69_16 Depth=1
	v_lshl_add_u32 v2, s6, 3, v40
	ds_write_b128 v2, v[4:7]
	ds_write_b128 v2, v[8:11] offset:16
.LBB69_52:                              ;   in Loop: Header=BB69_16 Depth=1
	s_or_b64 exec, exec, s[4:5]
	s_waitcnt lgkmcnt(0)
	s_barrier
	s_and_saveexec_b64 s[4:5], s[58:59]
	s_cbranch_execz .LBB69_90
; %bb.53:                               ;   in Loop: Header=BB69_16 Depth=1
	v_readlane_b32 s8, v61, 16
	v_mov_b32_e32 v4, 0
	v_readlane_b32 s9, v61, 17
	v_mov_b32_e32 v5, 0
	s_andn2_b64 vcc, exec, s[8:9]
	s_cbranch_vccnz .LBB69_89
; %bb.54:                               ;   in Loop: Header=BB69_16 Depth=1
	v_readlane_b32 s8, v61, 24
	v_readlane_b32 s9, v61, 25
	s_andn2_b64 vcc, exec, s[8:9]
	s_cbranch_vccnz .LBB69_85
; %bb.55:                               ;   in Loop: Header=BB69_16 Depth=1
	v_mov_b32_e32 v4, 0
	v_lshl_add_u32 v2, s71, 9, v43
	v_mov_b32_e32 v5, 0
	s_mov_b32 s7, 0
.LBB69_56:                              ;   Parent Loop BB69_16 Depth=1
                                        ; =>  This Inner Loop Header: Depth=2
	ds_read2_b64 v[6:9], v2 offset1:4
	ds_read2_b64 v[28:31], v2 offset0:8 offset1:12
	ds_read2_b64 v[53:56], v2 offset0:16 offset1:20
	;; [unrolled: 1-line block ×3, first 2 shown]
	s_add_i32 s7, s7, 8
	s_waitcnt lgkmcnt(3)
	v_add_co_u32_e32 v4, vcc, v6, v4
	v_addc_co_u32_e32 v5, vcc, v7, v5, vcc
	v_add_co_u32_e32 v4, vcc, v8, v4
	v_addc_co_u32_e32 v5, vcc, v9, v5, vcc
	s_waitcnt lgkmcnt(2)
	v_add_co_u32_e32 v4, vcc, v28, v4
	v_addc_co_u32_e32 v5, vcc, v29, v5, vcc
	v_add_co_u32_e32 v4, vcc, v30, v4
	v_addc_co_u32_e32 v5, vcc, v31, v5, vcc
	;; [unrolled: 5-line block ×3, first 2 shown]
	s_waitcnt lgkmcnt(0)
	v_add_co_u32_e32 v4, vcc, v57, v4
	v_addc_co_u32_e32 v5, vcc, v58, v5, vcc
	v_add_co_u32_e32 v4, vcc, v59, v4
	v_add_u32_e32 v2, 0x100, v2
	s_cmp_eq_u32 s1, s7
	v_addc_co_u32_e32 v5, vcc, v60, v5, vcc
	s_cbranch_scc0 .LBB69_56
; %bb.57:                               ;   in Loop: Header=BB69_16 Depth=1
	s_mov_b32 s7, s1
	s_branch .LBB69_86
.LBB69_58:                              ;   in Loop: Header=BB69_16 Depth=1
	global_load_ushort v2, v3, s[64:65]
	s_mov_b32 s4, s53
	s_waitcnt vmcnt(0)
	v_readfirstlane_b32 s5, v2
	s_and_b32 s12, s5, 0xffff
	s_lshl_b32 s6, s12, 2
	s_mov_b32 s5, s25
	s_cmp_lg_u64 s[4:5], 0
	s_cbranch_scc0 .LBB69_81
; %bb.59:                               ;   in Loop: Header=BB69_16 Depth=1
	s_add_u32 s4, s6, 0
	s_addc_u32 s5, 0, 0
	s_xor_b64 s[4:5], s[4:5], 0
	v_cvt_f32_u32_e32 v2, s4
	v_cvt_f32_u32_e32 v4, s5
	s_sub_u32 s7, 0, s4
	s_subb_u32 s13, 0, s5
	v_mac_f32_e32 v2, 0x4f800000, v4
	v_rcp_f32_e32 v2, v2
	v_mul_f32_e32 v2, 0x5f7ffffc, v2
	v_mul_f32_e32 v4, 0x2f800000, v2
	v_trunc_f32_e32 v4, v4
	v_mac_f32_e32 v2, 0xcf800000, v4
	v_cvt_u32_f32_e32 v4, v4
	v_cvt_u32_f32_e32 v2, v2
	v_readfirstlane_b32 s14, v4
	v_readfirstlane_b32 s8, v2
	s_mul_i32 s9, s7, s14
	s_mul_hi_u32 s16, s7, s8
	s_mul_i32 s15, s13, s8
	s_add_i32 s9, s16, s9
	s_mul_i32 s17, s7, s8
	s_add_i32 s9, s9, s15
	s_mul_i32 s16, s8, s9
	s_mul_hi_u32 s18, s8, s17
	s_mul_hi_u32 s15, s8, s9
	s_add_u32 s16, s18, s16
	s_addc_u32 s15, 0, s15
	s_mul_hi_u32 s19, s14, s17
	s_mul_i32 s17, s14, s17
	s_add_u32 s16, s16, s17
	s_mul_hi_u32 s18, s14, s9
	s_addc_u32 s15, s15, s19
	s_addc_u32 s16, s18, 0
	s_mul_i32 s9, s14, s9
	s_add_u32 s9, s15, s9
	s_addc_u32 s15, 0, s16
	s_add_u32 s16, s8, s9
	s_cselect_b64 s[8:9], -1, 0
	s_cmp_lg_u64 s[8:9], 0
	s_addc_u32 s14, s14, s15
	s_mul_i32 s8, s7, s14
	s_mul_hi_u32 s9, s7, s16
	s_add_i32 s8, s9, s8
	s_mul_i32 s13, s13, s16
	s_add_i32 s8, s8, s13
	s_mul_i32 s7, s7, s16
	s_mul_hi_u32 s13, s14, s7
	s_mul_i32 s15, s14, s7
	s_mul_i32 s18, s16, s8
	s_mul_hi_u32 s7, s16, s7
	s_mul_hi_u32 s17, s16, s8
	s_add_u32 s7, s7, s18
	s_addc_u32 s17, 0, s17
	s_add_u32 s7, s7, s15
	s_mul_hi_u32 s9, s14, s8
	s_addc_u32 s7, s17, s13
	s_addc_u32 s9, s9, 0
	s_mul_i32 s8, s14, s8
	s_add_u32 s7, s7, s8
	s_addc_u32 s13, 0, s9
	s_add_u32 s7, s16, s7
	s_cselect_b64 s[8:9], -1, 0
	s_cmp_lg_u64 s[8:9], 0
	s_addc_u32 s13, s14, s13
	s_ashr_i32 s8, s25, 31
	s_add_u32 s14, s24, s8
	s_mov_b32 s9, s8
	s_addc_u32 s15, s25, s8
	s_xor_b64 s[14:15], s[14:15], s[8:9]
	s_mul_i32 s17, s14, s13
	s_mul_hi_u32 s18, s14, s7
	s_mul_hi_u32 s16, s14, s13
	s_add_u32 s17, s18, s17
	s_addc_u32 s16, 0, s16
	s_mul_hi_u32 s19, s15, s7
	s_mul_i32 s7, s15, s7
	s_add_u32 s7, s17, s7
	s_mul_hi_u32 s18, s15, s13
	s_addc_u32 s7, s16, s19
	s_addc_u32 s16, s18, 0
	s_mul_i32 s13, s15, s13
	s_add_u32 s7, s7, s13
	s_addc_u32 s13, 0, s16
	s_mul_i32 s13, s4, s13
	s_mul_hi_u32 s16, s4, s7
	s_add_i32 s13, s16, s13
	s_mul_i32 s16, s5, s7
	s_add_i32 s13, s13, s16
	s_sub_i32 s18, s15, s13
	s_mul_i32 s7, s4, s7
	s_sub_u32 s7, s14, s7
	s_cselect_b64 s[16:17], -1, 0
	s_cmp_lg_u64 s[16:17], 0
	s_subb_u32 s14, s18, s5
	s_sub_u32 s20, s7, s4
	s_cselect_b64 s[18:19], -1, 0
	s_cmp_lg_u64 s[18:19], 0
	s_subb_u32 s21, s14, 0
	s_cmp_ge_u32 s21, s5
	s_cselect_b32 s22, -1, 0
	s_cmp_ge_u32 s20, s4
	s_cselect_b32 s23, -1, 0
	s_cmp_eq_u32 s21, s5
	s_cselect_b32 s22, s23, s22
	s_cmp_lg_u64 s[18:19], 0
	s_subb_u32 s14, s14, s5
	s_sub_u32 s23, s20, s4
	s_cselect_b64 s[18:19], -1, 0
	s_cmp_lg_u64 s[18:19], 0
	s_subb_u32 s14, s14, 0
	s_cmp_lg_u32 s22, 0
	s_cselect_b32 s18, s23, s20
	s_cselect_b32 s14, s14, s21
	s_cmp_lg_u64 s[16:17], 0
	s_subb_u32 s13, s15, s13
	s_cmp_ge_u32 s13, s5
	s_cselect_b32 s15, -1, 0
	s_cmp_ge_u32 s7, s4
	s_cselect_b32 s4, -1, 0
	s_cmp_eq_u32 s13, s5
	s_cselect_b32 s4, s4, s15
	s_cmp_lg_u32 s4, 0
	s_cselect_b32 s5, s14, s13
	s_cselect_b32 s4, s18, s7
	s_xor_b64 s[4:5], s[4:5], s[8:9]
	s_sub_u32 s48, s4, s8
	s_subb_u32 s49, s5, s8
	s_cbranch_execnz .LBB69_61
.LBB69_60:                              ;   in Loop: Header=BB69_16 Depth=1
	v_cvt_f32_u32_e32 v2, s6
	s_sub_i32 s4, 0, s6
	v_rcp_iflag_f32_e32 v2, v2
	v_mul_f32_e32 v2, 0x4f7ffffe, v2
	v_cvt_u32_f32_e32 v2, v2
	v_readfirstlane_b32 s5, v2
	s_mul_i32 s4, s4, s5
	s_mul_hi_u32 s4, s5, s4
	s_add_i32 s5, s5, s4
	s_mul_hi_u32 s4, s24, s5
	s_mul_i32 s4, s4, s6
	s_sub_i32 s4, s24, s4
	s_sub_i32 s5, s4, s6
	s_cmp_ge_u32 s4, s6
	s_cselect_b32 s4, s5, s4
	s_sub_i32 s5, s4, s6
	s_cmp_ge_u32 s4, s6
	s_cselect_b32 s52, s5, s4
	s_mov_b64 s[48:49], s[52:53]
.LBB69_61:                              ;   in Loop: Header=BB69_16 Depth=1
	s_sub_u32 s36, s24, s48
	s_subb_u32 s37, s25, s49
	v_cmp_gt_i64_e32 vcc, s[36:37], v[21:22]
	v_mov_b32_e32 v4, 0
	v_mov_b32_e32 v6, 0
	;; [unrolled: 1-line block ×8, first 2 shown]
	s_and_saveexec_b64 s[38:39], vcc
	s_cbranch_execz .LBB69_65
; %bb.62:                               ;   in Loop: Header=BB69_16 Depth=1
	s_mul_i32 s4, s75, s12
	s_mul_hi_u32 s5, s74, s12
	v_mov_b32_e32 v29, v22
	s_add_i32 s7, s5, s4
	s_mov_b64 s[50:51], 0
	s_mov_b64 s[90:91], s[54:55]
	;; [unrolled: 1-line block ×6, first 2 shown]
	v_mov_b32_e32 v28, v21
.LBB69_63:                              ;   Parent Loop BB69_16 Depth=1
                                        ; =>  This Inner Loop Header: Depth=2
	v_add_co_u32_e32 v4, vcc, s90, v23
	v_mov_b32_e32 v2, s91
	v_addc_co_u32_e32 v5, vcc, v2, v24, vcc
	global_load_ushort v6, v[4:5], off
	v_add_co_u32_e32 v4, vcc, s90, v20
	v_addc_co_u32_e32 v5, vcc, v2, v38, vcc
	global_load_ushort v7, v[4:5], off
	v_add_co_u32_e32 v4, vcc, s90, v19
	;; [unrolled: 3-line block ×3, first 2 shown]
	v_addc_co_u32_e32 v5, vcc, v2, v36, vcc
	global_load_ushort v2, v[4:5], off
	s_waitcnt vmcnt(3)
	v_cmp_lt_i16_e32 vcc, -1, v6
	v_cndmask_b32_e32 v4, v47, v48, vcc
	v_lshlrev_b32_e32 v5, 16, v6
	v_cmp_o_f32_e32 vcc, v5, v5
	v_xor_b32_sdwa v4, v4, v6 dst_sel:DWORD dst_unused:UNUSED_PAD src0_sel:DWORD src1_sel:WORD_0
	v_cndmask_b32_e32 v4, v47, v4, vcc
	s_waitcnt vmcnt(2)
	v_cmp_lt_i16_e32 vcc, -1, v7
	v_cndmask_b32_e32 v5, v47, v48, vcc
	v_lshlrev_b32_e32 v6, 16, v7
	v_cmp_o_f32_e32 vcc, v6, v6
	v_xor_b32_sdwa v5, v5, v7 dst_sel:DWORD dst_unused:UNUSED_PAD src0_sel:DWORD src1_sel:WORD_0
	v_cndmask_b32_e32 v5, v47, v5, vcc
	;; [unrolled: 7-line block ×3, first 2 shown]
	s_waitcnt vmcnt(0)
	v_cmp_lt_i16_e32 vcc, -1, v2
	v_cndmask_b32_e32 v7, v47, v48, vcc
	v_lshlrev_b32_e32 v8, 16, v2
	v_cmp_o_f32_e32 vcc, v8, v8
	v_xor_b32_sdwa v2, v7, v2 dst_sel:DWORD dst_unused:UNUSED_PAD src0_sel:DWORD src1_sel:WORD_0
	v_and_b32_e32 v7, v4, v51
	v_bfe_u32 v4, v4, s70, 2
	v_cndmask_b32_e32 v2, v47, v2, vcc
	v_cmp_eq_u32_e32 vcc, v7, v44
	v_and_b32_e32 v7, v5, v51
	v_bfe_u32 v5, v5, s70, 2
	v_cmp_eq_u32_e64 s[20:21], 0, v4
	v_cmp_eq_u32_e64 s[4:5], v7, v44
	v_and_b32_e32 v7, v6, v51
	v_bfe_u32 v6, v6, s70, 2
	s_and_b64 s[8:9], vcc, s[20:21]
	v_cmp_eq_u32_e64 s[20:21], 0, v5
	v_cmp_eq_u32_e64 s[16:17], v7, v44
	v_and_b32_e32 v7, v2, v51
	v_bfe_u32 v2, v2, s70, 2
	s_and_b64 s[14:15], s[4:5], s[20:21]
	v_cmp_eq_u32_e64 s[20:21], 0, v6
	v_cmp_eq_u32_e64 s[18:19], v7, v44
	s_and_b64 s[22:23], s[16:17], s[20:21]
	v_cmp_eq_u32_e64 s[20:21], 0, v2
	v_cndmask_b32_e64 v7, 0, 1, s[8:9]
	s_and_b64 s[28:29], s[18:19], s[20:21]
	v_cmp_ne_u32_e64 s[20:21], 0, v7
	v_cndmask_b32_e64 v7, 0, 1, s[14:15]
	s_bcnt1_i32_b64 s8, s[20:21]
	v_cmp_ne_u32_e64 s[20:21], 0, v7
	v_cndmask_b32_e64 v7, 0, 1, s[22:23]
	s_bcnt1_i32_b64 s9, s[20:21]
	v_cmp_ne_u32_e64 s[20:21], 0, v7
	v_cndmask_b32_e64 v7, 0, 1, s[28:29]
	s_bcnt1_i32_b64 s13, s[20:21]
	v_cmp_ne_u32_e64 s[20:21], 0, v7
	s_bcnt1_i32_b64 s14, s[20:21]
	s_add_u32 s8, s8, s42
	s_addc_u32 s15, 0, s43
	s_add_u32 s8, s8, s9
	s_addc_u32 s9, s15, 0
	;; [unrolled: 2-line block ×3, first 2 shown]
	s_add_u32 s42, s8, s14
	v_cmp_eq_u32_e64 s[20:21], 1, v4
	s_addc_u32 s43, s9, 0
	s_and_b64 s[8:9], vcc, s[20:21]
	v_cmp_eq_u32_e64 s[20:21], 1, v5
	s_and_b64 s[14:15], s[4:5], s[20:21]
	v_cmp_eq_u32_e64 s[20:21], 1, v6
	s_and_b64 s[22:23], s[16:17], s[20:21]
	v_cmp_eq_u32_e64 s[20:21], 1, v2
	v_cndmask_b32_e64 v7, 0, 1, s[8:9]
	s_and_b64 s[28:29], s[18:19], s[20:21]
	v_cmp_ne_u32_e64 s[20:21], 0, v7
	v_cndmask_b32_e64 v7, 0, 1, s[14:15]
	s_bcnt1_i32_b64 s8, s[20:21]
	v_cmp_ne_u32_e64 s[20:21], 0, v7
	v_cndmask_b32_e64 v7, 0, 1, s[22:23]
	s_bcnt1_i32_b64 s9, s[20:21]
	;; [unrolled: 3-line block ×3, first 2 shown]
	v_cmp_ne_u32_e64 s[20:21], 0, v7
	s_bcnt1_i32_b64 s14, s[20:21]
	s_add_u32 s8, s8, s40
	s_addc_u32 s15, 0, s41
	s_add_u32 s8, s8, s9
	s_addc_u32 s9, s15, 0
	;; [unrolled: 2-line block ×3, first 2 shown]
	s_add_u32 s40, s8, s14
	v_cmp_eq_u32_e64 s[20:21], 2, v4
	s_addc_u32 s41, s9, 0
	s_and_b64 s[8:9], vcc, s[20:21]
	v_cmp_eq_u32_e64 s[20:21], 2, v5
	s_and_b64 s[14:15], s[4:5], s[20:21]
	v_cmp_eq_u32_e64 s[20:21], 2, v6
	s_and_b64 s[22:23], s[16:17], s[20:21]
	v_cmp_eq_u32_e64 s[20:21], 2, v2
	v_cndmask_b32_e64 v7, 0, 1, s[8:9]
	s_and_b64 s[28:29], s[18:19], s[20:21]
	v_cmp_ne_u32_e64 s[20:21], 0, v7
	v_cndmask_b32_e64 v7, 0, 1, s[14:15]
	s_bcnt1_i32_b64 s8, s[20:21]
	v_cmp_ne_u32_e64 s[20:21], 0, v7
	v_cndmask_b32_e64 v7, 0, 1, s[22:23]
	s_bcnt1_i32_b64 s9, s[20:21]
	;; [unrolled: 3-line block ×3, first 2 shown]
	v_cmp_ne_u32_e64 s[20:21], 0, v7
	s_bcnt1_i32_b64 s14, s[20:21]
	s_add_u32 s8, s8, s94
	s_addc_u32 s15, 0, s95
	s_add_u32 s8, s8, s9
	s_addc_u32 s9, s15, 0
	;; [unrolled: 2-line block ×3, first 2 shown]
	s_add_u32 s94, s8, s14
	v_cmp_eq_u32_e64 s[20:21], 3, v4
	s_addc_u32 s95, s9, 0
	s_and_b64 s[8:9], vcc, s[20:21]
	v_cmp_eq_u32_e32 vcc, 3, v5
	s_and_b64 s[4:5], s[4:5], vcc
	v_cmp_eq_u32_e32 vcc, 3, v6
	s_and_b64 s[14:15], s[16:17], vcc
	v_cmp_eq_u32_e32 vcc, 3, v2
	v_cndmask_b32_e64 v2, 0, 1, s[8:9]
	s_and_b64 s[16:17], s[18:19], vcc
	v_cmp_ne_u32_e32 vcc, 0, v2
	v_cndmask_b32_e64 v2, 0, 1, s[4:5]
	s_bcnt1_i32_b64 s8, vcc
	v_cmp_ne_u32_e32 vcc, 0, v2
	v_cndmask_b32_e64 v2, 0, 1, s[14:15]
	s_bcnt1_i32_b64 s4, vcc
	;; [unrolled: 3-line block ×3, first 2 shown]
	v_cmp_ne_u32_e32 vcc, 0, v2
	s_bcnt1_i32_b64 s9, vcc
	s_add_u32 s8, s8, s92
	s_addc_u32 s13, 0, s93
	s_add_u32 s4, s8, s4
	s_addc_u32 s8, s13, 0
	;; [unrolled: 2-line block ×3, first 2 shown]
	s_add_u32 s92, s4, s9
	v_add_co_u32_e32 v28, vcc, s6, v28
	s_addc_u32 s93, s5, 0
	v_addc_co_u32_e32 v29, vcc, 0, v29, vcc
	s_mul_i32 s4, s74, s12
	s_add_u32 s90, s90, s4
	v_cmp_le_i64_e32 vcc, s[36:37], v[28:29]
	s_addc_u32 s91, s91, s7
	v_mov_b32_e32 v4, s42
	v_mov_b32_e32 v6, s40
	;; [unrolled: 1-line block ×4, first 2 shown]
	s_or_b64 s[50:51], vcc, s[50:51]
	v_mov_b32_e32 v5, s43
	v_mov_b32_e32 v7, s41
	;; [unrolled: 1-line block ×4, first 2 shown]
	s_andn2_b64 exec, exec, s[50:51]
	s_cbranch_execnz .LBB69_63
; %bb.64:                               ;   in Loop: Header=BB69_16 Depth=1
	s_or_b64 exec, exec, s[50:51]
.LBB69_65:                              ;   in Loop: Header=BB69_16 Depth=1
	s_or_b64 exec, exec, s[38:39]
	v_mov_b32_e32 v2, s37
	v_add_co_u32_e32 v28, vcc, s36, v0
	v_addc_co_u32_e32 v29, vcc, 0, v2, vcc
	v_cmp_gt_i64_e32 vcc, s[24:25], v[28:29]
	s_and_saveexec_b64 s[6:7], vcc
	s_cbranch_execz .LBB69_71
; %bb.66:                               ;   in Loop: Header=BB69_16 Depth=1
	v_mul_lo_u32 v2, v29, s30
	v_mul_lo_u32 v53, v28, s31
	v_mad_u64_u32 v[30:31], s[4:5], v28, s30, 0
	v_readlane_b32 s4, v61, 29
	v_readlane_b32 s5, v61, 30
	v_add3_u32 v31, v31, v53, v2
	v_lshlrev_b64 v[30:31], 1, v[30:31]
	v_mov_b32_e32 v2, s55
	v_add_co_u32_e32 v30, vcc, s54, v30
	v_addc_co_u32_e32 v31, vcc, v2, v31, vcc
	global_load_ushort v53, v[30:31], off
	v_add_co_u32_e32 v2, vcc, s12, v41
	v_addc_co_u32_e32 v30, vcc, 0, v42, vcc
	v_mov_b32_e32 v31, s49
	v_subrev_co_u32_e32 v2, vcc, s48, v2
	v_subb_co_u32_e32 v30, vcc, v30, v31, vcc
	v_mul_lo_u32 v54, s72, v30
	v_mov_b32_e32 v31, s5
	v_mov_b32_e32 v30, s4
	v_mul_lo_u32 v55, s73, v2
	v_mad_u64_u32 v[30:31], s[4:5], s72, v2, v[30:31]
	s_mul_i32 s4, s73, s12
	s_mul_hi_u32 s5, s72, s12
	v_add3_u32 v31, v55, v31, v54
	s_add_i32 s13, s5, s4
	s_mov_b64 s[14:15], 0
	s_branch .LBB69_68
.LBB69_67:                              ;   in Loop: Header=BB69_68 Depth=2
	s_or_b64 exec, exec, s[8:9]
	s_and_b64 s[4:5], exec, vcc
	s_waitcnt vmcnt(0)
	v_cmp_lt_i16_e32 vcc, -1, v53
	v_cndmask_b32_e32 v54, v47, v48, vcc
	v_lshlrev_b32_e32 v55, 16, v53
	v_cmp_o_f32_e32 vcc, v55, v55
	v_xor_b32_sdwa v53, v54, v53 dst_sel:DWORD dst_unused:UNUSED_PAD src0_sel:DWORD src1_sel:WORD_0
	v_cndmask_b32_e32 v53, v47, v53, vcc
	v_and_b32_e32 v54, v53, v51
	v_bfe_u32 v53, v53, s70, 2
	s_or_b64 s[14:15], s[4:5], s[14:15]
	v_cmp_eq_u32_e32 vcc, v54, v44
	v_cmp_eq_u32_e64 s[4:5], 0, v53
	s_and_b64 s[4:5], vcc, s[4:5]
	v_cndmask_b32_e64 v54, 0, 1, s[4:5]
	v_cmp_ne_u32_e64 s[4:5], 0, v54
	s_bcnt1_i32_b64 s4, s[4:5]
	v_add_co_u32_e64 v4, s[4:5], s4, v4
	v_addc_co_u32_e64 v5, s[4:5], 0, v5, s[4:5]
	v_cmp_eq_u32_e64 s[4:5], 1, v53
	s_and_b64 s[4:5], vcc, s[4:5]
	v_cndmask_b32_e64 v54, 0, 1, s[4:5]
	v_cmp_ne_u32_e64 s[4:5], 0, v54
	s_bcnt1_i32_b64 s4, s[4:5]
	v_add_co_u32_e64 v6, s[4:5], s4, v6
	v_addc_co_u32_e64 v7, s[4:5], 0, v7, s[4:5]
	;; [unrolled: 7-line block ×3, first 2 shown]
	v_cmp_eq_u32_e64 s[4:5], 3, v53
	s_and_b64 s[4:5], vcc, s[4:5]
	v_cndmask_b32_e64 v53, 0, 1, s[4:5]
	v_cmp_ne_u32_e32 vcc, 0, v53
	s_bcnt1_i32_b64 s4, vcc
	v_add_co_u32_e32 v10, vcc, s4, v10
	v_addc_co_u32_e32 v11, vcc, 0, v11, vcc
	s_mul_i32 s4, s72, s12
	v_add_co_u32_e32 v30, vcc, s4, v30
	v_mov_b32_e32 v53, s13
	v_addc_co_u32_e32 v31, vcc, v31, v53, vcc
	v_mov_b32_e32 v53, v2
	s_andn2_b64 exec, exec, s[14:15]
	s_cbranch_execz .LBB69_70
.LBB69_68:                              ;   Parent Loop BB69_16 Depth=1
                                        ; =>  This Inner Loop Header: Depth=2
	v_add_co_u32_e32 v28, vcc, s12, v28
	v_addc_co_u32_e32 v29, vcc, 0, v29, vcc
	v_cmp_gt_i64_e64 s[4:5], s[24:25], v[28:29]
	v_cmp_le_i64_e32 vcc, s[24:25], v[28:29]
	v_mov_b32_e32 v2, 0
	s_and_saveexec_b64 s[8:9], s[4:5]
	s_cbranch_execz .LBB69_67
; %bb.69:                               ;   in Loop: Header=BB69_68 Depth=2
	global_load_ushort v2, v[30:31], off
	s_branch .LBB69_67
.LBB69_70:                              ;   in Loop: Header=BB69_16 Depth=1
	s_or_b64 exec, exec, s[14:15]
.LBB69_71:                              ;   in Loop: Header=BB69_16 Depth=1
	s_or_b64 exec, exec, s[6:7]
	s_branch .LBB69_50
.LBB69_72:                              ;   in Loop: Header=BB69_16 Depth=1
	global_load_ushort v2, v3, s[64:65]
	v_mov_b32_e32 v8, 0
	v_mov_b32_e32 v9, 0
	s_waitcnt vmcnt(0)
	v_readfirstlane_b32 s4, v2
	s_and_b32 s8, 0xffff, s4
	s_lshl_b32 s6, s8, 2
	v_cvt_f32_u32_e32 v4, s6
	s_sub_i32 s4, 0, s6
	v_rcp_iflag_f32_e32 v6, v4
	v_mov_b32_e32 v4, 0
	v_mov_b32_e32 v5, 0
	v_mul_f32_e32 v6, 0x4f7ffffe, v6
	v_cvt_u32_f32_e32 v10, v6
	v_mov_b32_e32 v6, 0
	v_mov_b32_e32 v7, 0
	v_readfirstlane_b32 s5, v10
	s_mul_i32 s4, s4, s5
	s_mul_hi_u32 s4, s5, s4
	s_add_i32 s5, s5, s4
	s_mul_hi_u32 s4, s26, s5
	s_mul_i32 s5, s4, s6
	s_sub_i32 s5, s26, s5
	s_add_i32 s7, s4, 1
	s_sub_i32 s9, s5, s6
	s_cmp_ge_u32 s5, s6
	s_cselect_b32 s4, s7, s4
	s_cselect_b32 s5, s9, s5
	s_add_i32 s7, s4, 1
	s_cmp_ge_u32 s5, s6
	s_cselect_b32 s4, s7, s4
	s_mul_hi_u32 s37, s8, s4
	s_mul_i32 s36, s8, s4
	s_lshl_b64 s[38:39], s[36:37], 2
	v_cmp_gt_u64_e32 vcc, s[38:39], v[21:22]
	v_mov_b32_e32 v10, 0
	v_mov_b32_e32 v11, 0
	s_and_saveexec_b64 s[40:41], vcc
	s_cbranch_execz .LBB69_76
; %bb.73:                               ;   in Loop: Header=BB69_16 Depth=1
	v_mov_b32_e32 v29, v22
	s_lshl_b32 s7, s8, 3
	s_mov_b64 s[42:43], 0
	v_mov_b32_e32 v30, v35
	s_mov_b64 s[48:49], 0
	s_mov_b64 s[50:51], 0
	;; [unrolled: 1-line block ×4, first 2 shown]
	v_mov_b32_e32 v28, v21
.LBB69_74:                              ;   Parent Loop BB69_16 Depth=1
                                        ; =>  This Inner Loop Header: Depth=2
	ds_read_b64 v[4:5], v30
	v_add_u32_e32 v30, s7, v30
	s_waitcnt lgkmcnt(0)
	v_cmp_lt_i16_e32 vcc, -1, v4
	v_cndmask_b32_e32 v6, v47, v48, vcc
	v_lshlrev_b32_e32 v7, 16, v4
	v_cmp_o_f32_e32 vcc, v7, v7
	v_xor_b32_sdwa v6, v6, v4 dst_sel:DWORD dst_unused:UNUSED_PAD src0_sel:DWORD src1_sel:WORD_0
	v_cndmask_b32_e32 v6, v47, v6, vcc
	v_cmp_gt_i16_sdwa vcc, v4, v49 src0_sel:WORD_1 src1_sel:DWORD
	v_cndmask_b32_e32 v7, v47, v48, vcc
	v_and_b32_e32 v8, 0xffff0000, v4
	v_cmp_o_f32_e32 vcc, v8, v8
	v_xor_b32_sdwa v4, v7, v4 dst_sel:DWORD dst_unused:UNUSED_PAD src0_sel:DWORD src1_sel:WORD_1
	v_cndmask_b32_e32 v4, v47, v4, vcc
	v_cmp_lt_i16_e32 vcc, -1, v5
	v_cndmask_b32_e32 v7, v47, v48, vcc
	v_lshlrev_b32_e32 v8, 16, v5
	v_cmp_o_f32_e32 vcc, v8, v8
	v_xor_b32_sdwa v7, v7, v5 dst_sel:DWORD dst_unused:UNUSED_PAD src0_sel:DWORD src1_sel:WORD_0
	v_cndmask_b32_e32 v7, v47, v7, vcc
	v_cmp_gt_i16_sdwa vcc, v5, v49 src0_sel:WORD_1 src1_sel:DWORD
	v_cndmask_b32_e32 v8, v47, v48, vcc
	v_and_b32_e32 v9, 0xffff0000, v5
	v_cmp_o_f32_e32 vcc, v9, v9
	v_xor_b32_sdwa v5, v8, v5 dst_sel:DWORD dst_unused:UNUSED_PAD src0_sel:DWORD src1_sel:WORD_1
	v_and_b32_e32 v8, v6, v51
	v_bfe_u32 v6, v6, s70, 2
	v_cndmask_b32_e32 v5, v47, v5, vcc
	v_cmp_eq_u32_e32 vcc, v8, v44
	v_and_b32_e32 v8, v4, v51
	v_bfe_u32 v4, v4, s70, 2
	v_cmp_eq_u32_e64 s[20:21], 0, v6
	v_cmp_eq_u32_e64 s[4:5], v8, v44
	v_and_b32_e32 v8, v7, v51
	v_bfe_u32 v7, v7, s70, 2
	s_and_b64 s[12:13], vcc, s[20:21]
	v_cmp_eq_u32_e64 s[20:21], 0, v4
	v_cmp_eq_u32_e64 s[16:17], v8, v44
	v_and_b32_e32 v8, v5, v51
	v_bfe_u32 v5, v5, s70, 2
	s_and_b64 s[14:15], s[4:5], s[20:21]
	v_cmp_eq_u32_e64 s[20:21], 0, v7
	v_cmp_eq_u32_e64 s[18:19], v8, v44
	s_and_b64 s[22:23], s[16:17], s[20:21]
	v_cmp_eq_u32_e64 s[20:21], 0, v5
	v_cndmask_b32_e64 v8, 0, 1, s[12:13]
	s_and_b64 s[28:29], s[18:19], s[20:21]
	v_cmp_ne_u32_e64 s[20:21], 0, v8
	v_cndmask_b32_e64 v8, 0, 1, s[14:15]
	s_bcnt1_i32_b64 s9, s[20:21]
	v_cmp_ne_u32_e64 s[20:21], 0, v8
	v_cndmask_b32_e64 v8, 0, 1, s[22:23]
	s_bcnt1_i32_b64 s12, s[20:21]
	;; [unrolled: 3-line block ×3, first 2 shown]
	v_cmp_ne_u32_e64 s[20:21], 0, v8
	s_bcnt1_i32_b64 s14, s[20:21]
	s_add_u32 s9, s9, s92
	s_addc_u32 s15, 0, s93
	s_add_u32 s9, s9, s12
	s_addc_u32 s12, s15, 0
	;; [unrolled: 2-line block ×3, first 2 shown]
	s_add_u32 s92, s9, s14
	v_cmp_eq_u32_e64 s[20:21], 1, v6
	s_addc_u32 s93, s12, 0
	s_and_b64 s[12:13], vcc, s[20:21]
	v_cmp_eq_u32_e64 s[20:21], 1, v4
	s_and_b64 s[14:15], s[4:5], s[20:21]
	v_cmp_eq_u32_e64 s[20:21], 1, v7
	s_and_b64 s[22:23], s[16:17], s[20:21]
	v_cmp_eq_u32_e64 s[20:21], 1, v5
	v_cndmask_b32_e64 v8, 0, 1, s[12:13]
	s_and_b64 s[28:29], s[18:19], s[20:21]
	v_cmp_ne_u32_e64 s[20:21], 0, v8
	v_cndmask_b32_e64 v8, 0, 1, s[14:15]
	s_bcnt1_i32_b64 s9, s[20:21]
	v_cmp_ne_u32_e64 s[20:21], 0, v8
	v_cndmask_b32_e64 v8, 0, 1, s[22:23]
	s_bcnt1_i32_b64 s12, s[20:21]
	;; [unrolled: 3-line block ×3, first 2 shown]
	v_cmp_ne_u32_e64 s[20:21], 0, v8
	s_bcnt1_i32_b64 s14, s[20:21]
	s_add_u32 s9, s9, s90
	s_addc_u32 s15, 0, s91
	s_add_u32 s9, s9, s12
	s_addc_u32 s12, s15, 0
	;; [unrolled: 2-line block ×3, first 2 shown]
	s_add_u32 s90, s9, s14
	v_cmp_eq_u32_e64 s[20:21], 2, v6
	s_addc_u32 s91, s12, 0
	s_and_b64 s[12:13], vcc, s[20:21]
	v_cmp_eq_u32_e64 s[20:21], 2, v4
	s_and_b64 s[14:15], s[4:5], s[20:21]
	v_cmp_eq_u32_e64 s[20:21], 2, v7
	s_and_b64 s[22:23], s[16:17], s[20:21]
	v_cmp_eq_u32_e64 s[20:21], 2, v5
	v_cndmask_b32_e64 v8, 0, 1, s[12:13]
	s_and_b64 s[28:29], s[18:19], s[20:21]
	v_cmp_ne_u32_e64 s[20:21], 0, v8
	v_cndmask_b32_e64 v8, 0, 1, s[14:15]
	s_bcnt1_i32_b64 s9, s[20:21]
	v_cmp_ne_u32_e64 s[20:21], 0, v8
	v_cndmask_b32_e64 v8, 0, 1, s[22:23]
	s_bcnt1_i32_b64 s12, s[20:21]
	;; [unrolled: 3-line block ×3, first 2 shown]
	v_cmp_ne_u32_e64 s[20:21], 0, v8
	s_bcnt1_i32_b64 s14, s[20:21]
	s_add_u32 s9, s9, s50
	s_addc_u32 s15, 0, s51
	s_add_u32 s9, s9, s12
	s_addc_u32 s12, s15, 0
	s_add_u32 s9, s9, s13
	s_addc_u32 s12, s12, 0
	s_add_u32 s50, s9, s14
	v_cmp_eq_u32_e64 s[20:21], 3, v6
	s_addc_u32 s51, s12, 0
	s_and_b64 s[12:13], vcc, s[20:21]
	v_cmp_eq_u32_e32 vcc, 3, v4
	s_and_b64 s[4:5], s[4:5], vcc
	v_cmp_eq_u32_e32 vcc, 3, v7
	s_and_b64 s[14:15], s[16:17], vcc
	v_cmp_eq_u32_e32 vcc, 3, v5
	v_cndmask_b32_e64 v4, 0, 1, s[12:13]
	s_and_b64 s[16:17], s[18:19], vcc
	v_cmp_ne_u32_e32 vcc, 0, v4
	v_cndmask_b32_e64 v4, 0, 1, s[4:5]
	s_bcnt1_i32_b64 s9, vcc
	v_cmp_ne_u32_e32 vcc, 0, v4
	v_cndmask_b32_e64 v4, 0, 1, s[14:15]
	s_bcnt1_i32_b64 s4, vcc
	;; [unrolled: 3-line block ×3, first 2 shown]
	v_cmp_ne_u32_e32 vcc, 0, v4
	s_bcnt1_i32_b64 s12, vcc
	s_add_u32 s9, s9, s48
	s_addc_u32 s13, 0, s49
	s_add_u32 s4, s9, s4
	s_addc_u32 s9, s13, 0
	s_add_u32 s4, s4, s5
	v_add_co_u32_e32 v28, vcc, s6, v28
	s_addc_u32 s5, s9, 0
	v_addc_co_u32_e32 v29, vcc, 0, v29, vcc
	s_add_u32 s48, s4, s12
	v_cmp_le_u64_e32 vcc, s[38:39], v[28:29]
	s_addc_u32 s49, s5, 0
	v_mov_b32_e32 v4, s92
	v_mov_b32_e32 v6, s90
	;; [unrolled: 1-line block ×4, first 2 shown]
	s_or_b64 s[42:43], vcc, s[42:43]
	v_mov_b32_e32 v5, s93
	v_mov_b32_e32 v7, s91
	;; [unrolled: 1-line block ×4, first 2 shown]
	s_andn2_b64 exec, exec, s[42:43]
	s_cbranch_execnz .LBB69_74
; %bb.75:                               ;   in Loop: Header=BB69_16 Depth=1
	s_or_b64 exec, exec, s[42:43]
.LBB69_76:                              ;   in Loop: Header=BB69_16 Depth=1
	s_or_b64 exec, exec, s[40:41]
	v_mov_b32_e32 v29, s39
	v_add_co_u32_e32 v28, vcc, s38, v0
	s_and_b32 s52, s26, 0x7fffffff
	v_addc_co_u32_e32 v29, vcc, 0, v29, vcc
	v_cmp_gt_u64_e32 vcc, s[52:53], v[28:29]
	s_and_saveexec_b64 s[6:7], vcc
	s_cbranch_execz .LBB69_80
; %bb.77:                               ;   in Loop: Header=BB69_16 Depth=1
	v_lshl_add_u32 v30, s36, 3, v45
	s_lshl_b32 s8, s8, 1
	s_mov_b64 s[14:15], 0
.LBB69_78:                              ;   Parent Loop BB69_16 Depth=1
                                        ; =>  This Inner Loop Header: Depth=2
	ds_read_u16 v31, v30
	v_add_u32_e32 v30, s8, v30
	s_waitcnt lgkmcnt(0)
	v_cmp_lt_i16_e32 vcc, -1, v31
	v_cndmask_b32_e32 v53, v47, v48, vcc
	v_lshlrev_b32_e32 v54, 16, v31
	v_cmp_o_f32_e32 vcc, v54, v54
	v_xor_b32_sdwa v31, v53, v31 dst_sel:DWORD dst_unused:UNUSED_PAD src0_sel:DWORD src1_sel:WORD_0
	v_cndmask_b32_e32 v31, v47, v31, vcc
	v_and_b32_e32 v53, v31, v51
	v_bfe_u32 v31, v31, s70, 2
	v_cmp_eq_u32_e32 vcc, v53, v44
	v_cmp_eq_u32_e64 s[4:5], 0, v31
	s_and_b64 s[4:5], vcc, s[4:5]
	v_cndmask_b32_e64 v53, 0, 1, s[4:5]
	v_cmp_ne_u32_e64 s[4:5], 0, v53
	s_bcnt1_i32_b64 s4, s[4:5]
	v_add_co_u32_e64 v4, s[4:5], s4, v4
	v_addc_co_u32_e64 v5, s[4:5], 0, v5, s[4:5]
	v_cmp_eq_u32_e64 s[4:5], 1, v31
	s_and_b64 s[4:5], vcc, s[4:5]
	v_cndmask_b32_e64 v53, 0, 1, s[4:5]
	v_cmp_ne_u32_e64 s[4:5], 0, v53
	s_bcnt1_i32_b64 s4, s[4:5]
	v_add_co_u32_e64 v6, s[4:5], s4, v6
	v_addc_co_u32_e64 v7, s[4:5], 0, v7, s[4:5]
	;; [unrolled: 7-line block ×3, first 2 shown]
	v_cmp_eq_u32_e64 s[4:5], 3, v31
	s_and_b64 s[4:5], vcc, s[4:5]
	v_cndmask_b32_e64 v31, 0, 1, s[4:5]
	v_cmp_ne_u32_e32 vcc, 0, v31
	s_bcnt1_i32_b64 s4, vcc
	v_add_co_u32_e32 v10, vcc, s4, v10
	v_addc_co_u32_e32 v11, vcc, 0, v11, vcc
	v_add_co_u32_sdwa v28, vcc, v28, v2 dst_sel:DWORD dst_unused:UNUSED_PAD src0_sel:DWORD src1_sel:WORD_0
	v_addc_co_u32_e32 v29, vcc, 0, v29, vcc
	v_cmp_le_u64_e32 vcc, s[52:53], v[28:29]
	s_or_b64 s[14:15], vcc, s[14:15]
	s_andn2_b64 exec, exec, s[14:15]
	s_cbranch_execnz .LBB69_78
; %bb.79:                               ;   in Loop: Header=BB69_16 Depth=1
	s_or_b64 exec, exec, s[14:15]
.LBB69_80:                              ;   in Loop: Header=BB69_16 Depth=1
	s_or_b64 exec, exec, s[6:7]
	s_lshl_b32 s6, s71, 6
	s_and_saveexec_b64 s[4:5], s[10:11]
	s_cbranch_execnz .LBB69_51
	s_branch .LBB69_52
.LBB69_81:                              ;   in Loop: Header=BB69_16 Depth=1
                                        ; implicit-def: $sgpr48_sgpr49
	s_branch .LBB69_60
.LBB69_82:                              ;   in Loop: Header=BB69_16 Depth=1
	s_or_b64 exec, exec, s[14:15]
	s_waitcnt lgkmcnt(0)
	s_barrier
	s_mov_b64 s[4:5], exec
	v_readlane_b32 s8, v61, 12
	v_readlane_b32 s9, v61, 13
	s_and_b64 s[8:9], s[4:5], s[8:9]
	s_mov_b64 exec, s[8:9]
	s_cbranch_execz .LBB69_84
; %bb.83:                               ;   in Loop: Header=BB69_16 Depth=1
	ds_read_b32 v4, v3 offset:5136
	s_waitcnt lgkmcnt(0)
	v_ashrrev_i32_e32 v5, 31, v4
	ds_write_b64 v3, v[4:5] offset:5120
.LBB69_84:                              ;   in Loop: Header=BB69_16 Depth=1
	s_or_b64 exec, exec, s[4:5]
	s_waitcnt lgkmcnt(0)
	s_barrier
	s_mov_b64 s[4:5], -1
	s_and_b64 vcc, exec, s[6:7]
	s_cbranch_vccnz .LBB69_31
	s_branch .LBB69_46
.LBB69_85:                              ;   in Loop: Header=BB69_16 Depth=1
	v_mov_b32_e32 v4, 0
	v_mov_b32_e32 v5, 0
	s_mov_b32 s7, 0
.LBB69_86:                              ;   in Loop: Header=BB69_16 Depth=1
	v_readlane_b32 s8, v61, 27
	v_readlane_b32 s9, v61, 28
	s_andn2_b64 vcc, exec, s[8:9]
	s_cbranch_vccnz .LBB69_89
; %bb.87:                               ;   in Loop: Header=BB69_16 Depth=1
	s_lshl_b32 s8, s71, 9
	s_lshl_b32 s7, s7, 5
	s_add_i32 s8, s8, s7
	v_add_u32_e32 v2, s8, v43
	v_readlane_b32 s7, v61, 26
.LBB69_88:                              ;   Parent Loop BB69_16 Depth=1
                                        ; =>  This Inner Loop Header: Depth=2
	ds_read_b64 v[6:7], v2
	s_add_i32 s7, s7, -1
	v_add_u32_e32 v2, 32, v2
	s_cmp_lg_u32 s7, 0
	s_waitcnt lgkmcnt(0)
	v_add_co_u32_e32 v4, vcc, v6, v4
	v_addc_co_u32_e32 v5, vcc, v7, v5, vcc
	s_cbranch_scc1 .LBB69_88
.LBB69_89:                              ;   in Loop: Header=BB69_16 Depth=1
	v_add_lshl_u32 v2, s6, v32, 3
	ds_write_b64 v2, v[4:5] offset:3072
.LBB69_90:                              ;   in Loop: Header=BB69_16 Depth=1
	s_or_b64 exec, exec, s[4:5]
	s_lshl_b32 s4, s6, 3
	v_mov_b32_e32 v2, s4
	s_waitcnt lgkmcnt(0)
	s_barrier
	ds_read_b128 v[8:11], v2 offset:3088
	ds_read_b128 v[4:7], v2 offset:3072
	v_cmp_eq_u64_e64 s[4:5], 1, v[26:27]
	s_lshl_b32 s12, 3, s70
	s_not_b32 s13, s12
	s_waitcnt lgkmcnt(1)
	v_readfirstlane_b32 s90, v8
	s_waitcnt lgkmcnt(0)
	v_cmp_eq_u64_e32 vcc, 1, v[4:5]
	v_readfirstlane_b32 s91, v9
	v_readfirstlane_b32 s16, v10
	v_readfirstlane_b32 s17, v11
	s_and_b64 s[20:21], vcc, s[4:5]
	s_mov_b64 s[4:5], -1
	s_mov_b64 s[6:7], -1
                                        ; implicit-def: $sgpr26_sgpr27
                                        ; implicit-def: $sgpr14_sgpr15
	s_and_saveexec_b64 s[18:19], s[20:21]
	s_cbranch_execz .LBB69_122
; %bb.91:                               ;   in Loop: Header=BB69_16 Depth=1
	ds_read_b64 v[8:9], v3 offset:5120
	s_waitcnt lgkmcnt(0)
	s_barrier
	v_readfirstlane_b32 s6, v8
	v_readfirstlane_b32 s7, v9
	s_mov_b64 s[8:9], exec
	v_readlane_b32 s14, v61, 39
	v_readlane_b32 s15, v61, 40
	s_and_b64 s[14:15], s[8:9], s[14:15]
	s_mov_b64 exec, s[14:15]
; %bb.92:                               ;   in Loop: Header=BB69_16 Depth=1
	ds_write_b16 v46, v3
; %bb.93:                               ;   in Loop: Header=BB69_16 Depth=1
	s_or_b64 exec, exec, s[8:9]
	v_cmp_lt_i64_e64 s[8:9], s[6:7], 1
	v_and_b32_e32 v44, s13, v44
	v_or_b32_e32 v51, s12, v51
	s_mov_b64 s[14:15], -1
	s_mov_b64 s[26:27], 0
	s_and_b64 vcc, exec, s[8:9]
	s_mov_b64 s[36:37], 0
	s_mov_b64 s[28:29], -1
	s_waitcnt lgkmcnt(0)
	s_barrier
                                        ; implicit-def: $vgpr52
	s_cbranch_vccz .LBB69_107
; %bb.94:                               ;   in Loop: Header=BB69_16 Depth=1
	s_mov_b32 s62, s53
	s_cmp_lg_u64 s[62:63], 0
	s_cbranch_scc0 .LBB69_148
; %bb.95:                               ;   in Loop: Header=BB69_16 Depth=1
	s_add_u32 s8, s33, 0
	s_addc_u32 s9, 0, 0
	s_xor_b64 s[28:29], s[8:9], 0
	v_cvt_f32_u32_e32 v2, s28
	v_cvt_f32_u32_e32 v8, s29
	s_sub_u32 s22, 0, s28
	s_subb_u32 s23, 0, s29
	v_mac_f32_e32 v2, 0x4f800000, v8
	v_rcp_f32_e32 v2, v2
	v_mul_f32_e32 v2, 0x5f7ffffc, v2
	v_mul_f32_e32 v8, 0x2f800000, v2
	v_trunc_f32_e32 v8, v8
	v_mac_f32_e32 v2, 0xcf800000, v8
	v_cvt_u32_f32_e32 v8, v8
	v_cvt_u32_f32_e32 v2, v2
	v_readfirstlane_b32 s34, v8
	v_readfirstlane_b32 s8, v2
	s_mul_i32 s9, s22, s34
	s_mul_hi_u32 s36, s22, s8
	s_mul_i32 s35, s23, s8
	s_add_i32 s9, s36, s9
	s_mul_i32 s37, s22, s8
	s_add_i32 s9, s9, s35
	s_mul_i32 s36, s8, s9
	s_mul_hi_u32 s38, s8, s37
	s_mul_hi_u32 s35, s8, s9
	s_add_u32 s36, s38, s36
	s_addc_u32 s35, 0, s35
	s_mul_hi_u32 s39, s34, s37
	s_mul_i32 s37, s34, s37
	s_add_u32 s36, s36, s37
	s_mul_hi_u32 s38, s34, s9
	s_addc_u32 s35, s35, s39
	s_addc_u32 s36, s38, 0
	s_mul_i32 s9, s34, s9
	s_add_u32 s9, s35, s9
	s_addc_u32 s35, 0, s36
	s_add_u32 s36, s8, s9
	s_cselect_b64 s[8:9], -1, 0
	s_cmp_lg_u64 s[8:9], 0
	s_addc_u32 s34, s34, s35
	s_mul_i32 s8, s22, s34
	s_mul_hi_u32 s9, s22, s36
	s_add_i32 s8, s9, s8
	s_mul_i32 s23, s23, s36
	s_add_i32 s8, s8, s23
	s_mul_i32 s22, s22, s36
	s_mul_hi_u32 s23, s34, s22
	s_mul_i32 s35, s34, s22
	s_mul_i32 s38, s36, s8
	s_mul_hi_u32 s22, s36, s22
	s_mul_hi_u32 s37, s36, s8
	s_add_u32 s22, s22, s38
	s_addc_u32 s37, 0, s37
	s_add_u32 s22, s22, s35
	s_mul_hi_u32 s9, s34, s8
	s_addc_u32 s22, s37, s23
	s_addc_u32 s9, s9, 0
	s_mul_i32 s8, s34, s8
	s_add_u32 s8, s22, s8
	s_addc_u32 s22, 0, s9
	s_add_u32 s35, s36, s8
	s_cselect_b64 s[8:9], -1, 0
	s_cmp_lg_u64 s[8:9], 0
	s_addc_u32 s34, s34, s22
	s_ashr_i32 s22, s63, 31
	s_add_u32 s8, s0, s22
	s_mov_b32 s23, s22
	s_addc_u32 s9, s63, s22
	s_xor_b64 s[8:9], s[8:9], s[22:23]
	s_mul_i32 s37, s8, s34
	s_mul_hi_u32 s38, s8, s35
	s_mul_hi_u32 s36, s8, s34
	s_add_u32 s37, s38, s37
	s_addc_u32 s36, 0, s36
	s_mul_hi_u32 s39, s9, s35
	s_mul_i32 s35, s9, s35
	s_add_u32 s35, s37, s35
	s_mul_hi_u32 s38, s9, s34
	s_addc_u32 s35, s36, s39
	s_addc_u32 s36, s38, 0
	s_mul_i32 s34, s9, s34
	s_add_u32 s34, s35, s34
	s_addc_u32 s35, 0, s36
	s_mul_i32 s35, s28, s35
	s_mul_hi_u32 s36, s28, s34
	s_add_i32 s35, s36, s35
	s_mul_i32 s36, s29, s34
	s_add_i32 s38, s35, s36
	s_sub_i32 s36, s9, s38
	s_mul_i32 s34, s28, s34
	s_sub_u32 s8, s8, s34
	s_cselect_b64 s[34:35], -1, 0
	s_cmp_lg_u64 s[34:35], 0
	s_subb_u32 s39, s36, s29
	s_sub_u32 s40, s8, s28
	s_cselect_b64 s[36:37], -1, 0
	s_cmp_lg_u64 s[36:37], 0
	s_subb_u32 s41, s39, 0
	s_cmp_ge_u32 s41, s29
	s_cselect_b32 s42, -1, 0
	s_cmp_ge_u32 s40, s28
	s_cselect_b32 s43, -1, 0
	s_cmp_eq_u32 s41, s29
	s_cselect_b32 s42, s43, s42
	s_cmp_lg_u64 s[36:37], 0
	s_subb_u32 s39, s39, s29
	s_sub_u32 s43, s40, s28
	s_cselect_b64 s[36:37], -1, 0
	s_cmp_lg_u64 s[36:37], 0
	s_subb_u32 s36, s39, 0
	s_cmp_lg_u32 s42, 0
	s_cselect_b32 s37, s43, s40
	s_cselect_b32 s36, s36, s41
	s_cmp_lg_u64 s[34:35], 0
	s_subb_u32 s9, s9, s38
	s_cmp_ge_u32 s9, s29
	s_cselect_b32 s34, -1, 0
	s_cmp_ge_u32 s8, s28
	s_cselect_b32 s28, -1, 0
	s_cmp_eq_u32 s9, s29
	s_cselect_b32 s28, s28, s34
	s_cmp_lg_u32 s28, 0
	s_cselect_b32 s9, s36, s9
	s_cselect_b32 s8, s37, s8
	s_xor_b64 s[8:9], s[8:9], s[22:23]
	s_sub_u32 s8, s8, s22
	s_subb_u32 s9, s9, s22
	s_cbranch_execnz .LBB69_97
.LBB69_96:                              ;   in Loop: Header=BB69_16 Depth=1
	v_cvt_f32_u32_e32 v2, s33
	s_sub_i32 s8, 0, s33
	v_rcp_iflag_f32_e32 v2, v2
	v_mul_f32_e32 v2, 0x4f7ffffe, v2
	v_cvt_u32_f32_e32 v2, v2
	v_readfirstlane_b32 s9, v2
	s_mul_i32 s8, s8, s9
	s_mul_hi_u32 s8, s9, s8
	s_add_i32 s9, s9, s8
	s_mul_hi_u32 s8, s0, s9
	s_mul_i32 s8, s8, s33
	s_sub_i32 s8, s0, s8
	s_sub_i32 s9, s8, s33
	s_cmp_ge_u32 s8, s33
	s_cselect_b32 s8, s9, s8
	s_sub_i32 s9, s8, s33
	s_cmp_ge_u32 s8, s33
	s_cselect_b32 s52, s9, s8
	s_mov_b64 s[8:9], s[52:53]
.LBB69_97:                              ;   in Loop: Header=BB69_16 Depth=1
	s_sub_u32 s38, s0, s8
	s_subb_u32 s39, s63, s9
	v_cmp_gt_i64_e32 vcc, s[38:39], v[0:1]
	s_mov_b64 s[28:29], 0
	s_mov_b64 s[36:37], 0
                                        ; implicit-def: $vgpr52
	s_and_saveexec_b64 s[34:35], vcc
	s_cbranch_execz .LBB69_106
; %bb.98:                               ;   in Loop: Header=BB69_16 Depth=1
	v_mov_b32_e32 v8, v12
	v_mov_b32_e32 v11, v1
	;; [unrolled: 1-line block ×4, first 2 shown]
                                        ; implicit-def: $sgpr40_sgpr41
	s_branch .LBB69_101
.LBB69_99:                              ;   in Loop: Header=BB69_101 Depth=2
	s_or_b64 exec, exec, s[8:9]
	s_waitcnt lgkmcnt(0)
	s_barrier
	ds_read_b32 v2, v3 offset:3072
	s_mov_b64 s[8:9], -1
	s_mov_b64 s[42:43], -1
	s_waitcnt lgkmcnt(0)
	s_barrier
	v_and_b32_e32 v28, 0x7fff, v2
	v_cmp_ne_u32_e32 vcc, 0, v28
	s_cbranch_vccz .LBB69_104
.LBB69_100:                             ;   in Loop: Header=BB69_101 Depth=2
	s_and_b64 s[8:9], exec, s[8:9]
	s_or_b64 s[36:37], s[8:9], s[36:37]
	s_andn2_b64 s[8:9], s[40:41], exec
	s_and_b64 s[22:23], s[42:43], exec
	s_or_b64 s[40:41], s[8:9], s[22:23]
	s_andn2_b64 exec, exec, s[36:37]
	s_cbranch_execz .LBB69_105
.LBB69_101:                             ;   Parent Loop BB69_16 Depth=1
                                        ; =>  This Inner Loop Header: Depth=2
	v_cmp_gt_i64_e32 vcc, s[24:25], v[10:11]
	s_and_saveexec_b64 s[8:9], vcc
	s_cbranch_execz .LBB69_99
; %bb.102:                              ;   in Loop: Header=BB69_101 Depth=2
	global_load_ushort v2, v[8:9], off
	s_waitcnt vmcnt(0)
	v_cmp_lt_i16_e32 vcc, -1, v2
	v_cndmask_b32_e32 v28, v47, v48, vcc
	v_lshlrev_b32_e32 v29, 16, v2
	v_cmp_o_f32_e32 vcc, v29, v29
	v_xor_b32_sdwa v28, v28, v2 dst_sel:DWORD dst_unused:UNUSED_PAD src0_sel:DWORD src1_sel:WORD_0
	v_cndmask_b32_e32 v28, v47, v28, vcc
	v_and_b32_e32 v28, v28, v51
	v_cmp_eq_u32_e32 vcc, v28, v44
	s_and_b64 exec, exec, vcc
	s_cbranch_execz .LBB69_99
; %bb.103:                              ;   in Loop: Header=BB69_101 Depth=2
	v_perm_b32 v2, v2, s61, v50
	ds_write_b32 v3, v2 offset:3072
	s_branch .LBB69_99
.LBB69_104:                             ;   in Loop: Header=BB69_101 Depth=2
	v_add_co_u32_e32 v10, vcc, s33, v10
	v_addc_co_u32_e32 v11, vcc, 0, v11, vcc
	v_mov_b32_e32 v28, s57
	v_add_co_u32_e32 v8, vcc, s56, v8
	v_addc_co_u32_e32 v9, vcc, v9, v28, vcc
	v_cmp_le_i64_e32 vcc, s[38:39], v[10:11]
	s_mov_b64 s[42:43], 0
	s_orn2_b64 s[8:9], vcc, exec
	s_branch .LBB69_100
.LBB69_105:                             ;   in Loop: Header=BB69_16 Depth=1
	s_or_b64 exec, exec, s[36:37]
	v_lshrrev_b32_e32 v52, 16, v2
	s_and_b64 s[36:37], s[40:41], exec
.LBB69_106:                             ;   in Loop: Header=BB69_16 Depth=1
	s_or_b64 exec, exec, s[34:35]
.LBB69_107:                             ;   in Loop: Header=BB69_16 Depth=1
	s_and_b64 vcc, exec, s[28:29]
	s_cbranch_vccz .LBB69_121
; %bb.108:                              ;   in Loop: Header=BB69_16 Depth=1
	v_readlane_b32 s8, v61, 18
	s_add_u32 s28, s6, s8
	v_readlane_b32 s8, v61, 19
	s_addc_u32 s15, s7, s8
	s_mov_b32 s14, s53
	s_cmp_lg_u64 s[14:15], 0
	s_cbranch_scc0 .LBB69_149
; %bb.109:                              ;   in Loop: Header=BB69_16 Depth=1
	s_add_u32 s8, s33, 0
	s_addc_u32 s9, 0, 0
	s_xor_b64 s[26:27], s[8:9], 0
	v_cvt_f32_u32_e32 v2, s26
	v_cvt_f32_u32_e32 v8, s27
	s_sub_u32 s14, 0, s26
	s_subb_u32 s22, 0, s27
	v_mac_f32_e32 v2, 0x4f800000, v8
	v_rcp_f32_e32 v2, v2
	v_mul_f32_e32 v2, 0x5f7ffffc, v2
	v_mul_f32_e32 v8, 0x2f800000, v2
	v_trunc_f32_e32 v8, v8
	v_mac_f32_e32 v2, 0xcf800000, v8
	v_cvt_u32_f32_e32 v8, v8
	v_cvt_u32_f32_e32 v2, v2
	v_readfirstlane_b32 s23, v8
	v_readfirstlane_b32 s8, v2
	s_mul_i32 s9, s14, s23
	s_mul_hi_u32 s34, s14, s8
	s_mul_i32 s29, s22, s8
	s_add_i32 s9, s34, s9
	s_mul_i32 s35, s14, s8
	s_add_i32 s9, s9, s29
	s_mul_i32 s34, s8, s9
	s_mul_hi_u32 s38, s8, s35
	s_mul_hi_u32 s29, s8, s9
	s_add_u32 s34, s38, s34
	s_addc_u32 s29, 0, s29
	s_mul_hi_u32 s39, s23, s35
	s_mul_i32 s35, s23, s35
	s_add_u32 s34, s34, s35
	s_mul_hi_u32 s38, s23, s9
	s_addc_u32 s29, s29, s39
	s_addc_u32 s34, s38, 0
	s_mul_i32 s9, s23, s9
	s_add_u32 s9, s29, s9
	s_addc_u32 s29, 0, s34
	s_add_u32 s34, s8, s9
	s_cselect_b64 s[8:9], -1, 0
	s_cmp_lg_u64 s[8:9], 0
	s_addc_u32 s23, s23, s29
	s_mul_i32 s8, s14, s23
	s_mul_hi_u32 s9, s14, s34
	s_add_i32 s8, s9, s8
	s_mul_i32 s22, s22, s34
	s_add_i32 s8, s8, s22
	s_mul_i32 s14, s14, s34
	s_mul_hi_u32 s22, s23, s14
	s_mul_i32 s29, s23, s14
	s_mul_i32 s38, s34, s8
	s_mul_hi_u32 s14, s34, s14
	s_mul_hi_u32 s35, s34, s8
	s_add_u32 s14, s14, s38
	s_addc_u32 s35, 0, s35
	s_add_u32 s14, s14, s29
	s_mul_hi_u32 s9, s23, s8
	s_addc_u32 s14, s35, s22
	s_addc_u32 s9, s9, 0
	s_mul_i32 s8, s23, s8
	s_add_u32 s8, s14, s8
	s_addc_u32 s14, 0, s9
	s_add_u32 s29, s34, s8
	s_cselect_b64 s[8:9], -1, 0
	s_cmp_lg_u64 s[8:9], 0
	s_addc_u32 s14, s23, s14
	s_ashr_i32 s22, s15, 31
	s_add_u32 s8, s28, s22
	s_mov_b32 s23, s22
	s_addc_u32 s9, s15, s22
	s_xor_b64 s[8:9], s[8:9], s[22:23]
	s_mul_i32 s35, s8, s14
	s_mul_hi_u32 s38, s8, s29
	s_mul_hi_u32 s34, s8, s14
	s_add_u32 s35, s38, s35
	s_addc_u32 s34, 0, s34
	s_mul_hi_u32 s39, s9, s29
	s_mul_i32 s29, s9, s29
	s_add_u32 s29, s35, s29
	s_mul_hi_u32 s38, s9, s14
	s_addc_u32 s29, s34, s39
	s_addc_u32 s34, s38, 0
	s_mul_i32 s14, s9, s14
	s_add_u32 s14, s29, s14
	s_addc_u32 s29, 0, s34
	s_mul_i32 s29, s26, s29
	s_mul_hi_u32 s34, s26, s14
	s_add_i32 s29, s34, s29
	s_mul_i32 s34, s27, s14
	s_add_i32 s29, s29, s34
	s_sub_i32 s38, s9, s29
	s_mul_i32 s14, s26, s14
	s_sub_u32 s8, s8, s14
	s_cselect_b64 s[34:35], -1, 0
	s_cmp_lg_u64 s[34:35], 0
	s_subb_u32 s14, s38, s27
	s_sub_u32 s40, s8, s26
	s_cselect_b64 s[38:39], -1, 0
	s_cmp_lg_u64 s[38:39], 0
	s_subb_u32 s41, s14, 0
	s_cmp_ge_u32 s41, s27
	s_cselect_b32 s42, -1, 0
	s_cmp_ge_u32 s40, s26
	s_cselect_b32 s43, -1, 0
	s_cmp_eq_u32 s41, s27
	s_cselect_b32 s42, s43, s42
	s_cmp_lg_u64 s[38:39], 0
	s_subb_u32 s14, s14, s27
	s_sub_u32 s43, s40, s26
	s_cselect_b64 s[38:39], -1, 0
	s_cmp_lg_u64 s[38:39], 0
	s_subb_u32 s14, s14, 0
	s_cmp_lg_u32 s42, 0
	s_cselect_b32 s38, s43, s40
	s_cselect_b32 s14, s14, s41
	s_cmp_lg_u64 s[34:35], 0
	s_subb_u32 s9, s9, s29
	s_cmp_ge_u32 s9, s27
	s_cselect_b32 s29, -1, 0
	s_cmp_ge_u32 s8, s26
	s_cselect_b32 s26, -1, 0
	s_cmp_eq_u32 s9, s27
	s_cselect_b32 s26, s26, s29
	s_cmp_lg_u32 s26, 0
	s_cselect_b32 s9, s14, s9
	s_cselect_b32 s8, s38, s8
	s_xor_b64 s[8:9], s[8:9], s[22:23]
	s_sub_u32 s8, s8, s22
	s_subb_u32 s9, s9, s22
	s_cbranch_execnz .LBB69_111
.LBB69_110:                             ;   in Loop: Header=BB69_16 Depth=1
	v_cvt_f32_u32_e32 v2, s33
	s_sub_i32 s8, 0, s33
	v_rcp_iflag_f32_e32 v2, v2
	v_mul_f32_e32 v2, 0x4f7ffffe, v2
	v_cvt_u32_f32_e32 v2, v2
	v_readfirstlane_b32 s9, v2
	s_mul_i32 s8, s8, s9
	s_mul_hi_u32 s8, s9, s8
	s_add_i32 s9, s9, s8
	s_mul_hi_u32 s8, s28, s9
	s_mul_i32 s8, s8, s33
	s_sub_i32 s8, s28, s8
	s_sub_i32 s9, s8, s33
	s_cmp_ge_u32 s8, s33
	s_cselect_b32 s8, s9, s8
	s_sub_i32 s9, s8, s33
	s_cmp_ge_u32 s8, s33
	s_cselect_b32 s52, s9, s8
	s_mov_b64 s[8:9], s[52:53]
.LBB69_111:                             ;   in Loop: Header=BB69_16 Depth=1
	s_sub_u32 s26, s28, s8
	s_subb_u32 s27, s15, s9
	v_cmp_gt_i64_e32 vcc, s[26:27], v[0:1]
                                        ; implicit-def: $vgpr52
	s_and_saveexec_b64 s[14:15], vcc
	s_cbranch_execz .LBB69_120
; %bb.112:                              ;   in Loop: Header=BB69_16 Depth=1
	v_mov_b32_e32 v9, v1
	s_mov_b64 s[28:29], 0
	v_mov_b32_e32 v2, v45
	v_mov_b32_e32 v8, v0
                                        ; implicit-def: $sgpr34_sgpr35
	s_branch .LBB69_115
.LBB69_113:                             ;   in Loop: Header=BB69_115 Depth=2
	s_or_b64 exec, exec, s[8:9]
	s_waitcnt lgkmcnt(0)
	s_barrier
	ds_read_b32 v10, v3 offset:3072
	s_mov_b64 s[8:9], -1
	s_mov_b64 s[38:39], -1
	s_waitcnt lgkmcnt(0)
	s_barrier
	v_and_b32_e32 v11, 0x7fff, v10
	v_cmp_ne_u32_e32 vcc, 0, v11
	s_cbranch_vccz .LBB69_118
.LBB69_114:                             ;   in Loop: Header=BB69_115 Depth=2
	s_and_b64 s[8:9], exec, s[8:9]
	s_or_b64 s[28:29], s[8:9], s[28:29]
	s_andn2_b64 s[8:9], s[34:35], exec
	s_and_b64 s[22:23], s[38:39], exec
	s_or_b64 s[34:35], s[8:9], s[22:23]
	s_andn2_b64 exec, exec, s[28:29]
	s_cbranch_execz .LBB69_119
.LBB69_115:                             ;   Parent Loop BB69_16 Depth=1
                                        ; =>  This Inner Loop Header: Depth=2
	v_cmp_gt_u64_e32 vcc, s[6:7], v[8:9]
	s_and_saveexec_b64 s[8:9], vcc
	s_cbranch_execz .LBB69_113
; %bb.116:                              ;   in Loop: Header=BB69_115 Depth=2
	ds_read_u16 v10, v2
	s_waitcnt lgkmcnt(0)
	v_cmp_lt_i16_e32 vcc, -1, v10
	v_cndmask_b32_e32 v11, v47, v48, vcc
	v_lshlrev_b32_e32 v28, 16, v10
	v_cmp_o_f32_e32 vcc, v28, v28
	v_xor_b32_sdwa v11, v11, v10 dst_sel:DWORD dst_unused:UNUSED_PAD src0_sel:DWORD src1_sel:WORD_0
	v_cndmask_b32_e32 v11, v47, v11, vcc
	v_and_b32_e32 v11, v11, v51
	v_cmp_eq_u32_e32 vcc, v11, v44
	s_and_b64 exec, exec, vcc
	s_cbranch_execz .LBB69_113
; %bb.117:                              ;   in Loop: Header=BB69_115 Depth=2
	v_perm_b32 v10, v10, s61, v50
	ds_write_b32 v3, v10 offset:3072
	s_branch .LBB69_113
.LBB69_118:                             ;   in Loop: Header=BB69_115 Depth=2
	v_add_co_u32_e32 v8, vcc, s33, v8
	v_addc_co_u32_e32 v9, vcc, 0, v9, vcc
	v_cmp_le_i64_e32 vcc, s[26:27], v[8:9]
	v_add_u32_e32 v2, s60, v2
	s_mov_b64 s[38:39], 0
	s_orn2_b64 s[8:9], vcc, exec
	s_branch .LBB69_114
.LBB69_119:                             ;   in Loop: Header=BB69_16 Depth=1
	s_or_b64 exec, exec, s[28:29]
	s_andn2_b64 s[6:7], s[36:37], exec
	s_and_b64 s[8:9], s[34:35], exec
	v_lshrrev_b32_e32 v52, 16, v10
	s_or_b64 s[36:37], s[6:7], s[8:9]
.LBB69_120:                             ;   in Loop: Header=BB69_16 Depth=1
	s_or_b64 exec, exec, s[14:15]
	s_mov_b64 s[14:15], 0
	s_mov_b64 s[26:27], -1
.LBB69_121:                             ;   in Loop: Header=BB69_16 Depth=1
	s_orn2_b64 s[6:7], s[36:37], exec
.LBB69_122:                             ;   in Loop: Header=BB69_16 Depth=1
	s_or_b64 exec, exec, s[18:19]
	s_andn2_b64 s[8:9], s[88:89], exec
	s_and_b64 s[18:19], s[26:27], exec
	s_or_b64 s[88:89], s[8:9], s[18:19]
	s_andn2_b64 s[8:9], s[86:87], exec
	s_and_b64 s[14:15], s[14:15], exec
	s_andn2_b64 s[84:85], s[84:85], exec
	s_or_b64 s[86:87], s[8:9], s[14:15]
                                        ; implicit-def: $vgpr8_vgpr9
	s_and_saveexec_b64 s[18:19], s[6:7]
	s_cbranch_execz .LBB69_15
; %bb.123:                              ;   in Loop: Header=BB69_16 Depth=1
	v_mov_b32_e32 v8, 1
	s_xor_b64 s[6:7], s[20:21], -1
	v_mov_b32_e32 v2, 1
	v_mov_b32_e32 v9, 0
	s_mov_b64 s[14:15], 0
	s_and_saveexec_b64 s[4:5], s[6:7]
	s_cbranch_execz .LBB69_132
; %bb.124:                              ;   in Loop: Header=BB69_16 Depth=1
	v_cmp_le_i64_e32 vcc, v[26:27], v[4:5]
	s_and_saveexec_b64 s[6:7], vcc
	s_xor_b64 s[6:7], exec, s[6:7]
	s_cbranch_execz .LBB69_129
; %bb.125:                              ;   in Loop: Header=BB69_16 Depth=1
	ds_read_b64 v[8:9], v3 offset:5120
	v_and_b32_e32 v44, s13, v44
	v_or_b32_e32 v51, s12, v51
	s_waitcnt lgkmcnt(0)
	v_cmp_ne_u64_e32 vcc, 0, v[8:9]
	s_cbranch_vccnz .LBB69_129
; %bb.126:                              ;   in Loop: Header=BB69_16 Depth=1
	s_mov_b64 s[8:9], exec
	v_readlane_b32 s14, v61, 12
	v_readlane_b32 s15, v61, 13
	s_and_b64 s[14:15], s[8:9], s[14:15]
	s_mov_b64 exec, s[14:15]
; %bb.127:                              ;   in Loop: Header=BB69_16 Depth=1
	ds_write_b64 v3, v[4:5] offset:5128
; %bb.128:                              ;   in Loop: Header=BB69_16 Depth=1
	s_or_b64 exec, exec, s[8:9]
	s_waitcnt lgkmcnt(0)
	s_barrier
.LBB69_129:                             ;   in Loop: Header=BB69_16 Depth=1
	s_or_saveexec_b64 s[6:7], s[6:7]
	s_mov_b64 s[14:15], 0
	v_mov_b32_e32 v2, 8
	s_xor_b64 exec, exec, s[6:7]
; %bb.130:                              ;   in Loop: Header=BB69_16 Depth=1
	v_sub_co_u32_e32 v26, vcc, v26, v4
	v_subb_co_u32_e32 v27, vcc, v27, v5, vcc
	v_mov_b32_e32 v2, 0
	s_mov_b64 s[14:15], exec
; %bb.131:                              ;   in Loop: Header=BB69_16 Depth=1
	s_or_b64 exec, exec, s[6:7]
	v_mov_b32_e32 v8, v26
	s_and_b64 s[14:15], s[14:15], exec
	v_mov_b32_e32 v9, v27
.LBB69_132:                             ;   in Loop: Header=BB69_16 Depth=1
	s_or_b64 exec, exec, s[4:5]
	s_mov_b64 s[20:21], -1
	s_mov_b64 s[6:7], -1
                                        ; implicit-def: $sgpr4_sgpr5
                                        ; implicit-def: $sgpr92_sgpr93
	s_and_saveexec_b64 s[8:9], s[14:15]
	s_xor_b64 s[26:27], exec, s[8:9]
	s_cbranch_execz .LBB69_274
; %bb.133:                              ;   in Loop: Header=BB69_16 Depth=1
	v_cmp_eq_u64_e32 vcc, 1, v[6:7]
	v_cmp_eq_u64_e64 s[4:5], 1, v[8:9]
                                        ; implicit-def: $sgpr92_sgpr93
	s_and_b64 s[36:37], vcc, s[4:5]
                                        ; implicit-def: $sgpr4_sgpr5
	s_and_saveexec_b64 s[38:39], s[36:37]
	s_cbranch_execz .LBB69_167
; %bb.134:                              ;   in Loop: Header=BB69_16 Depth=1
	ds_read_b64 v[4:5], v3 offset:5120
	s_waitcnt lgkmcnt(0)
	s_barrier
	v_readfirstlane_b32 s40, v4
	v_readfirstlane_b32 s41, v5
	s_mov_b64 s[4:5], exec
	v_readlane_b32 s6, v61, 39
	v_readlane_b32 s7, v61, 40
	s_and_b64 s[6:7], s[4:5], s[6:7]
	s_mov_b64 exec, s[6:7]
; %bb.135:                              ;   in Loop: Header=BB69_16 Depth=1
	ds_write_b16 v46, v3
; %bb.136:                              ;   in Loop: Header=BB69_16 Depth=1
	s_or_b64 exec, exec, s[4:5]
	v_cmp_gt_i64_e64 s[6:7], s[40:41], 0
	v_and_b32_e32 v4, s13, v44
	v_lshl_or_b32 v44, 1, s70, v4
	v_or_b32_e32 v51, s12, v51
	s_mov_b64 s[4:5], -1
	s_mov_b64 s[92:93], 0
	s_and_b64 vcc, exec, s[6:7]
	s_mov_b64 s[6:7], 0
	s_mov_b64 s[14:15], -1
	s_waitcnt lgkmcnt(0)
	s_barrier
                                        ; implicit-def: $vgpr52
	s_cbranch_vccnz .LBB69_152
; %bb.137:                              ;   in Loop: Header=BB69_16 Depth=1
	s_mov_b32 s62, s53
	s_cmp_lg_u64 s[62:63], 0
	s_cbranch_scc0 .LBB69_194
; %bb.138:                              ;   in Loop: Header=BB69_16 Depth=1
	s_add_u32 s6, s33, 0
	s_addc_u32 s7, 0, 0
	s_xor_b64 s[6:7], s[6:7], 0
	v_cvt_f32_u32_e32 v4, s6
	v_cvt_f32_u32_e32 v5, s7
	s_sub_u32 s14, 0, s6
	s_subb_u32 s15, 0, s7
	v_mac_f32_e32 v4, 0x4f800000, v5
	v_rcp_f32_e32 v4, v4
	v_mul_f32_e32 v4, 0x5f7ffffc, v4
	v_mul_f32_e32 v5, 0x2f800000, v4
	v_trunc_f32_e32 v5, v5
	v_mac_f32_e32 v4, 0xcf800000, v5
	v_cvt_u32_f32_e32 v5, v5
	v_cvt_u32_f32_e32 v4, v4
	v_readfirstlane_b32 s22, v5
	v_readfirstlane_b32 s8, v4
	s_mul_i32 s9, s14, s22
	s_mul_hi_u32 s28, s14, s8
	s_mul_i32 s23, s15, s8
	s_add_i32 s9, s28, s9
	s_mul_i32 s29, s14, s8
	s_add_i32 s9, s9, s23
	s_mul_i32 s28, s8, s9
	s_mul_hi_u32 s34, s8, s29
	s_mul_hi_u32 s23, s8, s9
	s_add_u32 s28, s34, s28
	s_addc_u32 s23, 0, s23
	s_mul_hi_u32 s35, s22, s29
	s_mul_i32 s29, s22, s29
	s_add_u32 s28, s28, s29
	s_mul_hi_u32 s34, s22, s9
	s_addc_u32 s23, s23, s35
	s_addc_u32 s28, s34, 0
	s_mul_i32 s9, s22, s9
	s_add_u32 s9, s23, s9
	s_addc_u32 s23, 0, s28
	s_add_u32 s28, s8, s9
	s_cselect_b64 s[8:9], -1, 0
	s_cmp_lg_u64 s[8:9], 0
	s_addc_u32 s22, s22, s23
	s_mul_i32 s8, s14, s22
	s_mul_hi_u32 s9, s14, s28
	s_add_i32 s8, s9, s8
	s_mul_i32 s15, s15, s28
	s_add_i32 s8, s8, s15
	s_mul_i32 s14, s14, s28
	s_mul_hi_u32 s15, s22, s14
	s_mul_i32 s23, s22, s14
	s_mul_i32 s34, s28, s8
	s_mul_hi_u32 s14, s28, s14
	s_mul_hi_u32 s29, s28, s8
	s_add_u32 s14, s14, s34
	s_addc_u32 s29, 0, s29
	s_add_u32 s14, s14, s23
	s_mul_hi_u32 s9, s22, s8
	s_addc_u32 s14, s29, s15
	s_addc_u32 s9, s9, 0
	s_mul_i32 s8, s22, s8
	s_add_u32 s8, s14, s8
	s_addc_u32 s14, 0, s9
	s_add_u32 s23, s28, s8
	s_cselect_b64 s[8:9], -1, 0
	s_cmp_lg_u64 s[8:9], 0
	s_addc_u32 s22, s22, s14
	s_ashr_i32 s8, s63, 31
	s_add_u32 s14, s0, s8
	s_mov_b32 s9, s8
	s_addc_u32 s15, s63, s8
	s_xor_b64 s[14:15], s[14:15], s[8:9]
	s_mul_i32 s29, s14, s22
	s_mul_hi_u32 s34, s14, s23
	s_mul_hi_u32 s28, s14, s22
	s_add_u32 s29, s34, s29
	s_addc_u32 s28, 0, s28
	s_mul_hi_u32 s35, s15, s23
	s_mul_i32 s23, s15, s23
	s_add_u32 s23, s29, s23
	s_mul_hi_u32 s34, s15, s22
	s_addc_u32 s23, s28, s35
	s_addc_u32 s28, s34, 0
	s_mul_i32 s22, s15, s22
	s_add_u32 s22, s23, s22
	s_addc_u32 s23, 0, s28
	s_mul_i32 s23, s6, s23
	s_mul_hi_u32 s28, s6, s22
	s_add_i32 s23, s28, s23
	s_mul_i32 s28, s7, s22
	s_add_i32 s34, s23, s28
	s_sub_i32 s28, s15, s34
	s_mul_i32 s22, s6, s22
	s_sub_u32 s14, s14, s22
	s_cselect_b64 s[22:23], -1, 0
	s_cmp_lg_u64 s[22:23], 0
	s_subb_u32 s35, s28, s7
	s_sub_u32 s42, s14, s6
	s_cselect_b64 s[28:29], -1, 0
	s_cmp_lg_u64 s[28:29], 0
	s_subb_u32 s43, s35, 0
	s_cmp_ge_u32 s43, s7
	s_cselect_b32 s44, -1, 0
	s_cmp_ge_u32 s42, s6
	s_cselect_b32 s45, -1, 0
	s_cmp_eq_u32 s43, s7
	s_cselect_b32 s44, s45, s44
	s_cmp_lg_u64 s[28:29], 0
	s_subb_u32 s35, s35, s7
	s_sub_u32 s45, s42, s6
	s_cselect_b64 s[28:29], -1, 0
	s_cmp_lg_u64 s[28:29], 0
	s_subb_u32 s28, s35, 0
	s_cmp_lg_u32 s44, 0
	s_cselect_b32 s29, s45, s42
	s_cselect_b32 s28, s28, s43
	s_cmp_lg_u64 s[22:23], 0
	s_subb_u32 s15, s15, s34
	s_cmp_ge_u32 s15, s7
	s_cselect_b32 s22, -1, 0
	s_cmp_ge_u32 s14, s6
	s_cselect_b32 s6, -1, 0
	s_cmp_eq_u32 s15, s7
	s_cselect_b32 s6, s6, s22
	s_cmp_lg_u32 s6, 0
	s_cselect_b32 s7, s28, s15
	s_cselect_b32 s6, s29, s14
	s_xor_b64 s[6:7], s[6:7], s[8:9]
	s_sub_u32 s6, s6, s8
	s_subb_u32 s7, s7, s8
	s_cbranch_execnz .LBB69_140
.LBB69_139:                             ;   in Loop: Header=BB69_16 Depth=1
	v_cvt_f32_u32_e32 v4, s33
	s_sub_i32 s6, 0, s33
	v_rcp_iflag_f32_e32 v4, v4
	v_mul_f32_e32 v4, 0x4f7ffffe, v4
	v_cvt_u32_f32_e32 v4, v4
	v_readfirstlane_b32 s7, v4
	s_mul_i32 s6, s6, s7
	s_mul_hi_u32 s6, s7, s6
	s_add_i32 s7, s7, s6
	s_mul_hi_u32 s6, s0, s7
	s_mul_i32 s6, s6, s33
	s_sub_i32 s6, s0, s6
	s_sub_i32 s7, s6, s33
	s_cmp_ge_u32 s6, s33
	s_cselect_b32 s6, s7, s6
	s_sub_i32 s7, s6, s33
	s_cmp_ge_u32 s6, s33
	s_cselect_b32 s52, s7, s6
	s_mov_b64 s[6:7], s[52:53]
.LBB69_140:                             ;   in Loop: Header=BB69_16 Depth=1
	s_sub_u32 s34, s0, s6
	s_subb_u32 s35, s63, s7
	v_cmp_gt_i64_e32 vcc, s[34:35], v[0:1]
	s_mov_b64 s[14:15], 0
	s_mov_b64 s[6:7], 0
                                        ; implicit-def: $vgpr52
	s_and_saveexec_b64 s[28:29], vcc
	s_cbranch_execz .LBB69_151
; %bb.141:                              ;   in Loop: Header=BB69_16 Depth=1
	v_mov_b32_e32 v4, v12
	v_mov_b32_e32 v11, v1
	;; [unrolled: 1-line block ×4, first 2 shown]
                                        ; implicit-def: $sgpr42_sgpr43
	s_branch .LBB69_144
.LBB69_142:                             ;   in Loop: Header=BB69_144 Depth=2
	s_or_b64 exec, exec, s[44:45]
	s_waitcnt lgkmcnt(0)
	s_barrier
	ds_read_b32 v26, v3 offset:3072
	s_mov_b64 s[8:9], -1
	s_mov_b64 s[44:45], -1
	s_waitcnt lgkmcnt(0)
	s_barrier
	v_and_b32_e32 v27, 0x7fff, v26
	v_cmp_ne_u32_e32 vcc, 0, v27
	s_cbranch_vccz .LBB69_147
.LBB69_143:                             ;   in Loop: Header=BB69_144 Depth=2
	s_and_b64 s[8:9], exec, s[8:9]
	s_or_b64 s[6:7], s[8:9], s[6:7]
	s_andn2_b64 s[8:9], s[42:43], exec
	s_and_b64 s[22:23], s[44:45], exec
	s_or_b64 s[42:43], s[8:9], s[22:23]
	s_andn2_b64 exec, exec, s[6:7]
	s_cbranch_execz .LBB69_150
.LBB69_144:                             ;   Parent Loop BB69_16 Depth=1
                                        ; =>  This Inner Loop Header: Depth=2
	v_cmp_gt_i64_e32 vcc, s[24:25], v[10:11]
	s_and_saveexec_b64 s[44:45], vcc
	s_cbranch_execz .LBB69_142
; %bb.145:                              ;   in Loop: Header=BB69_144 Depth=2
	global_load_ushort v26, v[4:5], off
	s_waitcnt vmcnt(0)
	v_cmp_lt_i16_e32 vcc, -1, v26
	v_cndmask_b32_e32 v27, v47, v48, vcc
	v_lshlrev_b32_e32 v28, 16, v26
	v_cmp_o_f32_e32 vcc, v28, v28
	v_xor_b32_sdwa v27, v27, v26 dst_sel:DWORD dst_unused:UNUSED_PAD src0_sel:DWORD src1_sel:WORD_0
	v_cndmask_b32_e32 v27, v47, v27, vcc
	v_and_b32_e32 v27, v27, v51
	v_cmp_eq_u32_e32 vcc, v27, v44
	s_and_b64 exec, exec, vcc
	s_cbranch_execz .LBB69_142
; %bb.146:                              ;   in Loop: Header=BB69_144 Depth=2
	v_perm_b32 v26, v26, s61, v50
	ds_write_b32 v3, v26 offset:3072
	s_branch .LBB69_142
.LBB69_147:                             ;   in Loop: Header=BB69_144 Depth=2
	v_add_co_u32_e32 v10, vcc, s33, v10
	v_addc_co_u32_e32 v11, vcc, 0, v11, vcc
	v_mov_b32_e32 v27, s57
	v_add_co_u32_e32 v4, vcc, s56, v4
	v_addc_co_u32_e32 v5, vcc, v5, v27, vcc
	v_cmp_le_i64_e32 vcc, s[34:35], v[10:11]
	s_mov_b64 s[44:45], 0
	s_orn2_b64 s[8:9], vcc, exec
	s_branch .LBB69_143
.LBB69_148:                             ;   in Loop: Header=BB69_16 Depth=1
                                        ; implicit-def: $sgpr8_sgpr9
	s_branch .LBB69_96
.LBB69_149:                             ;   in Loop: Header=BB69_16 Depth=1
                                        ; implicit-def: $sgpr8_sgpr9
	s_branch .LBB69_110
.LBB69_150:                             ;   in Loop: Header=BB69_16 Depth=1
	s_or_b64 exec, exec, s[6:7]
	v_lshrrev_b32_e32 v52, 16, v26
	s_and_b64 s[6:7], s[42:43], exec
.LBB69_151:                             ;   in Loop: Header=BB69_16 Depth=1
	s_or_b64 exec, exec, s[28:29]
.LBB69_152:                             ;   in Loop: Header=BB69_16 Depth=1
	s_and_b64 vcc, exec, s[14:15]
	s_cbranch_vccz .LBB69_166
; %bb.153:                              ;   in Loop: Header=BB69_16 Depth=1
	v_readlane_b32 s4, v61, 18
	s_add_u32 s22, s40, s4
	v_readlane_b32 s4, v61, 19
	s_addc_u32 s5, s41, s4
	s_mov_b32 s4, s53
	s_cmp_lg_u64 s[4:5], 0
	s_cbranch_scc0 .LBB69_195
; %bb.154:                              ;   in Loop: Header=BB69_16 Depth=1
	s_add_u32 s8, s33, 0
	s_addc_u32 s9, 0, 0
	s_xor_b64 s[14:15], s[8:9], 0
	v_cvt_f32_u32_e32 v4, s14
	v_cvt_f32_u32_e32 v5, s15
	s_sub_u32 s4, 0, s14
	s_subb_u32 s23, 0, s15
	v_mac_f32_e32 v4, 0x4f800000, v5
	v_rcp_f32_e32 v4, v4
	v_mul_f32_e32 v4, 0x5f7ffffc, v4
	v_mul_f32_e32 v5, 0x2f800000, v4
	v_trunc_f32_e32 v5, v5
	v_mac_f32_e32 v4, 0xcf800000, v5
	v_cvt_u32_f32_e32 v5, v5
	v_cvt_u32_f32_e32 v4, v4
	v_readfirstlane_b32 s28, v5
	v_readfirstlane_b32 s8, v4
	s_mul_i32 s9, s4, s28
	s_mul_hi_u32 s34, s4, s8
	s_mul_i32 s29, s23, s8
	s_add_i32 s9, s34, s9
	s_mul_i32 s35, s4, s8
	s_add_i32 s9, s9, s29
	s_mul_i32 s34, s8, s9
	s_mul_hi_u32 s42, s8, s35
	s_mul_hi_u32 s29, s8, s9
	s_add_u32 s34, s42, s34
	s_addc_u32 s29, 0, s29
	s_mul_hi_u32 s43, s28, s35
	s_mul_i32 s35, s28, s35
	s_add_u32 s34, s34, s35
	s_mul_hi_u32 s42, s28, s9
	s_addc_u32 s29, s29, s43
	s_addc_u32 s34, s42, 0
	s_mul_i32 s9, s28, s9
	s_add_u32 s9, s29, s9
	s_addc_u32 s29, 0, s34
	s_add_u32 s34, s8, s9
	s_cselect_b64 s[8:9], -1, 0
	s_cmp_lg_u64 s[8:9], 0
	s_addc_u32 s28, s28, s29
	s_mul_i32 s8, s4, s28
	s_mul_hi_u32 s9, s4, s34
	s_add_i32 s8, s9, s8
	s_mul_i32 s23, s23, s34
	s_add_i32 s8, s8, s23
	s_mul_i32 s4, s4, s34
	s_mul_hi_u32 s23, s28, s4
	s_mul_i32 s29, s28, s4
	s_mul_i32 s42, s34, s8
	s_mul_hi_u32 s4, s34, s4
	s_mul_hi_u32 s35, s34, s8
	s_add_u32 s4, s4, s42
	s_addc_u32 s35, 0, s35
	s_add_u32 s4, s4, s29
	s_mul_hi_u32 s9, s28, s8
	s_addc_u32 s4, s35, s23
	s_addc_u32 s9, s9, 0
	s_mul_i32 s8, s28, s8
	s_add_u32 s4, s4, s8
	s_addc_u32 s23, 0, s9
	s_add_u32 s4, s34, s4
	s_cselect_b64 s[8:9], -1, 0
	s_cmp_lg_u64 s[8:9], 0
	s_addc_u32 s23, s28, s23
	s_ashr_i32 s28, s5, 31
	s_add_u32 s8, s22, s28
	s_mov_b32 s29, s28
	s_addc_u32 s9, s5, s28
	s_xor_b64 s[8:9], s[8:9], s[28:29]
	s_mul_i32 s35, s8, s23
	s_mul_hi_u32 s42, s8, s4
	s_mul_hi_u32 s34, s8, s23
	s_add_u32 s35, s42, s35
	s_addc_u32 s34, 0, s34
	s_mul_hi_u32 s43, s9, s4
	s_mul_i32 s4, s9, s4
	s_add_u32 s4, s35, s4
	s_mul_hi_u32 s42, s9, s23
	s_addc_u32 s4, s34, s43
	s_addc_u32 s34, s42, 0
	s_mul_i32 s23, s9, s23
	s_add_u32 s4, s4, s23
	s_addc_u32 s23, 0, s34
	s_mul_i32 s23, s14, s23
	s_mul_hi_u32 s34, s14, s4
	s_add_i32 s23, s34, s23
	s_mul_i32 s34, s15, s4
	s_add_i32 s23, s23, s34
	s_sub_i32 s42, s9, s23
	s_mul_i32 s4, s14, s4
	s_sub_u32 s4, s8, s4
	s_cselect_b64 s[34:35], -1, 0
	s_cmp_lg_u64 s[34:35], 0
	s_subb_u32 s8, s42, s15
	s_sub_u32 s44, s4, s14
	s_cselect_b64 s[42:43], -1, 0
	s_cmp_lg_u64 s[42:43], 0
	s_subb_u32 s45, s8, 0
	s_cmp_ge_u32 s45, s15
	s_cselect_b32 s46, -1, 0
	s_cmp_ge_u32 s44, s14
	s_cselect_b32 s47, -1, 0
	s_cmp_eq_u32 s45, s15
	s_cselect_b32 s46, s47, s46
	s_cmp_lg_u64 s[42:43], 0
	s_subb_u32 s8, s8, s15
	s_sub_u32 s47, s44, s14
	s_cselect_b64 s[42:43], -1, 0
	s_cmp_lg_u64 s[42:43], 0
	s_subb_u32 s8, s8, 0
	s_cmp_lg_u32 s46, 0
	s_cselect_b32 s42, s47, s44
	s_cselect_b32 s8, s8, s45
	s_cmp_lg_u64 s[34:35], 0
	s_subb_u32 s9, s9, s23
	s_cmp_ge_u32 s9, s15
	s_cselect_b32 s23, -1, 0
	s_cmp_ge_u32 s4, s14
	s_cselect_b32 s14, -1, 0
	s_cmp_eq_u32 s9, s15
	s_cselect_b32 s14, s14, s23
	s_cmp_lg_u32 s14, 0
	s_cselect_b32 s9, s8, s9
	s_cselect_b32 s8, s42, s4
	s_xor_b64 s[8:9], s[8:9], s[28:29]
	s_sub_u32 s8, s8, s28
	s_subb_u32 s9, s9, s28
	s_cbranch_execnz .LBB69_156
.LBB69_155:                             ;   in Loop: Header=BB69_16 Depth=1
	v_cvt_f32_u32_e32 v4, s33
	s_sub_i32 s4, 0, s33
	v_rcp_iflag_f32_e32 v4, v4
	v_mul_f32_e32 v4, 0x4f7ffffe, v4
	v_cvt_u32_f32_e32 v4, v4
	v_readfirstlane_b32 s8, v4
	s_mul_i32 s4, s4, s8
	s_mul_hi_u32 s4, s8, s4
	s_add_i32 s8, s8, s4
	s_mul_hi_u32 s4, s22, s8
	s_mul_i32 s4, s4, s33
	s_sub_i32 s4, s22, s4
	s_sub_i32 s8, s4, s33
	s_cmp_ge_u32 s4, s33
	s_cselect_b32 s4, s8, s4
	s_sub_i32 s8, s4, s33
	s_cmp_ge_u32 s4, s33
	s_cselect_b32 s52, s8, s4
	s_mov_b64 s[8:9], s[52:53]
.LBB69_156:                             ;   in Loop: Header=BB69_16 Depth=1
	s_sub_u32 s14, s22, s8
	s_subb_u32 s15, s5, s9
	v_cmp_gt_i64_e32 vcc, s[14:15], v[0:1]
                                        ; implicit-def: $vgpr52
	s_and_saveexec_b64 s[4:5], vcc
	s_cbranch_execz .LBB69_165
; %bb.157:                              ;   in Loop: Header=BB69_16 Depth=1
	v_mov_b32_e32 v5, v1
	s_mov_b64 s[28:29], 0
	v_mov_b32_e32 v10, v45
	v_mov_b32_e32 v4, v0
                                        ; implicit-def: $sgpr34_sgpr35
	s_branch .LBB69_160
.LBB69_158:                             ;   in Loop: Header=BB69_160 Depth=2
	s_or_b64 exec, exec, s[42:43]
	s_waitcnt lgkmcnt(0)
	s_barrier
	ds_read_b32 v11, v3 offset:3072
	s_mov_b64 s[8:9], -1
	s_mov_b64 s[42:43], -1
	s_waitcnt lgkmcnt(0)
	s_barrier
	v_and_b32_e32 v26, 0x7fff, v11
	v_cmp_eq_u32_e32 vcc, 0, v26
	s_cbranch_vccnz .LBB69_163
.LBB69_159:                             ;   in Loop: Header=BB69_160 Depth=2
	s_and_b64 s[8:9], exec, s[8:9]
	s_or_b64 s[28:29], s[8:9], s[28:29]
	s_andn2_b64 s[8:9], s[34:35], exec
	s_and_b64 s[22:23], s[42:43], exec
	s_or_b64 s[34:35], s[8:9], s[22:23]
	s_andn2_b64 exec, exec, s[28:29]
	s_cbranch_execz .LBB69_164
.LBB69_160:                             ;   Parent Loop BB69_16 Depth=1
                                        ; =>  This Inner Loop Header: Depth=2
	v_cmp_gt_u64_e32 vcc, s[40:41], v[4:5]
	s_and_saveexec_b64 s[42:43], vcc
	s_cbranch_execz .LBB69_158
; %bb.161:                              ;   in Loop: Header=BB69_160 Depth=2
	ds_read_u16 v11, v10
	s_waitcnt lgkmcnt(0)
	v_cmp_lt_i16_e32 vcc, -1, v11
	v_cndmask_b32_e32 v26, v47, v48, vcc
	v_lshlrev_b32_e32 v27, 16, v11
	v_cmp_o_f32_e32 vcc, v27, v27
	v_xor_b32_sdwa v26, v26, v11 dst_sel:DWORD dst_unused:UNUSED_PAD src0_sel:DWORD src1_sel:WORD_0
	v_cndmask_b32_e32 v26, v47, v26, vcc
	v_and_b32_e32 v26, v26, v51
	v_cmp_eq_u32_e32 vcc, v26, v44
	s_and_b64 exec, exec, vcc
	s_cbranch_execz .LBB69_158
; %bb.162:                              ;   in Loop: Header=BB69_160 Depth=2
	v_perm_b32 v11, v11, s61, v50
	ds_write_b32 v3, v11 offset:3072
	s_branch .LBB69_158
.LBB69_163:                             ;   in Loop: Header=BB69_160 Depth=2
	v_add_co_u32_e32 v4, vcc, s33, v4
	v_addc_co_u32_e32 v5, vcc, 0, v5, vcc
	v_cmp_le_i64_e32 vcc, s[14:15], v[4:5]
	v_add_u32_e32 v10, s60, v10
	s_mov_b64 s[42:43], 0
	s_orn2_b64 s[8:9], vcc, exec
	s_branch .LBB69_159
.LBB69_164:                             ;   in Loop: Header=BB69_16 Depth=1
	s_or_b64 exec, exec, s[28:29]
	s_andn2_b64 s[6:7], s[6:7], exec
	s_and_b64 s[8:9], s[34:35], exec
	v_lshrrev_b32_e32 v52, 16, v11
	s_or_b64 s[6:7], s[6:7], s[8:9]
.LBB69_165:                             ;   in Loop: Header=BB69_16 Depth=1
	s_or_b64 exec, exec, s[4:5]
	s_mov_b64 s[4:5], 0
	s_mov_b64 s[92:93], -1
.LBB69_166:                             ;   in Loop: Header=BB69_16 Depth=1
	s_orn2_b64 s[6:7], s[6:7], exec
.LBB69_167:                             ;   in Loop: Header=BB69_16 Depth=1
	s_or_b64 exec, exec, s[38:39]
	s_mov_b64 s[14:15], 0
	s_and_saveexec_b64 s[94:95], s[6:7]
	s_cbranch_execz .LBB69_273
; %bb.168:                              ;   in Loop: Header=BB69_16 Depth=1
	v_mov_b32_e32 v4, 1
	s_xor_b64 s[8:9], s[36:37], -1
	v_mov_b32_e32 v2, 1
	v_mov_b32_e32 v5, 0
	s_and_saveexec_b64 s[6:7], s[8:9]
	s_cbranch_execz .LBB69_178
; %bb.169:                              ;   in Loop: Header=BB69_16 Depth=1
	v_cmp_le_i64_e32 vcc, v[8:9], v[6:7]
	s_and_saveexec_b64 s[8:9], vcc
	s_xor_b64 s[14:15], exec, s[8:9]
	s_cbranch_execz .LBB69_175
; %bb.170:                              ;   in Loop: Header=BB69_16 Depth=1
	ds_read_b64 v[4:5], v3 offset:5120
	v_and_b32_e32 v2, s13, v44
	v_lshl_or_b32 v44, 1, s70, v2
	v_or_b32_e32 v51, s12, v51
	s_waitcnt lgkmcnt(0)
	v_cmp_ne_u64_e32 vcc, 0, v[4:5]
	s_cbranch_vccnz .LBB69_174
; %bb.171:                              ;   in Loop: Header=BB69_16 Depth=1
	s_mov_b64 s[8:9], exec
	v_readlane_b32 s22, v61, 12
	v_readlane_b32 s23, v61, 13
	s_and_b64 s[22:23], s[8:9], s[22:23]
	s_mov_b64 exec, s[22:23]
; %bb.172:                              ;   in Loop: Header=BB69_16 Depth=1
	ds_write_b64 v3, v[6:7] offset:5128
; %bb.173:                              ;   in Loop: Header=BB69_16 Depth=1
	s_or_b64 exec, exec, s[8:9]
	s_waitcnt lgkmcnt(0)
	s_barrier
.LBB69_174:                             ;   in Loop: Header=BB69_16 Depth=1
                                        ; implicit-def: $vgpr4_vgpr5_vgpr6_vgpr7
.LBB69_175:                             ;   in Loop: Header=BB69_16 Depth=1
	s_or_saveexec_b64 s[14:15], s[14:15]
	s_mov_b64 s[28:29], 0
	v_mov_b32_e32 v2, 8
	s_xor_b64 exec, exec, s[14:15]
; %bb.176:                              ;   in Loop: Header=BB69_16 Depth=1
	v_sub_co_u32_e32 v8, vcc, v8, v6
	v_subb_co_u32_e32 v9, vcc, v9, v7, vcc
	v_mov_b32_e32 v2, 0
	s_mov_b64 s[28:29], exec
; %bb.177:                              ;   in Loop: Header=BB69_16 Depth=1
	s_or_b64 exec, exec, s[14:15]
	v_mov_b32_e32 v4, v8
	s_and_b64 s[14:15], s[28:29], exec
	v_mov_b32_e32 v5, v9
.LBB69_178:                             ;   in Loop: Header=BB69_16 Depth=1
	s_or_b64 exec, exec, s[6:7]
	s_mov_b64 s[6:7], -1
                                        ; implicit-def: $sgpr50_sgpr51
                                        ; implicit-def: $sgpr36_sgpr37
	s_and_saveexec_b64 s[48:49], s[14:15]
	s_cbranch_execz .LBB69_272
; %bb.179:                              ;   in Loop: Header=BB69_16 Depth=1
	s_cmp_eq_u64 s[90:91], 1
	v_cmp_eq_u64_e32 vcc, 1, v[4:5]
	s_cselect_b64 s[6:7], -1, 0
	s_and_b64 s[40:41], s[6:7], vcc
	s_mov_b64 s[6:7], -1
                                        ; implicit-def: $sgpr36_sgpr37
                                        ; implicit-def: $sgpr50_sgpr51
	s_and_saveexec_b64 s[38:39], s[40:41]
	s_cbranch_execz .LBB69_213
; %bb.180:                              ;   in Loop: Header=BB69_16 Depth=1
	ds_read_b64 v[6:7], v3 offset:5120
	s_waitcnt lgkmcnt(0)
	s_barrier
	v_readfirstlane_b32 s42, v6
	v_readfirstlane_b32 s43, v7
	s_mov_b64 s[6:7], exec
	v_readlane_b32 s8, v61, 39
	v_readlane_b32 s9, v61, 40
	s_and_b64 s[8:9], s[6:7], s[8:9]
	s_mov_b64 exec, s[8:9]
; %bb.181:                              ;   in Loop: Header=BB69_16 Depth=1
	ds_write_b16 v46, v3
; %bb.182:                              ;   in Loop: Header=BB69_16 Depth=1
	s_or_b64 exec, exec, s[6:7]
	v_cmp_gt_i64_e64 s[6:7], s[42:43], 0
	v_and_b32_e32 v6, s13, v44
	v_lshl_or_b32 v44, 2, s70, v6
	v_or_b32_e32 v51, s12, v51
	s_mov_b64 s[50:51], -1
	s_mov_b64 s[36:37], 0
	s_and_b64 vcc, exec, s[6:7]
	s_mov_b64 s[6:7], 0
	s_mov_b64 s[14:15], -1
	s_waitcnt lgkmcnt(0)
	s_barrier
                                        ; implicit-def: $vgpr52
	s_cbranch_vccnz .LBB69_198
; %bb.183:                              ;   in Loop: Header=BB69_16 Depth=1
	s_mov_b32 s62, s53
	s_cmp_lg_u64 s[62:63], 0
	s_cbranch_scc0 .LBB69_239
; %bb.184:                              ;   in Loop: Header=BB69_16 Depth=1
	s_add_u32 s6, s33, 0
	s_addc_u32 s7, 0, 0
	s_xor_b64 s[6:7], s[6:7], 0
	v_cvt_f32_u32_e32 v6, s6
	v_cvt_f32_u32_e32 v7, s7
	s_sub_u32 s14, 0, s6
	s_subb_u32 s15, 0, s7
	v_mac_f32_e32 v6, 0x4f800000, v7
	v_rcp_f32_e32 v6, v6
	v_mul_f32_e32 v6, 0x5f7ffffc, v6
	v_mul_f32_e32 v7, 0x2f800000, v6
	v_trunc_f32_e32 v7, v7
	v_mac_f32_e32 v6, 0xcf800000, v7
	v_cvt_u32_f32_e32 v7, v7
	v_cvt_u32_f32_e32 v6, v6
	v_readfirstlane_b32 s22, v7
	v_readfirstlane_b32 s8, v6
	s_mul_i32 s9, s14, s22
	s_mul_hi_u32 s28, s14, s8
	s_mul_i32 s23, s15, s8
	s_add_i32 s9, s28, s9
	s_mul_i32 s29, s14, s8
	s_add_i32 s9, s9, s23
	s_mul_i32 s28, s8, s9
	s_mul_hi_u32 s34, s8, s29
	s_mul_hi_u32 s23, s8, s9
	s_add_u32 s28, s34, s28
	s_addc_u32 s23, 0, s23
	s_mul_hi_u32 s35, s22, s29
	s_mul_i32 s29, s22, s29
	s_add_u32 s28, s28, s29
	s_mul_hi_u32 s34, s22, s9
	s_addc_u32 s23, s23, s35
	s_addc_u32 s28, s34, 0
	s_mul_i32 s9, s22, s9
	s_add_u32 s9, s23, s9
	s_addc_u32 s23, 0, s28
	s_add_u32 s28, s8, s9
	s_cselect_b64 s[8:9], -1, 0
	s_cmp_lg_u64 s[8:9], 0
	s_addc_u32 s22, s22, s23
	s_mul_i32 s8, s14, s22
	s_mul_hi_u32 s9, s14, s28
	s_add_i32 s8, s9, s8
	s_mul_i32 s15, s15, s28
	s_add_i32 s8, s8, s15
	s_mul_i32 s14, s14, s28
	s_mul_hi_u32 s15, s22, s14
	s_mul_i32 s23, s22, s14
	s_mul_i32 s34, s28, s8
	s_mul_hi_u32 s14, s28, s14
	s_mul_hi_u32 s29, s28, s8
	s_add_u32 s14, s14, s34
	s_addc_u32 s29, 0, s29
	s_add_u32 s14, s14, s23
	s_mul_hi_u32 s9, s22, s8
	s_addc_u32 s14, s29, s15
	s_addc_u32 s9, s9, 0
	s_mul_i32 s8, s22, s8
	s_add_u32 s8, s14, s8
	s_addc_u32 s14, 0, s9
	s_add_u32 s23, s28, s8
	s_cselect_b64 s[8:9], -1, 0
	s_cmp_lg_u64 s[8:9], 0
	s_addc_u32 s22, s22, s14
	s_ashr_i32 s8, s63, 31
	s_add_u32 s14, s0, s8
	s_mov_b32 s9, s8
	s_addc_u32 s15, s63, s8
	s_xor_b64 s[14:15], s[14:15], s[8:9]
	s_mul_i32 s29, s14, s22
	s_mul_hi_u32 s34, s14, s23
	s_mul_hi_u32 s28, s14, s22
	s_add_u32 s29, s34, s29
	s_addc_u32 s28, 0, s28
	s_mul_hi_u32 s35, s15, s23
	s_mul_i32 s23, s15, s23
	s_add_u32 s23, s29, s23
	s_mul_hi_u32 s34, s15, s22
	s_addc_u32 s23, s28, s35
	s_addc_u32 s28, s34, 0
	s_mul_i32 s22, s15, s22
	s_add_u32 s22, s23, s22
	s_addc_u32 s23, 0, s28
	s_mul_i32 s23, s6, s23
	s_mul_hi_u32 s28, s6, s22
	s_add_i32 s23, s28, s23
	s_mul_i32 s28, s7, s22
	s_add_i32 s34, s23, s28
	s_sub_i32 s28, s15, s34
	s_mul_i32 s22, s6, s22
	s_sub_u32 s14, s14, s22
	s_cselect_b64 s[22:23], -1, 0
	s_cmp_lg_u64 s[22:23], 0
	s_subb_u32 s35, s28, s7
	s_sub_u32 s44, s14, s6
	s_cselect_b64 s[28:29], -1, 0
	s_cmp_lg_u64 s[28:29], 0
	s_subb_u32 s45, s35, 0
	s_cmp_ge_u32 s45, s7
	s_cselect_b32 s46, -1, 0
	s_cmp_ge_u32 s44, s6
	s_cselect_b32 s47, -1, 0
	s_cmp_eq_u32 s45, s7
	s_cselect_b32 s46, s47, s46
	s_cmp_lg_u64 s[28:29], 0
	s_subb_u32 s35, s35, s7
	s_sub_u32 s47, s44, s6
	s_cselect_b64 s[28:29], -1, 0
	s_cmp_lg_u64 s[28:29], 0
	s_subb_u32 s28, s35, 0
	s_cmp_lg_u32 s46, 0
	s_cselect_b32 s29, s47, s44
	s_cselect_b32 s28, s28, s45
	s_cmp_lg_u64 s[22:23], 0
	s_subb_u32 s15, s15, s34
	s_cmp_ge_u32 s15, s7
	s_cselect_b32 s22, -1, 0
	s_cmp_ge_u32 s14, s6
	s_cselect_b32 s6, -1, 0
	s_cmp_eq_u32 s15, s7
	s_cselect_b32 s6, s6, s22
	s_cmp_lg_u32 s6, 0
	s_cselect_b32 s7, s28, s15
	s_cselect_b32 s6, s29, s14
	s_xor_b64 s[6:7], s[6:7], s[8:9]
	s_sub_u32 s6, s6, s8
	s_subb_u32 s7, s7, s8
	s_cbranch_execnz .LBB69_186
.LBB69_185:                             ;   in Loop: Header=BB69_16 Depth=1
	v_cvt_f32_u32_e32 v6, s33
	s_sub_i32 s6, 0, s33
	v_rcp_iflag_f32_e32 v6, v6
	v_mul_f32_e32 v6, 0x4f7ffffe, v6
	v_cvt_u32_f32_e32 v6, v6
	v_readfirstlane_b32 s7, v6
	s_mul_i32 s6, s6, s7
	s_mul_hi_u32 s6, s7, s6
	s_add_i32 s7, s7, s6
	s_mul_hi_u32 s6, s0, s7
	s_mul_i32 s6, s6, s33
	s_sub_i32 s6, s0, s6
	s_sub_i32 s7, s6, s33
	s_cmp_ge_u32 s6, s33
	s_cselect_b32 s6, s7, s6
	s_sub_i32 s7, s6, s33
	s_cmp_ge_u32 s6, s33
	s_cselect_b32 s52, s7, s6
	s_mov_b64 s[6:7], s[52:53]
.LBB69_186:                             ;   in Loop: Header=BB69_16 Depth=1
	s_sub_u32 s34, s0, s6
	s_subb_u32 s35, s63, s7
	v_cmp_gt_i64_e32 vcc, s[34:35], v[0:1]
	s_mov_b64 s[14:15], 0
	s_mov_b64 s[6:7], 0
                                        ; implicit-def: $vgpr52
	s_and_saveexec_b64 s[28:29], vcc
	s_cbranch_execz .LBB69_197
; %bb.187:                              ;   in Loop: Header=BB69_16 Depth=1
	v_mov_b32_e32 v6, v12
	v_mov_b32_e32 v9, v1
	;; [unrolled: 1-line block ×4, first 2 shown]
                                        ; implicit-def: $sgpr44_sgpr45
	s_branch .LBB69_190
.LBB69_188:                             ;   in Loop: Header=BB69_190 Depth=2
	s_or_b64 exec, exec, s[46:47]
	s_waitcnt lgkmcnt(0)
	s_barrier
	ds_read_b32 v10, v3 offset:3072
	s_mov_b64 s[8:9], -1
	s_mov_b64 s[46:47], -1
	s_waitcnt lgkmcnt(0)
	s_barrier
	v_and_b32_e32 v11, 0x7fff, v10
	v_cmp_ne_u32_e32 vcc, 0, v11
	s_cbranch_vccz .LBB69_193
.LBB69_189:                             ;   in Loop: Header=BB69_190 Depth=2
	s_and_b64 s[8:9], exec, s[8:9]
	s_or_b64 s[6:7], s[8:9], s[6:7]
	s_andn2_b64 s[8:9], s[44:45], exec
	s_and_b64 s[22:23], s[46:47], exec
	s_or_b64 s[44:45], s[8:9], s[22:23]
	s_andn2_b64 exec, exec, s[6:7]
	s_cbranch_execz .LBB69_196
.LBB69_190:                             ;   Parent Loop BB69_16 Depth=1
                                        ; =>  This Inner Loop Header: Depth=2
	v_cmp_gt_i64_e32 vcc, s[24:25], v[8:9]
	s_and_saveexec_b64 s[46:47], vcc
	s_cbranch_execz .LBB69_188
; %bb.191:                              ;   in Loop: Header=BB69_190 Depth=2
	global_load_ushort v10, v[6:7], off
	s_waitcnt vmcnt(0)
	v_cmp_lt_i16_e32 vcc, -1, v10
	v_cndmask_b32_e32 v11, v47, v48, vcc
	v_lshlrev_b32_e32 v26, 16, v10
	v_cmp_o_f32_e32 vcc, v26, v26
	v_xor_b32_sdwa v11, v11, v10 dst_sel:DWORD dst_unused:UNUSED_PAD src0_sel:DWORD src1_sel:WORD_0
	v_cndmask_b32_e32 v11, v47, v11, vcc
	v_and_b32_e32 v11, v11, v51
	v_cmp_eq_u32_e32 vcc, v11, v44
	s_and_b64 exec, exec, vcc
	s_cbranch_execz .LBB69_188
; %bb.192:                              ;   in Loop: Header=BB69_190 Depth=2
	v_perm_b32 v10, v10, s61, v50
	ds_write_b32 v3, v10 offset:3072
	s_branch .LBB69_188
.LBB69_193:                             ;   in Loop: Header=BB69_190 Depth=2
	v_add_co_u32_e32 v8, vcc, s33, v8
	v_addc_co_u32_e32 v9, vcc, 0, v9, vcc
	v_mov_b32_e32 v11, s57
	v_add_co_u32_e32 v6, vcc, s56, v6
	v_addc_co_u32_e32 v7, vcc, v7, v11, vcc
	v_cmp_le_i64_e32 vcc, s[34:35], v[8:9]
	s_mov_b64 s[46:47], 0
	s_orn2_b64 s[8:9], vcc, exec
	s_branch .LBB69_189
.LBB69_194:                             ;   in Loop: Header=BB69_16 Depth=1
                                        ; implicit-def: $sgpr6_sgpr7
	s_branch .LBB69_139
.LBB69_195:                             ;   in Loop: Header=BB69_16 Depth=1
                                        ; implicit-def: $sgpr8_sgpr9
	s_branch .LBB69_155
.LBB69_196:                             ;   in Loop: Header=BB69_16 Depth=1
	s_or_b64 exec, exec, s[6:7]
	v_lshrrev_b32_e32 v52, 16, v10
	s_and_b64 s[6:7], s[44:45], exec
.LBB69_197:                             ;   in Loop: Header=BB69_16 Depth=1
	s_or_b64 exec, exec, s[28:29]
.LBB69_198:                             ;   in Loop: Header=BB69_16 Depth=1
	s_and_b64 vcc, exec, s[14:15]
	s_cbranch_vccz .LBB69_212
; %bb.199:                              ;   in Loop: Header=BB69_16 Depth=1
	v_readlane_b32 s8, v61, 18
	s_add_u32 s34, s42, s8
	v_readlane_b32 s8, v61, 19
	s_addc_u32 s15, s43, s8
	s_mov_b32 s14, s53
	s_cmp_lg_u64 s[14:15], 0
	s_cbranch_scc0 .LBB69_240
; %bb.200:                              ;   in Loop: Header=BB69_16 Depth=1
	s_add_u32 s8, s33, 0
	s_addc_u32 s9, 0, 0
	s_xor_b64 s[28:29], s[8:9], 0
	v_cvt_f32_u32_e32 v6, s28
	v_cvt_f32_u32_e32 v7, s29
	s_sub_u32 s14, 0, s28
	s_subb_u32 s22, 0, s29
	v_mac_f32_e32 v6, 0x4f800000, v7
	v_rcp_f32_e32 v6, v6
	v_mul_f32_e32 v6, 0x5f7ffffc, v6
	v_mul_f32_e32 v7, 0x2f800000, v6
	v_trunc_f32_e32 v7, v7
	v_mac_f32_e32 v6, 0xcf800000, v7
	v_cvt_u32_f32_e32 v7, v7
	v_cvt_u32_f32_e32 v6, v6
	v_readfirstlane_b32 s23, v7
	v_readfirstlane_b32 s8, v6
	s_mul_i32 s9, s14, s23
	s_mul_hi_u32 s36, s14, s8
	s_mul_i32 s35, s22, s8
	s_add_i32 s9, s36, s9
	s_mul_i32 s37, s14, s8
	s_add_i32 s9, s9, s35
	s_mul_i32 s36, s8, s9
	s_mul_hi_u32 s44, s8, s37
	s_mul_hi_u32 s35, s8, s9
	s_add_u32 s36, s44, s36
	s_addc_u32 s35, 0, s35
	s_mul_hi_u32 s45, s23, s37
	s_mul_i32 s37, s23, s37
	s_add_u32 s36, s36, s37
	s_mul_hi_u32 s44, s23, s9
	s_addc_u32 s35, s35, s45
	s_addc_u32 s36, s44, 0
	s_mul_i32 s9, s23, s9
	s_add_u32 s9, s35, s9
	s_addc_u32 s35, 0, s36
	s_add_u32 s36, s8, s9
	s_cselect_b64 s[8:9], -1, 0
	s_cmp_lg_u64 s[8:9], 0
	s_addc_u32 s23, s23, s35
	s_mul_i32 s8, s14, s23
	s_mul_hi_u32 s9, s14, s36
	s_add_i32 s8, s9, s8
	s_mul_i32 s22, s22, s36
	s_add_i32 s8, s8, s22
	s_mul_i32 s14, s14, s36
	s_mul_hi_u32 s22, s23, s14
	s_mul_i32 s35, s23, s14
	s_mul_i32 s44, s36, s8
	s_mul_hi_u32 s14, s36, s14
	s_mul_hi_u32 s37, s36, s8
	s_add_u32 s14, s14, s44
	s_addc_u32 s37, 0, s37
	s_add_u32 s14, s14, s35
	s_mul_hi_u32 s9, s23, s8
	s_addc_u32 s14, s37, s22
	s_addc_u32 s9, s9, 0
	s_mul_i32 s8, s23, s8
	s_add_u32 s8, s14, s8
	s_addc_u32 s14, 0, s9
	s_add_u32 s35, s36, s8
	s_cselect_b64 s[8:9], -1, 0
	s_cmp_lg_u64 s[8:9], 0
	s_addc_u32 s14, s23, s14
	s_ashr_i32 s22, s15, 31
	s_add_u32 s8, s34, s22
	s_mov_b32 s23, s22
	s_addc_u32 s9, s15, s22
	s_xor_b64 s[8:9], s[8:9], s[22:23]
	s_mul_i32 s37, s8, s14
	s_mul_hi_u32 s44, s8, s35
	s_mul_hi_u32 s36, s8, s14
	s_add_u32 s37, s44, s37
	s_addc_u32 s36, 0, s36
	s_mul_hi_u32 s45, s9, s35
	s_mul_i32 s35, s9, s35
	s_add_u32 s35, s37, s35
	s_mul_hi_u32 s44, s9, s14
	s_addc_u32 s35, s36, s45
	s_addc_u32 s36, s44, 0
	s_mul_i32 s14, s9, s14
	s_add_u32 s14, s35, s14
	s_addc_u32 s35, 0, s36
	s_mul_i32 s35, s28, s35
	s_mul_hi_u32 s36, s28, s14
	s_add_i32 s35, s36, s35
	s_mul_i32 s36, s29, s14
	s_add_i32 s35, s35, s36
	s_sub_i32 s44, s9, s35
	s_mul_i32 s14, s28, s14
	s_sub_u32 s8, s8, s14
	s_cselect_b64 s[36:37], -1, 0
	s_cmp_lg_u64 s[36:37], 0
	s_subb_u32 s14, s44, s29
	s_sub_u32 s46, s8, s28
	s_cselect_b64 s[44:45], -1, 0
	s_cmp_lg_u64 s[44:45], 0
	s_subb_u32 s47, s14, 0
	s_cmp_ge_u32 s47, s29
	s_cselect_b32 s50, -1, 0
	s_cmp_ge_u32 s46, s28
	s_cselect_b32 s51, -1, 0
	s_cmp_eq_u32 s47, s29
	s_cselect_b32 s50, s51, s50
	s_cmp_lg_u64 s[44:45], 0
	s_subb_u32 s14, s14, s29
	s_sub_u32 s51, s46, s28
	s_cselect_b64 s[44:45], -1, 0
	s_cmp_lg_u64 s[44:45], 0
	s_subb_u32 s14, s14, 0
	s_cmp_lg_u32 s50, 0
	s_cselect_b32 s44, s51, s46
	s_cselect_b32 s14, s14, s47
	s_cmp_lg_u64 s[36:37], 0
	s_subb_u32 s9, s9, s35
	s_cmp_ge_u32 s9, s29
	s_cselect_b32 s35, -1, 0
	s_cmp_ge_u32 s8, s28
	s_cselect_b32 s28, -1, 0
	s_cmp_eq_u32 s9, s29
	s_cselect_b32 s28, s28, s35
	s_cmp_lg_u32 s28, 0
	s_cselect_b32 s9, s14, s9
	s_cselect_b32 s8, s44, s8
	s_xor_b64 s[8:9], s[8:9], s[22:23]
	s_sub_u32 s8, s8, s22
	s_subb_u32 s9, s9, s22
	s_cbranch_execnz .LBB69_202
.LBB69_201:                             ;   in Loop: Header=BB69_16 Depth=1
	v_cvt_f32_u32_e32 v6, s33
	s_sub_i32 s8, 0, s33
	v_rcp_iflag_f32_e32 v6, v6
	v_mul_f32_e32 v6, 0x4f7ffffe, v6
	v_cvt_u32_f32_e32 v6, v6
	v_readfirstlane_b32 s9, v6
	s_mul_i32 s8, s8, s9
	s_mul_hi_u32 s8, s9, s8
	s_add_i32 s9, s9, s8
	s_mul_hi_u32 s8, s34, s9
	s_mul_i32 s8, s8, s33
	s_sub_i32 s8, s34, s8
	s_sub_i32 s9, s8, s33
	s_cmp_ge_u32 s8, s33
	s_cselect_b32 s8, s9, s8
	s_sub_i32 s9, s8, s33
	s_cmp_ge_u32 s8, s33
	s_cselect_b32 s52, s9, s8
	s_mov_b64 s[8:9], s[52:53]
.LBB69_202:                             ;   in Loop: Header=BB69_16 Depth=1
	s_sub_u32 s28, s34, s8
	s_subb_u32 s29, s15, s9
	v_cmp_gt_i64_e32 vcc, s[28:29], v[0:1]
                                        ; implicit-def: $vgpr52
	s_and_saveexec_b64 s[14:15], vcc
	s_cbranch_execz .LBB69_211
; %bb.203:                              ;   in Loop: Header=BB69_16 Depth=1
	v_mov_b32_e32 v7, v1
	s_mov_b64 s[34:35], 0
	v_mov_b32_e32 v8, v45
	v_mov_b32_e32 v6, v0
                                        ; implicit-def: $sgpr36_sgpr37
	s_branch .LBB69_206
.LBB69_204:                             ;   in Loop: Header=BB69_206 Depth=2
	s_or_b64 exec, exec, s[44:45]
	s_waitcnt lgkmcnt(0)
	s_barrier
	ds_read_b32 v9, v3 offset:3072
	s_mov_b64 s[8:9], -1
	s_mov_b64 s[44:45], -1
	s_waitcnt lgkmcnt(0)
	s_barrier
	v_and_b32_e32 v10, 0x7fff, v9
	v_cmp_eq_u32_e32 vcc, 0, v10
	s_cbranch_vccnz .LBB69_209
.LBB69_205:                             ;   in Loop: Header=BB69_206 Depth=2
	s_and_b64 s[8:9], exec, s[8:9]
	s_or_b64 s[34:35], s[8:9], s[34:35]
	s_andn2_b64 s[8:9], s[36:37], exec
	s_and_b64 s[22:23], s[44:45], exec
	s_or_b64 s[36:37], s[8:9], s[22:23]
	s_andn2_b64 exec, exec, s[34:35]
	s_cbranch_execz .LBB69_210
.LBB69_206:                             ;   Parent Loop BB69_16 Depth=1
                                        ; =>  This Inner Loop Header: Depth=2
	v_cmp_gt_u64_e32 vcc, s[42:43], v[6:7]
	s_and_saveexec_b64 s[44:45], vcc
	s_cbranch_execz .LBB69_204
; %bb.207:                              ;   in Loop: Header=BB69_206 Depth=2
	ds_read_u16 v9, v8
	s_waitcnt lgkmcnt(0)
	v_cmp_lt_i16_e32 vcc, -1, v9
	v_cndmask_b32_e32 v10, v47, v48, vcc
	v_lshlrev_b32_e32 v11, 16, v9
	v_cmp_o_f32_e32 vcc, v11, v11
	v_xor_b32_sdwa v10, v10, v9 dst_sel:DWORD dst_unused:UNUSED_PAD src0_sel:DWORD src1_sel:WORD_0
	v_cndmask_b32_e32 v10, v47, v10, vcc
	v_and_b32_e32 v10, v10, v51
	v_cmp_eq_u32_e32 vcc, v10, v44
	s_and_b64 exec, exec, vcc
	s_cbranch_execz .LBB69_204
; %bb.208:                              ;   in Loop: Header=BB69_206 Depth=2
	v_perm_b32 v9, v9, s61, v50
	ds_write_b32 v3, v9 offset:3072
	s_branch .LBB69_204
.LBB69_209:                             ;   in Loop: Header=BB69_206 Depth=2
	v_add_co_u32_e32 v6, vcc, s33, v6
	v_addc_co_u32_e32 v7, vcc, 0, v7, vcc
	v_cmp_le_i64_e32 vcc, s[28:29], v[6:7]
	v_add_u32_e32 v8, s60, v8
	s_mov_b64 s[44:45], 0
	s_orn2_b64 s[8:9], vcc, exec
	s_branch .LBB69_205
.LBB69_210:                             ;   in Loop: Header=BB69_16 Depth=1
	s_or_b64 exec, exec, s[34:35]
	s_andn2_b64 s[6:7], s[6:7], exec
	s_and_b64 s[8:9], s[36:37], exec
	v_lshrrev_b32_e32 v52, 16, v9
	s_or_b64 s[6:7], s[6:7], s[8:9]
.LBB69_211:                             ;   in Loop: Header=BB69_16 Depth=1
	s_or_b64 exec, exec, s[14:15]
	s_mov_b64 s[50:51], 0
	s_mov_b64 s[36:37], -1
.LBB69_212:                             ;   in Loop: Header=BB69_16 Depth=1
	s_orn2_b64 s[6:7], s[6:7], exec
.LBB69_213:                             ;   in Loop: Header=BB69_16 Depth=1
	s_or_b64 exec, exec, s[38:39]
	s_mov_b64 s[14:15], 0
	s_and_saveexec_b64 s[38:39], s[6:7]
	s_cbranch_execz .LBB69_271
; %bb.214:                              ;   in Loop: Header=BB69_16 Depth=1
	v_mov_b32_e32 v6, 1
	s_xor_b64 s[8:9], s[40:41], -1
	v_mov_b32_e32 v2, 1
	v_mov_b32_e32 v7, 0
	s_mov_b64 s[28:29], 0
	s_and_saveexec_b64 s[6:7], s[8:9]
	s_cbranch_execz .LBB69_223
; %bb.215:                              ;   in Loop: Header=BB69_16 Depth=1
	v_cmp_ge_i64_e32 vcc, s[90:91], v[4:5]
	s_and_saveexec_b64 s[8:9], vcc
	s_xor_b64 s[14:15], exec, s[8:9]
	s_cbranch_execz .LBB69_220
; %bb.216:                              ;   in Loop: Header=BB69_16 Depth=1
	ds_read_b64 v[6:7], v3 offset:5120
	v_and_b32_e32 v2, s13, v44
	v_lshl_or_b32 v44, 2, s70, v2
	v_or_b32_e32 v51, s12, v51
	s_waitcnt lgkmcnt(0)
	v_cmp_ne_u64_e32 vcc, 0, v[6:7]
	s_cbranch_vccnz .LBB69_220
; %bb.217:                              ;   in Loop: Header=BB69_16 Depth=1
	s_mov_b64 s[8:9], exec
	v_readlane_b32 s22, v61, 12
	v_readlane_b32 s23, v61, 13
	s_and_b64 s[22:23], s[8:9], s[22:23]
	s_mov_b64 exec, s[22:23]
; %bb.218:                              ;   in Loop: Header=BB69_16 Depth=1
	v_mov_b32_e32 v6, s90
	v_mov_b32_e32 v7, s91
	ds_write_b64 v3, v[6:7] offset:5128
; %bb.219:                              ;   in Loop: Header=BB69_16 Depth=1
	s_or_b64 exec, exec, s[8:9]
	s_waitcnt lgkmcnt(0)
	s_barrier
.LBB69_220:                             ;   in Loop: Header=BB69_16 Depth=1
	s_or_saveexec_b64 s[14:15], s[14:15]
	v_mov_b32_e32 v2, 8
	s_xor_b64 exec, exec, s[14:15]
; %bb.221:                              ;   in Loop: Header=BB69_16 Depth=1
	v_subrev_co_u32_e32 v4, vcc, s90, v4
	v_mov_b32_e32 v2, s91
	v_subb_co_u32_e32 v5, vcc, v5, v2, vcc
	v_mov_b32_e32 v2, 0
	s_mov_b64 s[28:29], exec
; %bb.222:                              ;   in Loop: Header=BB69_16 Depth=1
	s_or_b64 exec, exec, s[14:15]
	v_mov_b32_e32 v7, v5
	s_and_b64 s[28:29], s[28:29], exec
	v_mov_b32_e32 v6, v4
.LBB69_223:                             ;   in Loop: Header=BB69_16 Depth=1
	s_or_b64 exec, exec, s[6:7]
	s_mov_b64 s[6:7], -1
                                        ; implicit-def: $sgpr44_sgpr45
                                        ; implicit-def: $sgpr14_sgpr15
	s_and_saveexec_b64 s[40:41], s[28:29]
	s_cbranch_execz .LBB69_270
; %bb.224:                              ;   in Loop: Header=BB69_16 Depth=1
	s_cmp_eq_u64 s[16:17], 1
	v_cmp_eq_u64_e32 vcc, 1, v[6:7]
	s_cselect_b64 s[6:7], -1, 0
	s_and_b64 s[42:43], s[6:7], vcc
	s_mov_b64 s[28:29], -1
                                        ; implicit-def: $sgpr44_sgpr45
                                        ; implicit-def: $sgpr14_sgpr15
	s_and_saveexec_b64 s[90:91], s[42:43]
	s_cbranch_execz .LBB69_258
; %bb.225:                              ;   in Loop: Header=BB69_16 Depth=1
	ds_read_b64 v[4:5], v3 offset:5120
	s_waitcnt lgkmcnt(0)
	s_barrier
	v_readfirstlane_b32 s6, v4
	v_readfirstlane_b32 s7, v5
	s_mov_b64 s[8:9], exec
	v_readlane_b32 s14, v61, 39
	v_readlane_b32 s15, v61, 40
	s_and_b64 s[14:15], s[8:9], s[14:15]
	s_mov_b64 exec, s[14:15]
; %bb.226:                              ;   in Loop: Header=BB69_16 Depth=1
	ds_write_b16 v46, v3
; %bb.227:                              ;   in Loop: Header=BB69_16 Depth=1
	s_or_b64 exec, exec, s[8:9]
	v_cmp_gt_i64_e64 s[8:9], s[6:7], 0
	v_or_b32_e32 v44, s12, v44
	v_or_b32_e32 v51, s12, v51
	s_mov_b64 s[14:15], -1
	s_mov_b64 s[44:45], 0
	s_and_b64 vcc, exec, s[8:9]
	s_mov_b64 s[46:47], 0
	s_waitcnt lgkmcnt(0)
	s_barrier
                                        ; implicit-def: $vgpr52
	s_cbranch_vccnz .LBB69_243
; %bb.228:                              ;   in Loop: Header=BB69_16 Depth=1
	s_mov_b32 s62, s53
	v_writelane_b32 v61, s66, 43
	s_cmp_lg_u64 s[62:63], 0
	v_writelane_b32 v61, s67, 44
	s_cbranch_scc0 .LBB69_277
; %bb.229:                              ;   in Loop: Header=BB69_16 Depth=1
	s_add_u32 s8, s33, 0
	s_addc_u32 s9, 0, 0
	s_xor_b64 s[28:29], s[8:9], 0
	v_cvt_f32_u32_e32 v4, s28
	v_cvt_f32_u32_e32 v5, s29
	s_sub_u32 s13, 0, s28
	s_subb_u32 s22, 0, s29
	v_mac_f32_e32 v4, 0x4f800000, v5
	v_rcp_f32_e32 v4, v4
	v_mul_f32_e32 v4, 0x5f7ffffc, v4
	v_mul_f32_e32 v5, 0x2f800000, v4
	v_trunc_f32_e32 v5, v5
	v_mac_f32_e32 v4, 0xcf800000, v5
	v_cvt_u32_f32_e32 v5, v5
	v_cvt_u32_f32_e32 v4, v4
	v_readfirstlane_b32 s23, v5
	v_readfirstlane_b32 s8, v4
	s_mul_i32 s9, s13, s23
	s_mul_hi_u32 s35, s13, s8
	s_mul_i32 s34, s22, s8
	s_add_i32 s9, s35, s9
	s_mul_i32 s46, s13, s8
	s_add_i32 s9, s9, s34
	s_mul_i32 s35, s8, s9
	s_mul_hi_u32 s47, s8, s46
	s_mul_hi_u32 s34, s8, s9
	s_add_u32 s35, s47, s35
	s_addc_u32 s34, 0, s34
	s_mul_hi_u32 s52, s23, s46
	s_mul_i32 s46, s23, s46
	s_add_u32 s35, s35, s46
	s_mul_hi_u32 s47, s23, s9
	s_addc_u32 s34, s34, s52
	s_addc_u32 s35, s47, 0
	s_mul_i32 s9, s23, s9
	s_add_u32 s9, s34, s9
	s_addc_u32 s34, 0, s35
	s_add_u32 s35, s8, s9
	s_cselect_b64 s[8:9], -1, 0
	s_cmp_lg_u64 s[8:9], 0
	s_addc_u32 s23, s23, s34
	s_mul_i32 s8, s13, s23
	s_mul_hi_u32 s9, s13, s35
	s_add_i32 s8, s9, s8
	s_mul_i32 s22, s22, s35
	s_add_i32 s8, s8, s22
	s_mul_i32 s13, s13, s35
	s_mul_hi_u32 s22, s23, s13
	s_mul_i32 s34, s23, s13
	s_mul_i32 s47, s35, s8
	s_mul_hi_u32 s13, s35, s13
	s_mul_hi_u32 s46, s35, s8
	s_add_u32 s13, s13, s47
	s_addc_u32 s46, 0, s46
	s_add_u32 s13, s13, s34
	s_mul_hi_u32 s9, s23, s8
	s_addc_u32 s13, s46, s22
	s_addc_u32 s9, s9, 0
	s_mul_i32 s8, s23, s8
	s_add_u32 s8, s13, s8
	s_addc_u32 s13, 0, s9
	s_add_u32 s34, s35, s8
	s_cselect_b64 s[8:9], -1, 0
	s_cmp_lg_u64 s[8:9], 0
	s_addc_u32 s13, s23, s13
	s_ashr_i32 s22, s63, 31
	s_add_u32 s8, s0, s22
	s_mov_b32 s23, s22
	s_addc_u32 s9, s63, s22
	s_xor_b64 s[8:9], s[8:9], s[22:23]
	s_mul_i32 s46, s8, s13
	s_mul_hi_u32 s47, s8, s34
	s_mul_hi_u32 s35, s8, s13
	s_add_u32 s46, s47, s46
	s_addc_u32 s35, 0, s35
	s_mul_hi_u32 s52, s9, s34
	s_mul_i32 s34, s9, s34
	s_add_u32 s34, s46, s34
	s_mul_hi_u32 s47, s9, s13
	s_addc_u32 s34, s35, s52
	s_addc_u32 s35, s47, 0
	s_mul_i32 s13, s9, s13
	s_add_u32 s13, s34, s13
	s_addc_u32 s34, 0, s35
	s_mul_i32 s34, s28, s34
	s_mul_hi_u32 s35, s28, s13
	s_add_i32 s34, s35, s34
	s_mul_i32 s35, s29, s13
	s_add_i32 s52, s34, s35
	s_sub_i32 s46, s9, s52
	s_mul_i32 s13, s28, s13
	s_sub_u32 s8, s8, s13
	s_cselect_b64 s[34:35], -1, 0
	s_cmp_lg_u64 s[34:35], 0
	s_subb_u32 s13, s46, s29
	s_sub_u32 s62, s8, s28
	s_cselect_b64 s[46:47], -1, 0
	s_cmp_lg_u64 s[46:47], 0
	s_subb_u32 s66, s13, 0
	s_cmp_ge_u32 s66, s29
	s_cselect_b32 s67, -1, 0
	s_cmp_ge_u32 s62, s28
	s_cselect_b32 s68, -1, 0
	s_cmp_eq_u32 s66, s29
	s_cselect_b32 s67, s68, s67
	s_cmp_lg_u64 s[46:47], 0
	s_subb_u32 s13, s13, s29
	s_sub_u32 s68, s62, s28
	s_cselect_b64 s[46:47], -1, 0
	s_cmp_lg_u64 s[46:47], 0
	s_subb_u32 s13, s13, 0
	s_cmp_lg_u32 s67, 0
	s_cselect_b32 s46, s68, s62
	s_cselect_b32 s13, s13, s66
	s_cmp_lg_u64 s[34:35], 0
	s_subb_u32 s9, s9, s52
	s_cmp_ge_u32 s9, s29
	s_cselect_b32 s34, -1, 0
	s_cmp_ge_u32 s8, s28
	s_cselect_b32 s28, -1, 0
	s_cmp_eq_u32 s9, s29
	s_cselect_b32 s28, s28, s34
	s_cmp_lg_u32 s28, 0
	s_cselect_b32 s9, s13, s9
	s_cselect_b32 s8, s46, s8
	s_xor_b64 s[8:9], s[8:9], s[22:23]
	s_sub_u32 s8, s8, s22
	s_subb_u32 s9, s9, s22
	s_cbranch_execnz .LBB69_231
.LBB69_230:                             ;   in Loop: Header=BB69_16 Depth=1
	v_cvt_f32_u32_e32 v4, s33
	s_sub_i32 s8, 0, s33
	v_rcp_iflag_f32_e32 v4, v4
	v_mul_f32_e32 v4, 0x4f7ffffe, v4
	v_cvt_u32_f32_e32 v4, v4
	v_readfirstlane_b32 s9, v4
	s_mul_i32 s8, s8, s9
	s_mul_hi_u32 s8, s9, s8
	s_add_i32 s9, s9, s8
	s_mul_hi_u32 s8, s0, s9
	s_mul_i32 s8, s8, s33
	s_sub_i32 s8, s0, s8
	s_sub_i32 s9, s8, s33
	s_cmp_ge_u32 s8, s33
	s_cselect_b32 s8, s9, s8
	s_sub_i32 s9, s8, s33
	s_cmp_ge_u32 s8, s33
	s_cselect_b32 s52, s9, s8
	s_mov_b64 s[8:9], s[52:53]
.LBB69_231:                             ;   in Loop: Header=BB69_16 Depth=1
	s_sub_u32 s66, s0, s8
	s_subb_u32 s67, s63, s9
	v_cmp_gt_i64_e32 vcc, s[66:67], v[0:1]
	s_mov_b64 s[28:29], 0
	s_mov_b64 s[46:47], 0
                                        ; implicit-def: $vgpr52
	s_and_saveexec_b64 s[34:35], vcc
	s_cbranch_execz .LBB69_242
; %bb.232:                              ;   in Loop: Header=BB69_16 Depth=1
	v_mov_b32_e32 v4, v12
	v_mov_b32_e32 v9, v1
	;; [unrolled: 1-line block ×4, first 2 shown]
                                        ; implicit-def: $sgpr68_sgpr69
	s_branch .LBB69_235
.LBB69_233:                             ;   in Loop: Header=BB69_235 Depth=2
	s_or_b64 exec, exec, s[8:9]
	s_waitcnt lgkmcnt(0)
	s_barrier
	ds_read_b32 v10, v3 offset:3072
	s_mov_b64 s[8:9], -1
	s_mov_b64 s[22:23], -1
	s_waitcnt lgkmcnt(0)
	s_barrier
	v_and_b32_e32 v11, 0x7fff, v10
	v_cmp_ne_u32_e32 vcc, 0, v11
	s_cbranch_vccz .LBB69_238
.LBB69_234:                             ;   in Loop: Header=BB69_235 Depth=2
	s_and_b64 s[8:9], exec, s[8:9]
	s_or_b64 s[46:47], s[8:9], s[46:47]
	s_andn2_b64 s[8:9], s[68:69], exec
	s_and_b64 s[22:23], s[22:23], exec
	s_or_b64 s[68:69], s[8:9], s[22:23]
	s_andn2_b64 exec, exec, s[46:47]
	s_cbranch_execz .LBB69_241
.LBB69_235:                             ;   Parent Loop BB69_16 Depth=1
                                        ; =>  This Inner Loop Header: Depth=2
	v_cmp_gt_i64_e32 vcc, s[24:25], v[8:9]
	s_and_saveexec_b64 s[8:9], vcc
	s_cbranch_execz .LBB69_233
; %bb.236:                              ;   in Loop: Header=BB69_235 Depth=2
	global_load_ushort v10, v[4:5], off
	s_waitcnt vmcnt(0)
	v_cmp_lt_i16_e32 vcc, -1, v10
	v_cndmask_b32_e32 v11, v47, v48, vcc
	v_lshlrev_b32_e32 v26, 16, v10
	v_cmp_o_f32_e32 vcc, v26, v26
	v_xor_b32_sdwa v11, v11, v10 dst_sel:DWORD dst_unused:UNUSED_PAD src0_sel:DWORD src1_sel:WORD_0
	v_cndmask_b32_e32 v11, v47, v11, vcc
	v_and_b32_e32 v11, v11, v51
	v_cmp_eq_u32_e32 vcc, v11, v44
	s_and_b64 exec, exec, vcc
	s_cbranch_execz .LBB69_233
; %bb.237:                              ;   in Loop: Header=BB69_235 Depth=2
	v_perm_b32 v10, v10, s61, v50
	ds_write_b32 v3, v10 offset:3072
	s_branch .LBB69_233
.LBB69_238:                             ;   in Loop: Header=BB69_235 Depth=2
	v_add_co_u32_e32 v8, vcc, s33, v8
	v_addc_co_u32_e32 v9, vcc, 0, v9, vcc
	v_mov_b32_e32 v11, s57
	v_add_co_u32_e32 v4, vcc, s56, v4
	v_addc_co_u32_e32 v5, vcc, v5, v11, vcc
	v_cmp_le_i64_e32 vcc, s[66:67], v[8:9]
	s_mov_b64 s[22:23], 0
	s_orn2_b64 s[8:9], vcc, exec
	s_branch .LBB69_234
.LBB69_239:                             ;   in Loop: Header=BB69_16 Depth=1
                                        ; implicit-def: $sgpr6_sgpr7
	s_branch .LBB69_185
.LBB69_240:                             ;   in Loop: Header=BB69_16 Depth=1
                                        ; implicit-def: $sgpr8_sgpr9
	s_branch .LBB69_201
.LBB69_241:                             ;   in Loop: Header=BB69_16 Depth=1
	s_or_b64 exec, exec, s[46:47]
	v_lshrrev_b32_e32 v52, 16, v10
	s_and_b64 s[46:47], s[68:69], exec
.LBB69_242:                             ;   in Loop: Header=BB69_16 Depth=1
	s_or_b64 exec, exec, s[34:35]
	v_readlane_b32 s66, v61, 43
	v_readlane_b32 s67, v61, 44
.LBB69_243:                             ;   in Loop: Header=BB69_16 Depth=1
	s_and_b64 vcc, exec, s[28:29]
	s_cbranch_vccz .LBB69_257
; %bb.244:                              ;   in Loop: Header=BB69_16 Depth=1
	v_readlane_b32 s8, v61, 18
	s_add_u32 s13, s6, s8
	v_readlane_b32 s8, v61, 19
	s_addc_u32 s15, s7, s8
	s_mov_b32 s14, s53
	s_cmp_lg_u64 s[14:15], 0
	s_cbranch_scc0 .LBB69_278
; %bb.245:                              ;   in Loop: Header=BB69_16 Depth=1
	s_add_u32 s8, s33, 0
	s_addc_u32 s9, 0, 0
	s_xor_b64 s[28:29], s[8:9], 0
	v_cvt_f32_u32_e32 v4, s28
	v_cvt_f32_u32_e32 v5, s29
	s_sub_u32 s14, 0, s28
	s_subb_u32 s22, 0, s29
	s_mov_b32 vcc_lo, s66
	v_mac_f32_e32 v4, 0x4f800000, v5
	v_rcp_f32_e32 v4, v4
	v_mul_f32_e32 v4, 0x5f7ffffc, v4
	v_mul_f32_e32 v5, 0x2f800000, v4
	v_trunc_f32_e32 v5, v5
	v_mac_f32_e32 v4, 0xcf800000, v5
	v_cvt_u32_f32_e32 v5, v5
	v_cvt_u32_f32_e32 v4, v4
	v_readfirstlane_b32 s23, v5
	v_readfirstlane_b32 s8, v4
	s_mul_i32 s9, s14, s23
	s_mul_hi_u32 s35, s14, s8
	s_mul_i32 s34, s22, s8
	s_add_i32 s9, s35, s9
	s_mul_i32 s44, s14, s8
	s_add_i32 s9, s9, s34
	s_mul_i32 s35, s8, s9
	s_mul_hi_u32 s45, s8, s44
	s_mul_hi_u32 s34, s8, s9
	s_add_u32 s35, s45, s35
	s_addc_u32 s34, 0, s34
	s_mul_hi_u32 s52, s23, s44
	s_mul_i32 s44, s23, s44
	s_add_u32 s35, s35, s44
	s_mul_hi_u32 s45, s23, s9
	s_addc_u32 s34, s34, s52
	s_addc_u32 s35, s45, 0
	s_mul_i32 s9, s23, s9
	s_add_u32 s9, s34, s9
	s_addc_u32 s34, 0, s35
	s_add_u32 s35, s8, s9
	s_cselect_b64 s[8:9], -1, 0
	s_cmp_lg_u64 s[8:9], 0
	s_addc_u32 s23, s23, s34
	s_mul_i32 s8, s14, s23
	s_mul_hi_u32 s9, s14, s35
	s_add_i32 s8, s9, s8
	s_mul_i32 s22, s22, s35
	s_add_i32 s8, s8, s22
	s_mul_i32 s14, s14, s35
	s_mul_hi_u32 s22, s23, s14
	s_mul_i32 s34, s23, s14
	s_mul_i32 s45, s35, s8
	s_mul_hi_u32 s14, s35, s14
	s_mul_hi_u32 s44, s35, s8
	s_add_u32 s14, s14, s45
	s_addc_u32 s44, 0, s44
	s_add_u32 s14, s14, s34
	s_mul_hi_u32 s9, s23, s8
	s_addc_u32 s14, s44, s22
	s_addc_u32 s9, s9, 0
	s_mul_i32 s8, s23, s8
	s_add_u32 s8, s14, s8
	s_addc_u32 s14, 0, s9
	s_add_u32 s34, s35, s8
	s_cselect_b64 s[8:9], -1, 0
	s_cmp_lg_u64 s[8:9], 0
	s_addc_u32 s14, s23, s14
	s_ashr_i32 s22, s15, 31
	s_add_u32 s8, s13, s22
	s_mov_b32 s23, s22
	s_addc_u32 s9, s15, s22
	s_xor_b64 s[8:9], s[8:9], s[22:23]
	s_mul_i32 s44, s8, s14
	s_mul_hi_u32 s45, s8, s34
	s_mul_hi_u32 s35, s8, s14
	s_add_u32 s44, s45, s44
	s_addc_u32 s35, 0, s35
	s_mul_hi_u32 s52, s9, s34
	s_mul_i32 s34, s9, s34
	s_add_u32 s34, s44, s34
	s_mul_hi_u32 s45, s9, s14
	s_addc_u32 s34, s35, s52
	s_addc_u32 s35, s45, 0
	s_mul_i32 s14, s9, s14
	s_add_u32 s14, s34, s14
	s_addc_u32 s34, 0, s35
	s_mul_i32 s34, s28, s34
	s_mul_hi_u32 s35, s28, s14
	s_add_i32 s34, s35, s34
	s_mul_i32 s35, s29, s14
	s_add_i32 s52, s34, s35
	s_sub_i32 s44, s9, s52
	s_mul_i32 s14, s28, s14
	s_sub_u32 s8, s8, s14
	s_cselect_b64 s[34:35], -1, 0
	s_cmp_lg_u64 s[34:35], 0
	s_subb_u32 s14, s44, s29
	s_sub_u32 s62, s8, s28
	s_cselect_b64 s[44:45], -1, 0
	s_cmp_lg_u64 s[44:45], 0
	s_subb_u32 s66, s14, 0
	s_cmp_ge_u32 s66, s29
	s_cselect_b32 s67, -1, 0
	s_cmp_ge_u32 s62, s28
	s_cselect_b32 s68, -1, 0
	s_cmp_eq_u32 s66, s29
	s_cselect_b32 s67, s68, s67
	s_cmp_lg_u64 s[44:45], 0
	s_subb_u32 s14, s14, s29
	s_sub_u32 s68, s62, s28
	s_cselect_b64 s[44:45], -1, 0
	s_cmp_lg_u64 s[44:45], 0
	s_subb_u32 s14, s14, 0
	s_cmp_lg_u32 s67, 0
	s_cselect_b32 s44, s68, s62
	s_cselect_b32 s14, s14, s66
	s_cmp_lg_u64 s[34:35], 0
	s_subb_u32 s9, s9, s52
	s_cmp_ge_u32 s9, s29
	s_cselect_b32 s34, -1, 0
	s_cmp_ge_u32 s8, s28
	s_cselect_b32 s28, -1, 0
	s_cmp_eq_u32 s9, s29
	s_cselect_b32 s28, s28, s34
	s_cmp_lg_u32 s28, 0
	s_cselect_b32 s9, s14, s9
	s_cselect_b32 s8, s44, s8
	s_xor_b64 s[8:9], s[8:9], s[22:23]
	s_sub_u32 s8, s8, s22
	s_mov_b32 s66, vcc_lo
	s_subb_u32 s9, s9, s22
	s_cbranch_execnz .LBB69_247
.LBB69_246:                             ;   in Loop: Header=BB69_16 Depth=1
	v_cvt_f32_u32_e32 v4, s33
	s_sub_i32 s8, 0, s33
	v_rcp_iflag_f32_e32 v4, v4
	v_mul_f32_e32 v4, 0x4f7ffffe, v4
	v_cvt_u32_f32_e32 v4, v4
	v_readfirstlane_b32 s9, v4
	s_mul_i32 s8, s8, s9
	s_mul_hi_u32 s8, s9, s8
	s_add_i32 s9, s9, s8
	s_mul_hi_u32 s8, s13, s9
	s_mul_i32 s8, s8, s33
	s_sub_i32 s8, s13, s8
	s_sub_i32 s9, s8, s33
	s_cmp_ge_u32 s8, s33
	s_cselect_b32 s8, s9, s8
	s_sub_i32 s9, s8, s33
	s_cmp_ge_u32 s8, s33
	s_cselect_b32 s52, s9, s8
	s_mov_b64 s[8:9], s[52:53]
.LBB69_247:                             ;   in Loop: Header=BB69_16 Depth=1
	s_sub_u32 s28, s13, s8
	s_subb_u32 s29, s15, s9
	v_cmp_gt_i64_e32 vcc, s[28:29], v[0:1]
                                        ; implicit-def: $vgpr52
	s_and_saveexec_b64 s[14:15], vcc
	s_cbranch_execz .LBB69_256
; %bb.248:                              ;   in Loop: Header=BB69_16 Depth=1
	v_mov_b32_e32 v5, v1
	s_mov_b64 s[34:35], 0
	v_mov_b32_e32 v8, v45
	v_mov_b32_e32 v4, v0
                                        ; implicit-def: $sgpr44_sgpr45
	s_branch .LBB69_251
.LBB69_249:                             ;   in Loop: Header=BB69_251 Depth=2
	s_or_b64 exec, exec, s[8:9]
	s_waitcnt lgkmcnt(0)
	s_barrier
	ds_read_b32 v9, v3 offset:3072
	s_mov_b64 s[8:9], -1
	s_mov_b64 s[22:23], -1
	s_waitcnt lgkmcnt(0)
	s_barrier
	v_and_b32_e32 v10, 0x7fff, v9
	v_cmp_eq_u32_e32 vcc, 0, v10
	s_cbranch_vccnz .LBB69_254
.LBB69_250:                             ;   in Loop: Header=BB69_251 Depth=2
	s_and_b64 s[8:9], exec, s[8:9]
	s_or_b64 s[34:35], s[8:9], s[34:35]
	s_andn2_b64 s[8:9], s[44:45], exec
	s_and_b64 s[22:23], s[22:23], exec
	s_or_b64 s[44:45], s[8:9], s[22:23]
	s_andn2_b64 exec, exec, s[34:35]
	s_cbranch_execz .LBB69_255
.LBB69_251:                             ;   Parent Loop BB69_16 Depth=1
                                        ; =>  This Inner Loop Header: Depth=2
	v_cmp_gt_u64_e32 vcc, s[6:7], v[4:5]
	s_and_saveexec_b64 s[8:9], vcc
	s_cbranch_execz .LBB69_249
; %bb.252:                              ;   in Loop: Header=BB69_251 Depth=2
	ds_read_u16 v9, v8
	s_waitcnt lgkmcnt(0)
	v_cmp_lt_i16_e32 vcc, -1, v9
	v_cndmask_b32_e32 v10, v47, v48, vcc
	v_lshlrev_b32_e32 v11, 16, v9
	v_cmp_o_f32_e32 vcc, v11, v11
	v_xor_b32_sdwa v10, v10, v9 dst_sel:DWORD dst_unused:UNUSED_PAD src0_sel:DWORD src1_sel:WORD_0
	v_cndmask_b32_e32 v10, v47, v10, vcc
	v_and_b32_e32 v10, v10, v51
	v_cmp_eq_u32_e32 vcc, v10, v44
	s_and_b64 exec, exec, vcc
	s_cbranch_execz .LBB69_249
; %bb.253:                              ;   in Loop: Header=BB69_251 Depth=2
	v_perm_b32 v9, v9, s61, v50
	ds_write_b32 v3, v9 offset:3072
	s_branch .LBB69_249
.LBB69_254:                             ;   in Loop: Header=BB69_251 Depth=2
	v_add_co_u32_e32 v4, vcc, s33, v4
	v_addc_co_u32_e32 v5, vcc, 0, v5, vcc
	v_cmp_le_i64_e32 vcc, s[28:29], v[4:5]
	v_add_u32_e32 v8, s60, v8
	s_mov_b64 s[22:23], 0
	s_orn2_b64 s[8:9], vcc, exec
	s_branch .LBB69_250
.LBB69_255:                             ;   in Loop: Header=BB69_16 Depth=1
	s_or_b64 exec, exec, s[34:35]
	s_andn2_b64 s[6:7], s[46:47], exec
	s_and_b64 s[8:9], s[44:45], exec
	v_lshrrev_b32_e32 v52, 16, v9
	s_or_b64 s[46:47], s[6:7], s[8:9]
.LBB69_256:                             ;   in Loop: Header=BB69_16 Depth=1
	s_or_b64 exec, exec, s[14:15]
	s_mov_b64 s[14:15], 0
	s_mov_b64 s[44:45], -1
.LBB69_257:                             ;   in Loop: Header=BB69_16 Depth=1
	s_orn2_b64 s[28:29], s[46:47], exec
.LBB69_258:                             ;   in Loop: Header=BB69_16 Depth=1
	s_or_b64 exec, exec, s[90:91]
	s_mov_b64 s[8:9], 0
	s_and_saveexec_b64 s[6:7], s[28:29]
	s_cbranch_execz .LBB69_269
; %bb.259:                              ;   in Loop: Header=BB69_16 Depth=1
	v_mov_b32_e32 v4, 1
	s_xor_b64 s[8:9], s[42:43], -1
	v_mov_b32_e32 v5, 0
	v_mov_b32_e32 v2, 1
	s_and_saveexec_b64 s[28:29], s[8:9]
	s_cbranch_execz .LBB69_268
; %bb.260:                              ;   in Loop: Header=BB69_16 Depth=1
	v_cmp_ge_i64_e32 vcc, s[16:17], v[6:7]
	s_and_saveexec_b64 s[8:9], vcc
	s_xor_b64 s[34:35], exec, s[8:9]
	s_cbranch_execz .LBB69_265
; %bb.261:                              ;   in Loop: Header=BB69_16 Depth=1
	ds_read_b64 v[4:5], v3 offset:5120
	v_or_b32_e32 v44, s12, v44
	v_or_b32_e32 v51, s12, v51
	s_waitcnt lgkmcnt(0)
	v_cmp_ne_u64_e32 vcc, 0, v[4:5]
	s_cbranch_vccnz .LBB69_265
; %bb.262:                              ;   in Loop: Header=BB69_16 Depth=1
	s_mov_b64 s[8:9], exec
	v_readlane_b32 s12, v61, 12
	v_readlane_b32 s13, v61, 13
	s_and_b64 s[12:13], s[8:9], s[12:13]
	s_mov_b64 exec, s[12:13]
; %bb.263:                              ;   in Loop: Header=BB69_16 Depth=1
	v_mov_b32_e32 v4, s16
	v_mov_b32_e32 v5, s17
	ds_write_b64 v3, v[4:5] offset:5128
; %bb.264:                              ;   in Loop: Header=BB69_16 Depth=1
	s_or_b64 exec, exec, s[8:9]
	s_waitcnt lgkmcnt(0)
	s_barrier
.LBB69_265:                             ;   in Loop: Header=BB69_16 Depth=1
	s_andn2_saveexec_b64 s[8:9], s[34:35]
; %bb.266:                              ;   in Loop: Header=BB69_16 Depth=1
	v_mov_b32_e32 v2, s17
	v_subrev_co_u32_e32 v6, vcc, s16, v6
	v_subb_co_u32_e32 v7, vcc, v7, v2, vcc
; %bb.267:                              ;   in Loop: Header=BB69_16 Depth=1
	s_or_b64 exec, exec, s[8:9]
	v_mov_b32_e32 v4, v6
	v_mov_b32_e32 v2, 8
	;; [unrolled: 1-line block ×3, first 2 shown]
.LBB69_268:                             ;   in Loop: Header=BB69_16 Depth=1
	s_or_b64 exec, exec, s[28:29]
	v_mov_b32_e32 v7, v5
	s_mov_b64 s[8:9], exec
	v_mov_b32_e32 v6, v4
.LBB69_269:                             ;   in Loop: Header=BB69_16 Depth=1
	s_or_b64 exec, exec, s[6:7]
	s_orn2_b64 s[6:7], s[8:9], exec
.LBB69_270:                             ;   in Loop: Header=BB69_16 Depth=1
	s_or_b64 exec, exec, s[40:41]
	s_andn2_b64 s[8:9], s[36:37], exec
	s_and_b64 s[12:13], s[44:45], exec
	s_or_b64 s[36:37], s[8:9], s[12:13]
	s_andn2_b64 s[8:9], s[50:51], exec
	s_and_b64 s[12:13], s[14:15], exec
	v_mov_b32_e32 v4, v6
	s_or_b64 s[50:51], s[8:9], s[12:13]
	s_and_b64 s[14:15], s[6:7], exec
	v_mov_b32_e32 v5, v7
.LBB69_271:                             ;   in Loop: Header=BB69_16 Depth=1
	s_or_b64 exec, exec, s[38:39]
	s_orn2_b64 s[6:7], s[14:15], exec
.LBB69_272:                             ;   in Loop: Header=BB69_16 Depth=1
	s_or_b64 exec, exec, s[48:49]
	s_andn2_b64 s[8:9], s[92:93], exec
	s_and_b64 s[12:13], s[36:37], exec
	s_or_b64 s[92:93], s[8:9], s[12:13]
	s_andn2_b64 s[4:5], s[4:5], exec
	s_and_b64 s[8:9], s[50:51], exec
	v_mov_b32_e32 v9, v5
	s_or_b64 s[4:5], s[4:5], s[8:9]
	s_and_b64 s[14:15], s[6:7], exec
	v_mov_b32_e32 v8, v4
.LBB69_273:                             ;   in Loop: Header=BB69_16 Depth=1
	s_or_b64 exec, exec, s[94:95]
	s_orn2_b64 s[6:7], s[14:15], exec
.LBB69_274:                             ;   in Loop: Header=BB69_16 Depth=1
	s_or_b64 exec, exec, s[26:27]
	s_mov_b64 s[14:15], 0
	s_and_saveexec_b64 s[8:9], s[6:7]
	s_xor_b64 s[6:7], exec, s[8:9]
	s_cbranch_execz .LBB69_14
; %bb.275:                              ;   in Loop: Header=BB69_16 Depth=1
	v_and_b32_e32 v2, 7, v2
	v_cmp_eq_u32_e32 vcc, 0, v2
	s_mov_b64 s[8:9], -1
	s_mov_b64 s[14:15], -1
	s_and_saveexec_b64 s[16:17], vcc
	s_cbranch_execz .LBB69_13
; %bb.276:                              ;   in Loop: Header=BB69_16 Depth=1
	s_xor_b32 s71, s71, 1
	s_add_i32 s12, s70, -2
	s_cmp_eq_u32 s70, 0
	s_cselect_b64 s[8:9], -1, 0
	s_xor_b64 s[14:15], exec, -1
	s_orn2_b64 s[8:9], s[8:9], exec
	s_mov_b32 s70, s12
	s_branch .LBB69_13
.LBB69_277:                             ;   in Loop: Header=BB69_16 Depth=1
                                        ; implicit-def: $sgpr8_sgpr9
	s_branch .LBB69_230
.LBB69_278:                             ;   in Loop: Header=BB69_16 Depth=1
                                        ; implicit-def: $sgpr8_sgpr9
	s_branch .LBB69_246
.LBB69_279:
	s_or_b64 exec, exec, s[76:77]
	s_xor_b64 s[6:7], s[82:83], -1
	s_xor_b64 s[0:1], s[78:79], -1
	;; [unrolled: 1-line block ×3, first 2 shown]
	s_mov_b64 s[2:3], 0
	s_and_saveexec_b64 s[4:5], s[0:1]
	s_xor_b64 s[4:5], exec, s[4:5]
	s_cbranch_execnz .LBB69_284
; %bb.280:
	s_andn2_saveexec_b64 s[0:1], s[4:5]
	s_cbranch_execnz .LBB69_309
.LBB69_281:
	s_or_b64 exec, exec, s[0:1]
	s_and_saveexec_b64 s[0:1], s[2:3]
.LBB69_282:
	; divergent unreachable
.LBB69_283:
	s_endpgm
.LBB69_284:
	s_and_saveexec_b64 s[0:1], s[6:7]
	s_xor_b64 s[6:7], exec, s[0:1]
	s_cbranch_execz .LBB69_307
; %bb.285:
	s_and_saveexec_b64 s[0:1], s[8:9]
	s_xor_b64 s[2:3], exec, s[0:1]
; %bb.286:
	v_and_b32_e32 v2, 0x8000, v44
	v_mov_b32_e32 v3, 0x8000
	v_mov_b32_e32 v4, 0xffff
	v_cmp_eq_u32_e32 vcc, 0, v2
	v_cndmask_b32_e32 v2, v3, v4, vcc
	v_xor_b32_e32 v52, v2, v44
; %bb.287:
	s_or_b64 exec, exec, s[2:3]
	s_mov_b64 s[2:3], exec
	v_readlane_b32 s0, v61, 12
	v_readlane_b32 s1, v61, 13
	s_and_b64 s[0:1], s[2:3], s[0:1]
	s_mov_b64 exec, s[0:1]
; %bb.288:
	v_mov_b32_e32 v2, 0
	v_mov_b32_e32 v3, s24
	ds_write_b32 v2, v3 offset:5140
; %bb.289:
	s_or_b64 exec, exec, s[2:3]
	s_waitcnt lgkmcnt(0)
	s_barrier
	s_mov_b64 s[10:11], exec
	v_readlane_b32 s0, v61, 41
	v_readlane_b32 s1, v61, 42
	s_and_b64 s[0:1], s[10:11], s[0:1]
	s_mov_b64 exec, s[0:1]
	s_cbranch_execz .LBB69_304
; %bb.290:
	v_mov_b32_e32 v2, 0
	ds_read_b32 v4, v2 offset:5140
	v_lshlrev_b32_e32 v6, 16, v52
	v_cmp_u_f32_e32 vcc, v6, v6
	s_mov_b64 s[8:9], 0
	s_xor_b64 s[12:13], vcc, -1
	s_waitcnt lgkmcnt(0)
	v_ashrrev_i32_e32 v5, 31, v4
                                        ; implicit-def: $sgpr14_sgpr15
                                        ; implicit-def: $sgpr16_sgpr17
                                        ; implicit-def: $sgpr18_sgpr19
	s_branch .LBB69_293
.LBB69_291:                             ;   in Loop: Header=BB69_293 Depth=1
	s_or_b64 exec, exec, s[30:31]
	s_andn2_b64 s[0:1], s[18:19], exec
	s_and_b64 s[2:3], s[26:27], exec
	s_or_b64 s[18:19], s[0:1], s[2:3]
	s_andn2_b64 s[0:1], s[16:17], exec
	s_and_b64 s[2:3], s[28:29], exec
	s_or_b64 s[16:17], s[0:1], s[2:3]
.LBB69_292:                             ;   in Loop: Header=BB69_293 Depth=1
	s_or_b64 exec, exec, s[20:21]
	s_and_b64 s[0:1], exec, s[16:17]
	s_or_b64 s[8:9], s[0:1], s[8:9]
	s_andn2_b64 s[0:1], s[14:15], exec
	s_and_b64 s[2:3], s[18:19], exec
	s_or_b64 s[14:15], s[0:1], s[2:3]
	s_andn2_b64 exec, exec, s[8:9]
	s_cbranch_execz .LBB69_299
.LBB69_293:                             ; =>This Inner Loop Header: Depth=1
	v_mov_b32_e32 v3, v1
	v_mov_b32_e32 v2, v0
	v_cmp_lt_i64_e32 vcc, v[2:3], v[4:5]
	s_or_b64 s[18:19], s[18:19], exec
	s_or_b64 s[16:17], s[16:17], exec
                                        ; implicit-def: $vgpr0_vgpr1
	s_and_saveexec_b64 s[20:21], vcc
	s_cbranch_execz .LBB69_292
; %bb.294:                              ;   in Loop: Header=BB69_293 Depth=1
	global_load_ushort v0, v[12:13], off
	s_mov_b64 s[28:29], -1
	s_mov_b64 s[26:27], 0
	s_waitcnt vmcnt(0)
	v_lshlrev_b32_e32 v0, 16, v0
	v_cmp_o_f32_e64 s[2:3], v0, v0
	v_cmp_neq_f32_e32 vcc, v0, v6
	s_or_b64 s[0:1], s[12:13], s[2:3]
	s_and_b64 s[0:1], vcc, s[0:1]
                                        ; implicit-def: $vgpr0_vgpr1
	s_and_saveexec_b64 s[30:31], s[0:1]
	s_cbranch_execz .LBB69_291
; %bb.295:                              ;   in Loop: Header=BB69_293 Depth=1
	v_add_co_u32_e32 v0, vcc, s33, v2
	v_addc_co_u32_e32 v1, vcc, 0, v3, vcc
	v_cmp_le_i64_e32 vcc, s[24:25], v[0:1]
	v_mov_b32_e32 v3, s57
	v_add_co_u32_e64 v12, s[2:3], s56, v12
	s_mov_b64 s[26:27], exec
	v_addc_co_u32_e64 v13, s[2:3], v13, v3, s[2:3]
	s_orn2_b64 s[28:29], vcc, exec
	s_branch .LBB69_291
.LBB69_296:
                                        ; implicit-def: $sgpr16_sgpr17
	s_branch .LBB69_3
.LBB69_297:
                                        ; implicit-def: $sgpr0_sgpr1
                                        ; kill: killed $sgpr0_sgpr1
	s_branch .LBB69_6
.LBB69_298:
                                        ; implicit-def: $sgpr10_sgpr11
                                        ; kill: killed $sgpr10_sgpr11
	s_load_dwordx2 s[18:19], s[4:5], 0x0
	s_branch .LBB69_9
.LBB69_299:
	s_or_b64 exec, exec, s[8:9]
	s_xor_b64 s[0:1], s[14:15], -1
	s_and_saveexec_b64 s[2:3], s[0:1]
	s_xor_b64 s[2:3], exec, s[2:3]
	s_cbranch_execz .LBB69_304
; %bb.300:
	s_mov_b64 s[2:3], exec
	s_brev_b32 s0, -2
.LBB69_301:                             ; =>This Inner Loop Header: Depth=1
	s_ff1_i32_b64 s1, s[2:3]
	v_readlane_b32 s12, v2, s1
	s_lshl_b64 s[8:9], 1, s1
	s_min_i32 s0, s0, s12
	s_andn2_b64 s[2:3], s[2:3], s[8:9]
	s_cmp_lg_u64 s[2:3], 0
	s_cbranch_scc1 .LBB69_301
; %bb.302:
	v_mbcnt_lo_u32_b32 v0, exec_lo, 0
	v_mbcnt_hi_u32_b32 v0, exec_hi, v0
	v_cmp_eq_u32_e32 vcc, 0, v0
	s_and_saveexec_b64 s[2:3], vcc
	s_xor_b64 s[2:3], exec, s[2:3]
; %bb.303:
	v_mov_b32_e32 v0, 0
	v_mov_b32_e32 v1, s0
	ds_min_i32 v0, v1 offset:5140
.LBB69_304:
	s_or_b64 exec, exec, s[10:11]
	s_waitcnt lgkmcnt(0)
	s_barrier
	s_mov_b64 s[2:3], exec
	v_readlane_b32 s0, v61, 12
	v_readlane_b32 s1, v61, 13
	s_and_b64 s[0:1], s[2:3], s[0:1]
	s_mov_b64 exec, s[0:1]
	s_cbranch_execz .LBB69_306
; %bb.305:
	v_readlane_b32 s8, v61, 0
	v_readlane_b32 s9, v61, 1
	;; [unrolled: 1-line block ×4, first 2 shown]
	s_mul_i32 s0, s10, s9
	s_mul_hi_u32 s1, s10, s8
	s_add_i32 s0, s1, s0
	s_mul_i32 s1, s11, s8
	s_add_i32 s0, s0, s1
	s_mul_i32 s1, s10, s8
	v_readlane_b32 s12, v61, 35
	s_sub_u32 s8, s66, s1
	v_readlane_b32 s14, v61, 37
	v_readlane_b32 s15, v61, 38
	s_subb_u32 s0, 0, s0
	s_mul_i32 s1, s8, s15
	s_mul_hi_u32 s9, s8, s14
	v_readlane_b32 s13, v61, 36
	s_add_i32 s1, s9, s1
	s_mul_i32 s0, s0, s14
	s_add_i32 s1, s1, s0
	s_mul_i32 s0, s8, s14
	s_mul_i32 s8, s10, s13
	s_mul_hi_u32 s9, s10, s12
	s_add_i32 s8, s9, s8
	s_mul_i32 s9, s11, s12
	s_add_i32 s9, s8, s9
	s_mul_i32 s8, s10, s12
	v_readlane_b32 s12, v61, 2
	v_readlane_b32 s13, v61, 3
	;; [unrolled: 1-line block ×4, first 2 shown]
	s_mul_i32 s10, s14, s13
	s_mul_hi_u32 s11, s14, s12
	s_add_i32 s10, s11, s10
	s_mul_i32 s11, s15, s12
	s_add_i32 s10, s10, s11
	s_mul_i32 s11, s14, s12
	v_readlane_b32 s16, v61, 31
	s_sub_u32 s12, s66, s11
	v_readlane_b32 s18, v61, 33
	v_readlane_b32 s19, v61, 34
	s_subb_u32 s10, 0, s10
	s_mul_i32 s11, s12, s19
	s_mul_hi_u32 s13, s12, s18
	v_readlane_b32 s17, v61, 32
	s_add_i32 s11, s13, s11
	s_mul_i32 s10, s10, s18
	s_add_i32 s11, s11, s10
	s_mul_i32 s10, s12, s18
	s_mul_i32 s12, s14, s17
	s_mul_hi_u32 s13, s14, s16
	s_add_i32 s12, s13, s12
	s_mul_i32 s13, s15, s16
	s_add_i32 s13, s12, s13
	s_mul_i32 s12, s14, s16
	s_lshl_b64 s[8:9], s[8:9], 1
	v_readlane_b32 s14, v61, 10
	v_readlane_b32 s15, v61, 11
	s_add_u32 s8, s14, s8
	s_addc_u32 s9, s15, s9
	s_lshl_b64 s[0:1], s[0:1], 1
	v_mov_b32_e32 v2, 0
	s_add_u32 s0, s8, s0
	ds_read_b32 v0, v2 offset:5140
	s_addc_u32 s1, s9, s1
	s_lshl_b64 s[8:9], s[12:13], 3
	v_readlane_b32 s12, v61, 8
	v_readlane_b32 s13, v61, 9
	s_add_u32 s12, s12, s8
	s_addc_u32 s13, s13, s9
	s_lshl_b64 s[8:9], s[10:11], 3
	s_add_u32 s8, s12, s8
	s_addc_u32 s9, s13, s9
	s_waitcnt lgkmcnt(0)
	v_ashrrev_i32_e32 v1, 31, v0
	global_store_dwordx2 v2, v[0:1], s[8:9]
	global_store_short v2, v52, s[0:1]
.LBB69_306:
	s_or_b64 exec, exec, s[2:3]
.LBB69_307:
	s_or_saveexec_b64 s[0:1], s[6:7]
	s_mov_b64 s[2:3], 0
	s_xor_b64 exec, exec, s[0:1]
	s_cbranch_execnz .LBB69_310
.LBB69_308:
	s_or_b64 exec, exec, s[0:1]
	s_and_b64 s[2:3], s[2:3], exec
	s_andn2_saveexec_b64 s[0:1], s[4:5]
	s_cbranch_execz .LBB69_281
.LBB69_309:
	s_or_b64 s[2:3], s[2:3], exec
	s_trap 2
	s_or_b64 exec, exec, s[0:1]
	s_and_saveexec_b64 s[0:1], s[2:3]
	s_cbranch_execnz .LBB69_282
	s_branch .LBB69_283
.LBB69_310:
	s_mov_b64 s[2:3], exec
	s_trap 2
	s_branch .LBB69_308
	.section	.rodata,"a",@progbits
	.p2align	6, 0x0
	.amdhsa_kernel _ZN2at6native12_GLOBAL__N_114gatherKthValueIN3c108BFloat16ElLi2EEEvNS_4cuda6detail10TensorInfoIKT_T0_EESA_SA_SA_SA_NS7_IS8_SA_EENS7_IlSA_EE
		.amdhsa_group_segment_fixed_size 5144
		.amdhsa_private_segment_fixed_size 0
		.amdhsa_kernarg_size 1536
		.amdhsa_user_sgpr_count 6
		.amdhsa_user_sgpr_private_segment_buffer 1
		.amdhsa_user_sgpr_dispatch_ptr 0
		.amdhsa_user_sgpr_queue_ptr 0
		.amdhsa_user_sgpr_kernarg_segment_ptr 1
		.amdhsa_user_sgpr_dispatch_id 0
		.amdhsa_user_sgpr_flat_scratch_init 0
		.amdhsa_user_sgpr_private_segment_size 0
		.amdhsa_uses_dynamic_stack 0
		.amdhsa_system_sgpr_private_segment_wavefront_offset 0
		.amdhsa_system_sgpr_workgroup_id_x 1
		.amdhsa_system_sgpr_workgroup_id_y 1
		.amdhsa_system_sgpr_workgroup_id_z 1
		.amdhsa_system_sgpr_workgroup_info 0
		.amdhsa_system_vgpr_workitem_id 0
		.amdhsa_next_free_vgpr 62
		.amdhsa_next_free_sgpr 96
		.amdhsa_reserve_vcc 1
		.amdhsa_reserve_flat_scratch 0
		.amdhsa_float_round_mode_32 0
		.amdhsa_float_round_mode_16_64 0
		.amdhsa_float_denorm_mode_32 3
		.amdhsa_float_denorm_mode_16_64 3
		.amdhsa_dx10_clamp 1
		.amdhsa_ieee_mode 1
		.amdhsa_fp16_overflow 0
		.amdhsa_exception_fp_ieee_invalid_op 0
		.amdhsa_exception_fp_denorm_src 0
		.amdhsa_exception_fp_ieee_div_zero 0
		.amdhsa_exception_fp_ieee_overflow 0
		.amdhsa_exception_fp_ieee_underflow 0
		.amdhsa_exception_fp_ieee_inexact 0
		.amdhsa_exception_int_div_zero 0
	.end_amdhsa_kernel
	.section	.text._ZN2at6native12_GLOBAL__N_114gatherKthValueIN3c108BFloat16ElLi2EEEvNS_4cuda6detail10TensorInfoIKT_T0_EESA_SA_SA_SA_NS7_IS8_SA_EENS7_IlSA_EE,"axG",@progbits,_ZN2at6native12_GLOBAL__N_114gatherKthValueIN3c108BFloat16ElLi2EEEvNS_4cuda6detail10TensorInfoIKT_T0_EESA_SA_SA_SA_NS7_IS8_SA_EENS7_IlSA_EE,comdat
.Lfunc_end69:
	.size	_ZN2at6native12_GLOBAL__N_114gatherKthValueIN3c108BFloat16ElLi2EEEvNS_4cuda6detail10TensorInfoIKT_T0_EESA_SA_SA_SA_NS7_IS8_SA_EENS7_IlSA_EE, .Lfunc_end69-_ZN2at6native12_GLOBAL__N_114gatherKthValueIN3c108BFloat16ElLi2EEEvNS_4cuda6detail10TensorInfoIKT_T0_EESA_SA_SA_SA_NS7_IS8_SA_EENS7_IlSA_EE
                                        ; -- End function
	.set _ZN2at6native12_GLOBAL__N_114gatherKthValueIN3c108BFloat16ElLi2EEEvNS_4cuda6detail10TensorInfoIKT_T0_EESA_SA_SA_SA_NS7_IS8_SA_EENS7_IlSA_EE.num_vgpr, 62
	.set _ZN2at6native12_GLOBAL__N_114gatherKthValueIN3c108BFloat16ElLi2EEEvNS_4cuda6detail10TensorInfoIKT_T0_EESA_SA_SA_SA_NS7_IS8_SA_EENS7_IlSA_EE.num_agpr, 0
	.set _ZN2at6native12_GLOBAL__N_114gatherKthValueIN3c108BFloat16ElLi2EEEvNS_4cuda6detail10TensorInfoIKT_T0_EESA_SA_SA_SA_NS7_IS8_SA_EENS7_IlSA_EE.numbered_sgpr, 96
	.set _ZN2at6native12_GLOBAL__N_114gatherKthValueIN3c108BFloat16ElLi2EEEvNS_4cuda6detail10TensorInfoIKT_T0_EESA_SA_SA_SA_NS7_IS8_SA_EENS7_IlSA_EE.num_named_barrier, 0
	.set _ZN2at6native12_GLOBAL__N_114gatherKthValueIN3c108BFloat16ElLi2EEEvNS_4cuda6detail10TensorInfoIKT_T0_EESA_SA_SA_SA_NS7_IS8_SA_EENS7_IlSA_EE.private_seg_size, 0
	.set _ZN2at6native12_GLOBAL__N_114gatherKthValueIN3c108BFloat16ElLi2EEEvNS_4cuda6detail10TensorInfoIKT_T0_EESA_SA_SA_SA_NS7_IS8_SA_EENS7_IlSA_EE.uses_vcc, 1
	.set _ZN2at6native12_GLOBAL__N_114gatherKthValueIN3c108BFloat16ElLi2EEEvNS_4cuda6detail10TensorInfoIKT_T0_EESA_SA_SA_SA_NS7_IS8_SA_EENS7_IlSA_EE.uses_flat_scratch, 0
	.set _ZN2at6native12_GLOBAL__N_114gatherKthValueIN3c108BFloat16ElLi2EEEvNS_4cuda6detail10TensorInfoIKT_T0_EESA_SA_SA_SA_NS7_IS8_SA_EENS7_IlSA_EE.has_dyn_sized_stack, 0
	.set _ZN2at6native12_GLOBAL__N_114gatherKthValueIN3c108BFloat16ElLi2EEEvNS_4cuda6detail10TensorInfoIKT_T0_EESA_SA_SA_SA_NS7_IS8_SA_EENS7_IlSA_EE.has_recursion, 0
	.set _ZN2at6native12_GLOBAL__N_114gatherKthValueIN3c108BFloat16ElLi2EEEvNS_4cuda6detail10TensorInfoIKT_T0_EESA_SA_SA_SA_NS7_IS8_SA_EENS7_IlSA_EE.has_indirect_call, 0
	.section	.AMDGPU.csdata,"",@progbits
; Kernel info:
; codeLenInByte = 19052
; TotalNumSgprs: 100
; NumVgprs: 62
; ScratchSize: 0
; MemoryBound: 0
; FloatMode: 240
; IeeeMode: 1
; LDSByteSize: 5144 bytes/workgroup (compile time only)
; SGPRBlocks: 12
; VGPRBlocks: 15
; NumSGPRsForWavesPerEU: 100
; NumVGPRsForWavesPerEU: 62
; Occupancy: 4
; WaveLimiterHint : 1
; COMPUTE_PGM_RSRC2:SCRATCH_EN: 0
; COMPUTE_PGM_RSRC2:USER_SGPR: 6
; COMPUTE_PGM_RSRC2:TRAP_HANDLER: 0
; COMPUTE_PGM_RSRC2:TGID_X_EN: 1
; COMPUTE_PGM_RSRC2:TGID_Y_EN: 1
; COMPUTE_PGM_RSRC2:TGID_Z_EN: 1
; COMPUTE_PGM_RSRC2:TIDIG_COMP_CNT: 0
	.section	.text._ZN2at6native12_GLOBAL__N_114gatherKthValueIN3c108BFloat16ElLi3EEEvNS_4cuda6detail10TensorInfoIKT_T0_EESA_SA_SA_SA_NS7_IS8_SA_EENS7_IlSA_EE,"axG",@progbits,_ZN2at6native12_GLOBAL__N_114gatherKthValueIN3c108BFloat16ElLi3EEEvNS_4cuda6detail10TensorInfoIKT_T0_EESA_SA_SA_SA_NS7_IS8_SA_EENS7_IlSA_EE,comdat
	.globl	_ZN2at6native12_GLOBAL__N_114gatherKthValueIN3c108BFloat16ElLi3EEEvNS_4cuda6detail10TensorInfoIKT_T0_EESA_SA_SA_SA_NS7_IS8_SA_EENS7_IlSA_EE ; -- Begin function _ZN2at6native12_GLOBAL__N_114gatherKthValueIN3c108BFloat16ElLi3EEEvNS_4cuda6detail10TensorInfoIKT_T0_EESA_SA_SA_SA_NS7_IS8_SA_EENS7_IlSA_EE
	.p2align	8
	.type	_ZN2at6native12_GLOBAL__N_114gatherKthValueIN3c108BFloat16ElLi3EEEvNS_4cuda6detail10TensorInfoIKT_T0_EESA_SA_SA_SA_NS7_IS8_SA_EENS7_IlSA_EE,@function
_ZN2at6native12_GLOBAL__N_114gatherKthValueIN3c108BFloat16ElLi3EEEvNS_4cuda6detail10TensorInfoIKT_T0_EESA_SA_SA_SA_NS7_IS8_SA_EENS7_IlSA_EE: ; @_ZN2at6native12_GLOBAL__N_114gatherKthValueIN3c108BFloat16ElLi3EEEvNS_4cuda6detail10TensorInfoIKT_T0_EESA_SA_SA_SA_NS7_IS8_SA_EENS7_IlSA_EE
; %bb.0:
	s_load_dwordx2 s[18:19], s[4:5], 0x500
	s_load_dwordx8 s[24:31], s[4:5], 0x1a0
	s_add_u32 s16, s4, 0x500
	s_addc_u32 s17, s5, 0
	s_mov_b32 s49, 0
	s_waitcnt lgkmcnt(0)
	s_mul_i32 s0, s19, s8
	s_add_i32 s0, s0, s7
	s_mul_i32 s0, s0, s18
	s_add_i32 s48, s0, s6
	v_mov_b32_e32 v1, s48
	v_mov_b32_e32 v2, s49
	v_cmp_le_i64_e32 vcc, s[28:29], v[1:2]
	s_cbranch_vccnz .LBB70_301
; %bb.1:
	s_load_dwordx4 s[8:11], s[4:5], 0x10
	s_mov_b32 s0, s49
	s_waitcnt lgkmcnt(0)
	s_mov_b32 s1, s11
	s_cmp_lg_u64 s[0:1], 0
	s_cbranch_scc0 .LBB70_6
; %bb.2:
	s_ashr_i32 s0, s11, 31
	s_add_u32 s2, s10, s0
	s_mov_b32 s1, s0
	s_addc_u32 s3, s11, s0
	s_xor_b64 s[2:3], s[2:3], s[0:1]
	v_cvt_f32_u32_e32 v1, s2
	v_cvt_f32_u32_e32 v2, s3
	s_sub_u32 s7, 0, s2
	s_subb_u32 s19, 0, s3
	v_madmk_f32 v1, v2, 0x4f800000, v1
	v_rcp_f32_e32 v1, v1
	v_mul_f32_e32 v1, 0x5f7ffffc, v1
	v_mul_f32_e32 v2, 0x2f800000, v1
	v_trunc_f32_e32 v2, v2
	v_madmk_f32 v1, v2, 0xcf800000, v1
	v_cvt_u32_f32_e32 v2, v2
	v_cvt_u32_f32_e32 v1, v1
	v_readfirstlane_b32 s20, v2
	v_readfirstlane_b32 s14, v1
	s_mul_i32 s15, s7, s20
	s_mul_hi_u32 s22, s7, s14
	s_mul_i32 s21, s19, s14
	s_add_i32 s15, s22, s15
	s_add_i32 s15, s15, s21
	s_mul_i32 s23, s7, s14
	s_mul_i32 s22, s14, s15
	s_mul_hi_u32 s28, s14, s23
	s_mul_hi_u32 s21, s14, s15
	s_add_u32 s22, s28, s22
	s_addc_u32 s21, 0, s21
	s_mul_hi_u32 s29, s20, s23
	s_mul_i32 s23, s20, s23
	s_add_u32 s22, s22, s23
	s_mul_hi_u32 s28, s20, s15
	s_addc_u32 s21, s21, s29
	s_addc_u32 s22, s28, 0
	s_mul_i32 s15, s20, s15
	s_add_u32 s15, s21, s15
	s_addc_u32 s21, 0, s22
	s_add_u32 s22, s14, s15
	s_cselect_b64 s[14:15], -1, 0
	s_cmp_lg_u64 s[14:15], 0
	s_addc_u32 s20, s20, s21
	s_mul_i32 s14, s7, s20
	s_mul_hi_u32 s15, s7, s22
	s_add_i32 s14, s15, s14
	s_mul_i32 s19, s19, s22
	s_add_i32 s14, s14, s19
	s_mul_i32 s7, s7, s22
	s_mul_hi_u32 s19, s20, s7
	s_mul_i32 s21, s20, s7
	s_mul_i32 s28, s22, s14
	s_mul_hi_u32 s7, s22, s7
	s_mul_hi_u32 s23, s22, s14
	s_add_u32 s7, s7, s28
	s_addc_u32 s23, 0, s23
	s_add_u32 s7, s7, s21
	s_mul_hi_u32 s15, s20, s14
	s_addc_u32 s7, s23, s19
	s_addc_u32 s15, s15, 0
	s_mul_i32 s14, s20, s14
	s_add_u32 s7, s7, s14
	s_addc_u32 s19, 0, s15
	s_add_u32 s7, s22, s7
	s_cselect_b64 s[14:15], -1, 0
	s_cmp_lg_u64 s[14:15], 0
	s_addc_u32 s19, s20, s19
	s_add_u32 s14, s48, 0
	s_addc_u32 s15, 0, 0
	s_xor_b64 s[14:15], s[14:15], 0
	s_mul_i32 s21, s14, s19
	s_mul_hi_u32 s22, s14, s7
	s_mul_hi_u32 s20, s14, s19
	s_add_u32 s21, s22, s21
	s_addc_u32 s20, 0, s20
	s_mul_hi_u32 s23, s15, s7
	s_mul_i32 s7, s15, s7
	s_add_u32 s7, s21, s7
	s_mul_hi_u32 s22, s15, s19
	s_addc_u32 s7, s20, s23
	s_addc_u32 s20, s22, 0
	s_mul_i32 s19, s15, s19
	s_add_u32 s7, s7, s19
	s_addc_u32 s19, 0, s20
	s_mul_i32 s20, s2, s19
	s_mul_hi_u32 s21, s2, s7
	s_add_i32 s20, s21, s20
	s_mul_i32 s21, s3, s7
	s_add_i32 s28, s20, s21
	s_sub_i32 s22, s15, s28
	s_mul_i32 s20, s2, s7
	s_sub_u32 s14, s14, s20
	s_cselect_b64 s[20:21], -1, 0
	s_cmp_lg_u64 s[20:21], 0
	s_subb_u32 s29, s22, s3
	s_sub_u32 s33, s14, s2
	s_cselect_b64 s[22:23], -1, 0
	s_cmp_lg_u64 s[22:23], 0
	s_subb_u32 s22, s29, 0
	s_cmp_ge_u32 s22, s3
	s_cselect_b32 s23, -1, 0
	s_cmp_ge_u32 s33, s2
	s_cselect_b32 s29, -1, 0
	s_cmp_eq_u32 s22, s3
	s_cselect_b32 s22, s29, s23
	s_add_u32 s23, s7, 1
	s_addc_u32 s29, s19, 0
	s_add_u32 s33, s7, 2
	s_addc_u32 s34, s19, 0
	s_cmp_lg_u32 s22, 0
	s_cselect_b32 s22, s33, s23
	s_cselect_b32 s23, s34, s29
	s_cmp_lg_u64 s[20:21], 0
	s_subb_u32 s15, s15, s28
	s_cmp_ge_u32 s15, s3
	s_cselect_b32 s20, -1, 0
	s_cmp_ge_u32 s14, s2
	s_cselect_b32 s2, -1, 0
	s_cmp_eq_u32 s15, s3
	s_cselect_b32 s2, s2, s20
	s_cmp_lg_u32 s2, 0
	s_cselect_b32 s3, s23, s19
	s_cselect_b32 s2, s22, s7
	s_xor_b64 s[0:1], 0, s[0:1]
	s_xor_b64 s[2:3], s[2:3], s[0:1]
	s_sub_u32 s2, s2, s0
	s_subb_u32 s3, s3, s1
	s_cbranch_execnz .LBB70_4
.LBB70_3:
	v_cvt_f32_u32_e32 v1, s10
	s_sub_i32 s0, 0, s10
	s_mov_b32 s3, 0
	v_rcp_iflag_f32_e32 v1, v1
	v_mul_f32_e32 v1, 0x4f7ffffe, v1
	v_cvt_u32_f32_e32 v1, v1
	v_readfirstlane_b32 s1, v1
	s_mul_i32 s0, s0, s1
	s_mul_hi_u32 s0, s1, s0
	s_add_i32 s1, s1, s0
	s_mul_hi_u32 s0, s48, s1
	s_mul_i32 s2, s0, s10
	s_sub_i32 s2, s48, s2
	s_add_i32 s1, s0, 1
	s_sub_i32 s7, s2, s10
	s_cmp_ge_u32 s2, s10
	s_cselect_b32 s0, s1, s0
	s_cselect_b32 s2, s7, s2
	s_add_i32 s1, s0, 1
	s_cmp_ge_u32 s2, s10
	s_cselect_b32 s2, s1, s0
.LBB70_4:
	s_or_b64 s[0:1], s[2:3], s[8:9]
	s_mov_b32 s0, 0
	s_cmp_lg_u64 s[0:1], 0
	s_cbranch_scc0 .LBB70_7
; %bb.5:
	s_ashr_i32 s12, s9, 31
	s_add_u32 s0, s8, s12
	s_mov_b32 s13, s12
	s_addc_u32 s1, s9, s12
	s_xor_b64 s[14:15], s[0:1], s[12:13]
	v_cvt_f32_u32_e32 v1, s14
	v_cvt_f32_u32_e32 v2, s15
	s_sub_u32 s7, 0, s14
	s_subb_u32 s19, 0, s15
	s_mov_b64 s[0:1], 0
	v_madmk_f32 v1, v2, 0x4f800000, v1
	v_rcp_f32_e32 v1, v1
	v_mul_f32_e32 v1, 0x5f7ffffc, v1
	v_mul_f32_e32 v2, 0x2f800000, v1
	v_trunc_f32_e32 v2, v2
	v_madmk_f32 v1, v2, 0xcf800000, v1
	v_cvt_u32_f32_e32 v2, v2
	v_cvt_u32_f32_e32 v1, v1
	v_readfirstlane_b32 s22, v2
	v_readfirstlane_b32 s20, v1
	s_mul_i32 s21, s7, s22
	s_mul_hi_u32 s28, s7, s20
	s_mul_i32 s23, s19, s20
	s_add_i32 s21, s28, s21
	s_add_i32 s21, s21, s23
	s_mul_i32 s29, s7, s20
	s_mul_i32 s28, s20, s21
	s_mul_hi_u32 s33, s20, s29
	s_mul_hi_u32 s23, s20, s21
	s_add_u32 s28, s33, s28
	s_addc_u32 s23, 0, s23
	s_mul_hi_u32 s34, s22, s29
	s_mul_i32 s29, s22, s29
	s_add_u32 s28, s28, s29
	s_mul_hi_u32 s33, s22, s21
	s_addc_u32 s23, s23, s34
	s_addc_u32 s28, s33, 0
	s_mul_i32 s21, s22, s21
	s_add_u32 s21, s23, s21
	s_addc_u32 s23, 0, s28
	s_add_u32 s28, s20, s21
	s_cselect_b64 s[20:21], -1, 0
	s_cmp_lg_u64 s[20:21], 0
	s_addc_u32 s22, s22, s23
	s_mul_i32 s20, s7, s22
	s_mul_hi_u32 s21, s7, s28
	s_add_i32 s20, s21, s20
	s_mul_i32 s19, s19, s28
	s_add_i32 s20, s20, s19
	s_mul_i32 s7, s7, s28
	s_mul_hi_u32 s21, s22, s7
	s_mul_i32 s23, s22, s7
	s_mul_i32 s33, s28, s20
	s_mul_hi_u32 s7, s28, s7
	s_mul_hi_u32 s29, s28, s20
	s_add_u32 s7, s7, s33
	s_addc_u32 s29, 0, s29
	s_add_u32 s7, s7, s23
	s_mul_hi_u32 s19, s22, s20
	s_addc_u32 s7, s29, s21
	s_addc_u32 s19, s19, 0
	s_mul_i32 s20, s22, s20
	s_add_u32 s7, s7, s20
	s_addc_u32 s19, 0, s19
	s_add_u32 s7, s28, s7
	s_cselect_b64 s[20:21], -1, 0
	s_cmp_lg_u64 s[20:21], 0
	s_addc_u32 s19, s22, s19
	s_ashr_i32 s20, s3, 31
	s_add_u32 s22, s2, s20
	s_mov_b32 s21, s20
	s_addc_u32 s23, s3, s20
	s_xor_b64 s[22:23], s[22:23], s[20:21]
	s_mul_i32 s29, s22, s19
	s_mul_hi_u32 s33, s22, s7
	s_mul_hi_u32 s28, s22, s19
	s_add_u32 s29, s33, s29
	s_addc_u32 s28, 0, s28
	s_mul_hi_u32 s34, s23, s7
	s_mul_i32 s7, s23, s7
	s_add_u32 s7, s29, s7
	s_mul_hi_u32 s33, s23, s19
	s_addc_u32 s7, s28, s34
	s_addc_u32 s28, s33, 0
	s_mul_i32 s19, s23, s19
	s_add_u32 s7, s7, s19
	s_addc_u32 s19, 0, s28
	s_mul_i32 s28, s14, s19
	s_mul_hi_u32 s29, s14, s7
	s_add_i32 s28, s29, s28
	s_mul_i32 s29, s15, s7
	s_add_i32 s33, s28, s29
	s_sub_i32 s34, s23, s33
	s_mul_i32 s28, s14, s7
	s_sub_u32 s22, s22, s28
	s_cselect_b64 s[28:29], -1, 0
	s_cmp_lg_u64 s[28:29], 0
	s_subb_u32 s36, s34, s15
	s_sub_u32 s37, s22, s14
	s_cselect_b64 s[34:35], -1, 0
	s_cmp_lg_u64 s[34:35], 0
	s_subb_u32 s34, s36, 0
	s_cmp_ge_u32 s34, s15
	s_cselect_b32 s35, -1, 0
	s_cmp_ge_u32 s37, s14
	s_cselect_b32 s36, -1, 0
	s_cmp_eq_u32 s34, s15
	s_cselect_b32 s34, s36, s35
	s_add_u32 s35, s7, 1
	s_addc_u32 s36, s19, 0
	s_add_u32 s37, s7, 2
	s_addc_u32 s38, s19, 0
	s_cmp_lg_u32 s34, 0
	s_cselect_b32 s34, s37, s35
	s_cselect_b32 s35, s38, s36
	s_cmp_lg_u64 s[28:29], 0
	s_subb_u32 s23, s23, s33
	s_cmp_ge_u32 s23, s15
	s_cselect_b32 s28, -1, 0
	s_cmp_ge_u32 s22, s14
	s_cselect_b32 s14, -1, 0
	s_cmp_eq_u32 s23, s15
	s_cselect_b32 s14, s14, s28
	s_cmp_lg_u32 s14, 0
	s_cselect_b32 s15, s35, s19
	s_cselect_b32 s14, s34, s7
	s_xor_b64 s[12:13], s[20:21], s[12:13]
	s_xor_b64 s[14:15], s[14:15], s[12:13]
	s_sub_u32 s20, s14, s12
	s_subb_u32 s21, s15, s13
	s_branch .LBB70_8
.LBB70_6:
                                        ; implicit-def: $sgpr2_sgpr3
	s_branch .LBB70_3
.LBB70_7:
	s_mov_b64 s[0:1], -1
                                        ; implicit-def: $sgpr20_sgpr21
.LBB70_8:
	s_load_dwordx4 s[12:15], s[4:5], 0x1d0
                                        ; implicit-def: $vgpr56 : SGPR spill to VGPR lane
	s_andn2_b64 vcc, exec, s[0:1]
	s_waitcnt lgkmcnt(0)
	v_writelane_b32 v56, s12, 0
	v_writelane_b32 v56, s13, 1
	;; [unrolled: 1-line block ×4, first 2 shown]
	s_cbranch_vccnz .LBB70_10
; %bb.9:
	v_cvt_f32_u32_e32 v1, s8
	s_sub_i32 s0, 0, s8
	s_mov_b32 s21, 0
	v_rcp_iflag_f32_e32 v1, v1
	v_mul_f32_e32 v1, 0x4f7ffffe, v1
	v_cvt_u32_f32_e32 v1, v1
	v_readfirstlane_b32 s1, v1
	s_mul_i32 s0, s0, s1
	s_mul_hi_u32 s0, s1, s0
	s_add_i32 s1, s1, s0
	s_mul_hi_u32 s0, s2, s1
	s_mul_i32 s7, s0, s8
	s_sub_i32 s7, s2, s7
	s_add_i32 s1, s0, 1
	s_sub_i32 s12, s7, s8
	s_cmp_ge_u32 s7, s8
	s_cselect_b32 s0, s1, s0
	s_cselect_b32 s7, s12, s7
	s_add_i32 s1, s0, 1
	s_cmp_ge_u32 s7, s8
	s_cselect_b32 s20, s1, s0
.LBB70_10:
	s_load_dwordx4 s[12:15], s[4:5], 0x1d0
	s_mov_b32 s0, 0
	s_waitcnt lgkmcnt(0)
	s_mov_b32 s1, s15
	s_cmp_lg_u64 s[0:1], 0
	s_cbranch_scc0 .LBB70_15
; %bb.11:
	s_ashr_i32 s0, s15, 31
	s_add_u32 s12, s14, s0
	s_mov_b32 s1, s0
	s_addc_u32 s13, s15, s0
	s_xor_b64 s[14:15], s[12:13], s[0:1]
	v_cvt_f32_u32_e32 v1, s14
	v_cvt_f32_u32_e32 v2, s15
	s_sub_u32 s7, 0, s14
	s_subb_u32 s19, 0, s15
	v_madmk_f32 v1, v2, 0x4f800000, v1
	v_rcp_f32_e32 v1, v1
	v_mul_f32_e32 v1, 0x5f7ffffc, v1
	v_mul_f32_e32 v2, 0x2f800000, v1
	v_trunc_f32_e32 v2, v2
	v_madmk_f32 v1, v2, 0xcf800000, v1
	v_cvt_u32_f32_e32 v2, v2
	v_cvt_u32_f32_e32 v1, v1
	v_readfirstlane_b32 s28, v2
	v_readfirstlane_b32 s22, v1
	s_mul_i32 s23, s7, s28
	s_mul_hi_u32 s33, s7, s22
	s_mul_i32 s29, s19, s22
	s_add_i32 s23, s33, s23
	s_add_i32 s23, s23, s29
	s_mul_i32 s34, s7, s22
	s_mul_i32 s33, s22, s23
	s_mul_hi_u32 s35, s22, s34
	s_mul_hi_u32 s29, s22, s23
	s_add_u32 s33, s35, s33
	s_addc_u32 s29, 0, s29
	s_mul_hi_u32 s36, s28, s34
	s_mul_i32 s34, s28, s34
	s_add_u32 s33, s33, s34
	s_mul_hi_u32 s35, s28, s23
	s_addc_u32 s29, s29, s36
	s_addc_u32 s33, s35, 0
	s_mul_i32 s23, s28, s23
	s_add_u32 s23, s29, s23
	s_addc_u32 s29, 0, s33
	s_add_u32 s33, s22, s23
	s_cselect_b64 s[22:23], -1, 0
	s_cmp_lg_u64 s[22:23], 0
	s_addc_u32 s28, s28, s29
	s_mul_i32 s22, s7, s28
	s_mul_hi_u32 s23, s7, s33
	s_add_i32 s22, s23, s22
	s_mul_i32 s19, s19, s33
	s_add_i32 s22, s22, s19
	s_mul_i32 s7, s7, s33
	s_mul_hi_u32 s23, s28, s7
	s_mul_i32 s29, s28, s7
	s_mul_i32 s35, s33, s22
	s_mul_hi_u32 s7, s33, s7
	s_mul_hi_u32 s34, s33, s22
	s_add_u32 s7, s7, s35
	s_addc_u32 s34, 0, s34
	s_add_u32 s7, s7, s29
	s_mul_hi_u32 s19, s28, s22
	s_addc_u32 s7, s34, s23
	s_addc_u32 s19, s19, 0
	s_mul_i32 s22, s28, s22
	s_add_u32 s7, s7, s22
	s_addc_u32 s19, 0, s19
	s_add_u32 s7, s33, s7
	s_cselect_b64 s[22:23], -1, 0
	s_cmp_lg_u64 s[22:23], 0
	s_addc_u32 s19, s28, s19
	s_add_u32 s22, s48, 0
	s_addc_u32 s23, 0, 0
	s_xor_b64 s[22:23], s[22:23], 0
	s_mul_i32 s29, s22, s19
	s_mul_hi_u32 s33, s22, s7
	s_mul_hi_u32 s28, s22, s19
	s_add_u32 s29, s33, s29
	s_addc_u32 s28, 0, s28
	s_mul_hi_u32 s34, s23, s7
	s_mul_i32 s7, s23, s7
	s_add_u32 s7, s29, s7
	s_mul_hi_u32 s33, s23, s19
	s_addc_u32 s7, s28, s34
	s_addc_u32 s28, s33, 0
	s_mul_i32 s19, s23, s19
	s_add_u32 s7, s7, s19
	s_addc_u32 s19, 0, s28
	s_mul_i32 s28, s14, s19
	s_mul_hi_u32 s29, s14, s7
	s_add_i32 s28, s29, s28
	s_mul_i32 s29, s15, s7
	s_add_i32 s33, s28, s29
	s_sub_i32 s34, s23, s33
	s_mul_i32 s28, s14, s7
	s_sub_u32 s22, s22, s28
	s_cselect_b64 s[28:29], -1, 0
	s_cmp_lg_u64 s[28:29], 0
	s_subb_u32 s36, s34, s15
	s_sub_u32 s37, s22, s14
	s_cselect_b64 s[34:35], -1, 0
	s_cmp_lg_u64 s[34:35], 0
	s_subb_u32 s34, s36, 0
	s_cmp_ge_u32 s34, s15
	s_cselect_b32 s35, -1, 0
	s_cmp_ge_u32 s37, s14
	s_cselect_b32 s36, -1, 0
	s_cmp_eq_u32 s34, s15
	s_cselect_b32 s34, s36, s35
	s_add_u32 s35, s7, 1
	s_addc_u32 s36, s19, 0
	s_add_u32 s37, s7, 2
	s_addc_u32 s38, s19, 0
	s_cmp_lg_u32 s34, 0
	s_cselect_b32 s34, s37, s35
	s_cselect_b32 s35, s38, s36
	s_cmp_lg_u64 s[28:29], 0
	s_subb_u32 s23, s23, s33
	s_cmp_ge_u32 s23, s15
	s_cselect_b32 s28, -1, 0
	s_cmp_ge_u32 s22, s14
	s_cselect_b32 s14, -1, 0
	s_cmp_eq_u32 s23, s15
	s_cselect_b32 s14, s14, s28
	s_cmp_lg_u32 s14, 0
	s_cselect_b32 s15, s35, s19
	s_cselect_b32 s14, s34, s7
	s_xor_b64 s[0:1], 0, s[0:1]
	s_xor_b64 s[14:15], s[14:15], s[0:1]
	s_sub_u32 s22, s14, s0
	s_subb_u32 s23, s15, s1
	s_cbranch_execnz .LBB70_13
.LBB70_12:
	s_load_dwordx4 s[12:15], s[4:5], 0x1d0
	s_mov_b32 s23, 0
	s_waitcnt lgkmcnt(0)
	v_cvt_f32_u32_e32 v1, s14
	s_sub_i32 s0, 0, s14
	v_rcp_iflag_f32_e32 v1, v1
	v_mul_f32_e32 v1, 0x4f7ffffe, v1
	v_cvt_u32_f32_e32 v1, v1
	v_readfirstlane_b32 s1, v1
	s_mul_i32 s0, s0, s1
	s_mul_hi_u32 s0, s1, s0
	s_add_i32 s1, s1, s0
	s_mul_hi_u32 s0, s48, s1
	s_mul_i32 s7, s0, s14
	s_sub_i32 s7, s48, s7
	s_add_i32 s1, s0, 1
	s_sub_i32 s12, s7, s14
	s_cmp_ge_u32 s7, s14
	s_cselect_b32 s0, s1, s0
	s_cselect_b32 s7, s12, s7
	s_add_i32 s1, s0, 1
	s_cmp_ge_u32 s7, s14
	s_cselect_b32 s22, s1, s0
.LBB70_13:
	s_load_dwordx4 s[36:39], s[4:5], 0x1d0
	s_waitcnt lgkmcnt(0)
	s_or_b64 s[0:1], s[22:23], s[36:37]
	s_mov_b32 s0, 0
	s_cmp_lg_u64 s[0:1], 0
	v_writelane_b32 v56, s22, 4
	v_writelane_b32 v56, s23, 5
	s_cbranch_scc0 .LBB70_16
; %bb.14:
	s_ashr_i32 s12, s37, 31
	s_add_u32 s0, s36, s12
	s_mov_b32 s13, s12
	s_addc_u32 s1, s37, s12
	s_xor_b64 s[14:15], s[0:1], s[12:13]
	v_cvt_f32_u32_e32 v1, s14
	v_cvt_f32_u32_e32 v2, s15
	s_sub_u32 s7, 0, s14
	s_subb_u32 s19, 0, s15
	s_mov_b64 s[0:1], 0
	v_madmk_f32 v1, v2, 0x4f800000, v1
	v_rcp_f32_e32 v1, v1
	v_mul_f32_e32 v1, 0x5f7ffffc, v1
	v_mul_f32_e32 v2, 0x2f800000, v1
	v_trunc_f32_e32 v2, v2
	v_madmk_f32 v1, v2, 0xcf800000, v1
	v_cvt_u32_f32_e32 v2, v2
	v_cvt_u32_f32_e32 v1, v1
	v_readfirstlane_b32 s28, v2
	v_readfirstlane_b32 s22, v1
	s_mul_i32 s23, s7, s28
	s_mul_hi_u32 s33, s7, s22
	s_mul_i32 s29, s19, s22
	s_add_i32 s23, s33, s23
	s_add_i32 s23, s23, s29
	s_mul_i32 s34, s7, s22
	s_mul_i32 s33, s22, s23
	s_mul_hi_u32 s35, s22, s34
	s_mul_hi_u32 s29, s22, s23
	s_add_u32 s33, s35, s33
	s_addc_u32 s29, 0, s29
	s_mul_hi_u32 s36, s28, s34
	s_mul_i32 s34, s28, s34
	s_add_u32 s33, s33, s34
	s_mul_hi_u32 s35, s28, s23
	s_addc_u32 s29, s29, s36
	s_addc_u32 s33, s35, 0
	s_mul_i32 s23, s28, s23
	s_add_u32 s23, s29, s23
	s_addc_u32 s29, 0, s33
	s_add_u32 s33, s22, s23
	s_cselect_b64 s[22:23], -1, 0
	s_cmp_lg_u64 s[22:23], 0
	s_addc_u32 s28, s28, s29
	s_mul_i32 s22, s7, s28
	s_mul_hi_u32 s23, s7, s33
	s_add_i32 s22, s23, s22
	s_mul_i32 s19, s19, s33
	s_add_i32 s22, s22, s19
	s_mul_i32 s7, s7, s33
	s_mul_hi_u32 s23, s28, s7
	s_mul_i32 s29, s28, s7
	s_mul_i32 s35, s33, s22
	s_mul_hi_u32 s7, s33, s7
	s_mul_hi_u32 s34, s33, s22
	s_add_u32 s7, s7, s35
	s_addc_u32 s34, 0, s34
	s_add_u32 s7, s7, s29
	s_mul_hi_u32 s19, s28, s22
	s_addc_u32 s7, s34, s23
	s_addc_u32 s19, s19, 0
	s_mul_i32 s22, s28, s22
	s_add_u32 s7, s7, s22
	s_addc_u32 s19, 0, s19
	s_add_u32 s7, s33, s7
	s_cselect_b64 s[22:23], -1, 0
	s_cmp_lg_u64 s[22:23], 0
	v_readlane_b32 s22, v56, 4
	v_readlane_b32 s23, v56, 5
	s_addc_u32 s19, s28, s19
	s_ashr_i32 s22, s23, 31
	v_readlane_b32 s28, v56, 4
	v_readlane_b32 s34, v56, 4
	v_readlane_b32 s29, v56, 5
	s_add_u32 s28, s28, s22
	v_readlane_b32 s35, v56, 5
	s_mov_b32 s23, s22
	s_addc_u32 s29, s35, s22
	s_xor_b64 s[28:29], s[28:29], s[22:23]
	s_mul_i32 s34, s28, s19
	s_mul_hi_u32 s35, s28, s7
	s_mul_hi_u32 s33, s28, s19
	s_add_u32 s34, s35, s34
	s_addc_u32 s33, 0, s33
	s_mul_hi_u32 s36, s29, s7
	s_mul_i32 s7, s29, s7
	s_add_u32 s7, s34, s7
	s_mul_hi_u32 s35, s29, s19
	s_addc_u32 s7, s33, s36
	s_addc_u32 s33, s35, 0
	s_mul_i32 s19, s29, s19
	s_add_u32 s7, s7, s19
	s_addc_u32 s19, 0, s33
	s_mul_i32 s33, s14, s19
	s_mul_hi_u32 s34, s14, s7
	s_add_i32 s33, s34, s33
	s_mul_i32 s34, s15, s7
	s_add_i32 s33, s33, s34
	s_sub_i32 s36, s29, s33
	s_mul_i32 s34, s14, s7
	s_sub_u32 s28, s28, s34
	s_cselect_b64 s[34:35], -1, 0
	s_cmp_lg_u64 s[34:35], 0
	s_subb_u32 s38, s36, s15
	s_sub_u32 s39, s28, s14
	s_cselect_b64 s[36:37], -1, 0
	s_cmp_lg_u64 s[36:37], 0
	s_subb_u32 s36, s38, 0
	s_cmp_ge_u32 s36, s15
	s_cselect_b32 s37, -1, 0
	s_cmp_ge_u32 s39, s14
	s_cselect_b32 s38, -1, 0
	s_cmp_eq_u32 s36, s15
	s_cselect_b32 s36, s38, s37
	s_add_u32 s37, s7, 1
	s_addc_u32 s38, s19, 0
	s_add_u32 s39, s7, 2
	s_addc_u32 s40, s19, 0
	s_cmp_lg_u32 s36, 0
	s_cselect_b32 s36, s39, s37
	s_cselect_b32 s37, s40, s38
	s_cmp_lg_u64 s[34:35], 0
	s_subb_u32 s29, s29, s33
	s_cmp_ge_u32 s29, s15
	s_cselect_b32 s33, -1, 0
	s_cmp_ge_u32 s28, s14
	s_cselect_b32 s14, -1, 0
	s_cmp_eq_u32 s29, s15
	s_cselect_b32 s14, s14, s33
	s_cmp_lg_u32 s14, 0
	s_cselect_b32 s15, s37, s19
	s_cselect_b32 s14, s36, s7
	s_xor_b64 s[12:13], s[22:23], s[12:13]
	s_xor_b64 s[14:15], s[14:15], s[12:13]
	s_sub_u32 s12, s14, s12
	v_readlane_b32 s22, v56, 4
	s_subb_u32 s13, s15, s13
	v_readlane_b32 s23, v56, 5
	v_writelane_b32 v56, s12, 10
	v_writelane_b32 v56, s13, 11
	s_branch .LBB70_17
.LBB70_15:
                                        ; implicit-def: $sgpr22_sgpr23
	s_branch .LBB70_12
.LBB70_16:
	s_mov_b64 s[0:1], -1
                                        ; implicit-def: $sgpr12_sgpr13
                                        ; kill: killed $sgpr12_sgpr13
.LBB70_17:
	s_load_dwordx4 s[12:15], s[4:5], 0x370
	s_andn2_b64 vcc, exec, s[0:1]
	s_waitcnt lgkmcnt(0)
	v_writelane_b32 v56, s12, 6
	v_writelane_b32 v56, s13, 7
	;; [unrolled: 1-line block ×4, first 2 shown]
	s_cbranch_vccnz .LBB70_19
; %bb.18:
	s_load_dwordx4 s[12:15], s[4:5], 0x1d0
	s_waitcnt lgkmcnt(0)
	s_mov_b64 s[38:39], s[14:15]
	s_mov_b64 s[36:37], s[12:13]
	v_cvt_f32_u32_e32 v1, s36
	s_sub_i32 s0, 0, s36
	s_mov_b32 s13, 0
	v_rcp_iflag_f32_e32 v1, v1
	v_mul_f32_e32 v1, 0x4f7ffffe, v1
	v_cvt_u32_f32_e32 v1, v1
	v_readfirstlane_b32 s1, v1
	s_mul_i32 s0, s0, s1
	s_mul_hi_u32 s0, s1, s0
	s_add_i32 s1, s1, s0
	s_mul_hi_u32 s0, s22, s1
	s_mul_i32 s7, s0, s36
	s_sub_i32 s7, s22, s7
	s_add_i32 s1, s0, 1
	s_sub_i32 s12, s7, s36
	s_cmp_ge_u32 s7, s36
	s_cselect_b32 s0, s1, s0
	s_cselect_b32 s7, s12, s7
	s_add_i32 s1, s0, 1
	s_cmp_ge_u32 s7, s36
	s_cselect_b32 s12, s1, s0
	v_writelane_b32 v56, s12, 10
	v_writelane_b32 v56, s13, 11
.LBB70_19:
	s_load_dwordx4 s[12:15], s[4:5], 0x370
	s_mov_b32 s0, 0
	s_waitcnt lgkmcnt(0)
	s_mov_b32 s1, s15
	s_cmp_lg_u64 s[0:1], 0
	s_cbranch_scc0 .LBB70_24
; %bb.20:
	s_ashr_i32 s0, s15, 31
	s_add_u32 s12, s14, s0
	s_mov_b32 s1, s0
	s_addc_u32 s13, s15, s0
	s_xor_b64 s[14:15], s[12:13], s[0:1]
	v_cvt_f32_u32_e32 v1, s14
	v_cvt_f32_u32_e32 v2, s15
	s_sub_u32 s7, 0, s14
	s_subb_u32 s19, 0, s15
	v_madmk_f32 v1, v2, 0x4f800000, v1
	v_rcp_f32_e32 v1, v1
	v_mul_f32_e32 v1, 0x5f7ffffc, v1
	v_mul_f32_e32 v2, 0x2f800000, v1
	v_trunc_f32_e32 v2, v2
	v_madmk_f32 v1, v2, 0xcf800000, v1
	v_cvt_u32_f32_e32 v2, v2
	v_cvt_u32_f32_e32 v1, v1
	v_readfirstlane_b32 s28, v2
	v_readfirstlane_b32 s22, v1
	s_mul_i32 s23, s7, s28
	s_mul_hi_u32 s33, s7, s22
	s_mul_i32 s29, s19, s22
	s_add_i32 s23, s33, s23
	s_add_i32 s23, s23, s29
	s_mul_i32 s34, s7, s22
	s_mul_i32 s33, s22, s23
	s_mul_hi_u32 s35, s22, s34
	s_mul_hi_u32 s29, s22, s23
	s_add_u32 s33, s35, s33
	s_addc_u32 s29, 0, s29
	s_mul_hi_u32 s36, s28, s34
	s_mul_i32 s34, s28, s34
	s_add_u32 s33, s33, s34
	s_mul_hi_u32 s35, s28, s23
	s_addc_u32 s29, s29, s36
	s_addc_u32 s33, s35, 0
	s_mul_i32 s23, s28, s23
	s_add_u32 s23, s29, s23
	s_addc_u32 s29, 0, s33
	s_add_u32 s33, s22, s23
	s_cselect_b64 s[22:23], -1, 0
	s_cmp_lg_u64 s[22:23], 0
	s_addc_u32 s28, s28, s29
	s_mul_i32 s22, s7, s28
	s_mul_hi_u32 s23, s7, s33
	s_add_i32 s22, s23, s22
	s_mul_i32 s19, s19, s33
	s_add_i32 s22, s22, s19
	s_mul_i32 s7, s7, s33
	s_mul_hi_u32 s23, s28, s7
	s_mul_i32 s29, s28, s7
	s_mul_i32 s35, s33, s22
	s_mul_hi_u32 s7, s33, s7
	s_mul_hi_u32 s34, s33, s22
	s_add_u32 s7, s7, s35
	s_addc_u32 s34, 0, s34
	s_add_u32 s7, s7, s29
	s_mul_hi_u32 s19, s28, s22
	s_addc_u32 s7, s34, s23
	s_addc_u32 s19, s19, 0
	s_mul_i32 s22, s28, s22
	s_add_u32 s7, s7, s22
	s_addc_u32 s19, 0, s19
	s_add_u32 s7, s33, s7
	s_cselect_b64 s[22:23], -1, 0
	s_cmp_lg_u64 s[22:23], 0
	s_addc_u32 s19, s28, s19
	s_add_u32 s22, s48, 0
	s_addc_u32 s23, 0, 0
	s_xor_b64 s[22:23], s[22:23], 0
	s_mul_i32 s29, s22, s19
	s_mul_hi_u32 s33, s22, s7
	s_mul_hi_u32 s28, s22, s19
	s_add_u32 s29, s33, s29
	s_addc_u32 s28, 0, s28
	s_mul_hi_u32 s34, s23, s7
	s_mul_i32 s7, s23, s7
	s_add_u32 s7, s29, s7
	s_mul_hi_u32 s33, s23, s19
	s_addc_u32 s7, s28, s34
	s_addc_u32 s28, s33, 0
	s_mul_i32 s19, s23, s19
	s_add_u32 s7, s7, s19
	s_addc_u32 s19, 0, s28
	s_mul_i32 s28, s14, s19
	s_mul_hi_u32 s29, s14, s7
	s_add_i32 s28, s29, s28
	s_mul_i32 s29, s15, s7
	s_add_i32 s33, s28, s29
	s_sub_i32 s34, s23, s33
	s_mul_i32 s28, s14, s7
	s_sub_u32 s22, s22, s28
	s_cselect_b64 s[28:29], -1, 0
	s_cmp_lg_u64 s[28:29], 0
	s_subb_u32 s36, s34, s15
	s_sub_u32 s37, s22, s14
	s_cselect_b64 s[34:35], -1, 0
	s_cmp_lg_u64 s[34:35], 0
	s_subb_u32 s34, s36, 0
	s_cmp_ge_u32 s34, s15
	s_cselect_b32 s35, -1, 0
	s_cmp_ge_u32 s37, s14
	s_cselect_b32 s36, -1, 0
	s_cmp_eq_u32 s34, s15
	s_cselect_b32 s34, s36, s35
	s_add_u32 s35, s7, 1
	s_addc_u32 s36, s19, 0
	s_add_u32 s37, s7, 2
	s_addc_u32 s38, s19, 0
	s_cmp_lg_u32 s34, 0
	s_cselect_b32 s34, s37, s35
	s_cselect_b32 s35, s38, s36
	s_cmp_lg_u64 s[28:29], 0
	s_subb_u32 s23, s23, s33
	s_cmp_ge_u32 s23, s15
	s_cselect_b32 s28, -1, 0
	s_cmp_ge_u32 s22, s14
	s_cselect_b32 s14, -1, 0
	s_cmp_eq_u32 s23, s15
	s_cselect_b32 s14, s14, s28
	s_cmp_lg_u32 s14, 0
	s_cselect_b32 s15, s35, s19
	s_cselect_b32 s14, s34, s7
	s_xor_b64 s[0:1], 0, s[0:1]
	s_xor_b64 s[14:15], s[14:15], s[0:1]
	s_sub_u32 s42, s14, s0
	s_subb_u32 s43, s15, s1
	s_cbranch_execnz .LBB70_22
.LBB70_21:
	s_load_dwordx4 s[12:15], s[4:5], 0x370
	s_mov_b32 s43, 0
	s_waitcnt lgkmcnt(0)
	v_cvt_f32_u32_e32 v1, s14
	s_sub_i32 s0, 0, s14
	v_rcp_iflag_f32_e32 v1, v1
	v_mul_f32_e32 v1, 0x4f7ffffe, v1
	v_cvt_u32_f32_e32 v1, v1
	v_readfirstlane_b32 s1, v1
	s_mul_i32 s0, s0, s1
	s_mul_hi_u32 s0, s1, s0
	s_add_i32 s1, s1, s0
	s_mul_hi_u32 s0, s48, s1
	s_mul_i32 s7, s0, s14
	s_sub_i32 s7, s48, s7
	s_add_i32 s1, s0, 1
	s_sub_i32 s12, s7, s14
	s_cmp_ge_u32 s7, s14
	s_cselect_b32 s0, s1, s0
	s_cselect_b32 s7, s12, s7
	s_add_i32 s1, s0, 1
	s_cmp_ge_u32 s7, s14
	s_cselect_b32 s42, s1, s0
.LBB70_22:
	s_load_dwordx2 s[28:29], s[4:5], 0xe0
	s_load_dwordx4 s[12:15], s[4:5], 0xd0
	s_load_dwordx4 s[36:39], s[4:5], 0x370
	s_waitcnt lgkmcnt(0)
	s_or_b64 s[0:1], s[42:43], s[36:37]
	s_mov_b32 s0, 0
	s_cmp_lg_u64 s[0:1], 0
	v_writelane_b32 v56, s42, 12
	v_writelane_b32 v56, s43, 13
	s_cbranch_scc0 .LBB70_25
; %bb.23:
	s_ashr_i32 s34, s37, 31
	s_add_u32 s0, s36, s34
	s_mov_b32 s35, s34
	s_addc_u32 s1, s37, s34
	s_xor_b64 s[44:45], s[0:1], s[34:35]
	v_cvt_f32_u32_e32 v1, s44
	v_cvt_f32_u32_e32 v2, s45
	s_sub_u32 s7, 0, s44
	s_subb_u32 s19, 0, s45
	s_mov_b64 s[0:1], 0
	v_madmk_f32 v1, v2, 0x4f800000, v1
	v_rcp_f32_e32 v1, v1
	v_mul_f32_e32 v1, 0x5f7ffffc, v1
	v_mul_f32_e32 v2, 0x2f800000, v1
	v_trunc_f32_e32 v2, v2
	v_madmk_f32 v1, v2, 0xcf800000, v1
	v_cvt_u32_f32_e32 v2, v2
	v_cvt_u32_f32_e32 v1, v1
	v_readfirstlane_b32 s33, v2
	v_readfirstlane_b32 s22, v1
	s_mul_i32 s23, s7, s33
	s_mul_hi_u32 s37, s7, s22
	s_mul_i32 s36, s19, s22
	s_add_i32 s23, s37, s23
	s_add_i32 s23, s23, s36
	s_mul_i32 s38, s7, s22
	s_mul_i32 s37, s22, s23
	s_mul_hi_u32 s39, s22, s38
	s_mul_hi_u32 s36, s22, s23
	s_add_u32 s37, s39, s37
	s_addc_u32 s36, 0, s36
	s_mul_hi_u32 s40, s33, s38
	s_mul_i32 s38, s33, s38
	s_add_u32 s37, s37, s38
	s_mul_hi_u32 s39, s33, s23
	s_addc_u32 s36, s36, s40
	s_addc_u32 s37, s39, 0
	s_mul_i32 s23, s33, s23
	s_add_u32 s23, s36, s23
	s_addc_u32 s36, 0, s37
	s_add_u32 s37, s22, s23
	s_cselect_b64 s[22:23], -1, 0
	s_cmp_lg_u64 s[22:23], 0
	s_addc_u32 s33, s33, s36
	s_mul_i32 s22, s7, s33
	s_mul_hi_u32 s23, s7, s37
	s_add_i32 s22, s23, s22
	s_mul_i32 s19, s19, s37
	s_add_i32 s22, s22, s19
	s_mul_i32 s7, s7, s37
	s_mul_hi_u32 s23, s33, s7
	s_mul_i32 s36, s33, s7
	s_mul_i32 s39, s37, s22
	s_mul_hi_u32 s7, s37, s7
	s_mul_hi_u32 s38, s37, s22
	s_add_u32 s7, s7, s39
	s_addc_u32 s38, 0, s38
	s_add_u32 s7, s7, s36
	s_mul_hi_u32 s19, s33, s22
	s_addc_u32 s7, s38, s23
	s_addc_u32 s19, s19, 0
	s_mul_i32 s22, s33, s22
	s_add_u32 s7, s7, s22
	s_addc_u32 s19, 0, s19
	s_add_u32 s7, s37, s7
	s_cselect_b64 s[22:23], -1, 0
	s_cmp_lg_u64 s[22:23], 0
	s_addc_u32 s19, s33, s19
	s_ashr_i32 s22, s43, 31
	s_add_u32 s36, s42, s22
	s_mov_b32 s23, s22
	s_addc_u32 s37, s43, s22
	s_xor_b64 s[36:37], s[36:37], s[22:23]
	s_mul_i32 s38, s36, s19
	s_mul_hi_u32 s39, s36, s7
	s_mul_hi_u32 s33, s36, s19
	s_add_u32 s38, s39, s38
	s_addc_u32 s33, 0, s33
	s_mul_hi_u32 s40, s37, s7
	s_mul_i32 s7, s37, s7
	s_add_u32 s7, s38, s7
	s_mul_hi_u32 s39, s37, s19
	s_addc_u32 s7, s33, s40
	s_addc_u32 s33, s39, 0
	s_mul_i32 s19, s37, s19
	s_add_u32 s7, s7, s19
	s_addc_u32 s19, 0, s33
	s_mul_i32 s33, s44, s19
	s_mul_hi_u32 s38, s44, s7
	s_add_i32 s33, s38, s33
	s_mul_i32 s38, s45, s7
	s_add_i32 s33, s33, s38
	s_sub_i32 s40, s37, s33
	s_mul_i32 s38, s44, s7
	s_sub_u32 s36, s36, s38
	s_cselect_b64 s[38:39], -1, 0
	s_cmp_lg_u64 s[38:39], 0
	s_subb_u32 s42, s40, s45
	s_sub_u32 s43, s36, s44
	s_cselect_b64 s[40:41], -1, 0
	s_cmp_lg_u64 s[40:41], 0
	s_subb_u32 s40, s42, 0
	s_cmp_ge_u32 s40, s45
	s_cselect_b32 s41, -1, 0
	s_cmp_ge_u32 s43, s44
	s_cselect_b32 s42, -1, 0
	s_cmp_eq_u32 s40, s45
	s_cselect_b32 s40, s42, s41
	s_add_u32 s41, s7, 1
	s_addc_u32 s42, s19, 0
	s_add_u32 s43, s7, 2
	s_addc_u32 s46, s19, 0
	s_cmp_lg_u32 s40, 0
	s_cselect_b32 s40, s43, s41
	s_cselect_b32 s41, s46, s42
	s_cmp_lg_u64 s[38:39], 0
	s_subb_u32 s33, s37, s33
	s_cmp_ge_u32 s33, s45
	s_cselect_b32 s37, -1, 0
	s_cmp_ge_u32 s36, s44
	s_cselect_b32 s36, -1, 0
	s_cmp_eq_u32 s33, s45
	s_cselect_b32 s33, s36, s37
	s_cmp_lg_u32 s33, 0
	s_cselect_b32 s37, s41, s19
	s_cselect_b32 s36, s40, s7
	s_xor_b64 s[22:23], s[22:23], s[34:35]
	s_xor_b64 s[34:35], s[36:37], s[22:23]
	s_sub_u32 s22, s34, s22
	s_subb_u32 s23, s35, s23
	v_writelane_b32 v56, s22, 26
	v_writelane_b32 v56, s23, 27
	s_branch .LBB70_26
.LBB70_24:
                                        ; implicit-def: $sgpr42_sgpr43
	s_branch .LBB70_21
.LBB70_25:
	s_mov_b64 s[0:1], -1
                                        ; implicit-def: $sgpr22_sgpr23
                                        ; kill: killed $sgpr22_sgpr23
.LBB70_26:
	s_load_dwordx2 s[22:23], s[4:5], 0x440
	s_load_dwordx4 s[36:39], s[4:5], 0x430
	s_andn2_b64 vcc, exec, s[0:1]
	s_load_dwordx2 s[34:35], s[4:5], 0x0
	s_waitcnt lgkmcnt(0)
	v_writelane_b32 v56, s22, 14
	v_writelane_b32 v56, s23, 15
	s_load_dwordx2 s[22:23], s[4:5], 0x2a0
	v_writelane_b32 v56, s36, 16
	v_writelane_b32 v56, s37, 17
	;; [unrolled: 1-line block ×4, first 2 shown]
	s_load_dwordx4 s[36:39], s[4:5], 0x290
	s_waitcnt lgkmcnt(0)
	v_writelane_b32 v56, s22, 20
	v_writelane_b32 v56, s23, 21
	;; [unrolled: 1-line block ×6, first 2 shown]
	s_cbranch_vccnz .LBB70_28
; %bb.27:
	s_load_dwordx4 s[36:39], s[4:5], 0x370
	v_readlane_b32 s22, v56, 12
	s_waitcnt lgkmcnt(0)
	s_mov_b32 s37, 0
	v_readlane_b32 s23, v56, 13
	v_cvt_f32_u32_e32 v1, s36
	s_sub_i32 s0, 0, s36
	v_rcp_iflag_f32_e32 v1, v1
	v_mul_f32_e32 v1, 0x4f7ffffe, v1
	v_cvt_u32_f32_e32 v1, v1
	v_readfirstlane_b32 s1, v1
	s_mul_i32 s0, s0, s1
	s_mul_hi_u32 s0, s1, s0
	s_add_i32 s1, s1, s0
	s_mul_hi_u32 s0, s22, s1
	s_mul_i32 s7, s0, s36
	s_sub_i32 s7, s22, s7
	s_add_i32 s1, s0, 1
	s_sub_i32 s19, s7, s36
	s_cmp_ge_u32 s7, s36
	s_cselect_b32 s0, s1, s0
	s_cselect_b32 s7, s19, s7
	s_add_i32 s1, s0, 1
	s_cmp_ge_u32 s7, s36
	s_cselect_b32 s36, s1, s0
	v_writelane_b32 v56, s36, 26
	v_writelane_b32 v56, s37, 27
.LBB70_28:
	s_load_dwordx2 s[0:1], s[4:5], 0x360
	s_mov_b32 s65, 0
	s_waitcnt lgkmcnt(0)
	v_writelane_b32 v56, s0, 28
	v_writelane_b32 v56, s1, 29
	s_load_dwordx2 s[0:1], s[4:5], 0x1c0
	s_waitcnt lgkmcnt(0)
	v_writelane_b32 v56, s0, 30
	v_writelane_b32 v56, s1, 31
	v_cmp_eq_u32_e64 s[0:1], 0, v0
	s_mov_b64 s[4:5], exec
	v_writelane_b32 v56, s0, 32
	v_writelane_b32 v56, s1, 33
	s_and_b64 s[0:1], s[4:5], s[0:1]
	s_mov_b64 exec, s[0:1]
	s_cbranch_execz .LBB70_30
; %bb.29:
	v_mov_b32_e32 v1, 0
	v_mov_b32_e32 v3, s24
	;; [unrolled: 1-line block ×4, first 2 shown]
	ds_write_b32 v1, v1 offset:5136
	ds_write_b128 v1, v[1:4] offset:5120
.LBB70_30:
	s_or_b64 exec, exec, s[4:5]
	s_mul_i32 s0, s20, s9
	s_mul_hi_u32 s1, s20, s8
	s_add_i32 s0, s1, s0
	s_mul_i32 s1, s21, s8
	s_add_i32 s0, s0, s1
	s_mul_i32 s1, s20, s8
	s_sub_u32 s4, s2, s1
	s_subb_u32 s0, s3, s0
	s_mul_i32 s1, s4, s15
	s_mul_hi_u32 s5, s4, s14
	s_add_i32 s1, s5, s1
	s_mul_i32 s0, s0, s14
	s_add_i32 s1, s1, s0
	s_mul_i32 s0, s4, s14
	s_mul_i32 s4, s20, s13
	s_mul_hi_u32 s5, s20, s12
	s_mul_i32 s7, s2, s11
	s_mul_hi_u32 s8, s2, s10
	s_add_i32 s4, s5, s4
	s_mul_i32 s5, s21, s12
	s_add_i32 s7, s8, s7
	s_mul_i32 s3, s3, s10
	s_add_i32 s5, s4, s5
	s_add_i32 s7, s7, s3
	s_mul_i32 s2, s2, s10
	s_mov_b32 s8, s48
	v_writelane_b32 v56, s8, 34
	s_sub_u32 s2, s48, s2
	v_writelane_b32 v56, s9, 35
	s_subb_u32 s3, 0, s7
	s_mul_i32 s7, s2, s29
	s_mul_hi_u32 s8, s2, s28
	s_mul_i32 s4, s20, s12
	s_add_i32 s7, s8, s7
	s_mul_i32 s3, s3, s28
	s_add_i32 s3, s7, s3
	s_lshl_b64 s[4:5], s[4:5], 1
	s_add_u32 s7, s34, s4
	s_addc_u32 s10, s35, s5
	s_lshl_b64 s[8:9], s[0:1], 1
	s_mul_i32 s2, s2, s28
	s_add_u32 s0, s7, s8
	s_addc_u32 s1, s10, s9
	s_lshl_b64 s[10:11], s[2:3], 1
	s_add_u32 s66, s0, s10
	s_addc_u32 s67, s1, s11
	v_mad_u64_u32 v[4:5], s[0:1], s30, v0, 0
	v_mbcnt_lo_u32_b32 v1, -1, 0
	v_mbcnt_hi_u32_b32 v32, -1, v1
	v_mov_b32_e32 v1, v5
	v_mov_b32_e32 v5, 0x600
	v_mad_u64_u32 v[1:2], s[0:1], s31, v0, v[1:2]
	v_mov_b32_e32 v6, 0
	v_cmp_gt_i64_e64 s[0:1], s[24:25], v[5:6]
	s_waitcnt lgkmcnt(0)
	v_writelane_b32 v56, s0, 36
	s_barrier
	v_writelane_b32 v56, s1, 37
	s_load_dword s0, s[16:17], 0xc
	v_mov_b32_e32 v5, v1
	v_cmp_gt_u32_e32 vcc, 64, v0
	v_cmp_gt_i32_e64 s[2:3], 4, v32
	v_lshlrev_b64 v[6:7], 1, v[4:5]
	s_and_b64 s[70:71], vcc, s[2:3]
	v_lshlrev_b64 v[1:2], v32, -1
	s_waitcnt lgkmcnt(0)
	s_and_b32 s33, s0, 0xffff
	s_bfe_u32 s1, s0, 0xa0006
	v_mov_b32_e32 v8, s67
	v_add_co_u32_e32 v14, vcc, s66, v6
	s_cmp_gt_u32 s33, 63
	v_mov_b32_e32 v3, 0
	v_addc_co_u32_e32 v15, vcc, v8, v7, vcc
	v_not_b32_e32 v33, v2
	s_cselect_b64 s[2:3], -1, 0
	v_add_u32_e32 v2, 2, v0
	v_writelane_b32 v56, s2, 38
	s_add_u32 s0, s33, -1
	v_cmp_gt_i64_e32 vcc, s[24:25], v[2:3]
	v_not_b32_e32 v34, v1
	v_writelane_b32 v56, s3, 39
	s_addc_u32 s2, 0, -1
	v_mov_b32_e32 v1, s25
	v_writelane_b32 v56, s0, 40
	s_add_u32 s0, s0, s24
	v_cndmask_b32_e32 v8, 0, v1, vcc
	v_mov_b32_e32 v1, s24
	s_addc_u32 s75, s2, s25
	v_cndmask_b32_e32 v1, v2, v1, vcc
	v_not_b32_e32 v2, v0
	s_cmp_lt_u32 s6, s18
	v_add_co_u32_e32 v1, vcc, v1, v2
	v_writelane_b32 v56, s2, 41
	s_cselect_b32 s2, 12, 18
	v_addc_co_u32_e32 v2, vcc, -1, v8, vcc
	s_add_u32 s76, s16, s2
	v_cmp_lt_u64_e64 s[2:3], 1, v[1:2]
	v_and_b32_e32 v16, -2, v1
	v_writelane_b32 v56, s2, 42
	v_mov_b32_e32 v17, v2
	v_writelane_b32 v56, s3, 43
	v_cmp_ne_u64_e64 s[2:3], v[1:2], v[16:17]
	s_addc_u32 s77, s17, 0
	v_writelane_b32 v56, s2, 44
	v_writelane_b32 v56, s3, 45
	s_add_i32 s2, s1, -1
	s_bfe_u32 s3, s33, 0x30006
	s_and_b32 s2, s2, 0xffff
	s_cmp_gt_u32 s2, 6
	s_cselect_b64 s[6:7], -1, 0
	v_writelane_b32 v56, s6, 46
	s_and_b32 s1, s1, 0x3f8
	v_writelane_b32 v56, s7, 47
	s_cmp_lg_u32 s3, 0
	v_writelane_b32 v56, s3, 48
	s_cselect_b64 s[2:3], -1, 0
	v_lshlrev_b32_e32 v35, 3, v0
	v_writelane_b32 v56, s2, 49
	v_or_b32_e32 v2, 6, v35
	v_writelane_b32 v56, s3, 50
	v_mad_u64_u32 v[18:19], s[2:3], s30, v2, 0
	s_add_u32 s4, s4, s10
	s_addc_u32 s2, s5, s11
	s_add_u32 s4, s4, s8
	v_mov_b32_e32 v1, v19
	s_addc_u32 s5, s2, s9
	v_mad_u64_u32 v[1:2], s[2:3], s31, v2, v[1:2]
	v_or_b32_e32 v2, 4, v35
	v_mad_u64_u32 v[19:20], s[2:3], s30, v2, 0
	v_mov_b32_e32 v36, v1
	v_or_b32_e32 v8, 2, v35
	v_mov_b32_e32 v1, v20
	v_mad_u64_u32 v[1:2], s[2:3], s31, v2, v[1:2]
	v_mad_u64_u32 v[20:21], s[2:3], s30, v8, 0
	s_add_u32 s4, s34, s4
	s_addc_u32 s5, s35, s5
	v_mov_b32_e32 v2, s5
	v_writelane_b32 v56, s4, 51
	v_add_co_u32_e32 v12, vcc, s4, v6
	v_mov_b32_e32 v37, v1
	v_mov_b32_e32 v1, v21
	v_addc_co_u32_e32 v13, vcc, v2, v7, vcc
	v_mad_u64_u32 v[6:7], s[2:3], s31, v8, v[1:2]
	v_lshlrev_b32_e32 v2, 2, v32
	v_mov_b32_e32 v1, v3
	v_and_b32_e32 v39, 0x100, v2
	v_lshrrev_b32_e32 v2, 1, v0
	v_cmp_gt_i64_e64 s[2:3], s[24:25], v[0:1]
	v_and_b32_e32 v2, 0x1e0, v2
	v_writelane_b32 v56, s5, 52
	v_or_b32_e32 v40, 0xc00, v2
	v_mov_b32_e32 v2, s25
	v_add_co_u32_e32 v41, vcc, s24, v0
	s_mul_i32 s4, s31, s33
	s_mul_hi_u32 s5, s30, s33
	v_writelane_b32 v56, s2, 53
	v_lshlrev_b64 v[23:24], 3, v[4:5]
	v_addc_co_u32_e32 v42, vcc, 0, v2, vcc
	v_mov_b32_e32 v2, 0xc00
	s_add_i32 s5, s5, s4
	s_mul_i32 s4, s30, s33
	v_lshlrev_b32_e32 v45, 1, v0
	v_mov_b32_e32 v26, s26
	v_cmp_eq_u32_e64 s[10:11], 0, v32
	v_cmp_gt_u32_e64 s[12:13], 2, v0
	v_writelane_b32 v56, s3, 54
	v_mov_b32_e32 v38, v6
	v_lshlrev_b32_e32 v21, 2, v0
	v_mov_b32_e32 v22, v3
	s_mov_b32 s2, s30
	s_mov_b32 s3, s31
	s_lshl_b64 s[84:85], s[30:31], 1
	s_lshl_b64 s[86:87], s[30:31], 3
	v_lshl_or_b32 v43, v32, 3, v2
	s_lshl_b64 s[68:69], s[4:5], 1
	s_lshl_b32 s72, s33, 1
	s_mov_b32 s82, 14
	s_mov_b64 s[88:89], 0
	s_movk_i32 s73, 0x3f80
	s_mov_b32 s83, 0
	v_add_u32_e32 v46, 0xc00, v45
	v_mov_b32_e32 v47, 0xffff
	v_mov_b32_e32 v48, 0x8000
	v_mov_b32_e32 v49, -1
	v_mov_b32_e32 v50, 0x5040100
	v_mov_b32_e32 v52, 0
	;; [unrolled: 1-line block ×4, first 2 shown]
	v_add_co_u32_e32 v25, vcc, v16, v0
	v_mov_b32_e32 v27, s27
                                        ; implicit-def: $sgpr90_sgpr91
                                        ; implicit-def: $sgpr94_sgpr95
                                        ; implicit-def: $sgpr92_sgpr93
                                        ; implicit-def: $sgpr60_sgpr61
                                        ; implicit-def: $sgpr56_sgpr57
                                        ; implicit-def: $sgpr58_sgpr59
	s_branch .LBB70_34
.LBB70_31:                              ;   in Loop: Header=BB70_34 Depth=1
	s_or_b64 exec, exec, s[16:17]
	s_and_b64 s[6:7], s[6:7], exec
	s_andn2_b64 s[44:45], s[44:45], exec
	s_andn2_b64 s[14:15], s[14:15], exec
	s_orn2_b64 s[20:21], s[8:9], exec
.LBB70_32:                              ;   in Loop: Header=BB70_34 Depth=1
	s_or_b64 exec, exec, s[4:5]
	s_andn2_b64 s[4:5], s[58:59], exec
	s_and_b64 s[6:7], s[6:7], exec
	s_or_b64 s[58:59], s[4:5], s[6:7]
	s_andn2_b64 s[4:5], s[56:57], exec
	s_and_b64 s[6:7], s[44:45], exec
	s_or_b64 s[56:57], s[4:5], s[6:7]
	;; [unrolled: 3-line block ×3, first 2 shown]
	s_orn2_b64 s[4:5], s[20:21], exec
.LBB70_33:                              ;   in Loop: Header=BB70_34 Depth=1
	s_or_b64 exec, exec, s[18:19]
	s_and_b64 s[4:5], exec, s[4:5]
	s_or_b64 s[88:89], s[4:5], s[88:89]
	s_andn2_b64 s[4:5], s[92:93], exec
	s_and_b64 s[6:7], s[58:59], exec
	s_or_b64 s[92:93], s[4:5], s[6:7]
	s_andn2_b64 s[4:5], s[94:95], exec
	s_and_b64 s[6:7], s[56:57], exec
	;; [unrolled: 3-line block ×3, first 2 shown]
	v_mov_b32_e32 v27, v9
	s_or_b64 s[90:91], s[4:5], s[6:7]
	v_mov_b32_e32 v26, v8
	s_andn2_b64 exec, exec, s[88:89]
	s_cbranch_execz .LBB70_297
.LBB70_34:                              ; =>This Loop Header: Depth=1
                                        ;     Child Loop BB70_39 Depth 2
                                        ;     Child Loop BB70_53 Depth 2
	;; [unrolled: 1-line block ×17, first 2 shown]
	ds_read_b128 v[4:7], v3 offset:5120
	s_waitcnt lgkmcnt(0)
	v_readfirstlane_b32 s27, v5
	v_readfirstlane_b32 s26, v4
	v_cmp_gt_i64_e64 s[4:5], s[26:27], 0
	s_and_b64 vcc, exec, s[4:5]
	s_cbranch_vccnz .LBB70_66
; %bb.35:                               ;   in Loop: Header=BB70_34 Depth=1
	v_readlane_b32 s4, v56, 36
	v_readlane_b32 s5, v56, 37
	s_and_b64 vcc, exec, s[4:5]
	s_cbranch_vccz .LBB70_47
; %bb.36:                               ;   in Loop: Header=BB70_34 Depth=1
	s_mov_b64 s[4:5], 0x601
	v_cmp_gt_i64_e32 vcc, s[4:5], v[6:7]
	s_mov_b64 s[4:5], 0
	s_mov_b64 s[6:7], 0
	s_cbranch_vccz .LBB70_48
; %bb.37:                               ;   in Loop: Header=BB70_34 Depth=1
	global_load_ushort v8, v[14:15], off
	global_load_ushort v6, v3, s[76:77]
	s_waitcnt vmcnt(0)
	v_and_b32_e32 v2, 0xffff, v6
	v_add_co_u32_e32 v7, vcc, v0, v2
	v_addc_co_u32_e64 v4, s[6:7], 0, 0, vcc
	v_readlane_b32 s6, v56, 51
	v_mul_lo_u32 v9, s84, v4
	v_readlane_b32 s7, v56, 52
	v_mov_b32_e32 v4, s6
	v_mov_b32_e32 v5, s7
	v_mul_lo_u32 v10, s85, v7
	v_mad_u64_u32 v[4:5], s[6:7], s84, v7, v[4:5]
	v_readfirstlane_b32 s6, v6
	s_and_b32 s6, 0xffff, s6
	s_mul_i32 s7, s85, s6
	s_mul_hi_u32 s8, s84, s6
	v_mov_b32_e32 v7, v1
	v_add3_u32 v5, v10, v5, v9
	s_add_i32 s22, s8, s7
	s_mul_i32 s23, s84, s6
	s_mov_b64 s[6:7], 0
	v_mov_b32_e32 v6, v0
	s_branch .LBB70_39
.LBB70_38:                              ;   in Loop: Header=BB70_39 Depth=2
	s_or_b64 exec, exec, s[8:9]
	v_mov_b32_e32 v8, s22
	v_add_co_u32_e32 v4, vcc, s23, v4
	v_addc_co_u32_e32 v5, vcc, v5, v8, vcc
	s_waitcnt vmcnt(0)
	v_mov_b32_e32 v8, v9
	s_andn2_b64 exec, exec, s[6:7]
	s_cbranch_execz .LBB70_100
.LBB70_39:                              ;   Parent Loop BB70_34 Depth=1
                                        ; =>  This Inner Loop Header: Depth=2
	v_add_co_u32_e32 v6, vcc, v6, v2
	v_addc_co_u32_e32 v7, vcc, 0, v7, vcc
	v_cmp_gt_i64_e64 s[14:15], s[24:25], v[6:7]
	v_cmp_le_i64_e32 vcc, s[24:25], v[6:7]
	s_waitcnt lgkmcnt(0)
	v_mov_b32_e32 v10, 0
	v_mov_b32_e32 v9, 0
	s_and_saveexec_b64 s[8:9], s[14:15]
	s_cbranch_execz .LBB70_41
; %bb.40:                               ;   in Loop: Header=BB70_39 Depth=2
	global_load_ushort v9, v[4:5], off
.LBB70_41:                              ;   in Loop: Header=BB70_39 Depth=2
	s_or_b64 exec, exec, s[8:9]
	v_cmp_lt_i16_e64 s[14:15], -1, v8
	v_cndmask_b32_e64 v11, v47, v48, s[14:15]
	v_lshlrev_b32_e32 v28, 16, v8
	v_cmp_o_f32_e64 s[14:15], v28, v28
	v_xor_b32_sdwa v11, v11, v8 dst_sel:DWORD dst_unused:UNUSED_PAD src0_sel:DWORD src1_sel:WORD_0
	v_cndmask_b32_e64 v11, v47, v11, s[14:15]
	v_and_b32_e32 v11, v11, v51
	v_cmp_eq_u32_e64 s[14:15], v11, v44
	s_cmp_lg_u64 s[14:15], 0
	s_cselect_b64 s[8:9], -1, 0
	s_and_b64 s[16:17], s[10:11], s[8:9]
	s_and_saveexec_b64 s[8:9], s[16:17]
	s_cbranch_execz .LBB70_45
; %bb.42:                               ;   in Loop: Header=BB70_39 Depth=2
	s_mov_b64 s[20:21], exec
	v_mbcnt_lo_u32_b32 v10, s20, 0
	v_mbcnt_hi_u32_b32 v10, s21, v10
	s_bcnt1_i32_b64 s27, s[14:15]
	v_cmp_eq_u32_e64 s[16:17], 0, v10
                                        ; implicit-def: $vgpr11
	s_and_saveexec_b64 s[18:19], s[16:17]
; %bb.43:                               ;   in Loop: Header=BB70_39 Depth=2
	s_bcnt1_i32_b64 s16, s[20:21]
	s_mul_i32 s16, s27, s16
	v_mov_b32_e32 v11, s16
	ds_add_rtn_u32 v11, v3, v11 offset:5136
; %bb.44:                               ;   in Loop: Header=BB70_39 Depth=2
	s_or_b64 exec, exec, s[18:19]
	s_waitcnt lgkmcnt(0)
	v_readfirstlane_b32 s16, v11
	v_mov_b32_e32 v11, s16
	v_mad_u32_u24 v10, s27, v10, v11
.LBB70_45:                              ;   in Loop: Header=BB70_39 Depth=2
	s_or_b64 exec, exec, s[8:9]
	ds_bpermute_b32 v10, v39, v10
	s_and_b64 s[8:9], exec, vcc
	s_or_b64 s[6:7], s[8:9], s[6:7]
	s_and_saveexec_b64 s[8:9], s[14:15]
	s_cbranch_execz .LBB70_38
; %bb.46:                               ;   in Loop: Header=BB70_39 Depth=2
	v_and_b32_e32 v28, s14, v34
	v_and_b32_e32 v11, s15, v33
	v_bcnt_u32_b32 v28, v28, 0
	v_bcnt_u32_b32 v11, v11, v28
	v_lshlrev_b32_e32 v11, 1, v11
	s_waitcnt lgkmcnt(0)
	v_lshl_add_u32 v10, v10, 1, v11
	ds_write_b16 v10, v8
	s_branch .LBB70_38
.LBB70_47:                              ;   in Loop: Header=BB70_34 Depth=1
	s_mov_b64 s[4:5], -1
	s_mov_b64 s[6:7], 0
.LBB70_48:                              ;   in Loop: Header=BB70_34 Depth=1
	s_and_b64 vcc, exec, s[4:5]
	s_cbranch_vccz .LBB70_64
.LBB70_49:                              ;   in Loop: Header=BB70_34 Depth=1
	s_mov_b64 s[4:5], exec
	v_readlane_b32 s6, v56, 53
	v_readlane_b32 s7, v56, 54
	s_and_b64 s[6:7], s[4:5], s[6:7]
	s_mov_b64 exec, s[6:7]
	s_cbranch_execz .LBB70_61
; %bb.50:                               ;   in Loop: Header=BB70_34 Depth=1
	global_load_ushort v2, v3, s[76:77]
	global_load_ushort v11, v[14:15], off
	v_mov_b32_e32 v6, v0
	s_waitcnt vmcnt(1)
	v_readfirstlane_b32 s8, v2
	v_add_u32_sdwa v2, v2, v0 dst_sel:DWORD dst_unused:UNUSED_PAD src0_sel:WORD_0 src1_sel:DWORD
	v_cmp_gt_i64_e32 vcc, s[24:25], v[2:3]
	s_and_saveexec_b64 s[6:7], vcc
	s_cbranch_execz .LBB70_60
; %bb.51:                               ;   in Loop: Header=BB70_34 Depth=1
	s_and_b32 s18, s8, 0xffff
	s_cmp_eq_u32 s18, 1
	v_readlane_b32 s14, v56, 42
                                        ; implicit-def: $vgpr6_vgpr7
	s_cselect_b64 s[8:9], -1, 0
	v_readlane_b32 s15, v56, 43
	v_mov_b32_e32 v8, v1
	v_mov_b32_e32 v5, v3
	s_and_b64 s[8:9], s[14:15], s[8:9]
	s_mov_b64 s[16:17], -1
	v_mov_b32_e32 v7, v0
	v_mov_b32_e32 v4, v2
	s_and_saveexec_b64 s[14:15], s[8:9]
	s_cbranch_execz .LBB70_55
; %bb.52:                               ;   in Loop: Header=BB70_34 Depth=1
	v_add_co_u32_e32 v4, vcc, 1, v2
	v_addc_co_u32_e64 v5, s[8:9], 0, 0, vcc
	v_mov_b32_e32 v8, v16
	v_mov_b32_e32 v7, v5
	s_waitcnt vmcnt(0)
	v_lshlrev_b32_e32 v28, 16, v11
	s_mov_b64 s[16:17], 0
	v_mov_b32_e32 v9, v17
	v_mov_b32_e32 v10, v45
	;; [unrolled: 1-line block ×5, first 2 shown]
.LBB70_53:                              ;   Parent Loop BB70_34 Depth=1
                                        ; =>  This Inner Loop Header: Depth=2
	v_mul_lo_u32 v11, v7, s30
	v_mul_lo_u32 v31, v6, s31
	v_mad_u64_u32 v[29:30], s[8:9], v6, s30, 0
	v_mad_u64_u32 v[53:54], s[8:9], v4, s2, 0
	v_add3_u32 v30, v30, v31, v11
	v_mul_lo_u32 v11, v5, s2
	v_mul_lo_u32 v31, v4, s3
	v_lshlrev_b64 v[29:30], 1, v[29:30]
	s_mov_b32 s8, 0x5040100
	v_add3_u32 v54, v54, v31, v11
	v_lshlrev_b64 v[53:54], 1, v[53:54]
	v_mov_b32_e32 v11, s67
	v_add_co_u32_e32 v53, vcc, s66, v53
	v_addc_co_u32_e32 v54, vcc, v11, v54, vcc
	v_add_co_u32_e32 v29, vcc, s66, v29
	v_addc_co_u32_e32 v30, vcc, v11, v30, vcc
	global_load_ushort v31, v[53:54], off
	global_load_ushort v11, v[29:30], off
	v_add_co_u32_e32 v6, vcc, 2, v6
	v_addc_co_u32_e32 v7, vcc, 0, v7, vcc
	v_add_co_u32_e32 v4, vcc, 2, v4
	v_addc_co_u32_e32 v5, vcc, 0, v5, vcc
	v_add_co_u32_e32 v8, vcc, -2, v8
	v_addc_co_u32_e32 v9, vcc, -1, v9, vcc
	v_cmp_eq_u64_e32 vcc, 0, v[8:9]
	s_or_b64 s[16:17], vcc, s[16:17]
	s_waitcnt vmcnt(1)
	v_alignbit_b32 v28, v31, v28, 16
	s_waitcnt vmcnt(0)
	v_perm_b32 v29, v11, v31, s8
	ds_write_b32 v10, v28
	v_add_u32_e32 v10, 4, v10
	v_mov_b32_e32 v28, v29
	s_andn2_b64 exec, exec, s[16:17]
	s_cbranch_execnz .LBB70_53
; %bb.54:                               ;   in Loop: Header=BB70_34 Depth=1
	s_or_b64 exec, exec, s[16:17]
	v_readlane_b32 s8, v56, 44
	v_add_co_u32_e32 v4, vcc, v2, v16
	v_readlane_b32 s9, v56, 45
	v_addc_co_u32_e32 v5, vcc, 0, v17, vcc
	v_add_co_u32_e32 v6, vcc, -1, v4
	s_orn2_b64 s[16:17], s[8:9], exec
	v_mov_b32_e32 v7, v25
	v_mov_b32_e32 v8, v26
.LBB70_55:                              ;   in Loop: Header=BB70_34 Depth=1
	s_or_b64 exec, exec, s[14:15]
	s_and_saveexec_b64 s[8:9], s[16:17]
	s_cbranch_execz .LBB70_59
; %bb.56:                               ;   in Loop: Header=BB70_34 Depth=1
	v_readlane_b32 s14, v56, 51
	v_readlane_b32 s15, v56, 52
	v_mov_b32_e32 v8, s14
	v_mov_b32_e32 v9, s15
	v_mad_u64_u32 v[9:10], s[14:15], s84, v4, v[8:9]
	v_mul_lo_u32 v2, s84, v5
	v_mul_lo_u32 v6, s85, v4
	s_mul_i32 s14, s85, s18
	s_mul_hi_u32 s15, s84, s18
	s_mov_b64 s[16:17], 0
	s_sub_u32 s19, 0, s18
	v_add3_u32 v10, v6, v10, v2
	s_add_i32 s20, s15, s14
.LBB70_57:                              ;   Parent Loop BB70_34 Depth=1
                                        ; =>  This Inner Loop Header: Depth=2
	s_waitcnt vmcnt(0)
	v_mov_b32_e32 v2, v11
	global_load_ushort v11, v[9:10], off
	v_mov_b32_e32 v29, v5
	v_mov_b32_e32 v28, v4
	v_lshlrev_b32_e32 v4, 1, v7
	ds_write_b16 v4, v2
	v_add_co_u32_e32 v4, vcc, s18, v28
	v_addc_co_u32_e32 v5, vcc, 0, v29, vcc
	s_mul_i32 s14, s84, s18
	v_mov_b32_e32 v2, s20
	v_add_co_u32_e32 v9, vcc, s14, v9
	v_addc_co_u32_e32 v10, vcc, v10, v2, vcc
	v_cmp_le_i64_e32 vcc, s[24:25], v[4:5]
	v_add_co_u32_e64 v6, s[14:15], s19, v4
	s_or_b64 s[16:17], vcc, s[16:17]
	v_mov_b32_e32 v7, v28
	v_mov_b32_e32 v8, v29
	s_andn2_b64 exec, exec, s[16:17]
	s_cbranch_execnz .LBB70_57
; %bb.58:                               ;   in Loop: Header=BB70_34 Depth=1
	s_or_b64 exec, exec, s[16:17]
.LBB70_59:                              ;   in Loop: Header=BB70_34 Depth=1
	s_or_b64 exec, exec, s[8:9]
.LBB70_60:                              ;   in Loop: Header=BB70_34 Depth=1
	s_or_b64 exec, exec, s[6:7]
	v_lshlrev_b32_e32 v2, 1, v6
	s_waitcnt vmcnt(0)
	ds_write_b16 v2, v11
.LBB70_61:                              ;   in Loop: Header=BB70_34 Depth=1
	s_or_b64 exec, exec, s[4:5]
	s_waitcnt lgkmcnt(0)
	s_barrier
	s_mov_b64 s[4:5], exec
	v_readlane_b32 s6, v56, 32
	v_readlane_b32 s7, v56, 33
	s_and_b64 s[6:7], s[4:5], s[6:7]
	s_mov_b64 exec, s[6:7]
; %bb.62:                               ;   in Loop: Header=BB70_34 Depth=1
	v_mov_b32_e32 v4, s24
	v_mov_b32_e32 v5, s25
	ds_write_b64 v3, v[4:5] offset:5120
; %bb.63:                               ;   in Loop: Header=BB70_34 Depth=1
	s_or_b64 exec, exec, s[4:5]
	s_mov_b64 s[6:7], -1
	s_waitcnt lgkmcnt(0)
	s_barrier
.LBB70_64:                              ;   in Loop: Header=BB70_34 Depth=1
	s_and_b64 vcc, exec, s[6:7]
	s_cbranch_vccz .LBB70_66
; %bb.65:                               ;   in Loop: Header=BB70_34 Depth=1
	ds_read_b64 v[4:5], v3 offset:5120
	s_waitcnt lgkmcnt(0)
	v_readfirstlane_b32 s26, v4
.LBB70_66:                              ;   in Loop: Header=BB70_34 Depth=1
	s_cmp_lt_i32 s26, 1
	s_mov_b64 s[4:5], -1
                                        ; implicit-def: $vgpr4_vgpr5
                                        ; implicit-def: $vgpr8_vgpr9
	s_cbranch_scc1 .LBB70_76
; %bb.67:                               ;   in Loop: Header=BB70_34 Depth=1
	s_and_b64 vcc, exec, s[4:5]
	s_cbranch_vccnz .LBB70_90
.LBB70_68:                              ;   in Loop: Header=BB70_34 Depth=1
	s_lshl_b32 s6, s83, 6
	s_and_saveexec_b64 s[4:5], s[10:11]
	s_cbranch_execz .LBB70_70
.LBB70_69:                              ;   in Loop: Header=BB70_34 Depth=1
	v_lshl_add_u32 v2, s6, 3, v40
	ds_write_b128 v2, v[4:7]
	ds_write_b128 v2, v[8:11] offset:16
.LBB70_70:                              ;   in Loop: Header=BB70_34 Depth=1
	s_or_b64 exec, exec, s[4:5]
	s_waitcnt lgkmcnt(0)
	s_barrier
	s_and_saveexec_b64 s[4:5], s[70:71]
	s_cbranch_execz .LBB70_108
; %bb.71:                               ;   in Loop: Header=BB70_34 Depth=1
	v_readlane_b32 s8, v56, 38
	v_mov_b32_e32 v4, 0
	v_readlane_b32 s9, v56, 39
	v_mov_b32_e32 v5, 0
	s_andn2_b64 vcc, exec, s[8:9]
	s_cbranch_vccnz .LBB70_107
; %bb.72:                               ;   in Loop: Header=BB70_34 Depth=1
	v_readlane_b32 s8, v56, 46
	v_readlane_b32 s9, v56, 47
	s_andn2_b64 vcc, exec, s[8:9]
	s_cbranch_vccnz .LBB70_103
; %bb.73:                               ;   in Loop: Header=BB70_34 Depth=1
	v_mov_b32_e32 v4, 0
	v_lshl_add_u32 v2, s83, 9, v43
	v_mov_b32_e32 v5, 0
	s_mov_b32 s7, 0
.LBB70_74:                              ;   Parent Loop BB70_34 Depth=1
                                        ; =>  This Inner Loop Header: Depth=2
	ds_read2_b64 v[6:9], v2 offset1:4
	s_add_i32 s7, s7, 8
	s_cmp_eq_u32 s1, s7
	s_waitcnt lgkmcnt(0)
	v_add_co_u32_e32 v4, vcc, v6, v4
	v_addc_co_u32_e32 v5, vcc, v7, v5, vcc
	v_add_co_u32_e32 v8, vcc, v8, v4
	v_addc_co_u32_e32 v9, vcc, v9, v5, vcc
	ds_read2_b64 v[4:7], v2 offset0:8 offset1:12
	s_waitcnt lgkmcnt(0)
	v_add_co_u32_e32 v4, vcc, v4, v8
	v_addc_co_u32_e32 v5, vcc, v5, v9, vcc
	v_add_co_u32_e32 v8, vcc, v6, v4
	v_addc_co_u32_e32 v9, vcc, v7, v5, vcc
	ds_read2_b64 v[4:7], v2 offset0:16 offset1:20
	;; [unrolled: 6-line block ×3, first 2 shown]
	v_add_u32_e32 v2, 0x100, v2
	s_waitcnt lgkmcnt(0)
	v_add_co_u32_e32 v4, vcc, v4, v8
	v_addc_co_u32_e32 v5, vcc, v5, v9, vcc
	v_add_co_u32_e32 v4, vcc, v6, v4
	v_addc_co_u32_e32 v5, vcc, v7, v5, vcc
	s_cbranch_scc0 .LBB70_74
; %bb.75:                               ;   in Loop: Header=BB70_34 Depth=1
	s_mov_b32 s7, s1
	s_branch .LBB70_104
.LBB70_76:                              ;   in Loop: Header=BB70_34 Depth=1
	global_load_ushort v2, v3, s[76:77]
	s_mov_b32 s4, s65
	s_waitcnt vmcnt(0)
	v_readfirstlane_b32 s5, v2
	s_and_b32 s22, s5, 0xffff
	s_lshl_b32 s8, s22, 2
	s_mov_b32 s5, s25
	s_cmp_lg_u64 s[4:5], 0
	s_cbranch_scc0 .LBB70_99
; %bb.77:                               ;   in Loop: Header=BB70_34 Depth=1
	s_add_u32 s4, s8, 0
	s_addc_u32 s5, 0, 0
	s_xor_b64 s[4:5], s[4:5], 0
	v_cvt_f32_u32_e32 v2, s4
	v_cvt_f32_u32_e32 v4, s5
	s_sub_u32 s9, 0, s4
	s_subb_u32 s14, 0, s5
	v_mac_f32_e32 v2, 0x4f800000, v4
	v_rcp_f32_e32 v2, v2
	v_mul_f32_e32 v2, 0x5f7ffffc, v2
	v_mul_f32_e32 v4, 0x2f800000, v2
	v_trunc_f32_e32 v4, v4
	v_mac_f32_e32 v2, 0xcf800000, v4
	v_cvt_u32_f32_e32 v4, v4
	v_cvt_u32_f32_e32 v2, v2
	v_readfirstlane_b32 s15, v4
	v_readfirstlane_b32 s6, v2
	s_mul_i32 s7, s9, s15
	s_mul_hi_u32 s17, s9, s6
	s_mul_i32 s16, s14, s6
	s_add_i32 s7, s17, s7
	s_mul_i32 s18, s9, s6
	s_add_i32 s7, s7, s16
	s_mul_i32 s17, s6, s7
	s_mul_hi_u32 s19, s6, s18
	s_mul_hi_u32 s16, s6, s7
	s_add_u32 s17, s19, s17
	s_addc_u32 s16, 0, s16
	s_mul_hi_u32 s20, s15, s18
	s_mul_i32 s18, s15, s18
	s_add_u32 s17, s17, s18
	s_mul_hi_u32 s19, s15, s7
	s_addc_u32 s16, s16, s20
	s_addc_u32 s17, s19, 0
	s_mul_i32 s7, s15, s7
	s_add_u32 s7, s16, s7
	s_addc_u32 s16, 0, s17
	s_add_u32 s17, s6, s7
	s_cselect_b64 s[6:7], -1, 0
	s_cmp_lg_u64 s[6:7], 0
	s_addc_u32 s15, s15, s16
	s_mul_i32 s6, s9, s15
	s_mul_hi_u32 s7, s9, s17
	s_add_i32 s6, s7, s6
	s_mul_i32 s14, s14, s17
	s_add_i32 s6, s6, s14
	s_mul_i32 s9, s9, s17
	s_mul_hi_u32 s14, s15, s9
	s_mul_i32 s16, s15, s9
	s_mul_i32 s19, s17, s6
	s_mul_hi_u32 s9, s17, s9
	s_mul_hi_u32 s18, s17, s6
	s_add_u32 s9, s9, s19
	s_addc_u32 s18, 0, s18
	s_add_u32 s9, s9, s16
	s_mul_hi_u32 s7, s15, s6
	s_addc_u32 s9, s18, s14
	s_addc_u32 s7, s7, 0
	s_mul_i32 s6, s15, s6
	s_add_u32 s6, s9, s6
	s_addc_u32 s9, 0, s7
	s_add_u32 s16, s17, s6
	s_cselect_b64 s[6:7], -1, 0
	s_cmp_lg_u64 s[6:7], 0
	s_addc_u32 s9, s15, s9
	s_ashr_i32 s6, s25, 31
	s_add_u32 s14, s24, s6
	s_mov_b32 s7, s6
	s_addc_u32 s15, s25, s6
	s_xor_b64 s[14:15], s[14:15], s[6:7]
	s_mul_i32 s18, s14, s9
	s_mul_hi_u32 s19, s14, s16
	s_mul_hi_u32 s17, s14, s9
	s_add_u32 s18, s19, s18
	s_addc_u32 s17, 0, s17
	s_mul_hi_u32 s20, s15, s16
	s_mul_i32 s16, s15, s16
	s_add_u32 s16, s18, s16
	s_mul_hi_u32 s19, s15, s9
	s_addc_u32 s16, s17, s20
	s_addc_u32 s17, s19, 0
	s_mul_i32 s9, s15, s9
	s_add_u32 s9, s16, s9
	s_addc_u32 s16, 0, s17
	s_mul_i32 s16, s4, s16
	s_mul_hi_u32 s17, s4, s9
	s_add_i32 s16, s17, s16
	s_mul_i32 s17, s5, s9
	s_add_i32 s20, s16, s17
	s_sub_i32 s18, s15, s20
	s_mul_i32 s9, s4, s9
	s_sub_u32 s9, s14, s9
	s_cselect_b64 s[16:17], -1, 0
	s_cmp_lg_u64 s[16:17], 0
	s_subb_u32 s14, s18, s5
	s_sub_u32 s21, s9, s4
	s_cselect_b64 s[18:19], -1, 0
	s_cmp_lg_u64 s[18:19], 0
	s_subb_u32 s23, s14, 0
	s_cmp_ge_u32 s23, s5
	s_cselect_b32 s27, -1, 0
	s_cmp_ge_u32 s21, s4
	s_cselect_b32 s28, -1, 0
	s_cmp_eq_u32 s23, s5
	s_cselect_b32 s27, s28, s27
	s_cmp_lg_u64 s[18:19], 0
	s_subb_u32 s14, s14, s5
	s_sub_u32 s28, s21, s4
	s_cselect_b64 s[18:19], -1, 0
	s_cmp_lg_u64 s[18:19], 0
	s_subb_u32 s14, s14, 0
	s_cmp_lg_u32 s27, 0
	s_cselect_b32 s18, s28, s21
	s_cselect_b32 s14, s14, s23
	s_cmp_lg_u64 s[16:17], 0
	s_subb_u32 s15, s15, s20
	s_cmp_ge_u32 s15, s5
	s_cselect_b32 s16, -1, 0
	s_cmp_ge_u32 s9, s4
	s_cselect_b32 s4, -1, 0
	s_cmp_eq_u32 s15, s5
	s_cselect_b32 s4, s4, s16
	s_cmp_lg_u32 s4, 0
	s_cselect_b32 s5, s14, s15
	s_cselect_b32 s4, s18, s9
	s_xor_b64 s[4:5], s[4:5], s[6:7]
	s_sub_u32 s44, s4, s6
	s_subb_u32 s45, s5, s6
	s_cbranch_execnz .LBB70_79
.LBB70_78:                              ;   in Loop: Header=BB70_34 Depth=1
	v_cvt_f32_u32_e32 v2, s8
	s_sub_i32 s4, 0, s8
	v_rcp_iflag_f32_e32 v2, v2
	v_mul_f32_e32 v2, 0x4f7ffffe, v2
	v_cvt_u32_f32_e32 v2, v2
	v_readfirstlane_b32 s5, v2
	s_mul_i32 s4, s4, s5
	s_mul_hi_u32 s4, s5, s4
	s_add_i32 s5, s5, s4
	s_mul_hi_u32 s4, s24, s5
	s_mul_i32 s4, s4, s8
	s_sub_i32 s4, s24, s4
	s_sub_i32 s5, s4, s8
	s_cmp_ge_u32 s4, s8
	s_cselect_b32 s4, s5, s4
	s_sub_i32 s5, s4, s8
	s_cmp_ge_u32 s4, s8
	s_cselect_b32 s64, s5, s4
	s_mov_b64 s[44:45], s[64:65]
.LBB70_79:                              ;   in Loop: Header=BB70_34 Depth=1
	s_sub_u32 s6, s24, s44
	s_subb_u32 s7, s25, s45
	v_cmp_gt_i64_e32 vcc, s[6:7], v[21:22]
	v_mov_b32_e32 v4, 0
	v_mov_b32_e32 v6, 0
	;; [unrolled: 1-line block ×8, first 2 shown]
	s_and_saveexec_b64 s[46:47], vcc
	s_cbranch_execz .LBB70_83
; %bb.80:                               ;   in Loop: Header=BB70_34 Depth=1
	s_mul_i32 s4, s87, s22
	s_mul_hi_u32 s5, s86, s22
	v_mov_b32_e32 v29, v22
	s_add_i32 s9, s5, s4
	s_mov_b64 s[48:49], 0
	s_mov_b64 s[50:51], s[66:67]
	;; [unrolled: 1-line block ×6, first 2 shown]
	v_mov_b32_e32 v28, v21
.LBB70_81:                              ;   Parent Loop BB70_34 Depth=1
                                        ; =>  This Inner Loop Header: Depth=2
	v_add_co_u32_e32 v4, vcc, s50, v23
	v_mov_b32_e32 v2, s51
	v_addc_co_u32_e32 v5, vcc, v2, v24, vcc
	global_load_ushort v6, v[4:5], off
	v_add_co_u32_e32 v4, vcc, s50, v20
	v_addc_co_u32_e32 v5, vcc, v2, v38, vcc
	global_load_ushort v7, v[4:5], off
	v_add_co_u32_e32 v4, vcc, s50, v19
	;; [unrolled: 3-line block ×3, first 2 shown]
	v_addc_co_u32_e32 v5, vcc, v2, v36, vcc
	global_load_ushort v2, v[4:5], off
	s_waitcnt vmcnt(3)
	v_cmp_lt_i16_e32 vcc, -1, v6
	v_cndmask_b32_e32 v4, v47, v48, vcc
	v_lshlrev_b32_e32 v5, 16, v6
	v_cmp_o_f32_e32 vcc, v5, v5
	v_xor_b32_sdwa v4, v4, v6 dst_sel:DWORD dst_unused:UNUSED_PAD src0_sel:DWORD src1_sel:WORD_0
	v_cndmask_b32_e32 v4, v47, v4, vcc
	s_waitcnt vmcnt(2)
	v_cmp_lt_i16_e32 vcc, -1, v7
	v_cndmask_b32_e32 v5, v47, v48, vcc
	v_lshlrev_b32_e32 v6, 16, v7
	v_cmp_o_f32_e32 vcc, v6, v6
	v_xor_b32_sdwa v5, v5, v7 dst_sel:DWORD dst_unused:UNUSED_PAD src0_sel:DWORD src1_sel:WORD_0
	v_cndmask_b32_e32 v5, v47, v5, vcc
	;; [unrolled: 7-line block ×3, first 2 shown]
	s_waitcnt vmcnt(0)
	v_cmp_lt_i16_e32 vcc, -1, v2
	v_cndmask_b32_e32 v7, v47, v48, vcc
	v_lshlrev_b32_e32 v8, 16, v2
	v_cmp_o_f32_e32 vcc, v8, v8
	v_xor_b32_sdwa v2, v7, v2 dst_sel:DWORD dst_unused:UNUSED_PAD src0_sel:DWORD src1_sel:WORD_0
	v_and_b32_e32 v7, v4, v51
	v_bfe_u32 v4, v4, s82, 2
	v_cndmask_b32_e32 v2, v47, v2, vcc
	v_cmp_eq_u32_e32 vcc, v7, v44
	v_and_b32_e32 v7, v5, v51
	v_bfe_u32 v5, v5, s82, 2
	v_cmp_eq_u32_e64 s[20:21], 0, v4
	v_cmp_eq_u32_e64 s[14:15], v7, v44
	v_and_b32_e32 v7, v6, v51
	v_bfe_u32 v6, v6, s82, 2
	s_and_b64 s[28:29], vcc, s[20:21]
	v_cmp_eq_u32_e64 s[20:21], 0, v5
	v_cmp_eq_u32_e64 s[16:17], v7, v44
	v_and_b32_e32 v7, v2, v51
	v_bfe_u32 v2, v2, s82, 2
	s_and_b64 s[36:37], s[14:15], s[20:21]
	v_cmp_eq_u32_e64 s[20:21], 0, v6
	v_cmp_eq_u32_e64 s[18:19], v7, v44
	s_and_b64 s[38:39], s[16:17], s[20:21]
	v_cmp_eq_u32_e64 s[20:21], 0, v2
	v_cndmask_b32_e64 v7, 0, 1, s[28:29]
	s_and_b64 s[40:41], s[18:19], s[20:21]
	v_cmp_ne_u32_e64 s[20:21], 0, v7
	v_cndmask_b32_e64 v7, 0, 1, s[36:37]
	s_bcnt1_i32_b64 s23, s[20:21]
	v_cmp_ne_u32_e64 s[20:21], 0, v7
	v_cndmask_b32_e64 v7, 0, 1, s[38:39]
	s_bcnt1_i32_b64 s27, s[20:21]
	;; [unrolled: 3-line block ×3, first 2 shown]
	v_cmp_ne_u32_e64 s[20:21], 0, v7
	s_bcnt1_i32_b64 s20, s[20:21]
	s_add_u32 s21, s23, s54
	s_addc_u32 s23, 0, s55
	s_add_u32 s21, s21, s27
	s_addc_u32 s23, s23, 0
	;; [unrolled: 2-line block ×3, first 2 shown]
	s_add_u32 s54, s21, s20
	v_cmp_eq_u32_e64 s[20:21], 1, v4
	s_addc_u32 s55, s23, 0
	s_and_b64 s[28:29], vcc, s[20:21]
	v_cmp_eq_u32_e64 s[20:21], 1, v5
	s_and_b64 s[36:37], s[14:15], s[20:21]
	v_cmp_eq_u32_e64 s[20:21], 1, v6
	s_and_b64 s[38:39], s[16:17], s[20:21]
	v_cmp_eq_u32_e64 s[20:21], 1, v2
	v_cndmask_b32_e64 v7, 0, 1, s[28:29]
	s_and_b64 s[40:41], s[18:19], s[20:21]
	v_cmp_ne_u32_e64 s[20:21], 0, v7
	v_cndmask_b32_e64 v7, 0, 1, s[36:37]
	s_bcnt1_i32_b64 s23, s[20:21]
	v_cmp_ne_u32_e64 s[20:21], 0, v7
	v_cndmask_b32_e64 v7, 0, 1, s[38:39]
	s_bcnt1_i32_b64 s27, s[20:21]
	v_cmp_ne_u32_e64 s[20:21], 0, v7
	v_cndmask_b32_e64 v7, 0, 1, s[40:41]
	s_bcnt1_i32_b64 s28, s[20:21]
	v_cmp_ne_u32_e64 s[20:21], 0, v7
	s_bcnt1_i32_b64 s20, s[20:21]
	s_add_u32 s21, s23, s34
	s_addc_u32 s23, 0, s35
	s_add_u32 s21, s21, s27
	s_addc_u32 s23, s23, 0
	;; [unrolled: 2-line block ×3, first 2 shown]
	s_add_u32 s34, s21, s20
	v_cmp_eq_u32_e64 s[20:21], 2, v4
	s_addc_u32 s35, s23, 0
	s_and_b64 s[28:29], vcc, s[20:21]
	v_cmp_eq_u32_e64 s[20:21], 2, v5
	s_and_b64 s[36:37], s[14:15], s[20:21]
	v_cmp_eq_u32_e64 s[20:21], 2, v6
	s_and_b64 s[38:39], s[16:17], s[20:21]
	v_cmp_eq_u32_e64 s[20:21], 2, v2
	v_cndmask_b32_e64 v7, 0, 1, s[28:29]
	s_and_b64 s[40:41], s[18:19], s[20:21]
	v_cmp_ne_u32_e64 s[20:21], 0, v7
	v_cndmask_b32_e64 v7, 0, 1, s[36:37]
	s_bcnt1_i32_b64 s23, s[20:21]
	v_cmp_ne_u32_e64 s[20:21], 0, v7
	v_cndmask_b32_e64 v7, 0, 1, s[38:39]
	s_bcnt1_i32_b64 s27, s[20:21]
	;; [unrolled: 3-line block ×3, first 2 shown]
	v_cmp_ne_u32_e64 s[20:21], 0, v7
	s_bcnt1_i32_b64 s20, s[20:21]
	s_add_u32 s4, s23, s4
	s_addc_u32 s5, 0, s5
	s_add_u32 s4, s4, s27
	s_addc_u32 s5, s5, 0
	;; [unrolled: 2-line block ×3, first 2 shown]
	s_add_u32 s4, s4, s20
	v_cmp_eq_u32_e64 s[20:21], 3, v4
	s_addc_u32 s5, s5, 0
	s_and_b64 s[20:21], vcc, s[20:21]
	v_cmp_eq_u32_e32 vcc, 3, v5
	s_and_b64 s[14:15], s[14:15], vcc
	v_cmp_eq_u32_e32 vcc, 3, v6
	s_and_b64 s[16:17], s[16:17], vcc
	v_cmp_eq_u32_e32 vcc, 3, v2
	v_cndmask_b32_e64 v2, 0, 1, s[20:21]
	s_and_b64 s[18:19], s[18:19], vcc
	v_cmp_ne_u32_e32 vcc, 0, v2
	v_cndmask_b32_e64 v2, 0, 1, s[14:15]
	s_bcnt1_i32_b64 s20, vcc
	v_cmp_ne_u32_e32 vcc, 0, v2
	v_cndmask_b32_e64 v2, 0, 1, s[16:17]
	s_bcnt1_i32_b64 s14, vcc
	;; [unrolled: 3-line block ×3, first 2 shown]
	v_cmp_ne_u32_e32 vcc, 0, v2
	s_bcnt1_i32_b64 s16, vcc
	s_add_u32 s17, s20, s62
	s_addc_u32 s18, 0, s63
	s_add_u32 s14, s17, s14
	s_addc_u32 s17, s18, 0
	;; [unrolled: 2-line block ×3, first 2 shown]
	s_add_u32 s62, s14, s16
	v_add_co_u32_e32 v28, vcc, s8, v28
	s_addc_u32 s63, s15, 0
	v_addc_co_u32_e32 v29, vcc, 0, v29, vcc
	s_mul_i32 s14, s86, s22
	s_add_u32 s50, s50, s14
	v_cmp_le_i64_e32 vcc, s[6:7], v[28:29]
	s_addc_u32 s51, s51, s9
	v_mov_b32_e32 v4, s54
	v_mov_b32_e32 v6, s34
	;; [unrolled: 1-line block ×4, first 2 shown]
	s_or_b64 s[48:49], vcc, s[48:49]
	v_mov_b32_e32 v5, s55
	v_mov_b32_e32 v7, s35
	;; [unrolled: 1-line block ×4, first 2 shown]
	s_andn2_b64 exec, exec, s[48:49]
	s_cbranch_execnz .LBB70_81
; %bb.82:                               ;   in Loop: Header=BB70_34 Depth=1
	s_or_b64 exec, exec, s[48:49]
.LBB70_83:                              ;   in Loop: Header=BB70_34 Depth=1
	s_or_b64 exec, exec, s[46:47]
	v_mov_b32_e32 v2, s7
	v_add_co_u32_e32 v28, vcc, s6, v0
	v_addc_co_u32_e32 v29, vcc, 0, v2, vcc
	v_cmp_gt_i64_e32 vcc, s[24:25], v[28:29]
	s_and_saveexec_b64 s[4:5], vcc
	s_cbranch_execz .LBB70_89
; %bb.84:                               ;   in Loop: Header=BB70_34 Depth=1
	v_mul_lo_u32 v2, v29, s30
	v_mul_lo_u32 v53, v28, s31
	v_mad_u64_u32 v[30:31], s[6:7], v28, s30, 0
	v_readlane_b32 s6, v56, 51
	v_readlane_b32 s7, v56, 52
	v_add3_u32 v31, v31, v53, v2
	v_lshlrev_b64 v[30:31], 1, v[30:31]
	v_mov_b32_e32 v2, s67
	v_add_co_u32_e32 v30, vcc, s66, v30
	v_addc_co_u32_e32 v31, vcc, v2, v31, vcc
	global_load_ushort v53, v[30:31], off
	v_add_co_u32_e32 v2, vcc, s22, v41
	v_addc_co_u32_e32 v30, vcc, 0, v42, vcc
	v_mov_b32_e32 v31, s45
	v_subrev_co_u32_e32 v2, vcc, s44, v2
	v_subb_co_u32_e32 v30, vcc, v30, v31, vcc
	v_mul_lo_u32 v54, s84, v30
	v_mov_b32_e32 v31, s7
	v_mov_b32_e32 v30, s6
	v_mul_lo_u32 v55, s85, v2
	v_mad_u64_u32 v[30:31], s[6:7], s84, v2, v[30:31]
	s_mul_i32 s6, s85, s22
	s_mul_hi_u32 s7, s84, s22
	v_add3_u32 v31, v55, v31, v54
	s_add_i32 s16, s7, s6
	s_mov_b64 s[6:7], 0
	s_branch .LBB70_86
.LBB70_85:                              ;   in Loop: Header=BB70_86 Depth=2
	s_or_b64 exec, exec, s[8:9]
	s_and_b64 s[8:9], exec, vcc
	s_waitcnt vmcnt(0)
	v_cmp_lt_i16_e32 vcc, -1, v53
	v_cndmask_b32_e32 v54, v47, v48, vcc
	v_lshlrev_b32_e32 v55, 16, v53
	v_cmp_o_f32_e32 vcc, v55, v55
	v_xor_b32_sdwa v53, v54, v53 dst_sel:DWORD dst_unused:UNUSED_PAD src0_sel:DWORD src1_sel:WORD_0
	v_cndmask_b32_e32 v53, v47, v53, vcc
	v_and_b32_e32 v54, v53, v51
	v_bfe_u32 v53, v53, s82, 2
	s_or_b64 s[6:7], s[8:9], s[6:7]
	v_cmp_eq_u32_e32 vcc, v54, v44
	v_cmp_eq_u32_e64 s[14:15], 0, v53
	s_and_b64 s[8:9], vcc, s[14:15]
	v_cndmask_b32_e64 v54, 0, 1, s[8:9]
	v_cmp_ne_u32_e64 s[14:15], 0, v54
	s_bcnt1_i32_b64 s8, s[14:15]
	v_add_co_u32_e64 v4, s[14:15], s8, v4
	v_addc_co_u32_e64 v5, s[14:15], 0, v5, s[14:15]
	v_cmp_eq_u32_e64 s[14:15], 1, v53
	s_and_b64 s[8:9], vcc, s[14:15]
	v_cndmask_b32_e64 v54, 0, 1, s[8:9]
	v_cmp_ne_u32_e64 s[14:15], 0, v54
	s_bcnt1_i32_b64 s8, s[14:15]
	v_add_co_u32_e64 v6, s[14:15], s8, v6
	v_addc_co_u32_e64 v7, s[14:15], 0, v7, s[14:15]
	;; [unrolled: 7-line block ×3, first 2 shown]
	v_cmp_eq_u32_e64 s[14:15], 3, v53
	s_and_b64 s[8:9], vcc, s[14:15]
	v_cndmask_b32_e64 v53, 0, 1, s[8:9]
	v_cmp_ne_u32_e32 vcc, 0, v53
	s_bcnt1_i32_b64 s8, vcc
	v_add_co_u32_e32 v10, vcc, s8, v10
	v_addc_co_u32_e32 v11, vcc, 0, v11, vcc
	s_mul_i32 s8, s84, s22
	v_add_co_u32_e32 v30, vcc, s8, v30
	v_mov_b32_e32 v53, s16
	v_addc_co_u32_e32 v31, vcc, v31, v53, vcc
	v_mov_b32_e32 v53, v2
	s_andn2_b64 exec, exec, s[6:7]
	s_cbranch_execz .LBB70_88
.LBB70_86:                              ;   Parent Loop BB70_34 Depth=1
                                        ; =>  This Inner Loop Header: Depth=2
	v_add_co_u32_e32 v28, vcc, s22, v28
	v_addc_co_u32_e32 v29, vcc, 0, v29, vcc
	v_cmp_gt_i64_e64 s[14:15], s[24:25], v[28:29]
	v_cmp_le_i64_e32 vcc, s[24:25], v[28:29]
	v_mov_b32_e32 v2, 0
	s_and_saveexec_b64 s[8:9], s[14:15]
	s_cbranch_execz .LBB70_85
; %bb.87:                               ;   in Loop: Header=BB70_86 Depth=2
	global_load_ushort v2, v[30:31], off
	s_branch .LBB70_85
.LBB70_88:                              ;   in Loop: Header=BB70_34 Depth=1
	s_or_b64 exec, exec, s[6:7]
.LBB70_89:                              ;   in Loop: Header=BB70_34 Depth=1
	s_or_b64 exec, exec, s[4:5]
	s_branch .LBB70_68
.LBB70_90:                              ;   in Loop: Header=BB70_34 Depth=1
	global_load_ushort v2, v3, s[76:77]
	v_mov_b32_e32 v8, 0
	v_mov_b32_e32 v9, 0
	s_waitcnt vmcnt(0)
	v_readfirstlane_b32 s4, v2
	s_and_b32 s8, 0xffff, s4
	s_lshl_b32 s9, s8, 2
	v_cvt_f32_u32_e32 v4, s9
	s_sub_i32 s4, 0, s9
	v_rcp_iflag_f32_e32 v6, v4
	v_mov_b32_e32 v4, 0
	v_mov_b32_e32 v5, 0
	v_mul_f32_e32 v6, 0x4f7ffffe, v6
	v_cvt_u32_f32_e32 v10, v6
	v_mov_b32_e32 v6, 0
	v_mov_b32_e32 v7, 0
	v_readfirstlane_b32 s5, v10
	s_mul_i32 s4, s4, s5
	s_mul_hi_u32 s4, s5, s4
	s_add_i32 s5, s5, s4
	s_mul_hi_u32 s4, s26, s5
	s_mul_i32 s5, s4, s9
	s_sub_i32 s5, s26, s5
	s_add_i32 s6, s4, 1
	s_sub_i32 s7, s5, s9
	s_cmp_ge_u32 s5, s9
	s_cselect_b32 s4, s6, s4
	s_cselect_b32 s5, s7, s5
	s_add_i32 s6, s4, 1
	s_cmp_ge_u32 s5, s9
	s_cselect_b32 s4, s6, s4
	s_mul_hi_u32 s5, s8, s4
	s_mul_i32 s4, s8, s4
	s_lshl_b64 s[6:7], s[4:5], 2
	v_cmp_gt_u64_e32 vcc, s[6:7], v[21:22]
	v_mov_b32_e32 v10, 0
	v_mov_b32_e32 v11, 0
	s_and_saveexec_b64 s[34:35], vcc
	s_cbranch_execz .LBB70_94
; %bb.91:                               ;   in Loop: Header=BB70_34 Depth=1
	v_mov_b32_e32 v29, v22
	s_lshl_b32 s5, s8, 3
	s_mov_b64 s[44:45], 0
	v_mov_b32_e32 v30, v35
	s_mov_b64 s[46:47], 0
	s_mov_b64 s[48:49], 0
	;; [unrolled: 1-line block ×4, first 2 shown]
	v_mov_b32_e32 v28, v21
.LBB70_92:                              ;   Parent Loop BB70_34 Depth=1
                                        ; =>  This Inner Loop Header: Depth=2
	ds_read_b64 v[4:5], v30
	v_add_u32_e32 v30, s5, v30
	s_waitcnt lgkmcnt(0)
	v_cmp_lt_i16_e32 vcc, -1, v4
	v_cndmask_b32_e32 v6, v47, v48, vcc
	v_lshlrev_b32_e32 v7, 16, v4
	v_cmp_o_f32_e32 vcc, v7, v7
	v_xor_b32_sdwa v6, v6, v4 dst_sel:DWORD dst_unused:UNUSED_PAD src0_sel:DWORD src1_sel:WORD_0
	v_cndmask_b32_e32 v6, v47, v6, vcc
	v_cmp_gt_i16_sdwa vcc, v4, v49 src0_sel:WORD_1 src1_sel:DWORD
	v_cndmask_b32_e32 v7, v47, v48, vcc
	v_and_b32_e32 v8, 0xffff0000, v4
	v_cmp_o_f32_e32 vcc, v8, v8
	v_xor_b32_sdwa v4, v7, v4 dst_sel:DWORD dst_unused:UNUSED_PAD src0_sel:DWORD src1_sel:WORD_1
	v_cndmask_b32_e32 v4, v47, v4, vcc
	v_cmp_lt_i16_e32 vcc, -1, v5
	v_cndmask_b32_e32 v7, v47, v48, vcc
	v_lshlrev_b32_e32 v8, 16, v5
	v_cmp_o_f32_e32 vcc, v8, v8
	v_xor_b32_sdwa v7, v7, v5 dst_sel:DWORD dst_unused:UNUSED_PAD src0_sel:DWORD src1_sel:WORD_0
	v_cndmask_b32_e32 v7, v47, v7, vcc
	v_cmp_gt_i16_sdwa vcc, v5, v49 src0_sel:WORD_1 src1_sel:DWORD
	v_cndmask_b32_e32 v8, v47, v48, vcc
	v_and_b32_e32 v9, 0xffff0000, v5
	v_cmp_o_f32_e32 vcc, v9, v9
	v_xor_b32_sdwa v5, v8, v5 dst_sel:DWORD dst_unused:UNUSED_PAD src0_sel:DWORD src1_sel:WORD_1
	v_and_b32_e32 v8, v6, v51
	v_bfe_u32 v6, v6, s82, 2
	v_cndmask_b32_e32 v5, v47, v5, vcc
	v_cmp_eq_u32_e32 vcc, v8, v44
	v_and_b32_e32 v8, v4, v51
	v_bfe_u32 v4, v4, s82, 2
	v_cmp_eq_u32_e64 s[20:21], 0, v6
	v_cmp_eq_u32_e64 s[14:15], v8, v44
	v_and_b32_e32 v8, v7, v51
	v_bfe_u32 v7, v7, s82, 2
	s_and_b64 s[22:23], vcc, s[20:21]
	v_cmp_eq_u32_e64 s[20:21], 0, v4
	v_cmp_eq_u32_e64 s[16:17], v8, v44
	v_and_b32_e32 v8, v5, v51
	v_bfe_u32 v5, v5, s82, 2
	s_and_b64 s[28:29], s[14:15], s[20:21]
	v_cmp_eq_u32_e64 s[20:21], 0, v7
	v_cmp_eq_u32_e64 s[18:19], v8, v44
	s_and_b64 s[36:37], s[16:17], s[20:21]
	v_cmp_eq_u32_e64 s[20:21], 0, v5
	v_cndmask_b32_e64 v8, 0, 1, s[22:23]
	s_and_b64 s[38:39], s[18:19], s[20:21]
	v_cmp_ne_u32_e64 s[20:21], 0, v8
	v_cndmask_b32_e64 v8, 0, 1, s[28:29]
	s_bcnt1_i32_b64 s22, s[20:21]
	v_cmp_ne_u32_e64 s[20:21], 0, v8
	v_cndmask_b32_e64 v8, 0, 1, s[36:37]
	s_bcnt1_i32_b64 s23, s[20:21]
	;; [unrolled: 3-line block ×3, first 2 shown]
	v_cmp_ne_u32_e64 s[20:21], 0, v8
	s_bcnt1_i32_b64 s20, s[20:21]
	s_add_u32 s21, s22, s54
	s_addc_u32 s22, 0, s55
	s_add_u32 s21, s21, s23
	s_addc_u32 s22, s22, 0
	;; [unrolled: 2-line block ×3, first 2 shown]
	s_add_u32 s54, s21, s20
	v_cmp_eq_u32_e64 s[20:21], 1, v6
	s_addc_u32 s55, s22, 0
	s_and_b64 s[22:23], vcc, s[20:21]
	v_cmp_eq_u32_e64 s[20:21], 1, v4
	s_and_b64 s[28:29], s[14:15], s[20:21]
	v_cmp_eq_u32_e64 s[20:21], 1, v7
	s_and_b64 s[36:37], s[16:17], s[20:21]
	v_cmp_eq_u32_e64 s[20:21], 1, v5
	v_cndmask_b32_e64 v8, 0, 1, s[22:23]
	s_and_b64 s[38:39], s[18:19], s[20:21]
	v_cmp_ne_u32_e64 s[20:21], 0, v8
	v_cndmask_b32_e64 v8, 0, 1, s[28:29]
	s_bcnt1_i32_b64 s22, s[20:21]
	v_cmp_ne_u32_e64 s[20:21], 0, v8
	v_cndmask_b32_e64 v8, 0, 1, s[36:37]
	s_bcnt1_i32_b64 s23, s[20:21]
	;; [unrolled: 3-line block ×3, first 2 shown]
	v_cmp_ne_u32_e64 s[20:21], 0, v8
	s_bcnt1_i32_b64 s20, s[20:21]
	s_add_u32 s21, s22, s50
	s_addc_u32 s22, 0, s51
	s_add_u32 s21, s21, s23
	s_addc_u32 s22, s22, 0
	;; [unrolled: 2-line block ×3, first 2 shown]
	s_add_u32 s50, s21, s20
	v_cmp_eq_u32_e64 s[20:21], 2, v6
	s_addc_u32 s51, s22, 0
	s_and_b64 s[22:23], vcc, s[20:21]
	v_cmp_eq_u32_e64 s[20:21], 2, v4
	s_and_b64 s[28:29], s[14:15], s[20:21]
	v_cmp_eq_u32_e64 s[20:21], 2, v7
	s_and_b64 s[36:37], s[16:17], s[20:21]
	v_cmp_eq_u32_e64 s[20:21], 2, v5
	v_cndmask_b32_e64 v8, 0, 1, s[22:23]
	s_and_b64 s[38:39], s[18:19], s[20:21]
	v_cmp_ne_u32_e64 s[20:21], 0, v8
	v_cndmask_b32_e64 v8, 0, 1, s[28:29]
	s_bcnt1_i32_b64 s22, s[20:21]
	v_cmp_ne_u32_e64 s[20:21], 0, v8
	v_cndmask_b32_e64 v8, 0, 1, s[36:37]
	s_bcnt1_i32_b64 s23, s[20:21]
	;; [unrolled: 3-line block ×3, first 2 shown]
	v_cmp_ne_u32_e64 s[20:21], 0, v8
	s_bcnt1_i32_b64 s20, s[20:21]
	s_add_u32 s21, s22, s48
	s_addc_u32 s22, 0, s49
	s_add_u32 s21, s21, s23
	s_addc_u32 s22, s22, 0
	;; [unrolled: 2-line block ×3, first 2 shown]
	s_add_u32 s48, s21, s20
	v_cmp_eq_u32_e64 s[20:21], 3, v6
	s_addc_u32 s49, s22, 0
	s_and_b64 s[20:21], vcc, s[20:21]
	v_cmp_eq_u32_e32 vcc, 3, v4
	s_and_b64 s[14:15], s[14:15], vcc
	v_cmp_eq_u32_e32 vcc, 3, v7
	s_and_b64 s[16:17], s[16:17], vcc
	v_cmp_eq_u32_e32 vcc, 3, v5
	v_cndmask_b32_e64 v4, 0, 1, s[20:21]
	s_and_b64 s[18:19], s[18:19], vcc
	v_cmp_ne_u32_e32 vcc, 0, v4
	v_cndmask_b32_e64 v4, 0, 1, s[14:15]
	s_bcnt1_i32_b64 s20, vcc
	v_cmp_ne_u32_e32 vcc, 0, v4
	v_cndmask_b32_e64 v4, 0, 1, s[16:17]
	s_bcnt1_i32_b64 s14, vcc
	;; [unrolled: 3-line block ×3, first 2 shown]
	v_cmp_ne_u32_e32 vcc, 0, v4
	s_bcnt1_i32_b64 s16, vcc
	s_add_u32 s17, s20, s46
	s_addc_u32 s18, 0, s47
	s_add_u32 s14, s17, s14
	s_addc_u32 s17, s18, 0
	s_add_u32 s14, s14, s15
	v_add_co_u32_e32 v28, vcc, s9, v28
	s_addc_u32 s15, s17, 0
	v_addc_co_u32_e32 v29, vcc, 0, v29, vcc
	s_add_u32 s46, s14, s16
	v_cmp_le_u64_e32 vcc, s[6:7], v[28:29]
	s_addc_u32 s47, s15, 0
	v_mov_b32_e32 v4, s54
	v_mov_b32_e32 v6, s50
	;; [unrolled: 1-line block ×4, first 2 shown]
	s_or_b64 s[44:45], vcc, s[44:45]
	v_mov_b32_e32 v5, s55
	v_mov_b32_e32 v7, s51
	;; [unrolled: 1-line block ×4, first 2 shown]
	s_andn2_b64 exec, exec, s[44:45]
	s_cbranch_execnz .LBB70_92
; %bb.93:                               ;   in Loop: Header=BB70_34 Depth=1
	s_or_b64 exec, exec, s[44:45]
.LBB70_94:                              ;   in Loop: Header=BB70_34 Depth=1
	s_or_b64 exec, exec, s[34:35]
	v_mov_b32_e32 v29, s7
	v_add_co_u32_e32 v28, vcc, s6, v0
	s_and_b32 s64, s26, 0x7fffffff
	v_addc_co_u32_e32 v29, vcc, 0, v29, vcc
	v_cmp_gt_u64_e32 vcc, s[64:65], v[28:29]
	s_and_saveexec_b64 s[6:7], vcc
	s_cbranch_execz .LBB70_98
; %bb.95:                               ;   in Loop: Header=BB70_34 Depth=1
	v_lshl_add_u32 v30, s4, 3, v45
	s_lshl_b32 s8, s8, 1
	s_mov_b64 s[4:5], 0
.LBB70_96:                              ;   Parent Loop BB70_34 Depth=1
                                        ; =>  This Inner Loop Header: Depth=2
	ds_read_u16 v31, v30
	v_add_u32_e32 v30, s8, v30
	s_waitcnt lgkmcnt(0)
	v_cmp_lt_i16_e32 vcc, -1, v31
	v_cndmask_b32_e32 v53, v47, v48, vcc
	v_lshlrev_b32_e32 v54, 16, v31
	v_cmp_o_f32_e32 vcc, v54, v54
	v_xor_b32_sdwa v31, v53, v31 dst_sel:DWORD dst_unused:UNUSED_PAD src0_sel:DWORD src1_sel:WORD_0
	v_cndmask_b32_e32 v31, v47, v31, vcc
	v_and_b32_e32 v53, v31, v51
	v_bfe_u32 v31, v31, s82, 2
	v_cmp_eq_u32_e32 vcc, v53, v44
	v_cmp_eq_u32_e64 s[14:15], 0, v31
	s_and_b64 s[14:15], vcc, s[14:15]
	v_cndmask_b32_e64 v53, 0, 1, s[14:15]
	v_cmp_ne_u32_e64 s[14:15], 0, v53
	s_bcnt1_i32_b64 s9, s[14:15]
	v_add_co_u32_e64 v4, s[14:15], s9, v4
	v_addc_co_u32_e64 v5, s[14:15], 0, v5, s[14:15]
	v_cmp_eq_u32_e64 s[14:15], 1, v31
	s_and_b64 s[14:15], vcc, s[14:15]
	v_cndmask_b32_e64 v53, 0, 1, s[14:15]
	v_cmp_ne_u32_e64 s[14:15], 0, v53
	s_bcnt1_i32_b64 s9, s[14:15]
	v_add_co_u32_e64 v6, s[14:15], s9, v6
	v_addc_co_u32_e64 v7, s[14:15], 0, v7, s[14:15]
	;; [unrolled: 7-line block ×3, first 2 shown]
	v_cmp_eq_u32_e64 s[14:15], 3, v31
	s_and_b64 s[14:15], vcc, s[14:15]
	v_cndmask_b32_e64 v31, 0, 1, s[14:15]
	v_cmp_ne_u32_e32 vcc, 0, v31
	s_bcnt1_i32_b64 s9, vcc
	v_add_co_u32_e32 v10, vcc, s9, v10
	v_addc_co_u32_e32 v11, vcc, 0, v11, vcc
	v_add_co_u32_sdwa v28, vcc, v28, v2 dst_sel:DWORD dst_unused:UNUSED_PAD src0_sel:DWORD src1_sel:WORD_0
	v_addc_co_u32_e32 v29, vcc, 0, v29, vcc
	v_cmp_le_u64_e32 vcc, s[64:65], v[28:29]
	s_or_b64 s[4:5], vcc, s[4:5]
	s_andn2_b64 exec, exec, s[4:5]
	s_cbranch_execnz .LBB70_96
; %bb.97:                               ;   in Loop: Header=BB70_34 Depth=1
	s_or_b64 exec, exec, s[4:5]
.LBB70_98:                              ;   in Loop: Header=BB70_34 Depth=1
	s_or_b64 exec, exec, s[6:7]
	s_lshl_b32 s6, s83, 6
	s_and_saveexec_b64 s[4:5], s[10:11]
	s_cbranch_execnz .LBB70_69
	s_branch .LBB70_70
.LBB70_99:                              ;   in Loop: Header=BB70_34 Depth=1
                                        ; implicit-def: $sgpr44_sgpr45
	s_branch .LBB70_78
.LBB70_100:                             ;   in Loop: Header=BB70_34 Depth=1
	s_or_b64 exec, exec, s[6:7]
	s_waitcnt lgkmcnt(0)
	s_barrier
	s_mov_b64 s[6:7], exec
	v_readlane_b32 s8, v56, 32
	v_readlane_b32 s9, v56, 33
	s_and_b64 s[8:9], s[6:7], s[8:9]
	s_mov_b64 exec, s[8:9]
	s_cbranch_execz .LBB70_102
; %bb.101:                              ;   in Loop: Header=BB70_34 Depth=1
	ds_read_b32 v4, v3 offset:5136
	s_waitcnt lgkmcnt(0)
	v_ashrrev_i32_e32 v5, 31, v4
	ds_write_b64 v3, v[4:5] offset:5120
.LBB70_102:                             ;   in Loop: Header=BB70_34 Depth=1
	s_or_b64 exec, exec, s[6:7]
	s_waitcnt lgkmcnt(0)
	s_barrier
	s_mov_b64 s[6:7], -1
	s_and_b64 vcc, exec, s[4:5]
	s_cbranch_vccnz .LBB70_49
	s_branch .LBB70_64
.LBB70_103:                             ;   in Loop: Header=BB70_34 Depth=1
	v_mov_b32_e32 v4, 0
	v_mov_b32_e32 v5, 0
	s_mov_b32 s7, 0
.LBB70_104:                             ;   in Loop: Header=BB70_34 Depth=1
	v_readlane_b32 s8, v56, 49
	v_readlane_b32 s9, v56, 50
	s_andn2_b64 vcc, exec, s[8:9]
	s_cbranch_vccnz .LBB70_107
; %bb.105:                              ;   in Loop: Header=BB70_34 Depth=1
	s_lshl_b32 s8, s83, 9
	s_lshl_b32 s7, s7, 5
	s_add_i32 s8, s8, s7
	v_add_u32_e32 v2, s8, v43
	v_readlane_b32 s7, v56, 48
.LBB70_106:                             ;   Parent Loop BB70_34 Depth=1
                                        ; =>  This Inner Loop Header: Depth=2
	ds_read_b64 v[6:7], v2
	s_add_i32 s7, s7, -1
	v_add_u32_e32 v2, 32, v2
	s_cmp_lg_u32 s7, 0
	s_waitcnt lgkmcnt(0)
	v_add_co_u32_e32 v4, vcc, v6, v4
	v_addc_co_u32_e32 v5, vcc, v7, v5, vcc
	s_cbranch_scc1 .LBB70_106
.LBB70_107:                             ;   in Loop: Header=BB70_34 Depth=1
	v_add_lshl_u32 v2, s6, v32, 3
	ds_write_b64 v2, v[4:5] offset:3072
.LBB70_108:                             ;   in Loop: Header=BB70_34 Depth=1
	s_or_b64 exec, exec, s[4:5]
	s_lshl_b32 s4, s6, 3
	v_mov_b32_e32 v2, s4
	s_waitcnt lgkmcnt(0)
	s_barrier
	ds_read_b128 v[8:11], v2 offset:3088
	ds_read_b128 v[4:7], v2 offset:3072
	v_cmp_eq_u64_e64 s[14:15], 1, v[26:27]
	s_lshl_b32 s78, 3, s82
	s_not_b32 s79, s78
	s_waitcnt lgkmcnt(1)
	v_readfirstlane_b32 s62, v8
	s_waitcnt lgkmcnt(0)
	v_cmp_eq_u64_e32 vcc, 1, v[4:5]
	v_readfirstlane_b32 s63, v9
	v_readfirstlane_b32 s16, v10
	;; [unrolled: 1-line block ×3, first 2 shown]
	s_and_b64 s[6:7], vcc, s[14:15]
	s_mov_b64 s[4:5], -1
	s_mov_b64 s[8:9], -1
                                        ; implicit-def: $sgpr26_sgpr27
                                        ; implicit-def: $sgpr20_sgpr21
	s_and_saveexec_b64 s[14:15], s[6:7]
	s_cbranch_execz .LBB70_140
; %bb.109:                              ;   in Loop: Header=BB70_34 Depth=1
	ds_read_b64 v[8:9], v3 offset:5120
	s_waitcnt lgkmcnt(0)
	s_barrier
	v_readfirstlane_b32 s18, v8
	v_readfirstlane_b32 s19, v9
	s_and_saveexec_b64 s[8:9], s[12:13]
; %bb.110:                              ;   in Loop: Header=BB70_34 Depth=1
	ds_write_b16 v46, v3
; %bb.111:                              ;   in Loop: Header=BB70_34 Depth=1
	s_or_b64 exec, exec, s[8:9]
	v_cmp_lt_i64_e64 s[8:9], s[18:19], 1
	v_and_b32_e32 v44, s79, v44
	v_or_b32_e32 v51, s78, v51
	s_mov_b64 s[20:21], -1
	s_mov_b64 s[26:27], 0
	s_and_b64 vcc, exec, s[8:9]
	s_mov_b64 s[28:29], 0
	s_mov_b64 s[8:9], -1
	s_waitcnt lgkmcnt(0)
	s_barrier
                                        ; implicit-def: $vgpr52
	s_cbranch_vccz .LBB70_125
; %bb.112:                              ;   in Loop: Header=BB70_34 Depth=1
	s_mov_b32 s74, s65
	s_cmp_lg_u64 s[74:75], 0
	s_cbranch_scc0 .LBB70_166
; %bb.113:                              ;   in Loop: Header=BB70_34 Depth=1
	s_add_u32 s8, s33, 0
	s_addc_u32 s9, 0, 0
	s_xor_b64 s[8:9], s[8:9], 0
	v_cvt_f32_u32_e32 v2, s8
	v_cvt_f32_u32_e32 v8, s9
	s_sub_u32 s28, 0, s8
	s_subb_u32 s29, 0, s9
	v_mac_f32_e32 v2, 0x4f800000, v8
	v_rcp_f32_e32 v2, v2
	v_mul_f32_e32 v2, 0x5f7ffffc, v2
	v_mul_f32_e32 v8, 0x2f800000, v2
	v_trunc_f32_e32 v8, v8
	v_mac_f32_e32 v2, 0xcf800000, v8
	v_cvt_u32_f32_e32 v8, v8
	v_cvt_u32_f32_e32 v2, v2
	v_readfirstlane_b32 s34, v8
	v_readfirstlane_b32 s22, v2
	s_mul_i32 s23, s28, s34
	s_mul_hi_u32 s36, s28, s22
	s_mul_i32 s35, s29, s22
	s_add_i32 s23, s36, s23
	s_mul_i32 s37, s28, s22
	s_add_i32 s23, s23, s35
	s_mul_i32 s36, s22, s23
	s_mul_hi_u32 s38, s22, s37
	s_mul_hi_u32 s35, s22, s23
	s_add_u32 s36, s38, s36
	s_addc_u32 s35, 0, s35
	s_mul_hi_u32 s39, s34, s37
	s_mul_i32 s37, s34, s37
	s_add_u32 s36, s36, s37
	s_mul_hi_u32 s38, s34, s23
	s_addc_u32 s35, s35, s39
	s_addc_u32 s36, s38, 0
	s_mul_i32 s23, s34, s23
	s_add_u32 s23, s35, s23
	s_addc_u32 s35, 0, s36
	s_add_u32 s36, s22, s23
	s_cselect_b64 s[22:23], -1, 0
	s_cmp_lg_u64 s[22:23], 0
	s_addc_u32 s34, s34, s35
	s_mul_i32 s22, s28, s34
	s_mul_hi_u32 s23, s28, s36
	s_add_i32 s22, s23, s22
	s_mul_i32 s29, s29, s36
	s_add_i32 s22, s22, s29
	s_mul_i32 s28, s28, s36
	s_mul_hi_u32 s29, s34, s28
	s_mul_i32 s35, s34, s28
	s_mul_i32 s38, s36, s22
	s_mul_hi_u32 s28, s36, s28
	s_mul_hi_u32 s37, s36, s22
	s_add_u32 s28, s28, s38
	s_addc_u32 s37, 0, s37
	s_add_u32 s28, s28, s35
	s_mul_hi_u32 s23, s34, s22
	s_addc_u32 s28, s37, s29
	s_addc_u32 s23, s23, 0
	s_mul_i32 s22, s34, s22
	s_add_u32 s22, s28, s22
	s_addc_u32 s28, 0, s23
	s_add_u32 s35, s36, s22
	s_cselect_b64 s[22:23], -1, 0
	s_cmp_lg_u64 s[22:23], 0
	s_addc_u32 s34, s34, s28
	s_ashr_i32 s22, s75, 31
	s_add_u32 s28, s0, s22
	s_mov_b32 s23, s22
	s_addc_u32 s29, s75, s22
	s_xor_b64 s[28:29], s[28:29], s[22:23]
	s_mul_i32 s37, s28, s34
	s_mul_hi_u32 s38, s28, s35
	s_mul_hi_u32 s36, s28, s34
	s_add_u32 s37, s38, s37
	s_addc_u32 s36, 0, s36
	s_mul_hi_u32 s39, s29, s35
	s_mul_i32 s35, s29, s35
	s_add_u32 s35, s37, s35
	s_mul_hi_u32 s38, s29, s34
	s_addc_u32 s35, s36, s39
	s_addc_u32 s36, s38, 0
	s_mul_i32 s34, s29, s34
	s_add_u32 s34, s35, s34
	s_addc_u32 s35, 0, s36
	s_mul_i32 s35, s8, s35
	s_mul_hi_u32 s36, s8, s34
	s_add_i32 s35, s36, s35
	s_mul_i32 s36, s9, s34
	s_add_i32 s38, s35, s36
	s_sub_i32 s36, s29, s38
	s_mul_i32 s34, s8, s34
	s_sub_u32 s28, s28, s34
	s_cselect_b64 s[34:35], -1, 0
	s_cmp_lg_u64 s[34:35], 0
	s_subb_u32 s39, s36, s9
	s_sub_u32 s40, s28, s8
	s_cselect_b64 s[36:37], -1, 0
	s_cmp_lg_u64 s[36:37], 0
	s_subb_u32 s41, s39, 0
	s_cmp_ge_u32 s41, s9
	s_cselect_b32 s42, -1, 0
	s_cmp_ge_u32 s40, s8
	s_cselect_b32 s43, -1, 0
	s_cmp_eq_u32 s41, s9
	s_cselect_b32 s42, s43, s42
	s_cmp_lg_u64 s[36:37], 0
	s_subb_u32 s39, s39, s9
	s_sub_u32 s43, s40, s8
	s_cselect_b64 s[36:37], -1, 0
	s_cmp_lg_u64 s[36:37], 0
	s_subb_u32 s36, s39, 0
	s_cmp_lg_u32 s42, 0
	s_cselect_b32 s37, s43, s40
	s_cselect_b32 s36, s36, s41
	s_cmp_lg_u64 s[34:35], 0
	s_subb_u32 s29, s29, s38
	s_cmp_ge_u32 s29, s9
	s_cselect_b32 s34, -1, 0
	s_cmp_ge_u32 s28, s8
	s_cselect_b32 s8, -1, 0
	s_cmp_eq_u32 s29, s9
	s_cselect_b32 s8, s8, s34
	s_cmp_lg_u32 s8, 0
	s_cselect_b32 s9, s36, s29
	s_cselect_b32 s8, s37, s28
	s_xor_b64 s[8:9], s[8:9], s[22:23]
	s_sub_u32 s8, s8, s22
	s_subb_u32 s9, s9, s22
	s_cbranch_execnz .LBB70_115
.LBB70_114:                             ;   in Loop: Header=BB70_34 Depth=1
	v_cvt_f32_u32_e32 v2, s33
	s_sub_i32 s8, 0, s33
	v_rcp_iflag_f32_e32 v2, v2
	v_mul_f32_e32 v2, 0x4f7ffffe, v2
	v_cvt_u32_f32_e32 v2, v2
	v_readfirstlane_b32 s9, v2
	s_mul_i32 s8, s8, s9
	s_mul_hi_u32 s8, s9, s8
	s_add_i32 s9, s9, s8
	s_mul_hi_u32 s8, s0, s9
	s_mul_i32 s8, s8, s33
	s_sub_i32 s8, s0, s8
	s_sub_i32 s9, s8, s33
	s_cmp_ge_u32 s8, s33
	s_cselect_b32 s8, s9, s8
	s_sub_i32 s9, s8, s33
	s_cmp_ge_u32 s8, s33
	s_cselect_b32 s64, s9, s8
	s_mov_b64 s[8:9], s[64:65]
.LBB70_115:                             ;   in Loop: Header=BB70_34 Depth=1
	s_sub_u32 s36, s0, s8
	s_subb_u32 s37, s75, s9
	v_cmp_gt_i64_e32 vcc, s[36:37], v[0:1]
	s_mov_b64 s[8:9], 0
	s_mov_b64 s[28:29], 0
                                        ; implicit-def: $vgpr52
	s_and_saveexec_b64 s[34:35], vcc
	s_cbranch_execz .LBB70_124
; %bb.116:                              ;   in Loop: Header=BB70_34 Depth=1
	v_mov_b32_e32 v8, v12
	v_mov_b32_e32 v11, v1
	;; [unrolled: 1-line block ×4, first 2 shown]
                                        ; implicit-def: $sgpr38_sgpr39
	s_branch .LBB70_119
.LBB70_117:                             ;   in Loop: Header=BB70_119 Depth=2
	s_or_b64 exec, exec, s[40:41]
	s_waitcnt lgkmcnt(0)
	s_barrier
	ds_read_b32 v2, v3 offset:3072
	s_mov_b64 s[40:41], -1
	s_mov_b64 s[42:43], -1
	s_waitcnt lgkmcnt(0)
	s_barrier
	v_and_b32_e32 v28, 0x7fff, v2
	v_cmp_ne_u32_e32 vcc, 0, v28
	s_cbranch_vccz .LBB70_122
.LBB70_118:                             ;   in Loop: Header=BB70_119 Depth=2
	s_and_b64 s[22:23], exec, s[40:41]
	s_or_b64 s[28:29], s[22:23], s[28:29]
	s_andn2_b64 s[22:23], s[38:39], exec
	s_and_b64 s[38:39], s[42:43], exec
	s_or_b64 s[38:39], s[22:23], s[38:39]
	s_andn2_b64 exec, exec, s[28:29]
	s_cbranch_execz .LBB70_123
.LBB70_119:                             ;   Parent Loop BB70_34 Depth=1
                                        ; =>  This Inner Loop Header: Depth=2
	v_cmp_gt_i64_e32 vcc, s[24:25], v[10:11]
	s_and_saveexec_b64 s[40:41], vcc
	s_cbranch_execz .LBB70_117
; %bb.120:                              ;   in Loop: Header=BB70_119 Depth=2
	global_load_ushort v2, v[8:9], off
	s_waitcnt vmcnt(0)
	v_cmp_lt_i16_e32 vcc, -1, v2
	v_cndmask_b32_e32 v28, v47, v48, vcc
	v_lshlrev_b32_e32 v29, 16, v2
	v_cmp_o_f32_e32 vcc, v29, v29
	v_xor_b32_sdwa v28, v28, v2 dst_sel:DWORD dst_unused:UNUSED_PAD src0_sel:DWORD src1_sel:WORD_0
	v_cndmask_b32_e32 v28, v47, v28, vcc
	v_and_b32_e32 v28, v28, v51
	v_cmp_eq_u32_e32 vcc, v28, v44
	s_and_b64 exec, exec, vcc
	s_cbranch_execz .LBB70_117
; %bb.121:                              ;   in Loop: Header=BB70_119 Depth=2
	v_perm_b32 v2, v2, s73, v50
	ds_write_b32 v3, v2 offset:3072
	s_branch .LBB70_117
.LBB70_122:                             ;   in Loop: Header=BB70_119 Depth=2
	v_add_co_u32_e32 v10, vcc, s33, v10
	v_addc_co_u32_e32 v11, vcc, 0, v11, vcc
	v_mov_b32_e32 v28, s69
	v_add_co_u32_e32 v8, vcc, s68, v8
	v_addc_co_u32_e32 v9, vcc, v9, v28, vcc
	v_cmp_le_i64_e32 vcc, s[36:37], v[10:11]
	s_mov_b64 s[42:43], 0
	s_orn2_b64 s[40:41], vcc, exec
	s_branch .LBB70_118
.LBB70_123:                             ;   in Loop: Header=BB70_34 Depth=1
	s_or_b64 exec, exec, s[28:29]
	v_lshrrev_b32_e32 v52, 16, v2
	s_and_b64 s[28:29], s[38:39], exec
.LBB70_124:                             ;   in Loop: Header=BB70_34 Depth=1
	s_or_b64 exec, exec, s[34:35]
.LBB70_125:                             ;   in Loop: Header=BB70_34 Depth=1
	s_and_b64 vcc, exec, s[8:9]
	s_cbranch_vccz .LBB70_139
; %bb.126:                              ;   in Loop: Header=BB70_34 Depth=1
	v_readlane_b32 s8, v56, 40
	s_add_u32 s26, s18, s8
	v_readlane_b32 s8, v56, 41
	s_addc_u32 s21, s19, s8
	s_mov_b32 s20, s65
	s_cmp_lg_u64 s[20:21], 0
	s_cbranch_scc0 .LBB70_167
; %bb.127:                              ;   in Loop: Header=BB70_34 Depth=1
	s_add_u32 s8, s33, 0
	s_addc_u32 s9, 0, 0
	s_xor_b64 s[8:9], s[8:9], 0
	v_cvt_f32_u32_e32 v2, s8
	v_cvt_f32_u32_e32 v8, s9
	s_sub_u32 s20, 0, s8
	s_subb_u32 s27, 0, s9
	v_mac_f32_e32 v2, 0x4f800000, v8
	v_rcp_f32_e32 v2, v2
	v_mul_f32_e32 v2, 0x5f7ffffc, v2
	v_mul_f32_e32 v8, 0x2f800000, v2
	v_trunc_f32_e32 v8, v8
	v_mac_f32_e32 v2, 0xcf800000, v8
	v_cvt_u32_f32_e32 v8, v8
	v_cvt_u32_f32_e32 v2, v2
	v_readfirstlane_b32 s34, v8
	v_readfirstlane_b32 s22, v2
	s_mul_i32 s23, s20, s34
	s_mul_hi_u32 s36, s20, s22
	s_mul_i32 s35, s27, s22
	s_add_i32 s23, s36, s23
	s_mul_i32 s37, s20, s22
	s_add_i32 s23, s23, s35
	s_mul_i32 s36, s22, s23
	s_mul_hi_u32 s38, s22, s37
	s_mul_hi_u32 s35, s22, s23
	s_add_u32 s36, s38, s36
	s_addc_u32 s35, 0, s35
	s_mul_hi_u32 s39, s34, s37
	s_mul_i32 s37, s34, s37
	s_add_u32 s36, s36, s37
	s_mul_hi_u32 s38, s34, s23
	s_addc_u32 s35, s35, s39
	s_addc_u32 s36, s38, 0
	s_mul_i32 s23, s34, s23
	s_add_u32 s23, s35, s23
	s_addc_u32 s35, 0, s36
	s_add_u32 s36, s22, s23
	s_cselect_b64 s[22:23], -1, 0
	s_cmp_lg_u64 s[22:23], 0
	s_addc_u32 s34, s34, s35
	s_mul_i32 s22, s20, s34
	s_mul_hi_u32 s23, s20, s36
	s_add_i32 s22, s23, s22
	s_mul_i32 s27, s27, s36
	s_add_i32 s22, s22, s27
	s_mul_i32 s20, s20, s36
	s_mul_hi_u32 s27, s34, s20
	s_mul_i32 s35, s34, s20
	s_mul_i32 s38, s36, s22
	s_mul_hi_u32 s20, s36, s20
	s_mul_hi_u32 s37, s36, s22
	s_add_u32 s20, s20, s38
	s_addc_u32 s37, 0, s37
	s_add_u32 s20, s20, s35
	s_mul_hi_u32 s23, s34, s22
	s_addc_u32 s20, s37, s27
	s_addc_u32 s23, s23, 0
	s_mul_i32 s22, s34, s22
	s_add_u32 s20, s20, s22
	s_addc_u32 s27, 0, s23
	s_add_u32 s20, s36, s20
	s_cselect_b64 s[22:23], -1, 0
	s_cmp_lg_u64 s[22:23], 0
	s_addc_u32 s27, s34, s27
	s_ashr_i32 s22, s21, 31
	s_add_u32 s34, s26, s22
	s_mov_b32 s23, s22
	s_addc_u32 s35, s21, s22
	s_xor_b64 s[34:35], s[34:35], s[22:23]
	s_mul_i32 s37, s34, s27
	s_mul_hi_u32 s38, s34, s20
	s_mul_hi_u32 s36, s34, s27
	s_add_u32 s37, s38, s37
	s_addc_u32 s36, 0, s36
	s_mul_hi_u32 s39, s35, s20
	s_mul_i32 s20, s35, s20
	s_add_u32 s20, s37, s20
	s_mul_hi_u32 s38, s35, s27
	s_addc_u32 s20, s36, s39
	s_addc_u32 s36, s38, 0
	s_mul_i32 s27, s35, s27
	s_add_u32 s20, s20, s27
	s_addc_u32 s27, 0, s36
	s_mul_i32 s27, s8, s27
	s_mul_hi_u32 s36, s8, s20
	s_add_i32 s27, s36, s27
	s_mul_i32 s36, s9, s20
	s_add_i32 s27, s27, s36
	s_sub_i32 s38, s35, s27
	s_mul_i32 s20, s8, s20
	s_sub_u32 s20, s34, s20
	s_cselect_b64 s[36:37], -1, 0
	s_cmp_lg_u64 s[36:37], 0
	s_subb_u32 s34, s38, s9
	s_sub_u32 s40, s20, s8
	s_cselect_b64 s[38:39], -1, 0
	s_cmp_lg_u64 s[38:39], 0
	s_subb_u32 s41, s34, 0
	s_cmp_ge_u32 s41, s9
	s_cselect_b32 s42, -1, 0
	s_cmp_ge_u32 s40, s8
	s_cselect_b32 s43, -1, 0
	s_cmp_eq_u32 s41, s9
	s_cselect_b32 s42, s43, s42
	s_cmp_lg_u64 s[38:39], 0
	s_subb_u32 s34, s34, s9
	s_sub_u32 s43, s40, s8
	s_cselect_b64 s[38:39], -1, 0
	s_cmp_lg_u64 s[38:39], 0
	s_subb_u32 s34, s34, 0
	s_cmp_lg_u32 s42, 0
	s_cselect_b32 s38, s43, s40
	s_cselect_b32 s34, s34, s41
	s_cmp_lg_u64 s[36:37], 0
	s_subb_u32 s27, s35, s27
	s_cmp_ge_u32 s27, s9
	s_cselect_b32 s35, -1, 0
	s_cmp_ge_u32 s20, s8
	s_cselect_b32 s8, -1, 0
	s_cmp_eq_u32 s27, s9
	s_cselect_b32 s8, s8, s35
	s_cmp_lg_u32 s8, 0
	s_cselect_b32 s9, s34, s27
	s_cselect_b32 s8, s38, s20
	s_xor_b64 s[8:9], s[8:9], s[22:23]
	s_sub_u32 s8, s8, s22
	s_subb_u32 s9, s9, s22
	s_cbranch_execnz .LBB70_129
.LBB70_128:                             ;   in Loop: Header=BB70_34 Depth=1
	v_cvt_f32_u32_e32 v2, s33
	s_sub_i32 s8, 0, s33
	v_rcp_iflag_f32_e32 v2, v2
	v_mul_f32_e32 v2, 0x4f7ffffe, v2
	v_cvt_u32_f32_e32 v2, v2
	v_readfirstlane_b32 s9, v2
	s_mul_i32 s8, s8, s9
	s_mul_hi_u32 s8, s9, s8
	s_add_i32 s9, s9, s8
	s_mul_hi_u32 s8, s26, s9
	s_mul_i32 s8, s8, s33
	s_sub_i32 s8, s26, s8
	s_sub_i32 s9, s8, s33
	s_cmp_ge_u32 s8, s33
	s_cselect_b32 s8, s9, s8
	s_sub_i32 s9, s8, s33
	s_cmp_ge_u32 s8, s33
	s_cselect_b32 s64, s9, s8
	s_mov_b64 s[8:9], s[64:65]
.LBB70_129:                             ;   in Loop: Header=BB70_34 Depth=1
	s_sub_u32 s20, s26, s8
	s_subb_u32 s21, s21, s9
	v_cmp_gt_i64_e32 vcc, s[20:21], v[0:1]
                                        ; implicit-def: $vgpr52
	s_and_saveexec_b64 s[8:9], vcc
	s_cbranch_execz .LBB70_138
; %bb.130:                              ;   in Loop: Header=BB70_34 Depth=1
	v_mov_b32_e32 v9, v1
	s_mov_b64 s[26:27], 0
	v_mov_b32_e32 v2, v45
	v_mov_b32_e32 v8, v0
                                        ; implicit-def: $sgpr34_sgpr35
	s_branch .LBB70_133
.LBB70_131:                             ;   in Loop: Header=BB70_133 Depth=2
	s_or_b64 exec, exec, s[36:37]
	s_waitcnt lgkmcnt(0)
	s_barrier
	ds_read_b32 v10, v3 offset:3072
	s_mov_b64 s[36:37], -1
	s_mov_b64 s[38:39], -1
	s_waitcnt lgkmcnt(0)
	s_barrier
	v_and_b32_e32 v11, 0x7fff, v10
	v_cmp_ne_u32_e32 vcc, 0, v11
	s_cbranch_vccz .LBB70_136
.LBB70_132:                             ;   in Loop: Header=BB70_133 Depth=2
	s_and_b64 s[22:23], exec, s[36:37]
	s_or_b64 s[26:27], s[22:23], s[26:27]
	s_andn2_b64 s[22:23], s[34:35], exec
	s_and_b64 s[34:35], s[38:39], exec
	s_or_b64 s[34:35], s[22:23], s[34:35]
	s_andn2_b64 exec, exec, s[26:27]
	s_cbranch_execz .LBB70_137
.LBB70_133:                             ;   Parent Loop BB70_34 Depth=1
                                        ; =>  This Inner Loop Header: Depth=2
	v_cmp_gt_u64_e32 vcc, s[18:19], v[8:9]
	s_and_saveexec_b64 s[36:37], vcc
	s_cbranch_execz .LBB70_131
; %bb.134:                              ;   in Loop: Header=BB70_133 Depth=2
	ds_read_u16 v10, v2
	s_waitcnt lgkmcnt(0)
	v_cmp_lt_i16_e32 vcc, -1, v10
	v_cndmask_b32_e32 v11, v47, v48, vcc
	v_lshlrev_b32_e32 v28, 16, v10
	v_cmp_o_f32_e32 vcc, v28, v28
	v_xor_b32_sdwa v11, v11, v10 dst_sel:DWORD dst_unused:UNUSED_PAD src0_sel:DWORD src1_sel:WORD_0
	v_cndmask_b32_e32 v11, v47, v11, vcc
	v_and_b32_e32 v11, v11, v51
	v_cmp_eq_u32_e32 vcc, v11, v44
	s_and_b64 exec, exec, vcc
	s_cbranch_execz .LBB70_131
; %bb.135:                              ;   in Loop: Header=BB70_133 Depth=2
	v_perm_b32 v10, v10, s73, v50
	ds_write_b32 v3, v10 offset:3072
	s_branch .LBB70_131
.LBB70_136:                             ;   in Loop: Header=BB70_133 Depth=2
	v_add_co_u32_e32 v8, vcc, s33, v8
	v_addc_co_u32_e32 v9, vcc, 0, v9, vcc
	v_cmp_le_i64_e32 vcc, s[20:21], v[8:9]
	v_add_u32_e32 v2, s72, v2
	s_mov_b64 s[38:39], 0
	s_orn2_b64 s[36:37], vcc, exec
	s_branch .LBB70_132
.LBB70_137:                             ;   in Loop: Header=BB70_34 Depth=1
	s_or_b64 exec, exec, s[26:27]
	s_andn2_b64 s[18:19], s[28:29], exec
	s_and_b64 s[20:21], s[34:35], exec
	v_lshrrev_b32_e32 v52, 16, v10
	s_or_b64 s[28:29], s[18:19], s[20:21]
.LBB70_138:                             ;   in Loop: Header=BB70_34 Depth=1
	s_or_b64 exec, exec, s[8:9]
	s_mov_b64 s[20:21], 0
	s_mov_b64 s[26:27], -1
.LBB70_139:                             ;   in Loop: Header=BB70_34 Depth=1
	s_orn2_b64 s[8:9], s[28:29], exec
.LBB70_140:                             ;   in Loop: Header=BB70_34 Depth=1
	s_or_b64 exec, exec, s[14:15]
	s_andn2_b64 s[14:15], s[56:57], exec
	s_and_b64 s[18:19], s[26:27], exec
	s_or_b64 s[56:57], s[14:15], s[18:19]
	s_andn2_b64 s[14:15], s[60:61], exec
	s_and_b64 s[18:19], s[20:21], exec
	s_andn2_b64 s[58:59], s[58:59], exec
	s_or_b64 s[60:61], s[14:15], s[18:19]
                                        ; implicit-def: $vgpr8_vgpr9
	s_and_saveexec_b64 s[18:19], s[8:9]
	s_cbranch_execz .LBB70_33
; %bb.141:                              ;   in Loop: Header=BB70_34 Depth=1
	v_mov_b32_e32 v8, 1
	s_xor_b64 s[8:9], s[6:7], -1
	v_mov_b32_e32 v2, 1
	v_mov_b32_e32 v9, 0
	s_mov_b64 s[6:7], 0
	s_and_saveexec_b64 s[4:5], s[8:9]
	s_cbranch_execz .LBB70_150
; %bb.142:                              ;   in Loop: Header=BB70_34 Depth=1
	v_cmp_le_i64_e32 vcc, v[26:27], v[4:5]
	s_and_saveexec_b64 s[6:7], vcc
	s_xor_b64 s[6:7], exec, s[6:7]
	s_cbranch_execz .LBB70_147
; %bb.143:                              ;   in Loop: Header=BB70_34 Depth=1
	ds_read_b64 v[8:9], v3 offset:5120
	v_and_b32_e32 v44, s79, v44
	v_or_b32_e32 v51, s78, v51
	s_waitcnt lgkmcnt(0)
	v_cmp_ne_u64_e32 vcc, 0, v[8:9]
	s_cbranch_vccnz .LBB70_147
; %bb.144:                              ;   in Loop: Header=BB70_34 Depth=1
	s_mov_b64 s[8:9], exec
	v_readlane_b32 s14, v56, 32
	v_readlane_b32 s15, v56, 33
	s_and_b64 s[14:15], s[8:9], s[14:15]
	s_mov_b64 exec, s[14:15]
; %bb.145:                              ;   in Loop: Header=BB70_34 Depth=1
	ds_write_b64 v3, v[4:5] offset:5128
; %bb.146:                              ;   in Loop: Header=BB70_34 Depth=1
	s_or_b64 exec, exec, s[8:9]
	s_waitcnt lgkmcnt(0)
	s_barrier
.LBB70_147:                             ;   in Loop: Header=BB70_34 Depth=1
	s_or_saveexec_b64 s[6:7], s[6:7]
	s_mov_b64 s[8:9], 0
	v_mov_b32_e32 v2, 8
	s_xor_b64 exec, exec, s[6:7]
; %bb.148:                              ;   in Loop: Header=BB70_34 Depth=1
	v_sub_co_u32_e32 v26, vcc, v26, v4
	v_subb_co_u32_e32 v27, vcc, v27, v5, vcc
	v_mov_b32_e32 v2, 0
	s_mov_b64 s[8:9], exec
; %bb.149:                              ;   in Loop: Header=BB70_34 Depth=1
	s_or_b64 exec, exec, s[6:7]
	v_mov_b32_e32 v8, v26
	s_and_b64 s[6:7], s[8:9], exec
	v_mov_b32_e32 v9, v27
.LBB70_150:                             ;   in Loop: Header=BB70_34 Depth=1
	s_or_b64 exec, exec, s[4:5]
	s_mov_b64 s[20:21], -1
	s_mov_b64 s[4:5], -1
                                        ; implicit-def: $sgpr14_sgpr15
                                        ; implicit-def: $sgpr44_sgpr45
	s_and_saveexec_b64 s[8:9], s[6:7]
	s_xor_b64 s[26:27], exec, s[8:9]
	s_cbranch_execz .LBB70_292
; %bb.151:                              ;   in Loop: Header=BB70_34 Depth=1
	v_cmp_eq_u64_e32 vcc, 1, v[6:7]
	v_cmp_eq_u64_e64 s[14:15], 1, v[8:9]
	s_mov_b64 s[8:9], -1
	s_and_b64 s[4:5], vcc, s[14:15]
                                        ; implicit-def: $sgpr44_sgpr45
                                        ; implicit-def: $sgpr14_sgpr15
	s_and_saveexec_b64 s[6:7], s[4:5]
	s_cbranch_execz .LBB70_185
; %bb.152:                              ;   in Loop: Header=BB70_34 Depth=1
	ds_read_b64 v[4:5], v3 offset:5120
	s_waitcnt lgkmcnt(0)
	s_barrier
	v_readfirstlane_b32 s34, v4
	v_readfirstlane_b32 s35, v5
	s_and_saveexec_b64 s[8:9], s[12:13]
; %bb.153:                              ;   in Loop: Header=BB70_34 Depth=1
	ds_write_b16 v46, v3
; %bb.154:                              ;   in Loop: Header=BB70_34 Depth=1
	s_or_b64 exec, exec, s[8:9]
	v_cmp_gt_i64_e64 s[8:9], s[34:35], 0
	v_and_b32_e32 v4, s79, v44
	v_lshl_or_b32 v44, 1, s82, v4
	v_or_b32_e32 v51, s78, v51
	s_mov_b64 s[14:15], -1
	s_mov_b64 s[44:45], 0
	s_and_b64 vcc, exec, s[8:9]
	s_mov_b64 s[28:29], 0
	s_mov_b64 s[46:47], -1
	s_waitcnt lgkmcnt(0)
	s_barrier
                                        ; implicit-def: $vgpr52
	s_cbranch_vccnz .LBB70_170
; %bb.155:                              ;   in Loop: Header=BB70_34 Depth=1
	s_mov_b32 s74, s65
	s_cmp_lg_u64 s[74:75], 0
	s_cbranch_scc0 .LBB70_212
; %bb.156:                              ;   in Loop: Header=BB70_34 Depth=1
	s_add_u32 s8, s33, 0
	s_addc_u32 s9, 0, 0
	s_xor_b64 s[8:9], s[8:9], 0
	v_cvt_f32_u32_e32 v4, s8
	v_cvt_f32_u32_e32 v5, s9
	s_sub_u32 s28, 0, s8
	s_subb_u32 s29, 0, s9
	v_mac_f32_e32 v4, 0x4f800000, v5
	v_rcp_f32_e32 v4, v4
	v_mul_f32_e32 v4, 0x5f7ffffc, v4
	v_mul_f32_e32 v5, 0x2f800000, v4
	v_trunc_f32_e32 v5, v5
	v_mac_f32_e32 v4, 0xcf800000, v5
	v_cvt_u32_f32_e32 v5, v5
	v_cvt_u32_f32_e32 v4, v4
	v_readfirstlane_b32 s36, v5
	v_readfirstlane_b32 s22, v4
	s_mul_i32 s23, s28, s36
	s_mul_hi_u32 s38, s28, s22
	s_mul_i32 s37, s29, s22
	s_add_i32 s23, s38, s23
	s_mul_i32 s39, s28, s22
	s_add_i32 s23, s23, s37
	s_mul_i32 s38, s22, s23
	s_mul_hi_u32 s40, s22, s39
	s_mul_hi_u32 s37, s22, s23
	s_add_u32 s38, s40, s38
	s_addc_u32 s37, 0, s37
	s_mul_hi_u32 s41, s36, s39
	s_mul_i32 s39, s36, s39
	s_add_u32 s38, s38, s39
	s_mul_hi_u32 s40, s36, s23
	s_addc_u32 s37, s37, s41
	s_addc_u32 s38, s40, 0
	s_mul_i32 s23, s36, s23
	s_add_u32 s23, s37, s23
	s_addc_u32 s37, 0, s38
	s_add_u32 s38, s22, s23
	s_cselect_b64 s[22:23], -1, 0
	s_cmp_lg_u64 s[22:23], 0
	s_addc_u32 s36, s36, s37
	s_mul_i32 s22, s28, s36
	s_mul_hi_u32 s23, s28, s38
	s_add_i32 s22, s23, s22
	s_mul_i32 s29, s29, s38
	s_add_i32 s22, s22, s29
	s_mul_i32 s28, s28, s38
	s_mul_hi_u32 s29, s36, s28
	s_mul_i32 s37, s36, s28
	s_mul_i32 s40, s38, s22
	s_mul_hi_u32 s28, s38, s28
	s_mul_hi_u32 s39, s38, s22
	s_add_u32 s28, s28, s40
	s_addc_u32 s39, 0, s39
	s_add_u32 s28, s28, s37
	s_mul_hi_u32 s23, s36, s22
	s_addc_u32 s28, s39, s29
	s_addc_u32 s23, s23, 0
	s_mul_i32 s22, s36, s22
	s_add_u32 s22, s28, s22
	s_addc_u32 s28, 0, s23
	s_add_u32 s37, s38, s22
	s_cselect_b64 s[22:23], -1, 0
	s_cmp_lg_u64 s[22:23], 0
	s_addc_u32 s36, s36, s28
	s_ashr_i32 s22, s75, 31
	s_add_u32 s28, s0, s22
	s_mov_b32 s23, s22
	s_addc_u32 s29, s75, s22
	s_xor_b64 s[28:29], s[28:29], s[22:23]
	s_mul_i32 s39, s28, s36
	s_mul_hi_u32 s40, s28, s37
	s_mul_hi_u32 s38, s28, s36
	s_add_u32 s39, s40, s39
	s_addc_u32 s38, 0, s38
	s_mul_hi_u32 s41, s29, s37
	s_mul_i32 s37, s29, s37
	s_add_u32 s37, s39, s37
	s_mul_hi_u32 s40, s29, s36
	s_addc_u32 s37, s38, s41
	s_addc_u32 s38, s40, 0
	s_mul_i32 s36, s29, s36
	s_add_u32 s36, s37, s36
	s_addc_u32 s37, 0, s38
	s_mul_i32 s37, s8, s37
	s_mul_hi_u32 s38, s8, s36
	s_add_i32 s37, s38, s37
	s_mul_i32 s38, s9, s36
	s_add_i32 s40, s37, s38
	s_sub_i32 s38, s29, s40
	s_mul_i32 s36, s8, s36
	s_sub_u32 s28, s28, s36
	s_cselect_b64 s[36:37], -1, 0
	s_cmp_lg_u64 s[36:37], 0
	s_subb_u32 s41, s38, s9
	s_sub_u32 s42, s28, s8
	s_cselect_b64 s[38:39], -1, 0
	s_cmp_lg_u64 s[38:39], 0
	s_subb_u32 s43, s41, 0
	s_cmp_ge_u32 s43, s9
	s_cselect_b32 s46, -1, 0
	s_cmp_ge_u32 s42, s8
	s_cselect_b32 s47, -1, 0
	s_cmp_eq_u32 s43, s9
	s_cselect_b32 s46, s47, s46
	s_cmp_lg_u64 s[38:39], 0
	s_subb_u32 s41, s41, s9
	s_sub_u32 s47, s42, s8
	s_cselect_b64 s[38:39], -1, 0
	s_cmp_lg_u64 s[38:39], 0
	s_subb_u32 s38, s41, 0
	s_cmp_lg_u32 s46, 0
	s_cselect_b32 s39, s47, s42
	s_cselect_b32 s38, s38, s43
	s_cmp_lg_u64 s[36:37], 0
	s_subb_u32 s29, s29, s40
	s_cmp_ge_u32 s29, s9
	s_cselect_b32 s36, -1, 0
	s_cmp_ge_u32 s28, s8
	s_cselect_b32 s8, -1, 0
	s_cmp_eq_u32 s29, s9
	s_cselect_b32 s8, s8, s36
	s_cmp_lg_u32 s8, 0
	s_cselect_b32 s9, s38, s29
	s_cselect_b32 s8, s39, s28
	s_xor_b64 s[8:9], s[8:9], s[22:23]
	s_sub_u32 s8, s8, s22
	s_subb_u32 s9, s9, s22
	s_cbranch_execnz .LBB70_158
.LBB70_157:                             ;   in Loop: Header=BB70_34 Depth=1
	v_cvt_f32_u32_e32 v4, s33
	s_sub_i32 s8, 0, s33
	v_rcp_iflag_f32_e32 v4, v4
	v_mul_f32_e32 v4, 0x4f7ffffe, v4
	v_cvt_u32_f32_e32 v4, v4
	v_readfirstlane_b32 s9, v4
	s_mul_i32 s8, s8, s9
	s_mul_hi_u32 s8, s9, s8
	s_add_i32 s9, s9, s8
	s_mul_hi_u32 s8, s0, s9
	s_mul_i32 s8, s8, s33
	s_sub_i32 s8, s0, s8
	s_sub_i32 s9, s8, s33
	s_cmp_ge_u32 s8, s33
	s_cselect_b32 s8, s9, s8
	s_sub_i32 s9, s8, s33
	s_cmp_ge_u32 s8, s33
	s_cselect_b32 s64, s9, s8
	s_mov_b64 s[8:9], s[64:65]
.LBB70_158:                             ;   in Loop: Header=BB70_34 Depth=1
	s_sub_u32 s36, s0, s8
	s_subb_u32 s37, s75, s9
	v_cmp_gt_i64_e32 vcc, s[36:37], v[0:1]
	s_mov_b64 s[46:47], 0
	s_mov_b64 s[28:29], 0
                                        ; implicit-def: $vgpr52
	s_and_saveexec_b64 s[8:9], vcc
	s_cbranch_execz .LBB70_169
; %bb.159:                              ;   in Loop: Header=BB70_34 Depth=1
	v_mov_b32_e32 v4, v12
	v_mov_b32_e32 v11, v1
	;; [unrolled: 1-line block ×4, first 2 shown]
                                        ; implicit-def: $sgpr38_sgpr39
	s_branch .LBB70_162
.LBB70_160:                             ;   in Loop: Header=BB70_162 Depth=2
	s_or_b64 exec, exec, s[40:41]
	s_waitcnt lgkmcnt(0)
	s_barrier
	ds_read_b32 v26, v3 offset:3072
	s_mov_b64 s[40:41], -1
	s_mov_b64 s[42:43], -1
	s_waitcnt lgkmcnt(0)
	s_barrier
	v_and_b32_e32 v27, 0x7fff, v26
	v_cmp_ne_u32_e32 vcc, 0, v27
	s_cbranch_vccz .LBB70_165
.LBB70_161:                             ;   in Loop: Header=BB70_162 Depth=2
	s_and_b64 s[22:23], exec, s[40:41]
	s_or_b64 s[28:29], s[22:23], s[28:29]
	s_andn2_b64 s[22:23], s[38:39], exec
	s_and_b64 s[38:39], s[42:43], exec
	s_or_b64 s[38:39], s[22:23], s[38:39]
	s_andn2_b64 exec, exec, s[28:29]
	s_cbranch_execz .LBB70_168
.LBB70_162:                             ;   Parent Loop BB70_34 Depth=1
                                        ; =>  This Inner Loop Header: Depth=2
	v_cmp_gt_i64_e32 vcc, s[24:25], v[10:11]
	s_and_saveexec_b64 s[40:41], vcc
	s_cbranch_execz .LBB70_160
; %bb.163:                              ;   in Loop: Header=BB70_162 Depth=2
	global_load_ushort v26, v[4:5], off
	s_waitcnt vmcnt(0)
	v_cmp_lt_i16_e32 vcc, -1, v26
	v_cndmask_b32_e32 v27, v47, v48, vcc
	v_lshlrev_b32_e32 v28, 16, v26
	v_cmp_o_f32_e32 vcc, v28, v28
	v_xor_b32_sdwa v27, v27, v26 dst_sel:DWORD dst_unused:UNUSED_PAD src0_sel:DWORD src1_sel:WORD_0
	v_cndmask_b32_e32 v27, v47, v27, vcc
	v_and_b32_e32 v27, v27, v51
	v_cmp_eq_u32_e32 vcc, v27, v44
	s_and_b64 exec, exec, vcc
	s_cbranch_execz .LBB70_160
; %bb.164:                              ;   in Loop: Header=BB70_162 Depth=2
	v_perm_b32 v26, v26, s73, v50
	ds_write_b32 v3, v26 offset:3072
	s_branch .LBB70_160
.LBB70_165:                             ;   in Loop: Header=BB70_162 Depth=2
	v_add_co_u32_e32 v10, vcc, s33, v10
	v_addc_co_u32_e32 v11, vcc, 0, v11, vcc
	v_mov_b32_e32 v27, s69
	v_add_co_u32_e32 v4, vcc, s68, v4
	v_addc_co_u32_e32 v5, vcc, v5, v27, vcc
	v_cmp_le_i64_e32 vcc, s[36:37], v[10:11]
	s_mov_b64 s[42:43], 0
	s_orn2_b64 s[40:41], vcc, exec
	s_branch .LBB70_161
.LBB70_166:                             ;   in Loop: Header=BB70_34 Depth=1
                                        ; implicit-def: $sgpr8_sgpr9
	s_branch .LBB70_114
.LBB70_167:                             ;   in Loop: Header=BB70_34 Depth=1
                                        ; implicit-def: $sgpr8_sgpr9
	s_branch .LBB70_128
.LBB70_168:                             ;   in Loop: Header=BB70_34 Depth=1
	s_or_b64 exec, exec, s[28:29]
	v_lshrrev_b32_e32 v52, 16, v26
	s_and_b64 s[28:29], s[38:39], exec
.LBB70_169:                             ;   in Loop: Header=BB70_34 Depth=1
	s_or_b64 exec, exec, s[8:9]
.LBB70_170:                             ;   in Loop: Header=BB70_34 Depth=1
	s_and_b64 vcc, exec, s[46:47]
	s_cbranch_vccz .LBB70_184
; %bb.171:                              ;   in Loop: Header=BB70_34 Depth=1
	v_readlane_b32 s8, v56, 40
	s_add_u32 s36, s34, s8
	v_readlane_b32 s8, v56, 41
	s_addc_u32 s15, s35, s8
	s_mov_b32 s14, s65
	s_cmp_lg_u64 s[14:15], 0
	s_cbranch_scc0 .LBB70_213
; %bb.172:                              ;   in Loop: Header=BB70_34 Depth=1
	s_add_u32 s8, s33, 0
	s_addc_u32 s9, 0, 0
	s_xor_b64 s[8:9], s[8:9], 0
	v_cvt_f32_u32_e32 v4, s8
	v_cvt_f32_u32_e32 v5, s9
	s_sub_u32 s14, 0, s8
	s_subb_u32 s37, 0, s9
	v_mac_f32_e32 v4, 0x4f800000, v5
	v_rcp_f32_e32 v4, v4
	v_mul_f32_e32 v4, 0x5f7ffffc, v4
	v_mul_f32_e32 v5, 0x2f800000, v4
	v_trunc_f32_e32 v5, v5
	v_mac_f32_e32 v4, 0xcf800000, v5
	v_cvt_u32_f32_e32 v5, v5
	v_cvt_u32_f32_e32 v4, v4
	v_readfirstlane_b32 s38, v5
	v_readfirstlane_b32 s22, v4
	s_mul_i32 s23, s14, s38
	s_mul_hi_u32 s40, s14, s22
	s_mul_i32 s39, s37, s22
	s_add_i32 s23, s40, s23
	s_mul_i32 s41, s14, s22
	s_add_i32 s23, s23, s39
	s_mul_i32 s40, s22, s23
	s_mul_hi_u32 s42, s22, s41
	s_mul_hi_u32 s39, s22, s23
	s_add_u32 s40, s42, s40
	s_addc_u32 s39, 0, s39
	s_mul_hi_u32 s43, s38, s41
	s_mul_i32 s41, s38, s41
	s_add_u32 s40, s40, s41
	s_mul_hi_u32 s42, s38, s23
	s_addc_u32 s39, s39, s43
	s_addc_u32 s40, s42, 0
	s_mul_i32 s23, s38, s23
	s_add_u32 s23, s39, s23
	s_addc_u32 s39, 0, s40
	s_add_u32 s40, s22, s23
	s_cselect_b64 s[22:23], -1, 0
	s_cmp_lg_u64 s[22:23], 0
	s_addc_u32 s38, s38, s39
	s_mul_i32 s22, s14, s38
	s_mul_hi_u32 s23, s14, s40
	s_add_i32 s22, s23, s22
	s_mul_i32 s37, s37, s40
	s_add_i32 s22, s22, s37
	s_mul_i32 s14, s14, s40
	s_mul_hi_u32 s37, s38, s14
	s_mul_i32 s39, s38, s14
	s_mul_i32 s42, s40, s22
	s_mul_hi_u32 s14, s40, s14
	s_mul_hi_u32 s41, s40, s22
	s_add_u32 s14, s14, s42
	s_addc_u32 s41, 0, s41
	s_add_u32 s14, s14, s39
	s_mul_hi_u32 s23, s38, s22
	s_addc_u32 s14, s41, s37
	s_addc_u32 s23, s23, 0
	s_mul_i32 s22, s38, s22
	s_add_u32 s14, s14, s22
	s_addc_u32 s37, 0, s23
	s_add_u32 s14, s40, s14
	s_cselect_b64 s[22:23], -1, 0
	s_cmp_lg_u64 s[22:23], 0
	s_addc_u32 s37, s38, s37
	s_ashr_i32 s22, s15, 31
	s_add_u32 s38, s36, s22
	s_mov_b32 s23, s22
	s_addc_u32 s39, s15, s22
	s_xor_b64 s[38:39], s[38:39], s[22:23]
	s_mul_i32 s41, s38, s37
	s_mul_hi_u32 s42, s38, s14
	s_mul_hi_u32 s40, s38, s37
	s_add_u32 s41, s42, s41
	s_addc_u32 s40, 0, s40
	s_mul_hi_u32 s43, s39, s14
	s_mul_i32 s14, s39, s14
	s_add_u32 s14, s41, s14
	s_mul_hi_u32 s42, s39, s37
	s_addc_u32 s14, s40, s43
	s_addc_u32 s40, s42, 0
	s_mul_i32 s37, s39, s37
	s_add_u32 s14, s14, s37
	s_addc_u32 s37, 0, s40
	s_mul_i32 s37, s8, s37
	s_mul_hi_u32 s40, s8, s14
	s_add_i32 s37, s40, s37
	s_mul_i32 s40, s9, s14
	s_add_i32 s37, s37, s40
	s_sub_i32 s42, s39, s37
	s_mul_i32 s14, s8, s14
	s_sub_u32 s14, s38, s14
	s_cselect_b64 s[40:41], -1, 0
	s_cmp_lg_u64 s[40:41], 0
	s_subb_u32 s38, s42, s9
	s_sub_u32 s44, s14, s8
	s_cselect_b64 s[42:43], -1, 0
	s_cmp_lg_u64 s[42:43], 0
	s_subb_u32 s45, s38, 0
	s_cmp_ge_u32 s45, s9
	s_cselect_b32 s46, -1, 0
	s_cmp_ge_u32 s44, s8
	s_cselect_b32 s47, -1, 0
	s_cmp_eq_u32 s45, s9
	s_cselect_b32 s46, s47, s46
	s_cmp_lg_u64 s[42:43], 0
	s_subb_u32 s38, s38, s9
	s_sub_u32 s47, s44, s8
	s_cselect_b64 s[42:43], -1, 0
	s_cmp_lg_u64 s[42:43], 0
	s_subb_u32 s38, s38, 0
	s_cmp_lg_u32 s46, 0
	s_cselect_b32 s42, s47, s44
	s_cselect_b32 s38, s38, s45
	s_cmp_lg_u64 s[40:41], 0
	s_subb_u32 s37, s39, s37
	s_cmp_ge_u32 s37, s9
	s_cselect_b32 s39, -1, 0
	s_cmp_ge_u32 s14, s8
	s_cselect_b32 s8, -1, 0
	s_cmp_eq_u32 s37, s9
	s_cselect_b32 s8, s8, s39
	s_cmp_lg_u32 s8, 0
	s_cselect_b32 s9, s38, s37
	s_cselect_b32 s8, s42, s14
	s_xor_b64 s[8:9], s[8:9], s[22:23]
	s_sub_u32 s8, s8, s22
	s_subb_u32 s9, s9, s22
	s_cbranch_execnz .LBB70_174
.LBB70_173:                             ;   in Loop: Header=BB70_34 Depth=1
	v_cvt_f32_u32_e32 v4, s33
	s_sub_i32 s8, 0, s33
	v_rcp_iflag_f32_e32 v4, v4
	v_mul_f32_e32 v4, 0x4f7ffffe, v4
	v_cvt_u32_f32_e32 v4, v4
	v_readfirstlane_b32 s9, v4
	s_mul_i32 s8, s8, s9
	s_mul_hi_u32 s8, s9, s8
	s_add_i32 s9, s9, s8
	s_mul_hi_u32 s8, s36, s9
	s_mul_i32 s8, s8, s33
	s_sub_i32 s8, s36, s8
	s_sub_i32 s9, s8, s33
	s_cmp_ge_u32 s8, s33
	s_cselect_b32 s8, s9, s8
	s_sub_i32 s9, s8, s33
	s_cmp_ge_u32 s8, s33
	s_cselect_b32 s64, s9, s8
	s_mov_b64 s[8:9], s[64:65]
.LBB70_174:                             ;   in Loop: Header=BB70_34 Depth=1
	s_sub_u32 s14, s36, s8
	s_subb_u32 s15, s15, s9
	v_cmp_gt_i64_e32 vcc, s[14:15], v[0:1]
                                        ; implicit-def: $vgpr52
	s_and_saveexec_b64 s[8:9], vcc
	s_cbranch_execz .LBB70_183
; %bb.175:                              ;   in Loop: Header=BB70_34 Depth=1
	v_mov_b32_e32 v5, v1
	s_mov_b64 s[36:37], 0
	v_mov_b32_e32 v10, v45
	v_mov_b32_e32 v4, v0
                                        ; implicit-def: $sgpr38_sgpr39
	s_branch .LBB70_178
.LBB70_176:                             ;   in Loop: Header=BB70_178 Depth=2
	s_or_b64 exec, exec, s[40:41]
	s_waitcnt lgkmcnt(0)
	s_barrier
	ds_read_b32 v11, v3 offset:3072
	s_mov_b64 s[40:41], -1
	s_mov_b64 s[42:43], -1
	s_waitcnt lgkmcnt(0)
	s_barrier
	v_and_b32_e32 v26, 0x7fff, v11
	v_cmp_eq_u32_e32 vcc, 0, v26
	s_cbranch_vccnz .LBB70_181
.LBB70_177:                             ;   in Loop: Header=BB70_178 Depth=2
	s_and_b64 s[22:23], exec, s[40:41]
	s_or_b64 s[36:37], s[22:23], s[36:37]
	s_andn2_b64 s[22:23], s[38:39], exec
	s_and_b64 s[38:39], s[42:43], exec
	s_or_b64 s[38:39], s[22:23], s[38:39]
	s_andn2_b64 exec, exec, s[36:37]
	s_cbranch_execz .LBB70_182
.LBB70_178:                             ;   Parent Loop BB70_34 Depth=1
                                        ; =>  This Inner Loop Header: Depth=2
	v_cmp_gt_u64_e32 vcc, s[34:35], v[4:5]
	s_and_saveexec_b64 s[40:41], vcc
	s_cbranch_execz .LBB70_176
; %bb.179:                              ;   in Loop: Header=BB70_178 Depth=2
	ds_read_u16 v11, v10
	s_waitcnt lgkmcnt(0)
	v_cmp_lt_i16_e32 vcc, -1, v11
	v_cndmask_b32_e32 v26, v47, v48, vcc
	v_lshlrev_b32_e32 v27, 16, v11
	v_cmp_o_f32_e32 vcc, v27, v27
	v_xor_b32_sdwa v26, v26, v11 dst_sel:DWORD dst_unused:UNUSED_PAD src0_sel:DWORD src1_sel:WORD_0
	v_cndmask_b32_e32 v26, v47, v26, vcc
	v_and_b32_e32 v26, v26, v51
	v_cmp_eq_u32_e32 vcc, v26, v44
	s_and_b64 exec, exec, vcc
	s_cbranch_execz .LBB70_176
; %bb.180:                              ;   in Loop: Header=BB70_178 Depth=2
	v_perm_b32 v11, v11, s73, v50
	ds_write_b32 v3, v11 offset:3072
	s_branch .LBB70_176
.LBB70_181:                             ;   in Loop: Header=BB70_178 Depth=2
	v_add_co_u32_e32 v4, vcc, s33, v4
	v_addc_co_u32_e32 v5, vcc, 0, v5, vcc
	v_cmp_le_i64_e32 vcc, s[14:15], v[4:5]
	v_add_u32_e32 v10, s72, v10
	s_mov_b64 s[42:43], 0
	s_orn2_b64 s[40:41], vcc, exec
	s_branch .LBB70_177
.LBB70_182:                             ;   in Loop: Header=BB70_34 Depth=1
	s_or_b64 exec, exec, s[36:37]
	s_andn2_b64 s[14:15], s[28:29], exec
	s_and_b64 s[22:23], s[38:39], exec
	v_lshrrev_b32_e32 v52, 16, v11
	s_or_b64 s[28:29], s[14:15], s[22:23]
.LBB70_183:                             ;   in Loop: Header=BB70_34 Depth=1
	s_or_b64 exec, exec, s[8:9]
	s_mov_b64 s[14:15], 0
	s_mov_b64 s[44:45], -1
.LBB70_184:                             ;   in Loop: Header=BB70_34 Depth=1
	s_orn2_b64 s[8:9], s[28:29], exec
.LBB70_185:                             ;   in Loop: Header=BB70_34 Depth=1
	s_or_b64 exec, exec, s[6:7]
	s_mov_b64 s[6:7], 0
	s_and_saveexec_b64 s[46:47], s[8:9]
	s_cbranch_execz .LBB70_291
; %bb.186:                              ;   in Loop: Header=BB70_34 Depth=1
	v_mov_b32_e32 v4, 1
	s_xor_b64 s[6:7], s[4:5], -1
	v_mov_b32_e32 v2, 1
	v_mov_b32_e32 v5, 0
	s_mov_b64 s[8:9], 0
	s_and_saveexec_b64 s[4:5], s[6:7]
	s_cbranch_execz .LBB70_196
; %bb.187:                              ;   in Loop: Header=BB70_34 Depth=1
	v_cmp_le_i64_e32 vcc, v[8:9], v[6:7]
	s_and_saveexec_b64 s[6:7], vcc
	s_xor_b64 s[6:7], exec, s[6:7]
	s_cbranch_execz .LBB70_193
; %bb.188:                              ;   in Loop: Header=BB70_34 Depth=1
	ds_read_b64 v[4:5], v3 offset:5120
	v_and_b32_e32 v2, s79, v44
	v_lshl_or_b32 v44, 1, s82, v2
	v_or_b32_e32 v51, s78, v51
	s_waitcnt lgkmcnt(0)
	v_cmp_ne_u64_e32 vcc, 0, v[4:5]
	s_cbranch_vccnz .LBB70_192
; %bb.189:                              ;   in Loop: Header=BB70_34 Depth=1
	s_mov_b64 s[8:9], exec
	v_readlane_b32 s22, v56, 32
	v_readlane_b32 s23, v56, 33
	s_and_b64 s[22:23], s[8:9], s[22:23]
	s_mov_b64 exec, s[22:23]
; %bb.190:                              ;   in Loop: Header=BB70_34 Depth=1
	ds_write_b64 v3, v[6:7] offset:5128
; %bb.191:                              ;   in Loop: Header=BB70_34 Depth=1
	s_or_b64 exec, exec, s[8:9]
	s_waitcnt lgkmcnt(0)
	s_barrier
.LBB70_192:                             ;   in Loop: Header=BB70_34 Depth=1
                                        ; implicit-def: $vgpr4_vgpr5_vgpr6_vgpr7
.LBB70_193:                             ;   in Loop: Header=BB70_34 Depth=1
	s_or_saveexec_b64 s[6:7], s[6:7]
	s_mov_b64 s[8:9], 0
	v_mov_b32_e32 v2, 8
	s_xor_b64 exec, exec, s[6:7]
; %bb.194:                              ;   in Loop: Header=BB70_34 Depth=1
	v_sub_co_u32_e32 v8, vcc, v8, v6
	v_subb_co_u32_e32 v9, vcc, v9, v7, vcc
	v_mov_b32_e32 v2, 0
	s_mov_b64 s[8:9], exec
; %bb.195:                              ;   in Loop: Header=BB70_34 Depth=1
	s_or_b64 exec, exec, s[6:7]
	v_mov_b32_e32 v4, v8
	s_and_b64 s[8:9], s[8:9], exec
	v_mov_b32_e32 v5, v9
.LBB70_196:                             ;   in Loop: Header=BB70_34 Depth=1
	s_or_b64 exec, exec, s[4:5]
	s_mov_b64 s[4:5], -1
                                        ; implicit-def: $sgpr50_sgpr51
                                        ; implicit-def: $sgpr6_sgpr7
	s_and_saveexec_b64 s[48:49], s[8:9]
	s_cbranch_execz .LBB70_290
; %bb.197:                              ;   in Loop: Header=BB70_34 Depth=1
	s_cmp_eq_u64 s[62:63], 1
	v_cmp_eq_u64_e32 vcc, 1, v[4:5]
	s_cselect_b64 s[4:5], -1, 0
	s_and_b64 s[34:35], s[4:5], vcc
	s_mov_b64 s[8:9], -1
                                        ; implicit-def: $sgpr6_sgpr7
                                        ; implicit-def: $sgpr50_sgpr51
	s_and_saveexec_b64 s[4:5], s[34:35]
	s_cbranch_execz .LBB70_231
; %bb.198:                              ;   in Loop: Header=BB70_34 Depth=1
	ds_read_b64 v[6:7], v3 offset:5120
	s_waitcnt lgkmcnt(0)
	s_barrier
	v_readfirstlane_b32 s54, v6
	v_readfirstlane_b32 s55, v7
	s_and_saveexec_b64 s[6:7], s[12:13]
; %bb.199:                              ;   in Loop: Header=BB70_34 Depth=1
	ds_write_b16 v46, v3
; %bb.200:                              ;   in Loop: Header=BB70_34 Depth=1
	s_or_b64 exec, exec, s[6:7]
	v_cmp_gt_i64_e64 s[8:9], s[54:55], 0
	v_and_b32_e32 v6, s79, v44
	v_lshl_or_b32 v44, 2, s82, v6
	v_or_b32_e32 v51, s78, v51
	s_mov_b64 s[50:51], -1
	s_mov_b64 s[6:7], 0
	s_and_b64 vcc, exec, s[8:9]
	s_mov_b64 s[28:29], 0
	s_mov_b64 s[52:53], -1
	s_waitcnt lgkmcnt(0)
	s_barrier
                                        ; implicit-def: $vgpr52
	s_cbranch_vccnz .LBB70_216
; %bb.201:                              ;   in Loop: Header=BB70_34 Depth=1
	s_mov_b32 s74, s65
	s_cmp_lg_u64 s[74:75], 0
	s_cbranch_scc0 .LBB70_257
; %bb.202:                              ;   in Loop: Header=BB70_34 Depth=1
	s_add_u32 s8, s33, 0
	s_addc_u32 s9, 0, 0
	s_xor_b64 s[8:9], s[8:9], 0
	v_cvt_f32_u32_e32 v6, s8
	v_cvt_f32_u32_e32 v7, s9
	s_sub_u32 s28, 0, s8
	s_subb_u32 s29, 0, s9
	v_mac_f32_e32 v6, 0x4f800000, v7
	v_rcp_f32_e32 v6, v6
	v_mul_f32_e32 v6, 0x5f7ffffc, v6
	v_mul_f32_e32 v7, 0x2f800000, v6
	v_trunc_f32_e32 v7, v7
	v_mac_f32_e32 v6, 0xcf800000, v7
	v_cvt_u32_f32_e32 v7, v7
	v_cvt_u32_f32_e32 v6, v6
	v_readfirstlane_b32 s36, v7
	v_readfirstlane_b32 s22, v6
	s_mul_i32 s23, s28, s36
	s_mul_hi_u32 s38, s28, s22
	s_mul_i32 s37, s29, s22
	s_add_i32 s23, s38, s23
	s_mul_i32 s39, s28, s22
	s_add_i32 s23, s23, s37
	s_mul_i32 s38, s22, s23
	s_mul_hi_u32 s40, s22, s39
	s_mul_hi_u32 s37, s22, s23
	s_add_u32 s38, s40, s38
	s_addc_u32 s37, 0, s37
	s_mul_hi_u32 s41, s36, s39
	s_mul_i32 s39, s36, s39
	s_add_u32 s38, s38, s39
	s_mul_hi_u32 s40, s36, s23
	s_addc_u32 s37, s37, s41
	s_addc_u32 s38, s40, 0
	s_mul_i32 s23, s36, s23
	s_add_u32 s23, s37, s23
	s_addc_u32 s37, 0, s38
	s_add_u32 s38, s22, s23
	s_cselect_b64 s[22:23], -1, 0
	s_cmp_lg_u64 s[22:23], 0
	s_addc_u32 s36, s36, s37
	s_mul_i32 s22, s28, s36
	s_mul_hi_u32 s23, s28, s38
	s_add_i32 s22, s23, s22
	s_mul_i32 s29, s29, s38
	s_add_i32 s22, s22, s29
	s_mul_i32 s28, s28, s38
	s_mul_hi_u32 s29, s36, s28
	s_mul_i32 s37, s36, s28
	s_mul_i32 s40, s38, s22
	s_mul_hi_u32 s28, s38, s28
	s_mul_hi_u32 s39, s38, s22
	s_add_u32 s28, s28, s40
	s_addc_u32 s39, 0, s39
	s_add_u32 s28, s28, s37
	s_mul_hi_u32 s23, s36, s22
	s_addc_u32 s28, s39, s29
	s_addc_u32 s23, s23, 0
	s_mul_i32 s22, s36, s22
	s_add_u32 s22, s28, s22
	s_addc_u32 s28, 0, s23
	s_add_u32 s37, s38, s22
	s_cselect_b64 s[22:23], -1, 0
	s_cmp_lg_u64 s[22:23], 0
	s_addc_u32 s36, s36, s28
	s_ashr_i32 s22, s75, 31
	s_add_u32 s28, s0, s22
	s_mov_b32 s23, s22
	s_addc_u32 s29, s75, s22
	s_xor_b64 s[28:29], s[28:29], s[22:23]
	s_mul_i32 s39, s28, s36
	s_mul_hi_u32 s40, s28, s37
	s_mul_hi_u32 s38, s28, s36
	s_add_u32 s39, s40, s39
	s_addc_u32 s38, 0, s38
	s_mul_hi_u32 s41, s29, s37
	s_mul_i32 s37, s29, s37
	s_add_u32 s37, s39, s37
	s_mul_hi_u32 s40, s29, s36
	s_addc_u32 s37, s38, s41
	s_addc_u32 s38, s40, 0
	s_mul_i32 s36, s29, s36
	s_add_u32 s36, s37, s36
	s_addc_u32 s37, 0, s38
	s_mul_i32 s37, s8, s37
	s_mul_hi_u32 s38, s8, s36
	s_add_i32 s37, s38, s37
	s_mul_i32 s38, s9, s36
	s_add_i32 s40, s37, s38
	s_sub_i32 s38, s29, s40
	s_mul_i32 s36, s8, s36
	s_sub_u32 s28, s28, s36
	s_cselect_b64 s[36:37], -1, 0
	s_cmp_lg_u64 s[36:37], 0
	s_subb_u32 s41, s38, s9
	s_sub_u32 s42, s28, s8
	s_cselect_b64 s[38:39], -1, 0
	s_cmp_lg_u64 s[38:39], 0
	s_subb_u32 s43, s41, 0
	s_cmp_ge_u32 s43, s9
	s_cselect_b32 s52, -1, 0
	s_cmp_ge_u32 s42, s8
	s_cselect_b32 s53, -1, 0
	s_cmp_eq_u32 s43, s9
	s_cselect_b32 s52, s53, s52
	s_cmp_lg_u64 s[38:39], 0
	s_subb_u32 s41, s41, s9
	s_sub_u32 s53, s42, s8
	s_cselect_b64 s[38:39], -1, 0
	s_cmp_lg_u64 s[38:39], 0
	s_subb_u32 s38, s41, 0
	s_cmp_lg_u32 s52, 0
	s_cselect_b32 s39, s53, s42
	s_cselect_b32 s38, s38, s43
	s_cmp_lg_u64 s[36:37], 0
	s_subb_u32 s29, s29, s40
	s_cmp_ge_u32 s29, s9
	s_cselect_b32 s36, -1, 0
	s_cmp_ge_u32 s28, s8
	s_cselect_b32 s8, -1, 0
	s_cmp_eq_u32 s29, s9
	s_cselect_b32 s8, s8, s36
	s_cmp_lg_u32 s8, 0
	s_cselect_b32 s9, s38, s29
	s_cselect_b32 s8, s39, s28
	s_xor_b64 s[8:9], s[8:9], s[22:23]
	s_sub_u32 s8, s8, s22
	s_subb_u32 s9, s9, s22
	s_cbranch_execnz .LBB70_204
.LBB70_203:                             ;   in Loop: Header=BB70_34 Depth=1
	v_cvt_f32_u32_e32 v6, s33
	s_sub_i32 s8, 0, s33
	v_rcp_iflag_f32_e32 v6, v6
	v_mul_f32_e32 v6, 0x4f7ffffe, v6
	v_cvt_u32_f32_e32 v6, v6
	v_readfirstlane_b32 s9, v6
	s_mul_i32 s8, s8, s9
	s_mul_hi_u32 s8, s9, s8
	s_add_i32 s9, s9, s8
	s_mul_hi_u32 s8, s0, s9
	s_mul_i32 s8, s8, s33
	s_sub_i32 s8, s0, s8
	s_sub_i32 s9, s8, s33
	s_cmp_ge_u32 s8, s33
	s_cselect_b32 s8, s9, s8
	s_sub_i32 s9, s8, s33
	s_cmp_ge_u32 s8, s33
	s_cselect_b32 s64, s9, s8
	s_mov_b64 s[8:9], s[64:65]
.LBB70_204:                             ;   in Loop: Header=BB70_34 Depth=1
	s_sub_u32 s36, s0, s8
	s_subb_u32 s37, s75, s9
	v_cmp_gt_i64_e32 vcc, s[36:37], v[0:1]
	s_mov_b64 s[52:53], 0
	s_mov_b64 s[28:29], 0
                                        ; implicit-def: $vgpr52
	s_and_saveexec_b64 s[8:9], vcc
	s_cbranch_execz .LBB70_215
; %bb.205:                              ;   in Loop: Header=BB70_34 Depth=1
	v_mov_b32_e32 v6, v12
	v_mov_b32_e32 v9, v1
	;; [unrolled: 1-line block ×4, first 2 shown]
                                        ; implicit-def: $sgpr38_sgpr39
	s_branch .LBB70_208
.LBB70_206:                             ;   in Loop: Header=BB70_208 Depth=2
	s_or_b64 exec, exec, s[40:41]
	s_waitcnt lgkmcnt(0)
	s_barrier
	ds_read_b32 v10, v3 offset:3072
	s_mov_b64 s[40:41], -1
	s_mov_b64 s[42:43], -1
	s_waitcnt lgkmcnt(0)
	s_barrier
	v_and_b32_e32 v11, 0x7fff, v10
	v_cmp_ne_u32_e32 vcc, 0, v11
	s_cbranch_vccz .LBB70_211
.LBB70_207:                             ;   in Loop: Header=BB70_208 Depth=2
	s_and_b64 s[22:23], exec, s[40:41]
	s_or_b64 s[28:29], s[22:23], s[28:29]
	s_andn2_b64 s[22:23], s[38:39], exec
	s_and_b64 s[38:39], s[42:43], exec
	s_or_b64 s[38:39], s[22:23], s[38:39]
	s_andn2_b64 exec, exec, s[28:29]
	s_cbranch_execz .LBB70_214
.LBB70_208:                             ;   Parent Loop BB70_34 Depth=1
                                        ; =>  This Inner Loop Header: Depth=2
	v_cmp_gt_i64_e32 vcc, s[24:25], v[8:9]
	s_and_saveexec_b64 s[40:41], vcc
	s_cbranch_execz .LBB70_206
; %bb.209:                              ;   in Loop: Header=BB70_208 Depth=2
	global_load_ushort v10, v[6:7], off
	s_waitcnt vmcnt(0)
	v_cmp_lt_i16_e32 vcc, -1, v10
	v_cndmask_b32_e32 v11, v47, v48, vcc
	v_lshlrev_b32_e32 v26, 16, v10
	v_cmp_o_f32_e32 vcc, v26, v26
	v_xor_b32_sdwa v11, v11, v10 dst_sel:DWORD dst_unused:UNUSED_PAD src0_sel:DWORD src1_sel:WORD_0
	v_cndmask_b32_e32 v11, v47, v11, vcc
	v_and_b32_e32 v11, v11, v51
	v_cmp_eq_u32_e32 vcc, v11, v44
	s_and_b64 exec, exec, vcc
	s_cbranch_execz .LBB70_206
; %bb.210:                              ;   in Loop: Header=BB70_208 Depth=2
	v_perm_b32 v10, v10, s73, v50
	ds_write_b32 v3, v10 offset:3072
	s_branch .LBB70_206
.LBB70_211:                             ;   in Loop: Header=BB70_208 Depth=2
	v_add_co_u32_e32 v8, vcc, s33, v8
	v_addc_co_u32_e32 v9, vcc, 0, v9, vcc
	v_mov_b32_e32 v11, s69
	v_add_co_u32_e32 v6, vcc, s68, v6
	v_addc_co_u32_e32 v7, vcc, v7, v11, vcc
	v_cmp_le_i64_e32 vcc, s[36:37], v[8:9]
	s_mov_b64 s[42:43], 0
	s_orn2_b64 s[40:41], vcc, exec
	s_branch .LBB70_207
.LBB70_212:                             ;   in Loop: Header=BB70_34 Depth=1
                                        ; implicit-def: $sgpr8_sgpr9
	s_branch .LBB70_157
.LBB70_213:                             ;   in Loop: Header=BB70_34 Depth=1
                                        ; implicit-def: $sgpr8_sgpr9
	s_branch .LBB70_173
.LBB70_214:                             ;   in Loop: Header=BB70_34 Depth=1
	s_or_b64 exec, exec, s[28:29]
	v_lshrrev_b32_e32 v52, 16, v10
	s_and_b64 s[28:29], s[38:39], exec
.LBB70_215:                             ;   in Loop: Header=BB70_34 Depth=1
	s_or_b64 exec, exec, s[8:9]
.LBB70_216:                             ;   in Loop: Header=BB70_34 Depth=1
	s_and_b64 vcc, exec, s[52:53]
	s_cbranch_vccz .LBB70_230
; %bb.217:                              ;   in Loop: Header=BB70_34 Depth=1
	v_readlane_b32 s6, v56, 40
	s_add_u32 s36, s54, s6
	v_readlane_b32 s6, v56, 41
	s_addc_u32 s7, s55, s6
	s_mov_b32 s6, s65
	s_cmp_lg_u64 s[6:7], 0
	s_cbranch_scc0 .LBB70_258
; %bb.218:                              ;   in Loop: Header=BB70_34 Depth=1
	s_add_u32 s8, s33, 0
	s_addc_u32 s9, 0, 0
	s_xor_b64 s[8:9], s[8:9], 0
	v_cvt_f32_u32_e32 v6, s8
	v_cvt_f32_u32_e32 v7, s9
	s_sub_u32 s6, 0, s8
	s_subb_u32 s37, 0, s9
	v_mac_f32_e32 v6, 0x4f800000, v7
	v_rcp_f32_e32 v6, v6
	v_mul_f32_e32 v6, 0x5f7ffffc, v6
	v_mul_f32_e32 v7, 0x2f800000, v6
	v_trunc_f32_e32 v7, v7
	v_mac_f32_e32 v6, 0xcf800000, v7
	v_cvt_u32_f32_e32 v7, v7
	v_cvt_u32_f32_e32 v6, v6
	v_readfirstlane_b32 s38, v7
	v_readfirstlane_b32 s22, v6
	s_mul_i32 s23, s6, s38
	s_mul_hi_u32 s40, s6, s22
	s_mul_i32 s39, s37, s22
	s_add_i32 s23, s40, s23
	s_mul_i32 s41, s6, s22
	s_add_i32 s23, s23, s39
	s_mul_i32 s40, s22, s23
	s_mul_hi_u32 s42, s22, s41
	s_mul_hi_u32 s39, s22, s23
	s_add_u32 s40, s42, s40
	s_addc_u32 s39, 0, s39
	s_mul_hi_u32 s43, s38, s41
	s_mul_i32 s41, s38, s41
	s_add_u32 s40, s40, s41
	s_mul_hi_u32 s42, s38, s23
	s_addc_u32 s39, s39, s43
	s_addc_u32 s40, s42, 0
	s_mul_i32 s23, s38, s23
	s_add_u32 s23, s39, s23
	s_addc_u32 s39, 0, s40
	s_add_u32 s40, s22, s23
	s_cselect_b64 s[22:23], -1, 0
	s_cmp_lg_u64 s[22:23], 0
	s_addc_u32 s38, s38, s39
	s_mul_i32 s22, s6, s38
	s_mul_hi_u32 s23, s6, s40
	s_add_i32 s22, s23, s22
	s_mul_i32 s37, s37, s40
	s_add_i32 s22, s22, s37
	s_mul_i32 s6, s6, s40
	s_mul_hi_u32 s37, s38, s6
	s_mul_i32 s39, s38, s6
	s_mul_i32 s42, s40, s22
	s_mul_hi_u32 s6, s40, s6
	s_mul_hi_u32 s41, s40, s22
	s_add_u32 s6, s6, s42
	s_addc_u32 s41, 0, s41
	s_add_u32 s6, s6, s39
	s_mul_hi_u32 s23, s38, s22
	s_addc_u32 s6, s41, s37
	s_addc_u32 s23, s23, 0
	s_mul_i32 s22, s38, s22
	s_add_u32 s6, s6, s22
	s_addc_u32 s37, 0, s23
	s_add_u32 s6, s40, s6
	s_cselect_b64 s[22:23], -1, 0
	s_cmp_lg_u64 s[22:23], 0
	s_addc_u32 s37, s38, s37
	s_ashr_i32 s22, s7, 31
	s_add_u32 s38, s36, s22
	s_mov_b32 s23, s22
	s_addc_u32 s39, s7, s22
	s_xor_b64 s[38:39], s[38:39], s[22:23]
	s_mul_i32 s41, s38, s37
	s_mul_hi_u32 s42, s38, s6
	s_mul_hi_u32 s40, s38, s37
	s_add_u32 s41, s42, s41
	s_addc_u32 s40, 0, s40
	s_mul_hi_u32 s43, s39, s6
	s_mul_i32 s6, s39, s6
	s_add_u32 s6, s41, s6
	s_mul_hi_u32 s42, s39, s37
	s_addc_u32 s6, s40, s43
	s_addc_u32 s40, s42, 0
	s_mul_i32 s37, s39, s37
	s_add_u32 s6, s6, s37
	s_addc_u32 s37, 0, s40
	s_mul_i32 s37, s8, s37
	s_mul_hi_u32 s40, s8, s6
	s_add_i32 s37, s40, s37
	s_mul_i32 s40, s9, s6
	s_add_i32 s37, s37, s40
	s_sub_i32 s42, s39, s37
	s_mul_i32 s6, s8, s6
	s_sub_u32 s6, s38, s6
	s_cselect_b64 s[40:41], -1, 0
	s_cmp_lg_u64 s[40:41], 0
	s_subb_u32 s38, s42, s9
	s_sub_u32 s50, s6, s8
	s_cselect_b64 s[42:43], -1, 0
	s_cmp_lg_u64 s[42:43], 0
	s_subb_u32 s51, s38, 0
	s_cmp_ge_u32 s51, s9
	s_cselect_b32 s52, -1, 0
	s_cmp_ge_u32 s50, s8
	s_cselect_b32 s53, -1, 0
	s_cmp_eq_u32 s51, s9
	s_cselect_b32 s52, s53, s52
	s_cmp_lg_u64 s[42:43], 0
	s_subb_u32 s38, s38, s9
	s_sub_u32 s53, s50, s8
	s_cselect_b64 s[42:43], -1, 0
	s_cmp_lg_u64 s[42:43], 0
	s_subb_u32 s38, s38, 0
	s_cmp_lg_u32 s52, 0
	s_cselect_b32 s42, s53, s50
	s_cselect_b32 s38, s38, s51
	s_cmp_lg_u64 s[40:41], 0
	s_subb_u32 s37, s39, s37
	s_cmp_ge_u32 s37, s9
	s_cselect_b32 s39, -1, 0
	s_cmp_ge_u32 s6, s8
	s_cselect_b32 s8, -1, 0
	s_cmp_eq_u32 s37, s9
	s_cselect_b32 s8, s8, s39
	s_cmp_lg_u32 s8, 0
	s_cselect_b32 s9, s38, s37
	s_cselect_b32 s8, s42, s6
	s_xor_b64 s[8:9], s[8:9], s[22:23]
	s_sub_u32 s8, s8, s22
	s_subb_u32 s9, s9, s22
	s_cbranch_execnz .LBB70_220
.LBB70_219:                             ;   in Loop: Header=BB70_34 Depth=1
	v_cvt_f32_u32_e32 v6, s33
	s_sub_i32 s6, 0, s33
	v_rcp_iflag_f32_e32 v6, v6
	v_mul_f32_e32 v6, 0x4f7ffffe, v6
	v_cvt_u32_f32_e32 v6, v6
	v_readfirstlane_b32 s8, v6
	s_mul_i32 s6, s6, s8
	s_mul_hi_u32 s6, s8, s6
	s_add_i32 s8, s8, s6
	s_mul_hi_u32 s6, s36, s8
	s_mul_i32 s6, s6, s33
	s_sub_i32 s6, s36, s6
	s_sub_i32 s8, s6, s33
	s_cmp_ge_u32 s6, s33
	s_cselect_b32 s6, s8, s6
	s_sub_i32 s8, s6, s33
	s_cmp_ge_u32 s6, s33
	s_cselect_b32 s64, s8, s6
	s_mov_b64 s[8:9], s[64:65]
.LBB70_220:                             ;   in Loop: Header=BB70_34 Depth=1
	s_sub_u32 s8, s36, s8
	s_subb_u32 s9, s7, s9
	v_cmp_gt_i64_e32 vcc, s[8:9], v[0:1]
                                        ; implicit-def: $vgpr52
	s_and_saveexec_b64 s[6:7], vcc
	s_cbranch_execz .LBB70_229
; %bb.221:                              ;   in Loop: Header=BB70_34 Depth=1
	v_mov_b32_e32 v7, v1
	s_mov_b64 s[36:37], 0
	v_mov_b32_e32 v8, v45
	v_mov_b32_e32 v6, v0
                                        ; implicit-def: $sgpr38_sgpr39
	s_branch .LBB70_224
.LBB70_222:                             ;   in Loop: Header=BB70_224 Depth=2
	s_or_b64 exec, exec, s[40:41]
	s_waitcnt lgkmcnt(0)
	s_barrier
	ds_read_b32 v9, v3 offset:3072
	s_mov_b64 s[40:41], -1
	s_mov_b64 s[42:43], -1
	s_waitcnt lgkmcnt(0)
	s_barrier
	v_and_b32_e32 v10, 0x7fff, v9
	v_cmp_eq_u32_e32 vcc, 0, v10
	s_cbranch_vccnz .LBB70_227
.LBB70_223:                             ;   in Loop: Header=BB70_224 Depth=2
	s_and_b64 s[22:23], exec, s[40:41]
	s_or_b64 s[36:37], s[22:23], s[36:37]
	s_andn2_b64 s[22:23], s[38:39], exec
	s_and_b64 s[38:39], s[42:43], exec
	s_or_b64 s[38:39], s[22:23], s[38:39]
	s_andn2_b64 exec, exec, s[36:37]
	s_cbranch_execz .LBB70_228
.LBB70_224:                             ;   Parent Loop BB70_34 Depth=1
                                        ; =>  This Inner Loop Header: Depth=2
	v_cmp_gt_u64_e32 vcc, s[54:55], v[6:7]
	s_and_saveexec_b64 s[40:41], vcc
	s_cbranch_execz .LBB70_222
; %bb.225:                              ;   in Loop: Header=BB70_224 Depth=2
	ds_read_u16 v9, v8
	s_waitcnt lgkmcnt(0)
	v_cmp_lt_i16_e32 vcc, -1, v9
	v_cndmask_b32_e32 v10, v47, v48, vcc
	v_lshlrev_b32_e32 v11, 16, v9
	v_cmp_o_f32_e32 vcc, v11, v11
	v_xor_b32_sdwa v10, v10, v9 dst_sel:DWORD dst_unused:UNUSED_PAD src0_sel:DWORD src1_sel:WORD_0
	v_cndmask_b32_e32 v10, v47, v10, vcc
	v_and_b32_e32 v10, v10, v51
	v_cmp_eq_u32_e32 vcc, v10, v44
	s_and_b64 exec, exec, vcc
	s_cbranch_execz .LBB70_222
; %bb.226:                              ;   in Loop: Header=BB70_224 Depth=2
	v_perm_b32 v9, v9, s73, v50
	ds_write_b32 v3, v9 offset:3072
	s_branch .LBB70_222
.LBB70_227:                             ;   in Loop: Header=BB70_224 Depth=2
	v_add_co_u32_e32 v6, vcc, s33, v6
	v_addc_co_u32_e32 v7, vcc, 0, v7, vcc
	v_cmp_le_i64_e32 vcc, s[8:9], v[6:7]
	v_add_u32_e32 v8, s72, v8
	s_mov_b64 s[42:43], 0
	s_orn2_b64 s[40:41], vcc, exec
	s_branch .LBB70_223
.LBB70_228:                             ;   in Loop: Header=BB70_34 Depth=1
	s_or_b64 exec, exec, s[36:37]
	s_andn2_b64 s[8:9], s[28:29], exec
	s_and_b64 s[22:23], s[38:39], exec
	v_lshrrev_b32_e32 v52, 16, v9
	s_or_b64 s[28:29], s[8:9], s[22:23]
.LBB70_229:                             ;   in Loop: Header=BB70_34 Depth=1
	s_or_b64 exec, exec, s[6:7]
	s_mov_b64 s[50:51], 0
	s_mov_b64 s[6:7], -1
.LBB70_230:                             ;   in Loop: Header=BB70_34 Depth=1
	s_orn2_b64 s[8:9], s[28:29], exec
.LBB70_231:                             ;   in Loop: Header=BB70_34 Depth=1
	s_or_b64 exec, exec, s[4:5]
	s_mov_b64 s[28:29], 0
	s_and_saveexec_b64 s[4:5], s[8:9]
	s_cbranch_execz .LBB70_289
; %bb.232:                              ;   in Loop: Header=BB70_34 Depth=1
	v_mov_b32_e32 v6, 1
	s_xor_b64 s[8:9], s[34:35], -1
	v_mov_b32_e32 v2, 1
	v_mov_b32_e32 v7, 0
	s_mov_b64 s[36:37], 0
	s_and_saveexec_b64 s[28:29], s[8:9]
	s_cbranch_execz .LBB70_241
; %bb.233:                              ;   in Loop: Header=BB70_34 Depth=1
	v_cmp_ge_i64_e32 vcc, s[62:63], v[4:5]
	s_and_saveexec_b64 s[8:9], vcc
	s_xor_b64 s[8:9], exec, s[8:9]
	s_cbranch_execz .LBB70_238
; %bb.234:                              ;   in Loop: Header=BB70_34 Depth=1
	ds_read_b64 v[6:7], v3 offset:5120
	v_and_b32_e32 v2, s79, v44
	v_lshl_or_b32 v44, 2, s82, v2
	v_or_b32_e32 v51, s78, v51
	s_waitcnt lgkmcnt(0)
	v_cmp_ne_u64_e32 vcc, 0, v[6:7]
	s_cbranch_vccnz .LBB70_238
; %bb.235:                              ;   in Loop: Header=BB70_34 Depth=1
	s_mov_b64 s[22:23], exec
	v_readlane_b32 s34, v56, 32
	v_readlane_b32 s35, v56, 33
	s_and_b64 s[34:35], s[22:23], s[34:35]
	s_mov_b64 exec, s[34:35]
; %bb.236:                              ;   in Loop: Header=BB70_34 Depth=1
	v_mov_b32_e32 v6, s62
	v_mov_b32_e32 v7, s63
	ds_write_b64 v3, v[6:7] offset:5128
; %bb.237:                              ;   in Loop: Header=BB70_34 Depth=1
	s_or_b64 exec, exec, s[22:23]
	s_waitcnt lgkmcnt(0)
	s_barrier
.LBB70_238:                             ;   in Loop: Header=BB70_34 Depth=1
	s_or_saveexec_b64 s[8:9], s[8:9]
	s_mov_b64 s[34:35], 0
	v_mov_b32_e32 v2, 8
	s_xor_b64 exec, exec, s[8:9]
; %bb.239:                              ;   in Loop: Header=BB70_34 Depth=1
	v_subrev_co_u32_e32 v4, vcc, s62, v4
	v_mov_b32_e32 v2, s63
	v_subb_co_u32_e32 v5, vcc, v5, v2, vcc
	v_mov_b32_e32 v2, 0
	s_mov_b64 s[34:35], exec
; %bb.240:                              ;   in Loop: Header=BB70_34 Depth=1
	s_or_b64 exec, exec, s[8:9]
	v_mov_b32_e32 v7, v5
	s_and_b64 s[36:37], s[34:35], exec
	v_mov_b32_e32 v6, v4
.LBB70_241:                             ;   in Loop: Header=BB70_34 Depth=1
	s_or_b64 exec, exec, s[28:29]
	s_mov_b64 s[8:9], -1
                                        ; implicit-def: $sgpr54_sgpr55
                                        ; implicit-def: $sgpr52_sgpr53
	s_and_saveexec_b64 s[34:35], s[36:37]
	s_cbranch_execz .LBB70_288
; %bb.242:                              ;   in Loop: Header=BB70_34 Depth=1
	s_cmp_eq_u64 s[16:17], 1
	v_cmp_eq_u64_e32 vcc, 1, v[6:7]
	s_cselect_b64 s[8:9], -1, 0
	s_and_b64 s[42:43], s[8:9], vcc
	s_mov_b64 s[28:29], -1
                                        ; implicit-def: $sgpr54_sgpr55
                                        ; implicit-def: $sgpr52_sgpr53
	s_and_saveexec_b64 s[62:63], s[42:43]
	s_cbranch_execz .LBB70_276
; %bb.243:                              ;   in Loop: Header=BB70_34 Depth=1
	ds_read_b64 v[4:5], v3 offset:5120
	s_waitcnt lgkmcnt(0)
	s_barrier
	v_readfirstlane_b32 s28, v4
	v_readfirstlane_b32 s29, v5
	s_and_saveexec_b64 s[8:9], s[12:13]
; %bb.244:                              ;   in Loop: Header=BB70_34 Depth=1
	ds_write_b16 v46, v3
; %bb.245:                              ;   in Loop: Header=BB70_34 Depth=1
	s_or_b64 exec, exec, s[8:9]
	v_cmp_gt_i64_e64 s[8:9], s[28:29], 0
	v_or_b32_e32 v44, s78, v44
	v_or_b32_e32 v51, s78, v51
	s_mov_b64 s[52:53], -1
	s_mov_b64 s[54:55], 0
	s_and_b64 vcc, exec, s[8:9]
	s_mov_b64 s[80:81], 0
	s_mov_b64 s[8:9], -1
	s_waitcnt lgkmcnt(0)
	s_barrier
                                        ; implicit-def: $vgpr52
	s_cbranch_vccnz .LBB70_261
; %bb.246:                              ;   in Loop: Header=BB70_34 Depth=1
	s_mov_b32 s74, s65
	v_writelane_b32 v56, s42, 55
	s_cmp_lg_u64 s[74:75], 0
	v_writelane_b32 v56, s43, 56
	s_cbranch_scc0 .LBB70_295
; %bb.247:                              ;   in Loop: Header=BB70_34 Depth=1
	s_add_u32 s8, s33, 0
	s_addc_u32 s9, 0, 0
	s_xor_b64 s[8:9], s[8:9], 0
	v_cvt_f32_u32_e32 v4, s8
	v_cvt_f32_u32_e32 v5, s9
	s_sub_u32 s36, 0, s8
	s_subb_u32 s37, 0, s9
	v_mac_f32_e32 v4, 0x4f800000, v5
	v_rcp_f32_e32 v4, v4
	v_mul_f32_e32 v4, 0x5f7ffffc, v4
	v_mul_f32_e32 v5, 0x2f800000, v4
	v_trunc_f32_e32 v5, v5
	v_mac_f32_e32 v4, 0xcf800000, v5
	v_cvt_u32_f32_e32 v5, v5
	v_cvt_u32_f32_e32 v4, v4
	v_readfirstlane_b32 s38, v5
	v_readfirstlane_b32 s22, v4
	s_mul_i32 s23, s36, s38
	s_mul_hi_u32 s40, s36, s22
	s_mul_i32 s39, s37, s22
	s_add_i32 s23, s40, s23
	s_mul_i32 s41, s36, s22
	s_add_i32 s23, s23, s39
	s_mul_i32 s40, s22, s23
	s_mul_hi_u32 s42, s22, s41
	s_mul_hi_u32 s39, s22, s23
	s_add_u32 s40, s42, s40
	s_addc_u32 s39, 0, s39
	s_mul_hi_u32 s43, s38, s41
	s_mul_i32 s41, s38, s41
	s_add_u32 s40, s40, s41
	s_mul_hi_u32 s42, s38, s23
	s_addc_u32 s39, s39, s43
	s_addc_u32 s40, s42, 0
	s_mul_i32 s23, s38, s23
	s_add_u32 s23, s39, s23
	s_addc_u32 s39, 0, s40
	s_add_u32 s40, s22, s23
	s_cselect_b64 s[22:23], -1, 0
	s_cmp_lg_u64 s[22:23], 0
	s_addc_u32 s38, s38, s39
	s_mul_i32 s22, s36, s38
	s_mul_hi_u32 s23, s36, s40
	s_add_i32 s22, s23, s22
	s_mul_i32 s37, s37, s40
	s_add_i32 s22, s22, s37
	s_mul_i32 s36, s36, s40
	s_mul_hi_u32 s37, s38, s36
	s_mul_i32 s39, s38, s36
	s_mul_i32 s42, s40, s22
	s_mul_hi_u32 s36, s40, s36
	s_mul_hi_u32 s41, s40, s22
	s_add_u32 s36, s36, s42
	s_addc_u32 s41, 0, s41
	s_add_u32 s36, s36, s39
	s_mul_hi_u32 s23, s38, s22
	s_addc_u32 s36, s41, s37
	s_addc_u32 s23, s23, 0
	s_mul_i32 s22, s38, s22
	s_add_u32 s22, s36, s22
	s_addc_u32 s36, 0, s23
	s_add_u32 s39, s40, s22
	s_cselect_b64 s[22:23], -1, 0
	s_cmp_lg_u64 s[22:23], 0
	s_addc_u32 s38, s38, s36
	s_ashr_i32 s22, s75, 31
	s_add_u32 s36, s0, s22
	s_mov_b32 s23, s22
	s_addc_u32 s37, s75, s22
	s_xor_b64 s[36:37], s[36:37], s[22:23]
	s_mul_i32 s41, s36, s38
	s_mul_hi_u32 s42, s36, s39
	s_mul_hi_u32 s40, s36, s38
	s_add_u32 s41, s42, s41
	s_addc_u32 s40, 0, s40
	s_mul_hi_u32 s43, s37, s39
	s_mul_i32 s39, s37, s39
	s_add_u32 s39, s41, s39
	s_mul_hi_u32 s42, s37, s38
	s_addc_u32 s39, s40, s43
	s_addc_u32 s40, s42, 0
	s_mul_i32 s38, s37, s38
	s_add_u32 s38, s39, s38
	s_addc_u32 s39, 0, s40
	s_mul_i32 s39, s8, s39
	s_mul_hi_u32 s40, s8, s38
	s_add_i32 s39, s40, s39
	s_mul_i32 s40, s9, s38
	s_add_i32 s42, s39, s40
	s_sub_i32 s40, s37, s42
	s_mul_i32 s38, s8, s38
	s_sub_u32 s36, s36, s38
	s_cselect_b64 s[38:39], -1, 0
	s_cmp_lg_u64 s[38:39], 0
	s_subb_u32 s43, s40, s9
	s_sub_u32 s64, s36, s8
	s_cselect_b64 s[40:41], -1, 0
	s_cmp_lg_u64 s[40:41], 0
	s_subb_u32 s74, s43, 0
	s_cmp_ge_u32 s74, s9
	s_cselect_b32 s79, -1, 0
	s_cmp_ge_u32 s64, s8
	s_cselect_b32 s80, -1, 0
	s_cmp_eq_u32 s74, s9
	s_cselect_b32 s79, s80, s79
	s_cmp_lg_u64 s[40:41], 0
	s_subb_u32 s43, s43, s9
	s_sub_u32 s80, s64, s8
	s_cselect_b64 s[40:41], -1, 0
	s_cmp_lg_u64 s[40:41], 0
	s_subb_u32 s40, s43, 0
	s_cmp_lg_u32 s79, 0
	s_cselect_b32 s41, s80, s64
	s_cselect_b32 s40, s40, s74
	s_cmp_lg_u64 s[38:39], 0
	s_subb_u32 s37, s37, s42
	s_cmp_ge_u32 s37, s9
	s_cselect_b32 s38, -1, 0
	s_cmp_ge_u32 s36, s8
	s_cselect_b32 s8, -1, 0
	s_cmp_eq_u32 s37, s9
	s_cselect_b32 s8, s8, s38
	s_cmp_lg_u32 s8, 0
	s_cselect_b32 s9, s40, s37
	s_cselect_b32 s8, s41, s36
	s_xor_b64 s[8:9], s[8:9], s[22:23]
	s_sub_u32 s8, s8, s22
	s_subb_u32 s9, s9, s22
	s_cbranch_execnz .LBB70_249
.LBB70_248:                             ;   in Loop: Header=BB70_34 Depth=1
	v_cvt_f32_u32_e32 v4, s33
	s_sub_i32 s8, 0, s33
	v_rcp_iflag_f32_e32 v4, v4
	v_mul_f32_e32 v4, 0x4f7ffffe, v4
	v_cvt_u32_f32_e32 v4, v4
	v_readfirstlane_b32 s9, v4
	s_mul_i32 s8, s8, s9
	s_mul_hi_u32 s8, s9, s8
	s_add_i32 s9, s9, s8
	s_mul_hi_u32 s8, s0, s9
	s_mul_i32 s8, s8, s33
	s_sub_i32 s8, s0, s8
	s_sub_i32 s9, s8, s33
	s_cmp_ge_u32 s8, s33
	s_cselect_b32 s8, s9, s8
	s_sub_i32 s9, s8, s33
	s_cmp_ge_u32 s8, s33
	s_cselect_b32 s64, s9, s8
	s_mov_b64 s[8:9], s[64:65]
.LBB70_249:                             ;   in Loop: Header=BB70_34 Depth=1
	s_sub_u32 s38, s0, s8
	s_subb_u32 s39, s75, s9
	v_cmp_gt_i64_e32 vcc, s[38:39], v[0:1]
	s_mov_b64 s[8:9], 0
	s_mov_b64 s[80:81], 0
                                        ; implicit-def: $vgpr52
	s_and_saveexec_b64 s[36:37], vcc
	s_cbranch_execz .LBB70_260
; %bb.250:                              ;   in Loop: Header=BB70_34 Depth=1
	v_mov_b32_e32 v4, v12
	v_mov_b32_e32 v9, v1
	;; [unrolled: 1-line block ×4, first 2 shown]
                                        ; implicit-def: $sgpr40_sgpr41
	s_branch .LBB70_253
.LBB70_251:                             ;   in Loop: Header=BB70_253 Depth=2
	s_or_b64 exec, exec, s[42:43]
	s_waitcnt lgkmcnt(0)
	s_barrier
	ds_read_b32 v10, v3 offset:3072
	s_mov_b64 s[42:43], -1
	s_mov_b64 s[22:23], -1
	s_waitcnt lgkmcnt(0)
	s_barrier
	v_and_b32_e32 v11, 0x7fff, v10
	v_cmp_ne_u32_e32 vcc, 0, v11
	s_cbranch_vccz .LBB70_256
.LBB70_252:                             ;   in Loop: Header=BB70_253 Depth=2
	s_and_b64 s[42:43], exec, s[42:43]
	s_or_b64 s[80:81], s[42:43], s[80:81]
	s_andn2_b64 s[40:41], s[40:41], exec
	s_and_b64 s[22:23], s[22:23], exec
	s_or_b64 s[40:41], s[40:41], s[22:23]
	s_andn2_b64 exec, exec, s[80:81]
	s_cbranch_execz .LBB70_259
.LBB70_253:                             ;   Parent Loop BB70_34 Depth=1
                                        ; =>  This Inner Loop Header: Depth=2
	v_cmp_gt_i64_e32 vcc, s[24:25], v[8:9]
	s_and_saveexec_b64 s[42:43], vcc
	s_cbranch_execz .LBB70_251
; %bb.254:                              ;   in Loop: Header=BB70_253 Depth=2
	global_load_ushort v10, v[4:5], off
	s_waitcnt vmcnt(0)
	v_cmp_lt_i16_e32 vcc, -1, v10
	v_cndmask_b32_e32 v11, v47, v48, vcc
	v_lshlrev_b32_e32 v26, 16, v10
	v_cmp_o_f32_e32 vcc, v26, v26
	v_xor_b32_sdwa v11, v11, v10 dst_sel:DWORD dst_unused:UNUSED_PAD src0_sel:DWORD src1_sel:WORD_0
	v_cndmask_b32_e32 v11, v47, v11, vcc
	v_and_b32_e32 v11, v11, v51
	v_cmp_eq_u32_e32 vcc, v11, v44
	s_and_b64 exec, exec, vcc
	s_cbranch_execz .LBB70_251
; %bb.255:                              ;   in Loop: Header=BB70_253 Depth=2
	v_perm_b32 v10, v10, s73, v50
	ds_write_b32 v3, v10 offset:3072
	s_branch .LBB70_251
.LBB70_256:                             ;   in Loop: Header=BB70_253 Depth=2
	v_add_co_u32_e32 v8, vcc, s33, v8
	v_addc_co_u32_e32 v9, vcc, 0, v9, vcc
	v_mov_b32_e32 v11, s69
	v_add_co_u32_e32 v4, vcc, s68, v4
	v_addc_co_u32_e32 v5, vcc, v5, v11, vcc
	v_cmp_le_i64_e32 vcc, s[38:39], v[8:9]
	s_mov_b64 s[22:23], 0
	s_orn2_b64 s[42:43], vcc, exec
	s_branch .LBB70_252
.LBB70_257:                             ;   in Loop: Header=BB70_34 Depth=1
                                        ; implicit-def: $sgpr8_sgpr9
	s_branch .LBB70_203
.LBB70_258:                             ;   in Loop: Header=BB70_34 Depth=1
                                        ; implicit-def: $sgpr8_sgpr9
	s_branch .LBB70_219
.LBB70_259:                             ;   in Loop: Header=BB70_34 Depth=1
	s_or_b64 exec, exec, s[80:81]
	v_lshrrev_b32_e32 v52, 16, v10
	s_and_b64 s[80:81], s[40:41], exec
.LBB70_260:                             ;   in Loop: Header=BB70_34 Depth=1
	s_or_b64 exec, exec, s[36:37]
	v_readlane_b32 s42, v56, 55
	v_readlane_b32 s43, v56, 56
.LBB70_261:                             ;   in Loop: Header=BB70_34 Depth=1
	s_and_b64 vcc, exec, s[8:9]
	s_cbranch_vccz .LBB70_275
; %bb.262:                              ;   in Loop: Header=BB70_34 Depth=1
	v_readlane_b32 s8, v56, 40
	s_add_u32 s36, s28, s8
	v_readlane_b32 s8, v56, 41
	s_addc_u32 s53, s29, s8
	s_mov_b32 s52, s65
	s_cmp_lg_u64 s[52:53], 0
	s_cbranch_scc0 .LBB70_296
; %bb.263:                              ;   in Loop: Header=BB70_34 Depth=1
	s_add_u32 s8, s33, 0
	s_addc_u32 s9, 0, 0
	s_xor_b64 s[8:9], s[8:9], 0
	v_cvt_f32_u32_e32 v4, s8
	v_cvt_f32_u32_e32 v5, s9
	s_sub_u32 s37, 0, s8
	s_subb_u32 s38, 0, s9
	s_mov_b64 vcc, s[42:43]
	v_mac_f32_e32 v4, 0x4f800000, v5
	v_rcp_f32_e32 v4, v4
	v_mul_f32_e32 v4, 0x5f7ffffc, v4
	v_mul_f32_e32 v5, 0x2f800000, v4
	v_trunc_f32_e32 v5, v5
	v_mac_f32_e32 v4, 0xcf800000, v5
	v_cvt_u32_f32_e32 v5, v5
	v_cvt_u32_f32_e32 v4, v4
	v_readfirstlane_b32 s39, v5
	v_readfirstlane_b32 s22, v4
	s_mul_i32 s23, s37, s39
	s_mul_hi_u32 s41, s37, s22
	s_mul_i32 s40, s38, s22
	s_add_i32 s23, s41, s23
	s_mul_i32 s42, s37, s22
	s_add_i32 s23, s23, s40
	s_mul_i32 s41, s22, s23
	s_mul_hi_u32 s43, s22, s42
	s_mul_hi_u32 s40, s22, s23
	s_add_u32 s41, s43, s41
	s_addc_u32 s40, 0, s40
	s_mul_hi_u32 s52, s39, s42
	s_mul_i32 s42, s39, s42
	s_add_u32 s41, s41, s42
	s_mul_hi_u32 s43, s39, s23
	s_addc_u32 s40, s40, s52
	s_addc_u32 s41, s43, 0
	s_mul_i32 s23, s39, s23
	s_add_u32 s23, s40, s23
	s_addc_u32 s40, 0, s41
	s_add_u32 s41, s22, s23
	s_cselect_b64 s[22:23], -1, 0
	s_cmp_lg_u64 s[22:23], 0
	s_addc_u32 s39, s39, s40
	s_mul_i32 s22, s37, s39
	s_mul_hi_u32 s23, s37, s41
	s_add_i32 s22, s23, s22
	s_mul_i32 s38, s38, s41
	s_add_i32 s22, s22, s38
	s_mul_i32 s37, s37, s41
	s_mul_hi_u32 s38, s39, s37
	s_mul_i32 s40, s39, s37
	s_mul_i32 s43, s41, s22
	s_mul_hi_u32 s37, s41, s37
	s_mul_hi_u32 s42, s41, s22
	s_add_u32 s37, s37, s43
	s_addc_u32 s42, 0, s42
	s_add_u32 s37, s37, s40
	s_mul_hi_u32 s23, s39, s22
	s_addc_u32 s37, s42, s38
	s_addc_u32 s23, s23, 0
	s_mul_i32 s22, s39, s22
	s_add_u32 s22, s37, s22
	s_addc_u32 s37, 0, s23
	s_add_u32 s40, s41, s22
	s_cselect_b64 s[22:23], -1, 0
	s_cmp_lg_u64 s[22:23], 0
	s_addc_u32 s37, s39, s37
	s_ashr_i32 s22, s53, 31
	s_add_u32 s38, s36, s22
	s_mov_b32 s23, s22
	s_addc_u32 s39, s53, s22
	s_xor_b64 s[38:39], s[38:39], s[22:23]
	s_mul_i32 s42, s38, s37
	s_mul_hi_u32 s43, s38, s40
	s_mul_hi_u32 s41, s38, s37
	s_add_u32 s42, s43, s42
	s_addc_u32 s41, 0, s41
	s_mul_hi_u32 s52, s39, s40
	s_mul_i32 s40, s39, s40
	s_add_u32 s40, s42, s40
	s_mul_hi_u32 s43, s39, s37
	s_addc_u32 s40, s41, s52
	s_addc_u32 s41, s43, 0
	s_mul_i32 s37, s39, s37
	s_add_u32 s37, s40, s37
	s_addc_u32 s40, 0, s41
	s_mul_i32 s40, s8, s40
	s_mul_hi_u32 s41, s8, s37
	s_add_i32 s40, s41, s40
	s_mul_i32 s41, s9, s37
	s_add_i32 s52, s40, s41
	s_sub_i32 s42, s39, s52
	s_mul_i32 s37, s8, s37
	s_sub_u32 s37, s38, s37
	s_cselect_b64 s[40:41], -1, 0
	s_cmp_lg_u64 s[40:41], 0
	s_subb_u32 s38, s42, s9
	s_sub_u32 s54, s37, s8
	s_cselect_b64 s[42:43], -1, 0
	s_cmp_lg_u64 s[42:43], 0
	s_subb_u32 s55, s38, 0
	s_cmp_ge_u32 s55, s9
	s_cselect_b32 s64, -1, 0
	s_cmp_ge_u32 s54, s8
	s_cselect_b32 s74, -1, 0
	s_cmp_eq_u32 s55, s9
	s_cselect_b32 s64, s74, s64
	s_cmp_lg_u64 s[42:43], 0
	s_subb_u32 s38, s38, s9
	s_sub_u32 s74, s54, s8
	s_cselect_b64 s[42:43], -1, 0
	s_cmp_lg_u64 s[42:43], 0
	s_subb_u32 s38, s38, 0
	s_cmp_lg_u32 s64, 0
	s_cselect_b32 s42, s74, s54
	s_cselect_b32 s38, s38, s55
	s_cmp_lg_u64 s[40:41], 0
	s_subb_u32 s39, s39, s52
	s_cmp_ge_u32 s39, s9
	s_cselect_b32 s40, -1, 0
	s_cmp_ge_u32 s37, s8
	s_cselect_b32 s8, -1, 0
	s_cmp_eq_u32 s39, s9
	s_cselect_b32 s8, s8, s40
	s_cmp_lg_u32 s8, 0
	s_cselect_b32 s9, s38, s39
	s_cselect_b32 s8, s42, s37
	s_xor_b64 s[8:9], s[8:9], s[22:23]
	s_sub_u32 s8, s8, s22
	s_mov_b64 s[42:43], vcc
	s_subb_u32 s9, s9, s22
	s_cbranch_execnz .LBB70_265
.LBB70_264:                             ;   in Loop: Header=BB70_34 Depth=1
	v_cvt_f32_u32_e32 v4, s33
	s_sub_i32 s8, 0, s33
	v_rcp_iflag_f32_e32 v4, v4
	v_mul_f32_e32 v4, 0x4f7ffffe, v4
	v_cvt_u32_f32_e32 v4, v4
	v_readfirstlane_b32 s9, v4
	s_mul_i32 s8, s8, s9
	s_mul_hi_u32 s8, s9, s8
	s_add_i32 s9, s9, s8
	s_mul_hi_u32 s8, s36, s9
	s_mul_i32 s8, s8, s33
	s_sub_i32 s8, s36, s8
	s_sub_i32 s9, s8, s33
	s_cmp_ge_u32 s8, s33
	s_cselect_b32 s8, s9, s8
	s_sub_i32 s9, s8, s33
	s_cmp_ge_u32 s8, s33
	s_cselect_b32 s64, s9, s8
	s_mov_b64 s[8:9], s[64:65]
.LBB70_265:                             ;   in Loop: Header=BB70_34 Depth=1
	s_sub_u32 s36, s36, s8
	s_subb_u32 s37, s53, s9
	v_cmp_gt_i64_e32 vcc, s[36:37], v[0:1]
                                        ; implicit-def: $vgpr52
	s_and_saveexec_b64 s[8:9], vcc
	s_cbranch_execz .LBB70_274
; %bb.266:                              ;   in Loop: Header=BB70_34 Depth=1
	v_mov_b32_e32 v5, v1
	s_mov_b64 s[52:53], s[42:43]
	s_mov_b64 s[38:39], 0
	v_mov_b32_e32 v8, v45
	v_mov_b32_e32 v4, v0
                                        ; implicit-def: $sgpr40_sgpr41
	s_branch .LBB70_269
.LBB70_267:                             ;   in Loop: Header=BB70_269 Depth=2
	s_or_b64 exec, exec, s[42:43]
	s_waitcnt lgkmcnt(0)
	s_barrier
	ds_read_b32 v9, v3 offset:3072
	s_mov_b64 s[42:43], -1
	s_mov_b64 s[22:23], -1
	s_waitcnt lgkmcnt(0)
	s_barrier
	v_and_b32_e32 v10, 0x7fff, v9
	v_cmp_eq_u32_e32 vcc, 0, v10
	s_cbranch_vccnz .LBB70_272
.LBB70_268:                             ;   in Loop: Header=BB70_269 Depth=2
	s_and_b64 s[42:43], exec, s[42:43]
	s_or_b64 s[38:39], s[42:43], s[38:39]
	s_andn2_b64 s[40:41], s[40:41], exec
	s_and_b64 s[22:23], s[22:23], exec
	s_or_b64 s[40:41], s[40:41], s[22:23]
	s_andn2_b64 exec, exec, s[38:39]
	s_cbranch_execz .LBB70_273
.LBB70_269:                             ;   Parent Loop BB70_34 Depth=1
                                        ; =>  This Inner Loop Header: Depth=2
	v_cmp_gt_u64_e32 vcc, s[28:29], v[4:5]
	s_and_saveexec_b64 s[42:43], vcc
	s_cbranch_execz .LBB70_267
; %bb.270:                              ;   in Loop: Header=BB70_269 Depth=2
	ds_read_u16 v9, v8
	s_waitcnt lgkmcnt(0)
	v_cmp_lt_i16_e32 vcc, -1, v9
	v_cndmask_b32_e32 v10, v47, v48, vcc
	v_lshlrev_b32_e32 v11, 16, v9
	v_cmp_o_f32_e32 vcc, v11, v11
	v_xor_b32_sdwa v10, v10, v9 dst_sel:DWORD dst_unused:UNUSED_PAD src0_sel:DWORD src1_sel:WORD_0
	v_cndmask_b32_e32 v10, v47, v10, vcc
	v_and_b32_e32 v10, v10, v51
	v_cmp_eq_u32_e32 vcc, v10, v44
	s_and_b64 exec, exec, vcc
	s_cbranch_execz .LBB70_267
; %bb.271:                              ;   in Loop: Header=BB70_269 Depth=2
	v_perm_b32 v9, v9, s73, v50
	ds_write_b32 v3, v9 offset:3072
	s_branch .LBB70_267
.LBB70_272:                             ;   in Loop: Header=BB70_269 Depth=2
	v_add_co_u32_e32 v4, vcc, s33, v4
	v_addc_co_u32_e32 v5, vcc, 0, v5, vcc
	v_cmp_le_i64_e32 vcc, s[36:37], v[4:5]
	v_add_u32_e32 v8, s72, v8
	s_mov_b64 s[22:23], 0
	s_orn2_b64 s[42:43], vcc, exec
	s_branch .LBB70_268
.LBB70_273:                             ;   in Loop: Header=BB70_34 Depth=1
	s_or_b64 exec, exec, s[38:39]
	s_andn2_b64 s[22:23], s[80:81], exec
	s_and_b64 s[28:29], s[40:41], exec
	v_lshrrev_b32_e32 v52, 16, v9
	s_or_b64 s[80:81], s[22:23], s[28:29]
	s_mov_b64 s[42:43], s[52:53]
.LBB70_274:                             ;   in Loop: Header=BB70_34 Depth=1
	s_or_b64 exec, exec, s[8:9]
	s_mov_b64 s[52:53], 0
	s_mov_b64 s[54:55], -1
.LBB70_275:                             ;   in Loop: Header=BB70_34 Depth=1
	s_orn2_b64 s[28:29], s[80:81], exec
.LBB70_276:                             ;   in Loop: Header=BB70_34 Depth=1
	s_or_b64 exec, exec, s[62:63]
	s_mov_b64 s[36:37], 0
	s_and_saveexec_b64 s[8:9], s[28:29]
	s_cbranch_execz .LBB70_287
; %bb.277:                              ;   in Loop: Header=BB70_34 Depth=1
	v_mov_b32_e32 v4, 1
	s_xor_b64 s[22:23], s[42:43], -1
	v_mov_b32_e32 v5, 0
	v_mov_b32_e32 v2, 1
	s_and_saveexec_b64 s[28:29], s[22:23]
	s_cbranch_execz .LBB70_286
; %bb.278:                              ;   in Loop: Header=BB70_34 Depth=1
	v_cmp_ge_i64_e32 vcc, s[16:17], v[6:7]
	s_and_saveexec_b64 s[22:23], vcc
	s_xor_b64 s[36:37], exec, s[22:23]
	s_cbranch_execz .LBB70_283
; %bb.279:                              ;   in Loop: Header=BB70_34 Depth=1
	ds_read_b64 v[4:5], v3 offset:5120
	v_or_b32_e32 v44, s78, v44
	v_or_b32_e32 v51, s78, v51
	s_waitcnt lgkmcnt(0)
	v_cmp_ne_u64_e32 vcc, 0, v[4:5]
	s_cbranch_vccnz .LBB70_283
; %bb.280:                              ;   in Loop: Header=BB70_34 Depth=1
	s_mov_b64 s[22:23], exec
	v_readlane_b32 s38, v56, 32
	v_readlane_b32 s39, v56, 33
	s_and_b64 s[38:39], s[22:23], s[38:39]
	s_mov_b64 exec, s[38:39]
; %bb.281:                              ;   in Loop: Header=BB70_34 Depth=1
	v_mov_b32_e32 v4, s16
	v_mov_b32_e32 v5, s17
	ds_write_b64 v3, v[4:5] offset:5128
; %bb.282:                              ;   in Loop: Header=BB70_34 Depth=1
	s_or_b64 exec, exec, s[22:23]
	s_waitcnt lgkmcnt(0)
	s_barrier
.LBB70_283:                             ;   in Loop: Header=BB70_34 Depth=1
	s_andn2_saveexec_b64 s[36:37], s[36:37]
; %bb.284:                              ;   in Loop: Header=BB70_34 Depth=1
	v_mov_b32_e32 v2, s17
	v_subrev_co_u32_e32 v6, vcc, s16, v6
	v_subb_co_u32_e32 v7, vcc, v7, v2, vcc
; %bb.285:                              ;   in Loop: Header=BB70_34 Depth=1
	s_or_b64 exec, exec, s[36:37]
	v_mov_b32_e32 v4, v6
	v_mov_b32_e32 v2, 8
	;; [unrolled: 1-line block ×3, first 2 shown]
.LBB70_286:                             ;   in Loop: Header=BB70_34 Depth=1
	s_or_b64 exec, exec, s[28:29]
	v_mov_b32_e32 v7, v5
	s_mov_b64 s[36:37], exec
	v_mov_b32_e32 v6, v4
.LBB70_287:                             ;   in Loop: Header=BB70_34 Depth=1
	s_or_b64 exec, exec, s[8:9]
	s_orn2_b64 s[8:9], s[36:37], exec
.LBB70_288:                             ;   in Loop: Header=BB70_34 Depth=1
	s_or_b64 exec, exec, s[34:35]
	s_andn2_b64 s[6:7], s[6:7], exec
	s_and_b64 s[16:17], s[54:55], exec
	s_or_b64 s[6:7], s[6:7], s[16:17]
	s_andn2_b64 s[16:17], s[50:51], exec
	s_and_b64 s[22:23], s[52:53], exec
	v_mov_b32_e32 v4, v6
	s_or_b64 s[50:51], s[16:17], s[22:23]
	s_and_b64 s[28:29], s[8:9], exec
	v_mov_b32_e32 v5, v7
.LBB70_289:                             ;   in Loop: Header=BB70_34 Depth=1
	s_or_b64 exec, exec, s[4:5]
	s_orn2_b64 s[4:5], s[28:29], exec
.LBB70_290:                             ;   in Loop: Header=BB70_34 Depth=1
	s_or_b64 exec, exec, s[48:49]
	s_andn2_b64 s[8:9], s[44:45], exec
	s_and_b64 s[6:7], s[6:7], exec
	s_or_b64 s[44:45], s[8:9], s[6:7]
	s_andn2_b64 s[6:7], s[14:15], exec
	s_and_b64 s[8:9], s[50:51], exec
	v_mov_b32_e32 v9, v5
	s_or_b64 s[14:15], s[6:7], s[8:9]
	s_and_b64 s[6:7], s[4:5], exec
	v_mov_b32_e32 v8, v4
.LBB70_291:                             ;   in Loop: Header=BB70_34 Depth=1
	s_or_b64 exec, exec, s[46:47]
	s_orn2_b64 s[4:5], s[6:7], exec
.LBB70_292:                             ;   in Loop: Header=BB70_34 Depth=1
	s_or_b64 exec, exec, s[26:27]
	s_mov_b64 s[6:7], 0
	s_and_saveexec_b64 s[8:9], s[4:5]
	s_xor_b64 s[4:5], exec, s[8:9]
	s_cbranch_execz .LBB70_32
; %bb.293:                              ;   in Loop: Header=BB70_34 Depth=1
	v_and_b32_e32 v2, 7, v2
	v_cmp_eq_u32_e32 vcc, 0, v2
	s_mov_b64 s[8:9], -1
	s_mov_b64 s[6:7], -1
	s_and_saveexec_b64 s[16:17], vcc
	s_cbranch_execz .LBB70_31
; %bb.294:                              ;   in Loop: Header=BB70_34 Depth=1
	s_xor_b32 s83, s83, 1
	s_add_i32 s20, s82, -2
	s_cmp_eq_u32 s82, 0
	s_cselect_b64 s[8:9], -1, 0
	s_xor_b64 s[6:7], exec, -1
	s_orn2_b64 s[8:9], s[8:9], exec
	s_mov_b32 s82, s20
	s_branch .LBB70_31
.LBB70_295:                             ;   in Loop: Header=BB70_34 Depth=1
                                        ; implicit-def: $sgpr8_sgpr9
	s_branch .LBB70_248
.LBB70_296:                             ;   in Loop: Header=BB70_34 Depth=1
                                        ; implicit-def: $sgpr8_sgpr9
	s_branch .LBB70_264
.LBB70_297:
	s_or_b64 exec, exec, s[88:89]
	s_xor_b64 s[6:7], s[94:95], -1
	s_xor_b64 s[0:1], s[90:91], -1
	;; [unrolled: 1-line block ×3, first 2 shown]
	s_mov_b64 s[2:3], 0
	s_and_saveexec_b64 s[4:5], s[0:1]
	s_xor_b64 s[4:5], exec, s[4:5]
	s_cbranch_execnz .LBB70_302
; %bb.298:
	s_andn2_saveexec_b64 s[0:1], s[4:5]
	s_cbranch_execnz .LBB70_324
.LBB70_299:
	s_or_b64 exec, exec, s[0:1]
	s_and_saveexec_b64 s[0:1], s[2:3]
.LBB70_300:
	; divergent unreachable
.LBB70_301:
	s_endpgm
.LBB70_302:
	s_and_saveexec_b64 s[0:1], s[6:7]
	s_xor_b64 s[6:7], exec, s[0:1]
	s_cbranch_execz .LBB70_322
; %bb.303:
	s_and_saveexec_b64 s[0:1], s[8:9]
	s_xor_b64 s[2:3], exec, s[0:1]
; %bb.304:
	v_and_b32_e32 v2, 0x8000, v44
	v_mov_b32_e32 v3, 0x8000
	v_mov_b32_e32 v4, 0xffff
	v_cmp_eq_u32_e32 vcc, 0, v2
	v_cndmask_b32_e32 v2, v3, v4, vcc
	v_xor_b32_e32 v52, v2, v44
; %bb.305:
	s_or_b64 exec, exec, s[2:3]
	s_mov_b64 s[2:3], exec
	v_readlane_b32 s0, v56, 32
	v_readlane_b32 s1, v56, 33
	s_and_b64 s[0:1], s[2:3], s[0:1]
	v_readlane_b32 s22, v56, 34
	v_readlane_b32 s23, v56, 35
	s_mov_b64 exec, s[0:1]
; %bb.306:
	v_mov_b32_e32 v2, 0
	v_mov_b32_e32 v3, s24
	ds_write_b32 v2, v3 offset:5140
; %bb.307:
	s_or_b64 exec, exec, s[2:3]
	s_waitcnt lgkmcnt(0)
	s_barrier
	s_mov_b64 s[10:11], exec
	v_readlane_b32 s0, v56, 53
	v_readlane_b32 s1, v56, 54
	s_and_b64 s[0:1], s[10:11], s[0:1]
	s_mov_b64 exec, s[0:1]
	s_cbranch_execz .LBB70_319
; %bb.308:
	v_mov_b32_e32 v2, 0
	ds_read_b32 v4, v2 offset:5140
	v_lshlrev_b32_e32 v6, 16, v52
	v_cmp_u_f32_e32 vcc, v6, v6
	s_mov_b64 s[8:9], 0
	s_xor_b64 s[12:13], vcc, -1
	s_waitcnt lgkmcnt(0)
	v_ashrrev_i32_e32 v5, 31, v4
                                        ; implicit-def: $sgpr14_sgpr15
                                        ; implicit-def: $sgpr16_sgpr17
                                        ; implicit-def: $sgpr18_sgpr19
	s_branch .LBB70_311
.LBB70_309:                             ;   in Loop: Header=BB70_311 Depth=1
	s_or_b64 exec, exec, s[30:31]
	s_andn2_b64 s[0:1], s[18:19], exec
	s_and_b64 s[2:3], s[26:27], exec
	s_or_b64 s[18:19], s[0:1], s[2:3]
	s_andn2_b64 s[0:1], s[16:17], exec
	s_and_b64 s[2:3], s[28:29], exec
	s_or_b64 s[16:17], s[0:1], s[2:3]
.LBB70_310:                             ;   in Loop: Header=BB70_311 Depth=1
	s_or_b64 exec, exec, s[20:21]
	s_and_b64 s[0:1], exec, s[16:17]
	s_or_b64 s[8:9], s[0:1], s[8:9]
	s_andn2_b64 s[0:1], s[14:15], exec
	s_and_b64 s[2:3], s[18:19], exec
	s_or_b64 s[14:15], s[0:1], s[2:3]
	s_andn2_b64 exec, exec, s[8:9]
	s_cbranch_execz .LBB70_314
.LBB70_311:                             ; =>This Inner Loop Header: Depth=1
	v_mov_b32_e32 v3, v1
	v_mov_b32_e32 v2, v0
	v_cmp_lt_i64_e32 vcc, v[2:3], v[4:5]
	s_or_b64 s[18:19], s[18:19], exec
	s_or_b64 s[16:17], s[16:17], exec
                                        ; implicit-def: $vgpr0_vgpr1
	s_and_saveexec_b64 s[20:21], vcc
	s_cbranch_execz .LBB70_310
; %bb.312:                              ;   in Loop: Header=BB70_311 Depth=1
	global_load_ushort v0, v[12:13], off
	s_mov_b64 s[28:29], -1
	s_mov_b64 s[26:27], 0
	s_waitcnt vmcnt(0)
	v_lshlrev_b32_e32 v0, 16, v0
	v_cmp_o_f32_e64 s[2:3], v0, v0
	v_cmp_neq_f32_e32 vcc, v0, v6
	s_or_b64 s[0:1], s[12:13], s[2:3]
	s_and_b64 s[0:1], vcc, s[0:1]
                                        ; implicit-def: $vgpr0_vgpr1
	s_and_saveexec_b64 s[30:31], s[0:1]
	s_cbranch_execz .LBB70_309
; %bb.313:                              ;   in Loop: Header=BB70_311 Depth=1
	v_add_co_u32_e32 v0, vcc, s33, v2
	v_addc_co_u32_e32 v1, vcc, 0, v3, vcc
	v_cmp_le_i64_e32 vcc, s[24:25], v[0:1]
	v_mov_b32_e32 v3, s69
	v_add_co_u32_e64 v12, s[2:3], s68, v12
	s_mov_b64 s[26:27], exec
	v_addc_co_u32_e64 v13, s[2:3], v13, v3, s[2:3]
	s_orn2_b64 s[28:29], vcc, exec
	s_branch .LBB70_309
.LBB70_314:
	s_or_b64 exec, exec, s[8:9]
	s_xor_b64 s[0:1], s[14:15], -1
	s_and_saveexec_b64 s[2:3], s[0:1]
	s_xor_b64 s[2:3], exec, s[2:3]
	s_cbranch_execz .LBB70_319
; %bb.315:
	s_mov_b64 s[2:3], exec
	s_brev_b32 s0, -2
.LBB70_316:                             ; =>This Inner Loop Header: Depth=1
	s_ff1_i32_b64 s1, s[2:3]
	v_readlane_b32 s12, v2, s1
	s_lshl_b64 s[8:9], 1, s1
	s_min_i32 s0, s0, s12
	s_andn2_b64 s[2:3], s[2:3], s[8:9]
	s_cmp_lg_u64 s[2:3], 0
	s_cbranch_scc1 .LBB70_316
; %bb.317:
	v_mbcnt_lo_u32_b32 v0, exec_lo, 0
	v_mbcnt_hi_u32_b32 v0, exec_hi, v0
	v_cmp_eq_u32_e32 vcc, 0, v0
	s_and_saveexec_b64 s[2:3], vcc
	s_xor_b64 s[2:3], exec, s[2:3]
; %bb.318:
	v_mov_b32_e32 v0, 0
	v_mov_b32_e32 v1, s0
	ds_min_i32 v0, v1 offset:5140
.LBB70_319:
	s_or_b64 exec, exec, s[10:11]
	s_waitcnt lgkmcnt(0)
	s_barrier
	s_mov_b64 s[2:3], exec
	v_readlane_b32 s0, v56, 32
	v_readlane_b32 s1, v56, 33
	s_and_b64 s[0:1], s[2:3], s[0:1]
	s_mov_b64 exec, s[0:1]
	s_cbranch_execz .LBB70_321
; %bb.320:
	v_readlane_b32 s24, v56, 6
	v_readlane_b32 s26, v56, 8
	;; [unrolled: 1-line block ×5, first 2 shown]
	s_mul_i32 s0, s20, s27
	s_mul_hi_u32 s1, s20, s26
	s_add_i32 s0, s1, s0
	s_mul_i32 s1, s21, s26
	s_add_i32 s0, s0, s1
	s_mul_i32 s1, s20, s26
	v_readlane_b32 s10, v56, 14
	s_sub_u32 s8, s22, s1
	v_readlane_b32 s11, v56, 15
	s_subb_u32 s0, 0, s0
	s_mul_i32 s1, s8, s11
	s_mul_hi_u32 s9, s8, s10
	v_readlane_b32 s12, v56, 0
	s_add_i32 s1, s9, s1
	s_mul_i32 s0, s0, s10
	v_readlane_b32 s13, v56, 1
	v_readlane_b32 s18, v56, 10
	s_add_i32 s1, s1, s0
	s_mul_i32 s0, s8, s10
	v_readlane_b32 s19, v56, 11
	s_mul_i32 s8, s18, s13
	s_mul_hi_u32 s9, s18, s12
	s_add_i32 s8, s9, s8
	s_mul_i32 s9, s19, s12
	s_add_i32 s8, s8, s9
	s_mul_i32 s9, s18, s12
	v_readlane_b32 s16, v56, 4
	v_readlane_b32 s28, v56, 22
	;; [unrolled: 1-line block ×3, first 2 shown]
	s_sub_u32 s10, s16, s9
	v_readlane_b32 s30, v56, 24
	v_readlane_b32 s31, v56, 25
	s_subb_u32 s8, s17, s8
	s_mul_i32 s9, s10, s31
	s_mul_hi_u32 s11, s10, s30
	v_readlane_b32 s14, v56, 2
	v_readlane_b32 s15, v56, 3
	;; [unrolled: 1-line block ×3, first 2 shown]
	s_add_i32 s9, s11, s9
	s_mul_i32 s8, s8, s30
	s_add_i32 s9, s9, s8
	s_mul_i32 s8, s10, s30
	s_mul_i32 s10, s18, s29
	s_mul_hi_u32 s11, s18, s28
	s_mul_i32 s12, s16, s15
	s_mul_hi_u32 s13, s16, s14
	s_add_i32 s10, s11, s10
	s_mul_i32 s11, s19, s28
	s_add_i32 s12, s13, s12
	s_mul_i32 s13, s17, s14
	s_add_i32 s11, s10, s11
	s_add_i32 s12, s12, s13
	s_mul_i32 s13, s16, s14
	v_readlane_b32 s16, v56, 20
	s_sub_u32 s14, s22, s13
	v_readlane_b32 s17, v56, 21
	s_subb_u32 s12, 0, s12
	s_mul_i32 s13, s14, s17
	s_mul_hi_u32 s15, s14, s16
	v_readlane_b32 s25, v56, 7
	s_mul_i32 s10, s18, s28
	s_add_i32 s13, s15, s13
	s_mul_i32 s12, s12, s16
	v_readlane_b32 s18, v56, 26
	s_add_i32 s13, s13, s12
	s_mul_i32 s12, s14, s16
	v_readlane_b32 s19, v56, 27
	s_mul_i32 s14, s18, s25
	s_mul_hi_u32 s15, s18, s24
	s_add_i32 s14, s15, s14
	s_mul_i32 s15, s19, s24
	s_add_i32 s14, s14, s15
	s_mul_i32 s15, s18, s24
	s_sub_u32 s16, s20, s15
	s_subb_u32 s14, s21, s14
	v_readlane_b32 s20, v56, 16
	v_readlane_b32 s22, v56, 18
	;; [unrolled: 1-line block ×3, first 2 shown]
	s_mul_i32 s15, s16, s23
	s_mul_hi_u32 s17, s16, s22
	v_readlane_b32 s21, v56, 17
	s_add_i32 s15, s17, s15
	s_mul_i32 s14, s14, s22
	s_add_i32 s15, s15, s14
	s_mul_i32 s14, s16, s22
	s_mul_i32 s16, s18, s21
	s_mul_hi_u32 s17, s18, s20
	s_add_i32 s16, s17, s16
	s_mul_i32 s17, s19, s20
	s_add_i32 s17, s16, s17
	s_mul_i32 s16, s18, s20
	s_lshl_b64 s[10:11], s[10:11], 1
	v_readlane_b32 s18, v56, 30
	v_readlane_b32 s19, v56, 31
	s_add_u32 s10, s18, s10
	s_addc_u32 s11, s19, s11
	s_lshl_b64 s[8:9], s[8:9], 1
	s_add_u32 s10, s10, s8
	s_addc_u32 s11, s11, s9
	s_lshl_b64 s[8:9], s[12:13], 1
	;; [unrolled: 3-line block ×3, first 2 shown]
	v_readlane_b32 s12, v56, 28
	v_mov_b32_e32 v2, 0
	v_readlane_b32 s13, v56, 29
	s_add_u32 s12, s12, s10
	ds_read_b32 v0, v2 offset:5140
	s_addc_u32 s13, s13, s11
	s_lshl_b64 s[10:11], s[14:15], 3
	s_add_u32 s10, s12, s10
	s_addc_u32 s11, s13, s11
	s_lshl_b64 s[0:1], s[0:1], 3
	s_add_u32 s0, s10, s0
	s_addc_u32 s1, s11, s1
	s_waitcnt lgkmcnt(0)
	v_ashrrev_i32_e32 v1, 31, v0
	global_store_dwordx2 v2, v[0:1], s[0:1]
	global_store_short v2, v52, s[8:9]
.LBB70_321:
	s_or_b64 exec, exec, s[2:3]
.LBB70_322:
	s_or_saveexec_b64 s[0:1], s[6:7]
	s_mov_b64 s[2:3], 0
	s_xor_b64 exec, exec, s[0:1]
	s_cbranch_execnz .LBB70_325
.LBB70_323:
	s_or_b64 exec, exec, s[0:1]
	s_and_b64 s[2:3], s[2:3], exec
	s_andn2_saveexec_b64 s[0:1], s[4:5]
	s_cbranch_execz .LBB70_299
.LBB70_324:
	s_or_b64 s[2:3], s[2:3], exec
	s_trap 2
	s_or_b64 exec, exec, s[0:1]
	s_and_saveexec_b64 s[0:1], s[2:3]
	s_cbranch_execnz .LBB70_300
	s_branch .LBB70_301
.LBB70_325:
	s_mov_b64 s[2:3], exec
	s_trap 2
	s_branch .LBB70_323
	.section	.rodata,"a",@progbits
	.p2align	6, 0x0
	.amdhsa_kernel _ZN2at6native12_GLOBAL__N_114gatherKthValueIN3c108BFloat16ElLi3EEEvNS_4cuda6detail10TensorInfoIKT_T0_EESA_SA_SA_SA_NS7_IS8_SA_EENS7_IlSA_EE
		.amdhsa_group_segment_fixed_size 5144
		.amdhsa_private_segment_fixed_size 0
		.amdhsa_kernarg_size 1536
		.amdhsa_user_sgpr_count 6
		.amdhsa_user_sgpr_private_segment_buffer 1
		.amdhsa_user_sgpr_dispatch_ptr 0
		.amdhsa_user_sgpr_queue_ptr 0
		.amdhsa_user_sgpr_kernarg_segment_ptr 1
		.amdhsa_user_sgpr_dispatch_id 0
		.amdhsa_user_sgpr_flat_scratch_init 0
		.amdhsa_user_sgpr_private_segment_size 0
		.amdhsa_uses_dynamic_stack 0
		.amdhsa_system_sgpr_private_segment_wavefront_offset 0
		.amdhsa_system_sgpr_workgroup_id_x 1
		.amdhsa_system_sgpr_workgroup_id_y 1
		.amdhsa_system_sgpr_workgroup_id_z 1
		.amdhsa_system_sgpr_workgroup_info 0
		.amdhsa_system_vgpr_workitem_id 0
		.amdhsa_next_free_vgpr 57
		.amdhsa_next_free_sgpr 96
		.amdhsa_reserve_vcc 1
		.amdhsa_reserve_flat_scratch 0
		.amdhsa_float_round_mode_32 0
		.amdhsa_float_round_mode_16_64 0
		.amdhsa_float_denorm_mode_32 3
		.amdhsa_float_denorm_mode_16_64 3
		.amdhsa_dx10_clamp 1
		.amdhsa_ieee_mode 1
		.amdhsa_fp16_overflow 0
		.amdhsa_exception_fp_ieee_invalid_op 0
		.amdhsa_exception_fp_denorm_src 0
		.amdhsa_exception_fp_ieee_div_zero 0
		.amdhsa_exception_fp_ieee_overflow 0
		.amdhsa_exception_fp_ieee_underflow 0
		.amdhsa_exception_fp_ieee_inexact 0
		.amdhsa_exception_int_div_zero 0
	.end_amdhsa_kernel
	.section	.text._ZN2at6native12_GLOBAL__N_114gatherKthValueIN3c108BFloat16ElLi3EEEvNS_4cuda6detail10TensorInfoIKT_T0_EESA_SA_SA_SA_NS7_IS8_SA_EENS7_IlSA_EE,"axG",@progbits,_ZN2at6native12_GLOBAL__N_114gatherKthValueIN3c108BFloat16ElLi3EEEvNS_4cuda6detail10TensorInfoIKT_T0_EESA_SA_SA_SA_NS7_IS8_SA_EENS7_IlSA_EE,comdat
.Lfunc_end70:
	.size	_ZN2at6native12_GLOBAL__N_114gatherKthValueIN3c108BFloat16ElLi3EEEvNS_4cuda6detail10TensorInfoIKT_T0_EESA_SA_SA_SA_NS7_IS8_SA_EENS7_IlSA_EE, .Lfunc_end70-_ZN2at6native12_GLOBAL__N_114gatherKthValueIN3c108BFloat16ElLi3EEEvNS_4cuda6detail10TensorInfoIKT_T0_EESA_SA_SA_SA_NS7_IS8_SA_EENS7_IlSA_EE
                                        ; -- End function
	.set _ZN2at6native12_GLOBAL__N_114gatherKthValueIN3c108BFloat16ElLi3EEEvNS_4cuda6detail10TensorInfoIKT_T0_EESA_SA_SA_SA_NS7_IS8_SA_EENS7_IlSA_EE.num_vgpr, 57
	.set _ZN2at6native12_GLOBAL__N_114gatherKthValueIN3c108BFloat16ElLi3EEEvNS_4cuda6detail10TensorInfoIKT_T0_EESA_SA_SA_SA_NS7_IS8_SA_EENS7_IlSA_EE.num_agpr, 0
	.set _ZN2at6native12_GLOBAL__N_114gatherKthValueIN3c108BFloat16ElLi3EEEvNS_4cuda6detail10TensorInfoIKT_T0_EESA_SA_SA_SA_NS7_IS8_SA_EENS7_IlSA_EE.numbered_sgpr, 96
	.set _ZN2at6native12_GLOBAL__N_114gatherKthValueIN3c108BFloat16ElLi3EEEvNS_4cuda6detail10TensorInfoIKT_T0_EESA_SA_SA_SA_NS7_IS8_SA_EENS7_IlSA_EE.num_named_barrier, 0
	.set _ZN2at6native12_GLOBAL__N_114gatherKthValueIN3c108BFloat16ElLi3EEEvNS_4cuda6detail10TensorInfoIKT_T0_EESA_SA_SA_SA_NS7_IS8_SA_EENS7_IlSA_EE.private_seg_size, 0
	.set _ZN2at6native12_GLOBAL__N_114gatherKthValueIN3c108BFloat16ElLi3EEEvNS_4cuda6detail10TensorInfoIKT_T0_EESA_SA_SA_SA_NS7_IS8_SA_EENS7_IlSA_EE.uses_vcc, 1
	.set _ZN2at6native12_GLOBAL__N_114gatherKthValueIN3c108BFloat16ElLi3EEEvNS_4cuda6detail10TensorInfoIKT_T0_EESA_SA_SA_SA_NS7_IS8_SA_EENS7_IlSA_EE.uses_flat_scratch, 0
	.set _ZN2at6native12_GLOBAL__N_114gatherKthValueIN3c108BFloat16ElLi3EEEvNS_4cuda6detail10TensorInfoIKT_T0_EESA_SA_SA_SA_NS7_IS8_SA_EENS7_IlSA_EE.has_dyn_sized_stack, 0
	.set _ZN2at6native12_GLOBAL__N_114gatherKthValueIN3c108BFloat16ElLi3EEEvNS_4cuda6detail10TensorInfoIKT_T0_EESA_SA_SA_SA_NS7_IS8_SA_EENS7_IlSA_EE.has_recursion, 0
	.set _ZN2at6native12_GLOBAL__N_114gatherKthValueIN3c108BFloat16ElLi3EEEvNS_4cuda6detail10TensorInfoIKT_T0_EESA_SA_SA_SA_NS7_IS8_SA_EENS7_IlSA_EE.has_indirect_call, 0
	.section	.AMDGPU.csdata,"",@progbits
; Kernel info:
; codeLenInByte = 21492
; TotalNumSgprs: 100
; NumVgprs: 57
; ScratchSize: 0
; MemoryBound: 0
; FloatMode: 240
; IeeeMode: 1
; LDSByteSize: 5144 bytes/workgroup (compile time only)
; SGPRBlocks: 12
; VGPRBlocks: 14
; NumSGPRsForWavesPerEU: 100
; NumVGPRsForWavesPerEU: 57
; Occupancy: 4
; WaveLimiterHint : 1
; COMPUTE_PGM_RSRC2:SCRATCH_EN: 0
; COMPUTE_PGM_RSRC2:USER_SGPR: 6
; COMPUTE_PGM_RSRC2:TRAP_HANDLER: 0
; COMPUTE_PGM_RSRC2:TGID_X_EN: 1
; COMPUTE_PGM_RSRC2:TGID_Y_EN: 1
; COMPUTE_PGM_RSRC2:TGID_Z_EN: 1
; COMPUTE_PGM_RSRC2:TIDIG_COMP_CNT: 0
	.section	.text._ZN2at6native12_GLOBAL__N_114gatherKthValueIN3c108BFloat16ElLin1EEEvNS_4cuda6detail10TensorInfoIKT_T0_EESA_SA_SA_SA_NS7_IS8_SA_EENS7_IlSA_EE,"axG",@progbits,_ZN2at6native12_GLOBAL__N_114gatherKthValueIN3c108BFloat16ElLin1EEEvNS_4cuda6detail10TensorInfoIKT_T0_EESA_SA_SA_SA_NS7_IS8_SA_EENS7_IlSA_EE,comdat
	.globl	_ZN2at6native12_GLOBAL__N_114gatherKthValueIN3c108BFloat16ElLin1EEEvNS_4cuda6detail10TensorInfoIKT_T0_EESA_SA_SA_SA_NS7_IS8_SA_EENS7_IlSA_EE ; -- Begin function _ZN2at6native12_GLOBAL__N_114gatherKthValueIN3c108BFloat16ElLin1EEEvNS_4cuda6detail10TensorInfoIKT_T0_EESA_SA_SA_SA_NS7_IS8_SA_EENS7_IlSA_EE
	.p2align	8
	.type	_ZN2at6native12_GLOBAL__N_114gatherKthValueIN3c108BFloat16ElLin1EEEvNS_4cuda6detail10TensorInfoIKT_T0_EESA_SA_SA_SA_NS7_IS8_SA_EENS7_IlSA_EE,@function
_ZN2at6native12_GLOBAL__N_114gatherKthValueIN3c108BFloat16ElLin1EEEvNS_4cuda6detail10TensorInfoIKT_T0_EESA_SA_SA_SA_NS7_IS8_SA_EENS7_IlSA_EE: ; @_ZN2at6native12_GLOBAL__N_114gatherKthValueIN3c108BFloat16ElLin1EEEvNS_4cuda6detail10TensorInfoIKT_T0_EESA_SA_SA_SA_NS7_IS8_SA_EENS7_IlSA_EE
; %bb.0:
	s_load_dwordx2 s[12:13], s[4:5], 0x500
	s_load_dwordx8 s[24:31], s[4:5], 0x1a0
	s_add_u32 s10, s4, 0x500
	s_addc_u32 s11, s5, 0
	s_mov_b32 s1, 0
	s_waitcnt lgkmcnt(0)
	s_mul_i32 s0, s13, s8
	s_add_i32 s0, s0, s7
	s_mul_i32 s0, s0, s12
	s_add_i32 s0, s0, s6
	v_mov_b32_e32 v2, s1
	v_mov_b32_e32 v1, s0
	v_cmp_le_i64_e32 vcc, s[28:29], v[1:2]
	s_cbranch_vccnz .LBB71_304
; %bb.1:
	s_load_dword s13, s[4:5], 0x198
	s_mov_b64 s[2:3], 0
	s_mov_b64 s[8:9], s[0:1]
	s_waitcnt lgkmcnt(0)
	s_cmp_lt_i32 s13, 2
	s_cbranch_scc1 .LBB71_9
; %bb.2:
	s_mov_b32 s14, 0
	s_add_i32 s2, s13, -1
	s_mov_b32 s3, s14
	s_add_i32 s7, s13, 1
	s_lshl_b64 s[2:3], s[2:3], 3
	s_add_u32 s2, s4, s2
	s_addc_u32 s3, s5, s3
	s_add_u32 s16, s2, 8
	s_addc_u32 s17, s3, 0
	s_mov_b64 s[2:3], 0
	s_mov_b64 s[18:19], s[0:1]
.LBB71_3:                               ; =>This Inner Loop Header: Depth=1
	s_load_dwordx2 s[20:21], s[16:17], 0x0
	s_waitcnt lgkmcnt(0)
	s_or_b64 s[8:9], s[18:19], s[20:21]
	s_mov_b32 s15, s9
	s_cmp_lg_u64 s[14:15], 0
	s_cbranch_scc0 .LBB71_8
; %bb.4:                                ;   in Loop: Header=BB71_3 Depth=1
	s_ashr_i32 s8, s21, 31
	s_add_u32 s22, s20, s8
	s_mov_b32 s9, s8
	s_addc_u32 s23, s21, s8
	s_xor_b64 s[22:23], s[22:23], s[8:9]
	v_cvt_f32_u32_e32 v1, s22
	v_cvt_f32_u32_e32 v2, s23
	s_sub_u32 s13, 0, s22
	s_subb_u32 s15, 0, s23
	v_mac_f32_e32 v1, 0x4f800000, v2
	v_rcp_f32_e32 v1, v1
	v_mul_f32_e32 v1, 0x5f7ffffc, v1
	v_mul_f32_e32 v2, 0x2f800000, v1
	v_trunc_f32_e32 v2, v2
	v_mac_f32_e32 v1, 0xcf800000, v2
	v_cvt_u32_f32_e32 v2, v2
	v_cvt_u32_f32_e32 v1, v1
	v_readfirstlane_b32 s33, v2
	v_readfirstlane_b32 s28, v1
	s_mul_i32 s29, s13, s33
	s_mul_hi_u32 s35, s13, s28
	s_mul_i32 s34, s15, s28
	s_add_i32 s29, s35, s29
	s_add_i32 s29, s29, s34
	s_mul_i32 s36, s13, s28
	s_mul_i32 s35, s28, s29
	s_mul_hi_u32 s37, s28, s36
	s_mul_hi_u32 s34, s28, s29
	s_add_u32 s35, s37, s35
	s_addc_u32 s34, 0, s34
	s_mul_hi_u32 s38, s33, s36
	s_mul_i32 s36, s33, s36
	s_add_u32 s35, s35, s36
	s_mul_hi_u32 s37, s33, s29
	s_addc_u32 s34, s34, s38
	s_addc_u32 s35, s37, 0
	s_mul_i32 s29, s33, s29
	s_add_u32 s29, s34, s29
	s_addc_u32 s34, 0, s35
	s_add_u32 s35, s28, s29
	s_cselect_b64 s[28:29], -1, 0
	s_cmp_lg_u64 s[28:29], 0
	s_addc_u32 s33, s33, s34
	s_mul_i32 s28, s13, s33
	s_mul_hi_u32 s29, s13, s35
	s_add_i32 s28, s29, s28
	s_mul_i32 s15, s15, s35
	s_add_i32 s28, s28, s15
	s_mul_i32 s13, s13, s35
	s_mul_hi_u32 s29, s33, s13
	s_mul_i32 s34, s33, s13
	s_mul_i32 s37, s35, s28
	s_mul_hi_u32 s13, s35, s13
	s_mul_hi_u32 s36, s35, s28
	s_add_u32 s13, s13, s37
	s_addc_u32 s36, 0, s36
	s_add_u32 s13, s13, s34
	s_mul_hi_u32 s15, s33, s28
	s_addc_u32 s13, s36, s29
	s_addc_u32 s15, s15, 0
	s_mul_i32 s28, s33, s28
	s_add_u32 s13, s13, s28
	s_addc_u32 s15, 0, s15
	s_add_u32 s13, s35, s13
	s_cselect_b64 s[28:29], -1, 0
	s_cmp_lg_u64 s[28:29], 0
	s_addc_u32 s15, s33, s15
	s_ashr_i32 s28, s19, 31
	s_add_u32 s34, s18, s28
	s_mov_b32 s29, s28
	s_addc_u32 s35, s19, s28
	s_xor_b64 s[34:35], s[34:35], s[28:29]
	s_mul_i32 s36, s34, s15
	s_mul_hi_u32 s37, s34, s13
	s_mul_hi_u32 s33, s34, s15
	s_add_u32 s36, s37, s36
	s_addc_u32 s33, 0, s33
	s_mul_hi_u32 s38, s35, s13
	s_mul_i32 s13, s35, s13
	s_add_u32 s13, s36, s13
	s_mul_hi_u32 s37, s35, s15
	s_addc_u32 s13, s33, s38
	s_addc_u32 s33, s37, 0
	s_mul_i32 s15, s35, s15
	s_add_u32 s13, s13, s15
	s_addc_u32 s15, 0, s33
	s_mul_i32 s33, s22, s15
	s_mul_hi_u32 s36, s22, s13
	s_add_i32 s33, s36, s33
	s_mul_i32 s36, s23, s13
	s_add_i32 s33, s33, s36
	s_sub_i32 s38, s35, s33
	s_mul_i32 s36, s22, s13
	s_sub_u32 s34, s34, s36
	s_cselect_b64 s[36:37], -1, 0
	s_cmp_lg_u64 s[36:37], 0
	s_subb_u32 s40, s38, s23
	s_sub_u32 s41, s34, s22
	s_cselect_b64 s[38:39], -1, 0
	s_cmp_lg_u64 s[38:39], 0
	s_subb_u32 s38, s40, 0
	s_cmp_ge_u32 s38, s23
	s_cselect_b32 s39, -1, 0
	s_cmp_ge_u32 s41, s22
	s_cselect_b32 s40, -1, 0
	s_cmp_eq_u32 s38, s23
	s_cselect_b32 s38, s40, s39
	s_add_u32 s39, s13, 1
	s_addc_u32 s40, s15, 0
	s_add_u32 s41, s13, 2
	s_addc_u32 s42, s15, 0
	s_cmp_lg_u32 s38, 0
	s_cselect_b32 s38, s41, s39
	s_cselect_b32 s39, s42, s40
	s_cmp_lg_u64 s[36:37], 0
	s_subb_u32 s33, s35, s33
	s_cmp_ge_u32 s33, s23
	s_cselect_b32 s35, -1, 0
	s_cmp_ge_u32 s34, s22
	s_cselect_b32 s22, -1, 0
	s_cmp_eq_u32 s33, s23
	s_cselect_b32 s22, s22, s35
	s_cmp_lg_u32 s22, 0
	s_cselect_b32 s23, s39, s15
	s_cselect_b32 s22, s38, s13
	s_xor_b64 s[8:9], s[28:29], s[8:9]
	s_xor_b64 s[22:23], s[22:23], s[8:9]
	s_sub_u32 s8, s22, s8
	s_subb_u32 s9, s23, s9
	s_cbranch_execnz .LBB71_6
.LBB71_5:                               ;   in Loop: Header=BB71_3 Depth=1
	v_cvt_f32_u32_e32 v1, s20
	s_sub_i32 s8, 0, s20
	v_rcp_iflag_f32_e32 v1, v1
	v_mul_f32_e32 v1, 0x4f7ffffe, v1
	v_cvt_u32_f32_e32 v1, v1
	v_readfirstlane_b32 s9, v1
	s_mul_i32 s8, s8, s9
	s_mul_hi_u32 s8, s9, s8
	s_add_i32 s9, s9, s8
	s_mul_hi_u32 s8, s18, s9
	s_mul_i32 s13, s8, s20
	s_sub_i32 s13, s18, s13
	s_add_i32 s9, s8, 1
	s_sub_i32 s15, s13, s20
	s_cmp_ge_u32 s13, s20
	s_cselect_b32 s8, s9, s8
	s_cselect_b32 s13, s15, s13
	s_add_i32 s9, s8, 1
	s_cmp_ge_u32 s13, s20
	s_cselect_b32 s8, s9, s8
	s_mov_b32 s9, s14
.LBB71_6:                               ;   in Loop: Header=BB71_3 Depth=1
	s_mul_i32 s13, s8, s21
	s_mul_hi_u32 s15, s8, s20
	s_load_dwordx2 s[22:23], s[16:17], 0xc8
	s_add_i32 s13, s15, s13
	s_mul_i32 s15, s9, s20
	s_add_i32 s13, s13, s15
	s_mul_i32 s15, s8, s20
	s_sub_u32 s15, s18, s15
	s_subb_u32 s13, s19, s13
	s_waitcnt lgkmcnt(0)
	s_mul_i32 s13, s22, s13
	s_mul_hi_u32 s18, s22, s15
	s_add_i32 s13, s18, s13
	s_mul_i32 s18, s23, s15
	s_add_i32 s13, s13, s18
	s_mul_i32 s15, s22, s15
	s_add_u32 s2, s15, s2
	s_addc_u32 s3, s13, s3
	s_add_i32 s7, s7, -1
	s_add_u32 s16, s16, -8
	s_addc_u32 s17, s17, -1
	s_cmp_gt_u32 s7, 2
	s_cbranch_scc0 .LBB71_9
; %bb.7:                                ;   in Loop: Header=BB71_3 Depth=1
	s_mov_b64 s[18:19], s[8:9]
	s_branch .LBB71_3
.LBB71_8:                               ;   in Loop: Header=BB71_3 Depth=1
                                        ; implicit-def: $sgpr8_sgpr9
	s_branch .LBB71_5
.LBB71_9:
	s_load_dword s13, s[4:5], 0x358
	s_load_dwordx2 s[14:15], s[4:5], 0xd0
	s_add_u32 s16, s4, 0x1c0
	s_addc_u32 s17, s5, 0
	s_mov_b64 s[22:23], 0
	s_waitcnt lgkmcnt(0)
	s_cmp_lt_i32 s13, 2
	s_mov_b64 s[28:29], s[0:1]
	s_cbranch_scc1 .LBB71_17
; %bb.10:
	s_mov_b32 s18, 0
	s_add_i32 s20, s13, -1
	s_mov_b32 s21, s18
	s_add_i32 s7, s13, 1
	s_lshl_b64 s[20:21], s[20:21], 3
	s_add_u32 s13, s16, s20
	s_addc_u32 s19, s17, s21
	s_add_u32 s20, s13, 8
	s_addc_u32 s21, s19, 0
	s_mov_b64 s[34:35], s[0:1]
.LBB71_11:                              ; =>This Inner Loop Header: Depth=1
	s_load_dwordx2 s[36:37], s[20:21], 0x0
	s_waitcnt lgkmcnt(0)
	s_or_b64 s[28:29], s[34:35], s[36:37]
	s_mov_b32 s19, s29
	s_cmp_lg_u64 s[18:19], 0
	s_cbranch_scc0 .LBB71_16
; %bb.12:                               ;   in Loop: Header=BB71_11 Depth=1
	s_ashr_i32 s28, s37, 31
	s_add_u32 s38, s36, s28
	s_mov_b32 s29, s28
	s_addc_u32 s39, s37, s28
	s_xor_b64 s[38:39], s[38:39], s[28:29]
	v_cvt_f32_u32_e32 v1, s38
	v_cvt_f32_u32_e32 v2, s39
	s_sub_u32 s13, 0, s38
	s_subb_u32 s19, 0, s39
	v_mac_f32_e32 v1, 0x4f800000, v2
	v_rcp_f32_e32 v1, v1
	v_mul_f32_e32 v1, 0x5f7ffffc, v1
	v_mul_f32_e32 v2, 0x2f800000, v1
	v_trunc_f32_e32 v2, v2
	v_mac_f32_e32 v1, 0xcf800000, v2
	v_cvt_u32_f32_e32 v2, v2
	v_cvt_u32_f32_e32 v1, v1
	v_readfirstlane_b32 s33, v2
	v_readfirstlane_b32 s40, v1
	s_mul_i32 s41, s13, s33
	s_mul_hi_u32 s43, s13, s40
	s_mul_i32 s42, s19, s40
	s_add_i32 s41, s43, s41
	s_add_i32 s41, s41, s42
	s_mul_i32 s44, s13, s40
	s_mul_i32 s43, s40, s41
	s_mul_hi_u32 s45, s40, s44
	s_mul_hi_u32 s42, s40, s41
	s_add_u32 s43, s45, s43
	s_addc_u32 s42, 0, s42
	s_mul_hi_u32 s46, s33, s44
	s_mul_i32 s44, s33, s44
	s_add_u32 s43, s43, s44
	s_mul_hi_u32 s45, s33, s41
	s_addc_u32 s42, s42, s46
	s_addc_u32 s43, s45, 0
	s_mul_i32 s41, s33, s41
	s_add_u32 s41, s42, s41
	s_addc_u32 s42, 0, s43
	s_add_u32 s43, s40, s41
	s_cselect_b64 s[40:41], -1, 0
	s_cmp_lg_u64 s[40:41], 0
	s_addc_u32 s33, s33, s42
	s_mul_i32 s40, s13, s33
	s_mul_hi_u32 s41, s13, s43
	s_add_i32 s40, s41, s40
	s_mul_i32 s19, s19, s43
	s_add_i32 s40, s40, s19
	s_mul_i32 s13, s13, s43
	s_mul_hi_u32 s41, s33, s13
	s_mul_i32 s42, s33, s13
	s_mul_i32 s45, s43, s40
	s_mul_hi_u32 s13, s43, s13
	s_mul_hi_u32 s44, s43, s40
	s_add_u32 s13, s13, s45
	s_addc_u32 s44, 0, s44
	s_add_u32 s13, s13, s42
	s_mul_hi_u32 s19, s33, s40
	s_addc_u32 s13, s44, s41
	s_addc_u32 s19, s19, 0
	s_mul_i32 s40, s33, s40
	s_add_u32 s13, s13, s40
	s_addc_u32 s19, 0, s19
	s_add_u32 s13, s43, s13
	s_cselect_b64 s[40:41], -1, 0
	s_cmp_lg_u64 s[40:41], 0
	s_addc_u32 s19, s33, s19
	s_ashr_i32 s40, s35, 31
	s_add_u32 s42, s34, s40
	s_mov_b32 s41, s40
	s_addc_u32 s43, s35, s40
	s_xor_b64 s[42:43], s[42:43], s[40:41]
	s_mul_i32 s44, s42, s19
	s_mul_hi_u32 s45, s42, s13
	s_mul_hi_u32 s33, s42, s19
	s_add_u32 s44, s45, s44
	s_addc_u32 s33, 0, s33
	s_mul_hi_u32 s46, s43, s13
	s_mul_i32 s13, s43, s13
	s_add_u32 s13, s44, s13
	s_mul_hi_u32 s45, s43, s19
	s_addc_u32 s13, s33, s46
	s_addc_u32 s33, s45, 0
	s_mul_i32 s19, s43, s19
	s_add_u32 s13, s13, s19
	s_addc_u32 s19, 0, s33
	s_mul_i32 s33, s38, s19
	s_mul_hi_u32 s44, s38, s13
	s_add_i32 s33, s44, s33
	s_mul_i32 s44, s39, s13
	s_add_i32 s33, s33, s44
	s_sub_i32 s46, s43, s33
	s_mul_i32 s44, s38, s13
	s_sub_u32 s42, s42, s44
	s_cselect_b64 s[44:45], -1, 0
	s_cmp_lg_u64 s[44:45], 0
	s_subb_u32 s48, s46, s39
	s_sub_u32 s49, s42, s38
	s_cselect_b64 s[46:47], -1, 0
	s_cmp_lg_u64 s[46:47], 0
	s_subb_u32 s46, s48, 0
	s_cmp_ge_u32 s46, s39
	s_cselect_b32 s47, -1, 0
	s_cmp_ge_u32 s49, s38
	s_cselect_b32 s48, -1, 0
	s_cmp_eq_u32 s46, s39
	s_cselect_b32 s46, s48, s47
	s_add_u32 s47, s13, 1
	s_addc_u32 s48, s19, 0
	s_add_u32 s49, s13, 2
	s_addc_u32 s50, s19, 0
	s_cmp_lg_u32 s46, 0
	s_cselect_b32 s46, s49, s47
	s_cselect_b32 s47, s50, s48
	s_cmp_lg_u64 s[44:45], 0
	s_subb_u32 s33, s43, s33
	s_cmp_ge_u32 s33, s39
	s_cselect_b32 s43, -1, 0
	s_cmp_ge_u32 s42, s38
	s_cselect_b32 s38, -1, 0
	s_cmp_eq_u32 s33, s39
	s_cselect_b32 s33, s38, s43
	s_cmp_lg_u32 s33, 0
	s_cselect_b32 s39, s47, s19
	s_cselect_b32 s38, s46, s13
	s_xor_b64 s[28:29], s[40:41], s[28:29]
	s_xor_b64 s[38:39], s[38:39], s[28:29]
	s_sub_u32 s28, s38, s28
	s_subb_u32 s29, s39, s29
	s_cbranch_execnz .LBB71_14
.LBB71_13:                              ;   in Loop: Header=BB71_11 Depth=1
	v_cvt_f32_u32_e32 v1, s36
	s_sub_i32 s13, 0, s36
	v_rcp_iflag_f32_e32 v1, v1
	v_mul_f32_e32 v1, 0x4f7ffffe, v1
	v_cvt_u32_f32_e32 v1, v1
	v_readfirstlane_b32 s19, v1
	s_mul_i32 s13, s13, s19
	s_mul_hi_u32 s13, s19, s13
	s_add_i32 s19, s19, s13
	s_mul_hi_u32 s13, s34, s19
	s_mul_i32 s28, s13, s36
	s_sub_i32 s28, s34, s28
	s_add_i32 s19, s13, 1
	s_sub_i32 s29, s28, s36
	s_cmp_ge_u32 s28, s36
	s_cselect_b32 s13, s19, s13
	s_cselect_b32 s28, s29, s28
	s_add_i32 s19, s13, 1
	s_cmp_ge_u32 s28, s36
	s_cselect_b32 s28, s19, s13
	s_mov_b32 s29, s18
.LBB71_14:                              ;   in Loop: Header=BB71_11 Depth=1
	s_mul_i32 s13, s28, s37
	s_mul_hi_u32 s19, s28, s36
	s_load_dwordx2 s[38:39], s[20:21], 0xc8
	s_add_i32 s13, s19, s13
	s_mul_i32 s19, s29, s36
	s_add_i32 s13, s13, s19
	s_mul_i32 s19, s28, s36
	s_sub_u32 s19, s34, s19
	s_subb_u32 s13, s35, s13
	s_waitcnt lgkmcnt(0)
	s_mul_i32 s13, s38, s13
	s_mul_hi_u32 s33, s38, s19
	s_add_i32 s13, s33, s13
	s_mul_i32 s33, s39, s19
	s_add_i32 s13, s13, s33
	s_mul_i32 s19, s38, s19
	s_add_u32 s22, s19, s22
	s_addc_u32 s23, s13, s23
	s_add_i32 s7, s7, -1
	s_add_u32 s20, s20, -8
	s_addc_u32 s21, s21, -1
	s_cmp_gt_u32 s7, 2
	s_cbranch_scc0 .LBB71_17
; %bb.15:                               ;   in Loop: Header=BB71_11 Depth=1
	s_mov_b64 s[34:35], s[28:29]
	s_branch .LBB71_11
.LBB71_16:                              ;   in Loop: Header=BB71_11 Depth=1
                                        ; implicit-def: $sgpr28_sgpr29
	s_branch .LBB71_13
.LBB71_17:
	s_load_dword s18, s[4:5], 0x4f8
	s_load_dwordx2 s[20:21], s[16:17], 0xd0
                                        ; implicit-def: $vgpr63 : SGPR spill to VGPR lane
	s_add_u32 s13, s4, 0x360
                                        ; kill: killed $sgpr16 killed $sgpr17
	s_addc_u32 s17, s5, 0
	s_mov_b64 s[34:35], 0
	s_waitcnt lgkmcnt(0)
	s_cmp_lt_i32 s18, 2
	v_writelane_b32 v63, s20, 0
	v_writelane_b32 v63, s21, 1
	s_cbranch_scc1 .LBB71_25
; %bb.18:
	s_mov_b32 s16, 0
	s_add_i32 s7, s18, 1
	s_add_i32 s18, s18, -1
	s_mov_b32 s19, s16
	s_lshl_b64 s[18:19], s[18:19], 3
	s_add_u32 s13, s13, s18
	s_addc_u32 s17, s17, s19
	s_add_u32 s18, s13, 8
	s_addc_u32 s19, s17, 0
.LBB71_19:                              ; =>This Inner Loop Header: Depth=1
	s_load_dwordx2 s[20:21], s[18:19], 0x0
	s_waitcnt lgkmcnt(0)
	s_or_b64 s[36:37], s[0:1], s[20:21]
	s_mov_b32 s17, s37
	s_cmp_lg_u64 s[16:17], 0
	s_cbranch_scc0 .LBB71_24
; %bb.20:                               ;   in Loop: Header=BB71_19 Depth=1
	s_ashr_i32 s36, s21, 31
	s_add_u32 s38, s20, s36
	s_mov_b32 s37, s36
	s_addc_u32 s39, s21, s36
	s_xor_b64 s[38:39], s[38:39], s[36:37]
	v_cvt_f32_u32_e32 v1, s38
	v_cvt_f32_u32_e32 v2, s39
	s_sub_u32 s13, 0, s38
	s_subb_u32 s17, 0, s39
	v_mac_f32_e32 v1, 0x4f800000, v2
	v_rcp_f32_e32 v1, v1
	v_mul_f32_e32 v1, 0x5f7ffffc, v1
	v_mul_f32_e32 v2, 0x2f800000, v1
	v_trunc_f32_e32 v2, v2
	v_mac_f32_e32 v1, 0xcf800000, v2
	v_cvt_u32_f32_e32 v2, v2
	v_cvt_u32_f32_e32 v1, v1
	v_readfirstlane_b32 s33, v2
	v_readfirstlane_b32 s40, v1
	s_mul_i32 s41, s13, s33
	s_mul_hi_u32 s43, s13, s40
	s_mul_i32 s42, s17, s40
	s_add_i32 s41, s43, s41
	s_add_i32 s41, s41, s42
	s_mul_i32 s44, s13, s40
	s_mul_i32 s43, s40, s41
	s_mul_hi_u32 s45, s40, s44
	s_mul_hi_u32 s42, s40, s41
	s_add_u32 s43, s45, s43
	s_addc_u32 s42, 0, s42
	s_mul_hi_u32 s46, s33, s44
	s_mul_i32 s44, s33, s44
	s_add_u32 s43, s43, s44
	s_mul_hi_u32 s45, s33, s41
	s_addc_u32 s42, s42, s46
	s_addc_u32 s43, s45, 0
	s_mul_i32 s41, s33, s41
	s_add_u32 s41, s42, s41
	s_addc_u32 s42, 0, s43
	s_add_u32 s43, s40, s41
	s_cselect_b64 s[40:41], -1, 0
	s_cmp_lg_u64 s[40:41], 0
	s_addc_u32 s33, s33, s42
	s_mul_i32 s40, s13, s33
	s_mul_hi_u32 s41, s13, s43
	s_add_i32 s40, s41, s40
	s_mul_i32 s17, s17, s43
	s_add_i32 s40, s40, s17
	s_mul_i32 s13, s13, s43
	s_mul_hi_u32 s41, s33, s13
	s_mul_i32 s42, s33, s13
	s_mul_i32 s45, s43, s40
	s_mul_hi_u32 s13, s43, s13
	s_mul_hi_u32 s44, s43, s40
	s_add_u32 s13, s13, s45
	s_addc_u32 s44, 0, s44
	s_add_u32 s13, s13, s42
	s_mul_hi_u32 s17, s33, s40
	s_addc_u32 s13, s44, s41
	s_addc_u32 s17, s17, 0
	s_mul_i32 s40, s33, s40
	s_add_u32 s13, s13, s40
	s_addc_u32 s17, 0, s17
	s_add_u32 s13, s43, s13
	s_cselect_b64 s[40:41], -1, 0
	s_cmp_lg_u64 s[40:41], 0
	s_addc_u32 s17, s33, s17
	s_ashr_i32 s40, s1, 31
	s_add_u32 s42, s0, s40
	s_mov_b32 s41, s40
	s_addc_u32 s43, s1, s40
	s_xor_b64 s[42:43], s[42:43], s[40:41]
	s_mul_i32 s44, s42, s17
	s_mul_hi_u32 s45, s42, s13
	s_mul_hi_u32 s33, s42, s17
	s_add_u32 s44, s45, s44
	s_addc_u32 s33, 0, s33
	s_mul_hi_u32 s46, s43, s13
	s_mul_i32 s13, s43, s13
	s_add_u32 s13, s44, s13
	s_mul_hi_u32 s45, s43, s17
	s_addc_u32 s13, s33, s46
	s_addc_u32 s33, s45, 0
	s_mul_i32 s17, s43, s17
	s_add_u32 s13, s13, s17
	s_addc_u32 s17, 0, s33
	s_mul_i32 s33, s38, s17
	s_mul_hi_u32 s44, s38, s13
	s_add_i32 s33, s44, s33
	s_mul_i32 s44, s39, s13
	s_add_i32 s33, s33, s44
	s_sub_i32 s46, s43, s33
	s_mul_i32 s44, s38, s13
	s_sub_u32 s42, s42, s44
	s_cselect_b64 s[44:45], -1, 0
	s_cmp_lg_u64 s[44:45], 0
	s_subb_u32 s48, s46, s39
	s_sub_u32 s49, s42, s38
	s_cselect_b64 s[46:47], -1, 0
	s_cmp_lg_u64 s[46:47], 0
	s_subb_u32 s46, s48, 0
	s_cmp_ge_u32 s46, s39
	s_cselect_b32 s47, -1, 0
	s_cmp_ge_u32 s49, s38
	s_cselect_b32 s48, -1, 0
	s_cmp_eq_u32 s46, s39
	s_cselect_b32 s46, s48, s47
	s_add_u32 s47, s13, 1
	s_addc_u32 s48, s17, 0
	s_add_u32 s49, s13, 2
	s_addc_u32 s50, s17, 0
	s_cmp_lg_u32 s46, 0
	s_cselect_b32 s46, s49, s47
	s_cselect_b32 s47, s50, s48
	s_cmp_lg_u64 s[44:45], 0
	s_subb_u32 s33, s43, s33
	s_cmp_ge_u32 s33, s39
	s_cselect_b32 s43, -1, 0
	s_cmp_ge_u32 s42, s38
	s_cselect_b32 s38, -1, 0
	s_cmp_eq_u32 s33, s39
	s_cselect_b32 s33, s38, s43
	s_cmp_lg_u32 s33, 0
	s_cselect_b32 s39, s47, s17
	s_cselect_b32 s38, s46, s13
	s_xor_b64 s[36:37], s[40:41], s[36:37]
	s_xor_b64 s[38:39], s[38:39], s[36:37]
	s_sub_u32 s38, s38, s36
	s_subb_u32 s39, s39, s37
	s_cbranch_execnz .LBB71_22
.LBB71_21:                              ;   in Loop: Header=BB71_19 Depth=1
	v_cvt_f32_u32_e32 v1, s20
	s_sub_i32 s13, 0, s20
	s_mov_b32 s39, s16
	v_rcp_iflag_f32_e32 v1, v1
	v_mul_f32_e32 v1, 0x4f7ffffe, v1
	v_cvt_u32_f32_e32 v1, v1
	v_readfirstlane_b32 s17, v1
	s_mul_i32 s13, s13, s17
	s_mul_hi_u32 s13, s17, s13
	s_add_i32 s17, s17, s13
	s_mul_hi_u32 s13, s0, s17
	s_mul_i32 s33, s13, s20
	s_sub_i32 s33, s0, s33
	s_add_i32 s17, s13, 1
	s_sub_i32 s36, s33, s20
	s_cmp_ge_u32 s33, s20
	s_cselect_b32 s13, s17, s13
	s_cselect_b32 s33, s36, s33
	s_add_i32 s17, s13, 1
	s_cmp_ge_u32 s33, s20
	s_cselect_b32 s38, s17, s13
.LBB71_22:                              ;   in Loop: Header=BB71_19 Depth=1
	s_mul_i32 s13, s38, s21
	s_mul_hi_u32 s17, s38, s20
	s_load_dwordx2 s[36:37], s[18:19], 0xc8
	s_add_i32 s13, s17, s13
	s_mul_i32 s17, s39, s20
	s_add_i32 s13, s13, s17
	s_mul_i32 s17, s38, s20
	s_sub_u32 s0, s0, s17
	s_subb_u32 s1, s1, s13
	s_waitcnt lgkmcnt(0)
	s_mul_i32 s1, s36, s1
	s_mul_hi_u32 s13, s36, s0
	s_add_i32 s1, s13, s1
	s_mul_i32 s13, s37, s0
	s_add_i32 s1, s1, s13
	s_mul_i32 s0, s36, s0
	s_add_u32 s34, s0, s34
	s_addc_u32 s35, s1, s35
	s_add_i32 s7, s7, -1
	s_add_u32 s18, s18, -8
	s_addc_u32 s19, s19, -1
	s_cmp_gt_u32 s7, 2
	s_cbranch_scc0 .LBB71_26
; %bb.23:                               ;   in Loop: Header=BB71_19 Depth=1
	s_mov_b64 s[0:1], s[38:39]
	s_branch .LBB71_19
.LBB71_24:                              ;   in Loop: Header=BB71_19 Depth=1
                                        ; implicit-def: $sgpr38_sgpr39
	s_branch .LBB71_21
.LBB71_25:
	s_mov_b64 s[38:39], s[0:1]
.LBB71_26:
	s_load_dwordx2 s[0:1], s[4:5], 0x430
	s_mov_b32 s47, 0
	v_cmp_eq_u32_e64 s[64:65], 0, v0
                                        ; kill: killed $sgpr4 killed $sgpr5
	s_waitcnt lgkmcnt(0)
	v_writelane_b32 v63, s0, 2
	v_writelane_b32 v63, s1, 3
	s_load_dwordx2 s[18:19], s[4:5], 0x0
	s_load_dwordx2 s[0:1], s[4:5], 0x1c0
	s_waitcnt lgkmcnt(0)
	v_writelane_b32 v63, s0, 4
	v_writelane_b32 v63, s1, 5
	s_load_dwordx2 s[0:1], s[4:5], 0x360
	s_waitcnt lgkmcnt(0)
	v_writelane_b32 v63, s0, 6
	v_writelane_b32 v63, s1, 7
	s_and_saveexec_b64 s[0:1], s[64:65]
	s_cbranch_execz .LBB71_28
; %bb.27:
	v_mov_b32_e32 v1, 0
	v_mov_b32_e32 v3, s24
	;; [unrolled: 1-line block ×4, first 2 shown]
	ds_write_b32 v1, v1 offset:5136
	ds_write_b128 v1, v[1:4] offset:5120
.LBB71_28:
	s_or_b64 exec, exec, s[0:1]
	s_mul_i32 s0, s14, s9
	s_mul_hi_u32 s1, s14, s8
	s_add_i32 s0, s1, s0
	s_mul_i32 s1, s15, s8
	s_add_i32 s1, s0, s1
	s_mul_i32 s0, s14, s8
	s_lshl_b64 s[14:15], s[0:1], 1
	s_add_u32 s20, s18, s14
	v_mbcnt_lo_u32_b32 v1, -1, 0
	s_addc_u32 s21, s19, s15
	s_lshl_b64 s[48:49], s[2:3], 1
	v_mbcnt_hi_u32_b32 v41, -1, v1
	s_add_u32 s54, s20, s48
	v_cmp_gt_u32_e32 vcc, 64, v0
	v_cmp_gt_i32_e64 s[2:3], 4, v41
	v_mad_u64_u32 v[6:7], s[0:1], s30, v0, 0
	s_addc_u32 s55, s21, s49
	s_and_b64 s[0:1], vcc, s[2:3]
	v_writelane_b32 v63, s0, 8
	v_writelane_b32 v63, s1, 9
	v_cmp_gt_u32_e64 s[0:1], 2, v0
	v_writelane_b32 v63, s0, 10
	v_mov_b32_e32 v1, v7
	v_mov_b32_e32 v7, 0x600
	v_writelane_b32 v63, s1, 11
	v_mad_u64_u32 v[4:5], s[0:1], s31, v0, v[1:2]
	v_mov_b32_e32 v8, 0
	v_cmp_gt_i64_e64 s[0:1], s[24:25], v[7:8]
	s_waitcnt lgkmcnt(0)
	v_writelane_b32 v63, s0, 12
	s_barrier
	v_mov_b32_e32 v3, 0
	v_writelane_b32 v63, s1, 13
	s_load_dword s0, s[10:11], 0xc
	v_mov_b32_e32 v1, v3
	v_cmp_gt_i64_e64 s[2:3], s[24:25], v[0:1]
	v_mov_b32_e32 v7, v4
	v_writelane_b32 v63, s2, 14
	v_lshlrev_b64 v[4:5], 1, v[6:7]
	v_writelane_b32 v63, s3, 15
	s_waitcnt lgkmcnt(0)
	s_and_b32 s33, s0, 0xffff
	s_bfe_u32 s2, s0, 0xa0006
	s_cmp_gt_u32 s33, 63
	v_mov_b32_e32 v2, s55
	v_add_co_u32_e32 v14, vcc, s54, v4
	s_cselect_b64 s[0:1], -1, 0
	v_addc_co_u32_e32 v15, vcc, v2, v5, vcc
	v_writelane_b32 v63, s0, 16
	v_add_u32_e32 v2, 2, v0
	v_writelane_b32 v63, s1, 17
	s_add_u32 s0, s33, -1
	v_cmp_gt_i64_e32 vcc, s[24:25], v[2:3]
	s_addc_u32 s1, 0, -1
	v_mov_b32_e32 v9, s25
	v_writelane_b32 v63, s0, 18
	s_add_u32 s0, s0, s24
	v_cndmask_b32_e32 v10, 0, v9, vcc
	v_mov_b32_e32 v9, s24
	s_addc_u32 s57, s1, s25
	v_cndmask_b32_e32 v2, v2, v9, vcc
	v_not_b32_e32 v9, v0
	s_cmp_lt_u32 s6, s12
	v_add_co_u32_e32 v9, vcc, v2, v9
	v_writelane_b32 v63, s0, 19
	s_cselect_b32 s0, 12, 18
	v_addc_co_u32_e32 v10, vcc, -1, v10, vcc
	v_writelane_b32 v63, s1, 20
	s_add_u32 s58, s10, s0
	v_cmp_lt_u64_e64 s[0:1], 1, v[9:10]
	v_and_b32_e32 v18, -2, v9
	v_writelane_b32 v63, s0, 21
	v_mov_b32_e32 v19, v10
	v_writelane_b32 v63, s1, 22
	v_cmp_ne_u64_e64 s[0:1], v[9:10], v[18:19]
	s_addc_u32 s59, s11, 0
	v_writelane_b32 v63, s0, 23
	v_writelane_b32 v63, s1, 24
	s_add_i32 s0, s2, -1
	v_lshlrev_b32_e32 v42, 3, v0
	v_mov_b32_e32 v9, s20
	s_bfe_u32 s3, s33, 0x30006
	s_and_b32 s0, s0, 0xffff
	v_or_b32_e32 v11, 6, v42
	v_mov_b32_e32 v10, s21
	s_cmp_gt_u32 s0, 6
	v_mad_u64_u32 v[20:21], s[0:1], s30, v11, v[9:10]
	s_cselect_b64 s[0:1], -1, 0
	v_writelane_b32 v63, s0, 25
	v_mov_b32_e32 v2, v21
	v_writelane_b32 v63, s1, 26
	v_mad_u64_u32 v[11:12], s[0:1], s31, v11, v[2:3]
	v_or_b32_e32 v12, 4, v42
	v_mad_u64_u32 v[22:23], s[0:1], s30, v12, v[9:10]
	s_and_b32 s17, s2, 0x3f8
	s_cmp_lg_u32 s3, 0
	v_writelane_b32 v63, s3, 27
	s_cselect_b64 s[0:1], -1, 0
	v_writelane_b32 v63, s0, 28
	v_mov_b32_e32 v2, v23
	v_writelane_b32 v63, s1, 29
	v_mov_b32_e32 v21, v11
	v_mad_u64_u32 v[11:12], s[0:1], s31, v12, v[2:3]
	v_or_b32_e32 v12, 2, v42
	v_mad_u64_u32 v[24:25], s[0:1], s30, v12, v[9:10]
	s_add_u32 s2, s14, s48
	s_addc_u32 s3, s15, s49
	s_add_u32 s2, s18, s2
	v_mov_b32_e32 v2, v25
	s_addc_u32 s3, s19, s3
	v_mad_u64_u32 v[9:10], s[0:1], s31, v12, v[2:3]
	v_writelane_b32 v63, s2, 30
	v_writelane_b32 v63, s3, 31
	s_lshl_b64 s[0:1], s[30:31], 3
	s_lshl_b64 s[66:67], s[30:31], 1
	v_writelane_b32 v63, s0, 32
	v_writelane_b32 v63, s1, 33
	v_lshlrev_b64 v[6:7], 3, v[6:7]
	s_add_u32 s0, s18, s48
	s_addc_u32 s1, s19, s49
	v_mov_b32_e32 v2, s21
	v_add_co_u32_e32 v26, vcc, s20, v6
	s_add_u32 s0, s0, s14
	v_addc_co_u32_e32 v27, vcc, v2, v7, vcc
	s_addc_u32 s1, s1, s15
	v_mov_b32_e32 v2, s1
	v_add_co_u32_e32 v12, vcc, s0, v4
	v_addc_co_u32_e32 v13, vcc, v2, v5, vcc
	v_lshrrev_b32_e32 v2, 1, v0
	v_and_b32_e32 v2, 0x1e0, v2
	v_lshlrev_b64 v[4:5], v41, -1
	v_or_b32_e32 v46, 0xc00, v2
	v_mov_b32_e32 v2, s25
	v_add_co_u32_e32 v47, vcc, s24, v0
	s_mul_i32 s0, s31, s33
	s_mul_hi_u32 s1, s30, s33
	v_writelane_b32 v63, s64, 34
	v_lshlrev_b32_e32 v8, 2, v41
	s_mov_b32 s56, s31
	v_addc_co_u32_e32 v48, vcc, 0, v2, vcc
	v_mov_b32_e32 v2, 0xc00
	s_add_i32 s1, s1, s0
	s_mul_i32 s0, s30, s33
	v_lshlrev_b32_e32 v51, 1, v0
	v_mov_b32_e32 v30, s27
	v_writelane_b32 v63, s65, 35
	v_cmp_eq_u32_e64 s[4:5], 0, v41
	v_lshlrev_b32_e32 v16, 2, v0
	v_mov_b32_e32 v17, v3
	v_mov_b32_e32 v23, v11
	;; [unrolled: 1-line block ×3, first 2 shown]
	v_and_b32_e32 v43, 0x100, v8
	v_not_b32_e32 v44, v5
	v_not_b32_e32 v45, v4
	s_mov_b32 s68, s30
	v_lshl_or_b32 v49, v41, 3, v2
	s_lshl_b64 s[50:51], s[0:1], 1
	s_lshl_b32 s16, s33, 1
	s_mov_b32 s53, 14
	s_mov_b64 s[70:71], 0
	s_movk_i32 s52, 0x3f80
	s_mov_b32 s69, 0
	v_add_u32_e32 v52, 0xc00, v51
	v_mov_b32_e32 v53, 0xffff
	v_mov_b32_e32 v54, 0x8000
	v_mov_b32_e32 v55, -1
	v_mov_b32_e32 v56, 0x5040100
	v_mov_b32_e32 v58, 0
	v_mov_b32_e32 v50, 0
	v_mov_b32_e32 v57, 0
	v_add_co_u32_e32 v28, vcc, v18, v0
	v_mov_b32_e32 v29, s26
	v_writelane_b32 v63, s56, 36
                                        ; implicit-def: $sgpr72_sgpr73
                                        ; implicit-def: $sgpr76_sgpr77
                                        ; implicit-def: $sgpr74_sgpr75
                                        ; implicit-def: $sgpr80_sgpr81
                                        ; implicit-def: $sgpr82_sgpr83
                                        ; implicit-def: $sgpr78_sgpr79
	s_branch .LBB71_32
.LBB71_29:                              ;   in Loop: Header=BB71_32 Depth=1
	s_or_b64 exec, exec, s[12:13]
	s_and_b64 s[2:3], s[2:3], exec
	s_andn2_b64 s[86:87], s[86:87], exec
	s_andn2_b64 s[6:7], s[6:7], exec
	s_orn2_b64 s[20:21], s[10:11], exec
.LBB71_30:                              ;   in Loop: Header=BB71_32 Depth=1
	s_or_b64 exec, exec, s[0:1]
	s_andn2_b64 s[0:1], s[78:79], exec
	s_and_b64 s[2:3], s[2:3], exec
	s_or_b64 s[78:79], s[0:1], s[2:3]
	s_andn2_b64 s[0:1], s[82:83], exec
	s_and_b64 s[2:3], s[86:87], exec
	s_or_b64 s[82:83], s[0:1], s[2:3]
	;; [unrolled: 3-line block ×3, first 2 shown]
	s_orn2_b64 s[6:7], s[20:21], exec
.LBB71_31:                              ;   in Loop: Header=BB71_32 Depth=1
	s_or_b64 exec, exec, s[18:19]
	s_and_b64 s[0:1], exec, s[6:7]
	s_or_b64 s[70:71], s[0:1], s[70:71]
	s_andn2_b64 s[0:1], s[74:75], exec
	s_and_b64 s[2:3], s[78:79], exec
	s_or_b64 s[74:75], s[0:1], s[2:3]
	s_andn2_b64 s[0:1], s[76:77], exec
	s_and_b64 s[2:3], s[82:83], exec
	;; [unrolled: 3-line block ×3, first 2 shown]
	v_mov_b32_e32 v30, v9
	s_or_b64 s[72:73], s[0:1], s[2:3]
	v_mov_b32_e32 v29, v8
	s_andn2_b64 exec, exec, s[70:71]
	s_cbranch_execz .LBB71_300
.LBB71_32:                              ; =>This Loop Header: Depth=1
                                        ;     Child Loop BB71_37 Depth 2
                                        ;     Child Loop BB71_51 Depth 2
                                        ;     Child Loop BB71_55 Depth 2
                                        ;     Child Loop BB71_90 Depth 2
                                        ;     Child Loop BB71_94 Depth 2
                                        ;     Child Loop BB71_79 Depth 2
                                        ;     Child Loop BB71_84 Depth 2
                                        ;     Child Loop BB71_72 Depth 2
                                        ;     Child Loop BB71_104 Depth 2
                                        ;     Child Loop BB71_119 Depth 2
                                        ;     Child Loop BB71_133 Depth 2
                                        ;     Child Loop BB71_165 Depth 2
                                        ;     Child Loop BB71_179 Depth 2
                                        ;     Child Loop BB71_212 Depth 2
                                        ;     Child Loop BB71_226 Depth 2
                                        ;     Child Loop BB71_259 Depth 2
                                        ;     Child Loop BB71_273 Depth 2
	ds_read_b128 v[4:7], v3 offset:5120
	s_waitcnt lgkmcnt(0)
	v_readfirstlane_b32 s27, v5
	v_readfirstlane_b32 s26, v4
	v_cmp_gt_i64_e64 s[0:1], s[26:27], 0
	s_and_b64 vcc, exec, s[0:1]
	s_cbranch_vccnz .LBB71_64
; %bb.33:                               ;   in Loop: Header=BB71_32 Depth=1
	v_readlane_b32 s0, v63, 12
	v_readlane_b32 s1, v63, 13
	s_and_b64 vcc, exec, s[0:1]
	s_cbranch_vccz .LBB71_45
; %bb.34:                               ;   in Loop: Header=BB71_32 Depth=1
	s_mov_b64 s[0:1], 0x601
	v_cmp_gt_i64_e32 vcc, s[0:1], v[6:7]
	s_mov_b64 s[10:11], 0
	s_mov_b64 s[0:1], 0
	s_cbranch_vccz .LBB71_46
; %bb.35:                               ;   in Loop: Header=BB71_32 Depth=1
	global_load_ushort v6, v3, s[58:59]
	global_load_ushort v2, v[14:15], off
	v_readlane_b32 s0, v63, 30
	v_readlane_b32 s1, v63, 31
	v_mov_b32_e32 v5, s1
	v_mov_b32_e32 v4, s0
	s_mov_b64 s[12:13], 0
	s_waitcnt vmcnt(1)
	v_and_b32_e32 v8, 0xffff, v6
	v_readfirstlane_b32 s2, v6
	v_add_co_u32_e32 v6, vcc, v0, v8
	v_addc_co_u32_e64 v7, s[0:1], 0, 0, vcc
	v_mul_lo_u32 v7, s66, v7
	v_mul_lo_u32 v9, s67, v6
	v_mad_u64_u32 v[4:5], s[0:1], s66, v6, v[4:5]
	s_and_b32 s2, 0xffff, s2
	s_mul_i32 s0, s67, s2
	s_mul_hi_u32 s1, s66, s2
	v_add3_u32 v5, v9, v5, v7
	v_mov_b32_e32 v7, v1
	s_mul_i32 s18, s66, s2
	s_add_i32 s19, s1, s0
	v_mov_b32_e32 v6, v0
	s_branch .LBB71_37
.LBB71_36:                              ;   in Loop: Header=BB71_37 Depth=2
	s_or_b64 exec, exec, s[0:1]
	v_mov_b32_e32 v2, s19
	v_add_co_u32_e32 v4, vcc, s18, v4
	v_addc_co_u32_e32 v5, vcc, v5, v2, vcc
	v_mov_b32_e32 v2, v9
	s_andn2_b64 exec, exec, s[12:13]
	s_cbranch_execz .LBB71_98
.LBB71_37:                              ;   Parent Loop BB71_32 Depth=1
                                        ; =>  This Inner Loop Header: Depth=2
	v_add_co_u32_e32 v6, vcc, v6, v8
	v_addc_co_u32_e32 v7, vcc, 0, v7, vcc
	v_cmp_gt_i64_e64 s[6:7], s[24:25], v[6:7]
	v_cmp_le_i64_e32 vcc, s[24:25], v[6:7]
	s_waitcnt lgkmcnt(0)
	v_mov_b32_e32 v10, 0
	v_mov_b32_e32 v9, 0
	s_and_saveexec_b64 s[0:1], s[6:7]
	s_cbranch_execz .LBB71_39
; %bb.38:                               ;   in Loop: Header=BB71_37 Depth=2
	global_load_ushort v9, v[4:5], off
.LBB71_39:                              ;   in Loop: Header=BB71_37 Depth=2
	s_or_b64 exec, exec, s[0:1]
	s_waitcnt vmcnt(0)
	v_cmp_lt_i16_e64 s[6:7], -1, v2
	v_cndmask_b32_e64 v11, v53, v54, s[6:7]
	v_lshlrev_b32_e32 v31, 16, v2
	v_xor_b32_sdwa v11, v11, v2 dst_sel:DWORD dst_unused:UNUSED_PAD src0_sel:DWORD src1_sel:WORD_0
	v_cmp_o_f32_e64 s[6:7], v31, v31
	v_cndmask_b32_e64 v11, v53, v11, s[6:7]
	v_and_b32_e32 v11, v11, v57
	v_cmp_eq_u32_e64 s[14:15], v11, v50
	s_cmp_lg_u64 s[14:15], 0
	s_cselect_b64 s[0:1], -1, 0
	s_and_b64 s[2:3], s[4:5], s[0:1]
	s_and_saveexec_b64 s[0:1], s[2:3]
	s_cbranch_execz .LBB71_43
; %bb.40:                               ;   in Loop: Header=BB71_37 Depth=2
	s_mov_b64 s[8:9], exec
	v_mbcnt_lo_u32_b32 v10, s8, 0
	v_mbcnt_hi_u32_b32 v10, s9, v10
	s_bcnt1_i32_b64 s20, s[14:15]
	v_cmp_eq_u32_e64 s[6:7], 0, v10
                                        ; implicit-def: $vgpr11
	s_and_saveexec_b64 s[2:3], s[6:7]
; %bb.41:                               ;   in Loop: Header=BB71_37 Depth=2
	s_bcnt1_i32_b64 s6, s[8:9]
	s_mul_i32 s6, s20, s6
	v_mov_b32_e32 v11, s6
	ds_add_rtn_u32 v11, v3, v11 offset:5136
; %bb.42:                               ;   in Loop: Header=BB71_37 Depth=2
	s_or_b64 exec, exec, s[2:3]
	s_waitcnt lgkmcnt(0)
	v_readfirstlane_b32 s2, v11
	v_mov_b32_e32 v11, s2
	v_mad_u32_u24 v10, s20, v10, v11
.LBB71_43:                              ;   in Loop: Header=BB71_37 Depth=2
	s_or_b64 exec, exec, s[0:1]
	ds_bpermute_b32 v10, v43, v10
	s_and_b64 s[0:1], exec, vcc
	s_or_b64 s[12:13], s[0:1], s[12:13]
	s_and_saveexec_b64 s[0:1], s[14:15]
	s_cbranch_execz .LBB71_36
; %bb.44:                               ;   in Loop: Header=BB71_37 Depth=2
	v_and_b32_e32 v31, s14, v45
	v_and_b32_e32 v11, s15, v44
	v_bcnt_u32_b32 v31, v31, 0
	v_bcnt_u32_b32 v11, v11, v31
	v_lshlrev_b32_e32 v11, 1, v11
	s_waitcnt lgkmcnt(0)
	v_lshl_add_u32 v10, v10, 1, v11
	ds_write_b16 v10, v2
	s_branch .LBB71_36
.LBB71_45:                              ;   in Loop: Header=BB71_32 Depth=1
	s_mov_b64 s[10:11], -1
	s_mov_b64 s[0:1], 0
.LBB71_46:                              ;   in Loop: Header=BB71_32 Depth=1
	s_and_b64 vcc, exec, s[10:11]
	s_cbranch_vccz .LBB71_62
.LBB71_47:                              ;   in Loop: Header=BB71_32 Depth=1
	s_mov_b64 s[10:11], exec
	v_readlane_b32 s0, v63, 14
	v_readlane_b32 s1, v63, 15
	s_and_b64 s[0:1], s[10:11], s[0:1]
	s_mov_b64 exec, s[0:1]
	s_cbranch_execz .LBB71_59
; %bb.48:                               ;   in Loop: Header=BB71_32 Depth=1
	global_load_ushort v2, v3, s[58:59]
	global_load_ushort v11, v[14:15], off
	v_mov_b32_e32 v6, v0
	s_waitcnt vmcnt(1)
	v_readfirstlane_b32 s0, v2
	v_add_u32_sdwa v2, v2, v0 dst_sel:DWORD dst_unused:UNUSED_PAD src0_sel:WORD_0 src1_sel:DWORD
	v_cmp_gt_i64_e32 vcc, s[24:25], v[2:3]
	s_and_saveexec_b64 s[12:13], vcc
	s_cbranch_execz .LBB71_58
; %bb.49:                               ;   in Loop: Header=BB71_32 Depth=1
	s_and_b32 s8, s0, 0xffff
	s_cmp_eq_u32 s8, 1
	v_readlane_b32 s2, v63, 21
                                        ; implicit-def: $vgpr6_vgpr7
	s_cselect_b64 s[0:1], -1, 0
	v_readlane_b32 s3, v63, 22
	v_mov_b32_e32 v8, v1
	v_mov_b32_e32 v5, v3
	s_and_b64 s[0:1], s[2:3], s[0:1]
	s_mov_b64 s[6:7], -1
	v_mov_b32_e32 v7, v0
	v_mov_b32_e32 v4, v2
	s_and_saveexec_b64 s[2:3], s[0:1]
	s_cbranch_execz .LBB71_53
; %bb.50:                               ;   in Loop: Header=BB71_32 Depth=1
	v_add_co_u32_e32 v4, vcc, 1, v2
	v_addc_co_u32_e64 v5, s[0:1], 0, 0, vcc
	v_mov_b32_e32 v8, v18
	v_mov_b32_e32 v7, v5
	s_waitcnt vmcnt(0)
	v_lshlrev_b32_e32 v31, 16, v11
	s_mov_b64 s[0:1], 0
	v_mov_b32_e32 v9, v19
	v_mov_b32_e32 v10, v51
	;; [unrolled: 1-line block ×5, first 2 shown]
.LBB71_51:                              ;   Parent Loop BB71_32 Depth=1
                                        ; =>  This Inner Loop Header: Depth=2
	v_mul_lo_u32 v37, v5, s68
	v_mul_lo_u32 v38, v4, s56
	v_mad_u64_u32 v[34:35], s[6:7], v4, s68, 0
	v_mul_lo_u32 v11, v7, s30
	v_mul_lo_u32 v36, v6, s31
	v_mad_u64_u32 v[32:33], s[6:7], v6, s30, 0
	v_add3_u32 v35, v35, v38, v37
	v_lshlrev_b64 v[34:35], 1, v[34:35]
	v_add3_u32 v33, v33, v36, v11
	v_mov_b32_e32 v39, s55
	v_lshlrev_b64 v[32:33], 1, v[32:33]
	v_add_co_u32_e32 v34, vcc, s54, v34
	v_addc_co_u32_e32 v35, vcc, v39, v35, vcc
	v_add_co_u32_e32 v32, vcc, s54, v32
	v_addc_co_u32_e32 v33, vcc, v39, v33, vcc
	global_load_ushort v34, v[34:35], off
	s_nop 0
	global_load_ushort v11, v[32:33], off
	v_add_co_u32_e32 v6, vcc, 2, v6
	v_addc_co_u32_e32 v7, vcc, 0, v7, vcc
	v_add_co_u32_e32 v4, vcc, 2, v4
	v_addc_co_u32_e32 v5, vcc, 0, v5, vcc
	v_add_co_u32_e32 v8, vcc, -2, v8
	v_addc_co_u32_e32 v9, vcc, -1, v9, vcc
	s_mov_b32 s6, 0x5040100
	v_cmp_eq_u64_e32 vcc, 0, v[8:9]
	s_or_b64 s[0:1], vcc, s[0:1]
	s_waitcnt vmcnt(1)
	v_alignbit_b32 v31, v34, v31, 16
	s_waitcnt vmcnt(0)
	v_perm_b32 v32, v11, v34, s6
	ds_write_b32 v10, v31
	v_add_u32_e32 v10, 4, v10
	v_mov_b32_e32 v31, v32
	s_andn2_b64 exec, exec, s[0:1]
	s_cbranch_execnz .LBB71_51
; %bb.52:                               ;   in Loop: Header=BB71_32 Depth=1
	s_or_b64 exec, exec, s[0:1]
	v_readlane_b32 s0, v63, 23
	v_add_co_u32_e32 v4, vcc, v2, v18
	v_readlane_b32 s1, v63, 24
	v_addc_co_u32_e32 v5, vcc, 0, v19, vcc
	v_add_co_u32_e32 v6, vcc, -1, v4
	s_orn2_b64 s[6:7], s[0:1], exec
	v_mov_b32_e32 v7, v28
	v_mov_b32_e32 v8, v29
.LBB71_53:                              ;   in Loop: Header=BB71_32 Depth=1
	s_or_b64 exec, exec, s[2:3]
	s_and_saveexec_b64 s[0:1], s[6:7]
	s_cbranch_execz .LBB71_57
; %bb.54:                               ;   in Loop: Header=BB71_32 Depth=1
	v_readlane_b32 s2, v63, 30
	v_readlane_b32 s3, v63, 31
	v_mov_b32_e32 v9, s3
	v_mov_b32_e32 v8, s2
	v_mad_u64_u32 v[9:10], s[2:3], s66, v4, v[8:9]
	v_mul_lo_u32 v2, s66, v5
	v_mul_lo_u32 v6, s67, v4
	s_mul_i32 s6, s67, s8
	s_mul_hi_u32 s7, s66, s8
	s_mov_b64 s[2:3], 0
	s_sub_u32 s9, 0, s8
	v_add3_u32 v10, v6, v10, v2
	s_add_i32 s14, s7, s6
	s_mul_i32 s15, s66, s8
.LBB71_55:                              ;   Parent Loop BB71_32 Depth=1
                                        ; =>  This Inner Loop Header: Depth=2
	s_waitcnt vmcnt(0)
	v_mov_b32_e32 v2, v11
	global_load_ushort v11, v[9:10], off
	v_mov_b32_e32 v32, v5
	v_mov_b32_e32 v31, v4
	v_lshlrev_b32_e32 v4, 1, v7
	ds_write_b16 v4, v2
	v_add_co_u32_e32 v4, vcc, s8, v31
	v_addc_co_u32_e32 v5, vcc, 0, v32, vcc
	v_mov_b32_e32 v2, s14
	v_add_co_u32_e32 v9, vcc, s15, v9
	v_addc_co_u32_e32 v10, vcc, v10, v2, vcc
	v_cmp_le_i64_e32 vcc, s[24:25], v[4:5]
	v_add_co_u32_e64 v6, s[6:7], s9, v4
	s_or_b64 s[2:3], vcc, s[2:3]
	v_mov_b32_e32 v7, v31
	v_mov_b32_e32 v8, v32
	s_andn2_b64 exec, exec, s[2:3]
	s_cbranch_execnz .LBB71_55
; %bb.56:                               ;   in Loop: Header=BB71_32 Depth=1
	s_or_b64 exec, exec, s[2:3]
.LBB71_57:                              ;   in Loop: Header=BB71_32 Depth=1
	s_or_b64 exec, exec, s[0:1]
.LBB71_58:                              ;   in Loop: Header=BB71_32 Depth=1
	s_or_b64 exec, exec, s[12:13]
	v_lshlrev_b32_e32 v2, 1, v6
	s_waitcnt vmcnt(0)
	ds_write_b16 v2, v11
.LBB71_59:                              ;   in Loop: Header=BB71_32 Depth=1
	s_or_b64 exec, exec, s[10:11]
	s_waitcnt lgkmcnt(0)
	s_barrier
	s_and_saveexec_b64 s[0:1], s[64:65]
; %bb.60:                               ;   in Loop: Header=BB71_32 Depth=1
	v_mov_b32_e32 v4, s24
	v_mov_b32_e32 v5, s25
	ds_write_b64 v3, v[4:5] offset:5120
; %bb.61:                               ;   in Loop: Header=BB71_32 Depth=1
	s_or_b64 exec, exec, s[0:1]
	s_waitcnt lgkmcnt(0)
	s_barrier
	s_mov_b64 s[0:1], -1
.LBB71_62:                              ;   in Loop: Header=BB71_32 Depth=1
	s_and_b64 vcc, exec, s[0:1]
	s_cbranch_vccz .LBB71_64
; %bb.63:                               ;   in Loop: Header=BB71_32 Depth=1
	ds_read_b64 v[4:5], v3 offset:5120
	s_waitcnt lgkmcnt(0)
	v_readfirstlane_b32 s26, v4
.LBB71_64:                              ;   in Loop: Header=BB71_32 Depth=1
	s_cmp_lt_i32 s26, 1
	s_mov_b64 s[0:1], -1
                                        ; implicit-def: $vgpr4_vgpr5
                                        ; implicit-def: $vgpr8_vgpr9
	s_cbranch_scc1 .LBB71_74
; %bb.65:                               ;   in Loop: Header=BB71_32 Depth=1
	s_and_b64 vcc, exec, s[0:1]
	s_cbranch_vccnz .LBB71_88
.LBB71_66:                              ;   in Loop: Header=BB71_32 Depth=1
	s_lshl_b32 s2, s69, 6
	s_and_saveexec_b64 s[0:1], s[4:5]
	s_cbranch_execz .LBB71_68
.LBB71_67:                              ;   in Loop: Header=BB71_32 Depth=1
	v_lshl_add_u32 v2, s2, 3, v46
	ds_write_b128 v2, v[4:7]
	ds_write_b128 v2, v[8:11] offset:16
.LBB71_68:                              ;   in Loop: Header=BB71_32 Depth=1
	s_or_b64 exec, exec, s[0:1]
	s_waitcnt lgkmcnt(0)
	s_barrier
	s_mov_b64 s[6:7], exec
	v_readlane_b32 s0, v63, 8
	v_readlane_b32 s1, v63, 9
	s_and_b64 s[0:1], s[6:7], s[0:1]
	s_mov_b64 exec, s[0:1]
	s_cbranch_execz .LBB71_106
; %bb.69:                               ;   in Loop: Header=BB71_32 Depth=1
	v_readlane_b32 s0, v63, 16
	v_mov_b32_e32 v4, 0
	v_readlane_b32 s1, v63, 17
	v_mov_b32_e32 v5, 0
	s_andn2_b64 vcc, exec, s[0:1]
	s_cbranch_vccnz .LBB71_105
; %bb.70:                               ;   in Loop: Header=BB71_32 Depth=1
	v_readlane_b32 s0, v63, 25
	v_readlane_b32 s1, v63, 26
	s_andn2_b64 vcc, exec, s[0:1]
	s_cbranch_vccnz .LBB71_101
; %bb.71:                               ;   in Loop: Header=BB71_32 Depth=1
	v_mov_b32_e32 v4, 0
	v_lshl_add_u32 v2, s69, 9, v49
	v_mov_b32_e32 v5, 0
	s_mov_b32 s0, 0
.LBB71_72:                              ;   Parent Loop BB71_32 Depth=1
                                        ; =>  This Inner Loop Header: Depth=2
	ds_read2_b64 v[6:9], v2 offset1:4
	ds_read2_b64 v[31:34], v2 offset0:8 offset1:12
	ds_read2_b64 v[35:38], v2 offset0:16 offset1:20
	;; [unrolled: 1-line block ×3, first 2 shown]
	s_add_i32 s0, s0, 8
	s_waitcnt lgkmcnt(3)
	v_add_co_u32_e32 v4, vcc, v6, v4
	v_addc_co_u32_e32 v5, vcc, v7, v5, vcc
	v_add_co_u32_e32 v4, vcc, v8, v4
	v_addc_co_u32_e32 v5, vcc, v9, v5, vcc
	s_waitcnt lgkmcnt(2)
	v_add_co_u32_e32 v4, vcc, v31, v4
	v_addc_co_u32_e32 v5, vcc, v32, v5, vcc
	v_add_co_u32_e32 v4, vcc, v33, v4
	v_addc_co_u32_e32 v5, vcc, v34, v5, vcc
	;; [unrolled: 5-line block ×3, first 2 shown]
	s_waitcnt lgkmcnt(0)
	v_add_co_u32_e32 v4, vcc, v59, v4
	v_addc_co_u32_e32 v5, vcc, v60, v5, vcc
	v_add_co_u32_e32 v4, vcc, v61, v4
	v_add_u32_e32 v2, 0x100, v2
	s_cmp_eq_u32 s17, s0
	v_addc_co_u32_e32 v5, vcc, v62, v5, vcc
	s_cbranch_scc0 .LBB71_72
; %bb.73:                               ;   in Loop: Header=BB71_32 Depth=1
	s_mov_b32 s0, s17
	s_branch .LBB71_102
.LBB71_74:                              ;   in Loop: Header=BB71_32 Depth=1
	global_load_ushort v2, v3, s[58:59]
	s_mov_b32 s0, s47
	s_waitcnt vmcnt(0)
	v_readfirstlane_b32 s1, v2
	s_and_b32 s8, s1, 0xffff
	s_lshl_b32 s2, s8, 2
	s_mov_b32 s1, s25
	s_cmp_lg_u64 s[0:1], 0
	s_cbranch_scc0 .LBB71_97
; %bb.75:                               ;   in Loop: Header=BB71_32 Depth=1
	s_add_u32 s0, s2, 0
	s_addc_u32 s1, 0, 0
	s_xor_b64 s[6:7], s[0:1], 0
	v_cvt_f32_u32_e32 v2, s6
	v_cvt_f32_u32_e32 v4, s7
	s_sub_u32 s3, 0, s6
	s_subb_u32 s9, 0, s7
	v_mac_f32_e32 v2, 0x4f800000, v4
	v_rcp_f32_e32 v2, v2
	v_mul_f32_e32 v2, 0x5f7ffffc, v2
	v_mul_f32_e32 v4, 0x2f800000, v2
	v_trunc_f32_e32 v4, v4
	v_mac_f32_e32 v2, 0xcf800000, v4
	v_cvt_u32_f32_e32 v4, v4
	v_cvt_u32_f32_e32 v2, v2
	v_readfirstlane_b32 s10, v4
	v_readfirstlane_b32 s0, v2
	s_mul_i32 s1, s3, s10
	s_mul_hi_u32 s12, s3, s0
	s_mul_i32 s11, s9, s0
	s_add_i32 s1, s12, s1
	s_mul_i32 s13, s3, s0
	s_add_i32 s1, s1, s11
	s_mul_i32 s12, s0, s1
	s_mul_hi_u32 s14, s0, s13
	s_mul_hi_u32 s11, s0, s1
	s_add_u32 s12, s14, s12
	s_addc_u32 s11, 0, s11
	s_mul_hi_u32 s15, s10, s13
	s_mul_i32 s13, s10, s13
	s_add_u32 s12, s12, s13
	s_mul_hi_u32 s14, s10, s1
	s_addc_u32 s11, s11, s15
	s_addc_u32 s12, s14, 0
	s_mul_i32 s1, s10, s1
	s_add_u32 s1, s11, s1
	s_addc_u32 s11, 0, s12
	s_add_u32 s12, s0, s1
	s_cselect_b64 s[0:1], -1, 0
	s_cmp_lg_u64 s[0:1], 0
	s_addc_u32 s10, s10, s11
	s_mul_i32 s0, s3, s10
	s_mul_hi_u32 s1, s3, s12
	s_add_i32 s0, s1, s0
	s_mul_i32 s9, s9, s12
	s_add_i32 s0, s0, s9
	s_mul_i32 s3, s3, s12
	s_mul_hi_u32 s9, s10, s3
	s_mul_i32 s11, s10, s3
	s_mul_i32 s14, s12, s0
	s_mul_hi_u32 s3, s12, s3
	s_mul_hi_u32 s13, s12, s0
	s_add_u32 s3, s3, s14
	s_addc_u32 s13, 0, s13
	s_add_u32 s3, s3, s11
	s_mul_hi_u32 s1, s10, s0
	s_addc_u32 s3, s13, s9
	s_addc_u32 s1, s1, 0
	s_mul_i32 s0, s10, s0
	s_add_u32 s0, s3, s0
	s_addc_u32 s3, 0, s1
	s_add_u32 s9, s12, s0
	s_cselect_b64 s[0:1], -1, 0
	s_cmp_lg_u64 s[0:1], 0
	s_addc_u32 s3, s10, s3
	s_ashr_i32 s0, s25, 31
	s_add_u32 s10, s24, s0
	s_mov_b32 s1, s0
	s_addc_u32 s11, s25, s0
	s_xor_b64 s[10:11], s[10:11], s[0:1]
	s_mul_i32 s13, s10, s3
	s_mul_hi_u32 s14, s10, s9
	s_mul_hi_u32 s12, s10, s3
	s_add_u32 s13, s14, s13
	s_addc_u32 s12, 0, s12
	s_mul_hi_u32 s15, s11, s9
	s_mul_i32 s9, s11, s9
	s_add_u32 s9, s13, s9
	s_mul_hi_u32 s14, s11, s3
	s_addc_u32 s9, s12, s15
	s_addc_u32 s12, s14, 0
	s_mul_i32 s3, s11, s3
	s_add_u32 s3, s9, s3
	s_addc_u32 s9, 0, s12
	s_mul_i32 s9, s6, s9
	s_mul_hi_u32 s12, s6, s3
	s_add_i32 s9, s12, s9
	s_mul_i32 s12, s7, s3
	s_add_i32 s9, s9, s12
	s_sub_i32 s14, s11, s9
	s_mul_i32 s3, s6, s3
	s_sub_u32 s3, s10, s3
	s_cselect_b64 s[12:13], -1, 0
	s_cmp_lg_u64 s[12:13], 0
	s_subb_u32 s10, s14, s7
	s_sub_u32 s18, s3, s6
	s_cselect_b64 s[14:15], -1, 0
	s_cmp_lg_u64 s[14:15], 0
	s_subb_u32 s19, s10, 0
	s_cmp_ge_u32 s19, s7
	s_cselect_b32 s20, -1, 0
	s_cmp_ge_u32 s18, s6
	s_cselect_b32 s21, -1, 0
	s_cmp_eq_u32 s19, s7
	s_cselect_b32 s20, s21, s20
	s_cmp_lg_u64 s[14:15], 0
	s_subb_u32 s10, s10, s7
	s_sub_u32 s21, s18, s6
	s_cselect_b64 s[14:15], -1, 0
	s_cmp_lg_u64 s[14:15], 0
	s_subb_u32 s10, s10, 0
	s_cmp_lg_u32 s20, 0
	s_cselect_b32 s14, s21, s18
	s_cselect_b32 s10, s10, s19
	s_cmp_lg_u64 s[12:13], 0
	s_subb_u32 s9, s11, s9
	s_cmp_ge_u32 s9, s7
	s_cselect_b32 s11, -1, 0
	s_cmp_ge_u32 s3, s6
	s_cselect_b32 s6, -1, 0
	s_cmp_eq_u32 s9, s7
	s_cselect_b32 s6, s6, s11
	s_cmp_lg_u32 s6, 0
	s_cselect_b32 s7, s10, s9
	s_cselect_b32 s6, s14, s3
	s_xor_b64 s[6:7], s[6:7], s[0:1]
	s_sub_u32 s84, s6, s0
	s_subb_u32 s85, s7, s0
	s_cbranch_execnz .LBB71_77
.LBB71_76:                              ;   in Loop: Header=BB71_32 Depth=1
	v_cvt_f32_u32_e32 v2, s2
	s_sub_i32 s0, 0, s2
	v_rcp_iflag_f32_e32 v2, v2
	v_mul_f32_e32 v2, 0x4f7ffffe, v2
	v_cvt_u32_f32_e32 v2, v2
	v_readfirstlane_b32 s1, v2
	s_mul_i32 s0, s0, s1
	s_mul_hi_u32 s0, s1, s0
	s_add_i32 s1, s1, s0
	s_mul_hi_u32 s0, s24, s1
	s_mul_i32 s0, s0, s2
	s_sub_i32 s0, s24, s0
	s_sub_i32 s1, s0, s2
	s_cmp_ge_u32 s0, s2
	s_cselect_b32 s0, s1, s0
	s_sub_i32 s1, s0, s2
	s_cmp_ge_u32 s0, s2
	s_cselect_b32 s46, s1, s0
	s_mov_b64 s[84:85], s[46:47]
.LBB71_77:                              ;   in Loop: Header=BB71_32 Depth=1
	s_sub_u32 s86, s24, s84
	s_subb_u32 s87, s25, s85
	v_cmp_gt_i64_e32 vcc, s[86:87], v[16:17]
	v_mov_b32_e32 v4, 0
	v_mov_b32_e32 v6, 0
	;; [unrolled: 1-line block ×8, first 2 shown]
	s_and_saveexec_b64 s[88:89], vcc
	s_cbranch_execz .LBB71_81
; %bb.78:                               ;   in Loop: Header=BB71_32 Depth=1
	v_readlane_b32 s6, v63, 32
	v_readlane_b32 s7, v63, 33
	s_mul_i32 s0, s7, s8
	s_mul_hi_u32 s1, s6, s8
	v_mov_b32_e32 v32, v27
	v_mov_b32_e32 v34, v25
	;; [unrolled: 1-line block ×5, first 2 shown]
	s_add_i32 s0, s1, s0
	s_mul_i32 s1, s6, s8
	s_mov_b64 s[90:91], 0
	v_mov_b32_e32 v31, v26
	v_mov_b32_e32 v33, v24
	;; [unrolled: 1-line block ×4, first 2 shown]
	s_mov_b64 s[92:93], 0
	s_mov_b64 s[94:95], 0
	;; [unrolled: 1-line block ×4, first 2 shown]
	v_mov_b32_e32 v39, v16
.LBB71_79:                              ;   Parent Loop BB71_32 Depth=1
                                        ; =>  This Inner Loop Header: Depth=2
	v_add_co_u32_e32 v4, vcc, s48, v31
	v_mov_b32_e32 v2, s49
	v_addc_co_u32_e32 v5, vcc, v32, v2, vcc
	global_load_ushort v6, v[4:5], off
	v_add_co_u32_e32 v4, vcc, s48, v33
	v_addc_co_u32_e32 v5, vcc, v34, v2, vcc
	global_load_ushort v7, v[4:5], off
	v_add_co_u32_e32 v4, vcc, s48, v35
	;; [unrolled: 3-line block ×3, first 2 shown]
	v_addc_co_u32_e32 v5, vcc, v38, v2, vcc
	global_load_ushort v2, v[4:5], off
	s_waitcnt vmcnt(3)
	v_cmp_lt_i16_e32 vcc, -1, v6
	v_cndmask_b32_e32 v4, v53, v54, vcc
	v_lshlrev_b32_e32 v5, 16, v6
	v_cmp_o_f32_e32 vcc, v5, v5
	v_xor_b32_sdwa v4, v4, v6 dst_sel:DWORD dst_unused:UNUSED_PAD src0_sel:DWORD src1_sel:WORD_0
	v_cndmask_b32_e32 v4, v53, v4, vcc
	s_waitcnt vmcnt(2)
	v_cmp_lt_i16_e32 vcc, -1, v7
	v_cndmask_b32_e32 v5, v53, v54, vcc
	v_lshlrev_b32_e32 v6, 16, v7
	v_cmp_o_f32_e32 vcc, v6, v6
	v_xor_b32_sdwa v5, v5, v7 dst_sel:DWORD dst_unused:UNUSED_PAD src0_sel:DWORD src1_sel:WORD_0
	v_cndmask_b32_e32 v5, v53, v5, vcc
	;; [unrolled: 7-line block ×3, first 2 shown]
	s_waitcnt vmcnt(0)
	v_cmp_lt_i16_e32 vcc, -1, v2
	v_cndmask_b32_e32 v7, v53, v54, vcc
	v_lshlrev_b32_e32 v8, 16, v2
	v_cmp_o_f32_e32 vcc, v8, v8
	v_xor_b32_sdwa v2, v7, v2 dst_sel:DWORD dst_unused:UNUSED_PAD src0_sel:DWORD src1_sel:WORD_0
	v_and_b32_e32 v7, v4, v57
	v_bfe_u32 v4, v4, s53, 2
	v_cndmask_b32_e32 v2, v53, v2, vcc
	v_cmp_eq_u32_e32 vcc, v7, v50
	v_and_b32_e32 v7, v5, v57
	v_bfe_u32 v5, v5, s53, 2
	v_cmp_eq_u32_e64 s[20:21], 0, v4
	v_cmp_eq_u32_e64 s[6:7], v7, v50
	v_and_b32_e32 v7, v6, v57
	v_bfe_u32 v6, v6, s53, 2
	s_and_b64 s[10:11], vcc, s[20:21]
	v_cmp_eq_u32_e64 s[20:21], 0, v5
	v_cmp_eq_u32_e64 s[14:15], v7, v50
	v_and_b32_e32 v7, v2, v57
	v_bfe_u32 v2, v2, s53, 2
	s_and_b64 s[12:13], s[6:7], s[20:21]
	v_cmp_eq_u32_e64 s[20:21], 0, v6
	v_cmp_eq_u32_e64 s[18:19], v7, v50
	s_and_b64 s[36:37], s[14:15], s[20:21]
	v_cmp_eq_u32_e64 s[20:21], 0, v2
	v_cndmask_b32_e64 v7, 0, 1, s[10:11]
	s_and_b64 s[44:45], s[18:19], s[20:21]
	v_cmp_ne_u32_e64 s[20:21], 0, v7
	v_cndmask_b32_e64 v7, 0, 1, s[12:13]
	s_bcnt1_i32_b64 s3, s[20:21]
	v_cmp_ne_u32_e64 s[20:21], 0, v7
	v_cndmask_b32_e64 v7, 0, 1, s[36:37]
	s_bcnt1_i32_b64 s9, s[20:21]
	;; [unrolled: 3-line block ×3, first 2 shown]
	v_cmp_ne_u32_e64 s[20:21], 0, v7
	s_bcnt1_i32_b64 s11, s[20:21]
	s_add_u32 s3, s3, s42
	s_addc_u32 s12, 0, s43
	s_add_u32 s3, s3, s9
	s_addc_u32 s9, s12, 0
	;; [unrolled: 2-line block ×3, first 2 shown]
	s_add_u32 s42, s3, s11
	v_cmp_eq_u32_e64 s[20:21], 1, v4
	s_addc_u32 s43, s9, 0
	s_and_b64 s[10:11], vcc, s[20:21]
	v_cmp_eq_u32_e64 s[20:21], 1, v5
	s_and_b64 s[12:13], s[6:7], s[20:21]
	v_cmp_eq_u32_e64 s[20:21], 1, v6
	s_and_b64 s[36:37], s[14:15], s[20:21]
	v_cmp_eq_u32_e64 s[20:21], 1, v2
	v_cndmask_b32_e64 v7, 0, 1, s[10:11]
	s_and_b64 s[44:45], s[18:19], s[20:21]
	v_cmp_ne_u32_e64 s[20:21], 0, v7
	v_cndmask_b32_e64 v7, 0, 1, s[12:13]
	s_bcnt1_i32_b64 s3, s[20:21]
	v_cmp_ne_u32_e64 s[20:21], 0, v7
	v_cndmask_b32_e64 v7, 0, 1, s[36:37]
	s_bcnt1_i32_b64 s9, s[20:21]
	;; [unrolled: 3-line block ×3, first 2 shown]
	v_cmp_ne_u32_e64 s[20:21], 0, v7
	s_bcnt1_i32_b64 s11, s[20:21]
	s_add_u32 s3, s3, s40
	s_addc_u32 s12, 0, s41
	s_add_u32 s3, s3, s9
	s_addc_u32 s9, s12, 0
	s_add_u32 s3, s3, s10
	s_addc_u32 s9, s9, 0
	s_add_u32 s40, s3, s11
	v_cmp_eq_u32_e64 s[20:21], 2, v4
	s_addc_u32 s41, s9, 0
	s_and_b64 s[10:11], vcc, s[20:21]
	v_cmp_eq_u32_e64 s[20:21], 2, v5
	s_and_b64 s[12:13], s[6:7], s[20:21]
	v_cmp_eq_u32_e64 s[20:21], 2, v6
	s_and_b64 s[36:37], s[14:15], s[20:21]
	v_cmp_eq_u32_e64 s[20:21], 2, v2
	v_cndmask_b32_e64 v7, 0, 1, s[10:11]
	s_and_b64 s[44:45], s[18:19], s[20:21]
	v_cmp_ne_u32_e64 s[20:21], 0, v7
	v_cndmask_b32_e64 v7, 0, 1, s[12:13]
	s_bcnt1_i32_b64 s3, s[20:21]
	v_cmp_ne_u32_e64 s[20:21], 0, v7
	v_cndmask_b32_e64 v7, 0, 1, s[36:37]
	s_bcnt1_i32_b64 s9, s[20:21]
	;; [unrolled: 3-line block ×3, first 2 shown]
	v_cmp_ne_u32_e64 s[20:21], 0, v7
	s_bcnt1_i32_b64 s11, s[20:21]
	s_add_u32 s3, s3, s94
	s_addc_u32 s12, 0, s95
	s_add_u32 s3, s3, s9
	s_addc_u32 s9, s12, 0
	;; [unrolled: 2-line block ×3, first 2 shown]
	s_add_u32 s94, s3, s11
	v_cmp_eq_u32_e64 s[20:21], 3, v4
	s_addc_u32 s95, s9, 0
	s_and_b64 s[10:11], vcc, s[20:21]
	v_cmp_eq_u32_e32 vcc, 3, v5
	s_and_b64 s[6:7], s[6:7], vcc
	v_cmp_eq_u32_e32 vcc, 3, v6
	s_and_b64 s[12:13], s[14:15], vcc
	v_cmp_eq_u32_e32 vcc, 3, v2
	v_cndmask_b32_e64 v2, 0, 1, s[10:11]
	s_and_b64 s[14:15], s[18:19], vcc
	v_cmp_ne_u32_e32 vcc, 0, v2
	v_cndmask_b32_e64 v2, 0, 1, s[6:7]
	s_bcnt1_i32_b64 s3, vcc
	v_cmp_ne_u32_e32 vcc, 0, v2
	v_cndmask_b32_e64 v2, 0, 1, s[12:13]
	s_bcnt1_i32_b64 s6, vcc
	;; [unrolled: 3-line block ×3, first 2 shown]
	v_cmp_ne_u32_e32 vcc, 0, v2
	s_bcnt1_i32_b64 s9, vcc
	v_add_co_u32_e32 v39, vcc, s2, v39
	v_addc_co_u32_e32 v40, vcc, 0, v40, vcc
	v_add_co_u32_e32 v37, vcc, s1, v37
	v_mov_b32_e32 v2, s0
	v_addc_co_u32_e32 v38, vcc, v38, v2, vcc
	s_add_u32 s3, s3, s92
	v_add_co_u32_e32 v35, vcc, s1, v35
	s_addc_u32 s10, 0, s93
	v_addc_co_u32_e32 v36, vcc, v36, v2, vcc
	s_add_u32 s3, s3, s6
	v_add_co_u32_e32 v33, vcc, s1, v33
	s_addc_u32 s6, s10, 0
	;; [unrolled: 4-line block ×3, first 2 shown]
	v_addc_co_u32_e32 v32, vcc, v32, v2, vcc
	s_add_u32 s92, s3, s9
	v_cmp_le_i64_e32 vcc, s[86:87], v[39:40]
	s_addc_u32 s93, s6, 0
	v_mov_b32_e32 v4, s42
	v_mov_b32_e32 v6, s40
	v_mov_b32_e32 v8, s94
	v_mov_b32_e32 v10, s92
	s_or_b64 s[90:91], vcc, s[90:91]
	v_mov_b32_e32 v5, s43
	v_mov_b32_e32 v7, s41
	;; [unrolled: 1-line block ×4, first 2 shown]
	s_andn2_b64 exec, exec, s[90:91]
	s_cbranch_execnz .LBB71_79
; %bb.80:                               ;   in Loop: Header=BB71_32 Depth=1
	s_or_b64 exec, exec, s[90:91]
.LBB71_81:                              ;   in Loop: Header=BB71_32 Depth=1
	s_or_b64 exec, exec, s[88:89]
	v_mov_b32_e32 v2, s87
	v_add_co_u32_e32 v31, vcc, s86, v0
	v_addc_co_u32_e32 v32, vcc, 0, v2, vcc
	v_cmp_gt_i64_e32 vcc, s[24:25], v[31:32]
	s_and_saveexec_b64 s[10:11], vcc
	s_cbranch_execz .LBB71_87
; %bb.82:                               ;   in Loop: Header=BB71_32 Depth=1
	v_mul_lo_u32 v2, v32, s30
	v_mul_lo_u32 v35, v31, s31
	v_mad_u64_u32 v[33:34], s[0:1], v31, s30, 0
	v_readlane_b32 s0, v63, 30
	v_readlane_b32 s1, v63, 31
	v_add3_u32 v34, v34, v35, v2
	v_lshlrev_b64 v[33:34], 1, v[33:34]
	v_mov_b32_e32 v2, s55
	v_add_co_u32_e32 v33, vcc, s54, v33
	v_addc_co_u32_e32 v34, vcc, v2, v34, vcc
	global_load_ushort v2, v[33:34], off
	v_add_co_u32_e32 v33, vcc, s8, v47
	v_addc_co_u32_e32 v34, vcc, 0, v48, vcc
	v_mov_b32_e32 v35, s85
	v_subrev_co_u32_e32 v36, vcc, s84, v33
	v_subb_co_u32_e32 v33, vcc, v34, v35, vcc
	v_mul_lo_u32 v35, s66, v33
	v_mov_b32_e32 v34, s1
	v_mov_b32_e32 v33, s0
	v_mul_lo_u32 v37, s67, v36
	v_mad_u64_u32 v[33:34], s[0:1], s66, v36, v[33:34]
	s_mul_i32 s0, s67, s8
	s_mul_hi_u32 s1, s66, s8
	v_add3_u32 v34, v37, v34, v35
	s_add_i32 s9, s1, s0
	s_mul_i32 s12, s66, s8
	s_mov_b64 s[2:3], 0
	s_branch .LBB71_84
.LBB71_83:                              ;   in Loop: Header=BB71_84 Depth=2
	s_or_b64 exec, exec, s[0:1]
	s_and_b64 s[0:1], exec, vcc
	s_waitcnt vmcnt(0)
	v_cmp_lt_i16_e32 vcc, -1, v2
	v_cndmask_b32_e32 v36, v53, v54, vcc
	v_lshlrev_b32_e32 v37, 16, v2
	v_xor_b32_sdwa v2, v36, v2 dst_sel:DWORD dst_unused:UNUSED_PAD src0_sel:DWORD src1_sel:WORD_0
	v_cmp_o_f32_e32 vcc, v37, v37
	v_cndmask_b32_e32 v2, v53, v2, vcc
	v_and_b32_e32 v36, v2, v57
	v_bfe_u32 v2, v2, s53, 2
	s_or_b64 s[2:3], s[0:1], s[2:3]
	v_cmp_eq_u32_e32 vcc, v36, v50
	v_cmp_eq_u32_e64 s[6:7], 0, v2
	s_and_b64 s[0:1], vcc, s[6:7]
	v_cndmask_b32_e64 v36, 0, 1, s[0:1]
	v_cmp_ne_u32_e64 s[6:7], 0, v36
	s_bcnt1_i32_b64 s0, s[6:7]
	v_add_co_u32_e64 v4, s[6:7], s0, v4
	v_addc_co_u32_e64 v5, s[6:7], 0, v5, s[6:7]
	v_cmp_eq_u32_e64 s[6:7], 1, v2
	s_and_b64 s[0:1], vcc, s[6:7]
	v_cndmask_b32_e64 v36, 0, 1, s[0:1]
	v_cmp_ne_u32_e64 s[6:7], 0, v36
	s_bcnt1_i32_b64 s0, s[6:7]
	v_add_co_u32_e64 v6, s[6:7], s0, v6
	v_addc_co_u32_e64 v7, s[6:7], 0, v7, s[6:7]
	;; [unrolled: 7-line block ×3, first 2 shown]
	v_cmp_eq_u32_e64 s[6:7], 3, v2
	s_and_b64 s[0:1], vcc, s[6:7]
	v_cndmask_b32_e64 v2, 0, 1, s[0:1]
	v_cmp_ne_u32_e32 vcc, 0, v2
	s_bcnt1_i32_b64 s0, vcc
	v_add_co_u32_e32 v10, vcc, s0, v10
	v_addc_co_u32_e32 v11, vcc, 0, v11, vcc
	v_mov_b32_e32 v2, s9
	v_add_co_u32_e32 v33, vcc, s12, v33
	v_addc_co_u32_e32 v34, vcc, v34, v2, vcc
	v_mov_b32_e32 v2, v35
	s_andn2_b64 exec, exec, s[2:3]
	s_cbranch_execz .LBB71_86
.LBB71_84:                              ;   Parent Loop BB71_32 Depth=1
                                        ; =>  This Inner Loop Header: Depth=2
	v_add_co_u32_e32 v31, vcc, s8, v31
	v_addc_co_u32_e32 v32, vcc, 0, v32, vcc
	v_cmp_gt_i64_e64 s[6:7], s[24:25], v[31:32]
	v_cmp_le_i64_e32 vcc, s[24:25], v[31:32]
	v_mov_b32_e32 v35, 0
	s_and_saveexec_b64 s[0:1], s[6:7]
	s_cbranch_execz .LBB71_83
; %bb.85:                               ;   in Loop: Header=BB71_84 Depth=2
	global_load_ushort v35, v[33:34], off
	s_branch .LBB71_83
.LBB71_86:                              ;   in Loop: Header=BB71_32 Depth=1
	s_or_b64 exec, exec, s[2:3]
.LBB71_87:                              ;   in Loop: Header=BB71_32 Depth=1
	s_or_b64 exec, exec, s[10:11]
	s_branch .LBB71_66
.LBB71_88:                              ;   in Loop: Header=BB71_32 Depth=1
	global_load_ushort v2, v3, s[58:59]
	v_mov_b32_e32 v8, 0
	v_mov_b32_e32 v9, 0
	s_waitcnt vmcnt(0)
	v_readfirstlane_b32 s0, v2
	s_and_b32 s0, 0xffff, s0
	s_lshl_b32 s1, s0, 2
	v_cvt_f32_u32_e32 v4, s1
	s_sub_i32 s2, 0, s1
	v_rcp_iflag_f32_e32 v6, v4
	v_mov_b32_e32 v4, 0
	v_mov_b32_e32 v5, 0
	v_mul_f32_e32 v6, 0x4f7ffffe, v6
	v_cvt_u32_f32_e32 v10, v6
	v_mov_b32_e32 v6, 0
	v_mov_b32_e32 v7, 0
	v_readfirstlane_b32 s3, v10
	s_mul_i32 s2, s2, s3
	s_mul_hi_u32 s2, s3, s2
	s_add_i32 s3, s3, s2
	s_mul_hi_u32 s2, s26, s3
	s_mul_i32 s3, s2, s1
	s_sub_i32 s3, s26, s3
	s_add_i32 s6, s2, 1
	s_sub_i32 s7, s3, s1
	s_cmp_ge_u32 s3, s1
	s_cselect_b32 s2, s6, s2
	s_cselect_b32 s3, s7, s3
	s_add_i32 s6, s2, 1
	s_cmp_ge_u32 s3, s1
	s_cselect_b32 s2, s6, s2
	s_mul_hi_u32 s41, s0, s2
	s_mul_i32 s40, s0, s2
	s_lshl_b64 s[42:43], s[40:41], 2
	v_cmp_gt_u64_e32 vcc, s[42:43], v[16:17]
	v_mov_b32_e32 v10, 0
	v_mov_b32_e32 v11, 0
	s_and_saveexec_b64 s[84:85], vcc
	s_cbranch_execz .LBB71_92
; %bb.89:                               ;   in Loop: Header=BB71_32 Depth=1
	v_mov_b32_e32 v32, v17
	s_lshl_b32 s2, s0, 3
	s_mov_b64 s[86:87], 0
	v_mov_b32_e32 v33, v42
	s_mov_b64 s[88:89], 0
	s_mov_b64 s[90:91], 0
	;; [unrolled: 1-line block ×4, first 2 shown]
	v_mov_b32_e32 v31, v16
.LBB71_90:                              ;   Parent Loop BB71_32 Depth=1
                                        ; =>  This Inner Loop Header: Depth=2
	ds_read_b64 v[4:5], v33
	v_add_u32_e32 v33, s2, v33
	s_waitcnt lgkmcnt(0)
	v_cmp_lt_i16_e32 vcc, -1, v4
	v_cndmask_b32_e32 v6, v53, v54, vcc
	v_lshlrev_b32_e32 v7, 16, v4
	v_cmp_o_f32_e32 vcc, v7, v7
	v_xor_b32_sdwa v6, v6, v4 dst_sel:DWORD dst_unused:UNUSED_PAD src0_sel:DWORD src1_sel:WORD_0
	v_cndmask_b32_e32 v6, v53, v6, vcc
	v_cmp_gt_i16_sdwa vcc, v4, v55 src0_sel:WORD_1 src1_sel:DWORD
	v_cndmask_b32_e32 v7, v53, v54, vcc
	v_and_b32_e32 v8, 0xffff0000, v4
	v_cmp_o_f32_e32 vcc, v8, v8
	v_xor_b32_sdwa v4, v7, v4 dst_sel:DWORD dst_unused:UNUSED_PAD src0_sel:DWORD src1_sel:WORD_1
	v_cndmask_b32_e32 v4, v53, v4, vcc
	v_cmp_lt_i16_e32 vcc, -1, v5
	v_cndmask_b32_e32 v7, v53, v54, vcc
	v_lshlrev_b32_e32 v8, 16, v5
	v_cmp_o_f32_e32 vcc, v8, v8
	v_xor_b32_sdwa v7, v7, v5 dst_sel:DWORD dst_unused:UNUSED_PAD src0_sel:DWORD src1_sel:WORD_0
	v_cndmask_b32_e32 v7, v53, v7, vcc
	v_cmp_gt_i16_sdwa vcc, v5, v55 src0_sel:WORD_1 src1_sel:DWORD
	v_cndmask_b32_e32 v8, v53, v54, vcc
	v_and_b32_e32 v9, 0xffff0000, v5
	v_cmp_o_f32_e32 vcc, v9, v9
	v_xor_b32_sdwa v5, v8, v5 dst_sel:DWORD dst_unused:UNUSED_PAD src0_sel:DWORD src1_sel:WORD_1
	v_and_b32_e32 v8, v6, v57
	v_bfe_u32 v6, v6, s53, 2
	v_cndmask_b32_e32 v5, v53, v5, vcc
	v_cmp_eq_u32_e32 vcc, v8, v50
	v_and_b32_e32 v8, v4, v57
	v_bfe_u32 v4, v4, s53, 2
	v_cmp_eq_u32_e64 s[20:21], 0, v6
	v_cmp_eq_u32_e64 s[6:7], v8, v50
	v_and_b32_e32 v8, v7, v57
	v_bfe_u32 v7, v7, s53, 2
	s_and_b64 s[8:9], vcc, s[20:21]
	v_cmp_eq_u32_e64 s[20:21], 0, v4
	v_cmp_eq_u32_e64 s[14:15], v8, v50
	v_and_b32_e32 v8, v5, v57
	v_bfe_u32 v5, v5, s53, 2
	s_and_b64 s[10:11], s[6:7], s[20:21]
	v_cmp_eq_u32_e64 s[20:21], 0, v7
	v_cmp_eq_u32_e64 s[18:19], v8, v50
	s_and_b64 s[12:13], s[14:15], s[20:21]
	v_cmp_eq_u32_e64 s[20:21], 0, v5
	v_cndmask_b32_e64 v8, 0, 1, s[8:9]
	s_and_b64 s[36:37], s[18:19], s[20:21]
	v_cmp_ne_u32_e64 s[20:21], 0, v8
	v_cndmask_b32_e64 v8, 0, 1, s[10:11]
	s_bcnt1_i32_b64 s3, s[20:21]
	v_cmp_ne_u32_e64 s[20:21], 0, v8
	v_cndmask_b32_e64 v8, 0, 1, s[12:13]
	s_bcnt1_i32_b64 s8, s[20:21]
	;; [unrolled: 3-line block ×3, first 2 shown]
	v_cmp_ne_u32_e64 s[20:21], 0, v8
	s_bcnt1_i32_b64 s10, s[20:21]
	s_add_u32 s3, s3, s94
	s_addc_u32 s11, 0, s95
	s_add_u32 s3, s3, s8
	s_addc_u32 s8, s11, 0
	;; [unrolled: 2-line block ×3, first 2 shown]
	s_add_u32 s94, s3, s10
	v_cmp_eq_u32_e64 s[20:21], 1, v6
	s_addc_u32 s95, s8, 0
	s_and_b64 s[8:9], vcc, s[20:21]
	v_cmp_eq_u32_e64 s[20:21], 1, v4
	s_and_b64 s[10:11], s[6:7], s[20:21]
	v_cmp_eq_u32_e64 s[20:21], 1, v7
	s_and_b64 s[12:13], s[14:15], s[20:21]
	v_cmp_eq_u32_e64 s[20:21], 1, v5
	v_cndmask_b32_e64 v8, 0, 1, s[8:9]
	s_and_b64 s[36:37], s[18:19], s[20:21]
	v_cmp_ne_u32_e64 s[20:21], 0, v8
	v_cndmask_b32_e64 v8, 0, 1, s[10:11]
	s_bcnt1_i32_b64 s3, s[20:21]
	v_cmp_ne_u32_e64 s[20:21], 0, v8
	v_cndmask_b32_e64 v8, 0, 1, s[12:13]
	s_bcnt1_i32_b64 s8, s[20:21]
	;; [unrolled: 3-line block ×3, first 2 shown]
	v_cmp_ne_u32_e64 s[20:21], 0, v8
	s_bcnt1_i32_b64 s10, s[20:21]
	s_add_u32 s3, s3, s92
	s_addc_u32 s11, 0, s93
	s_add_u32 s3, s3, s8
	s_addc_u32 s8, s11, 0
	;; [unrolled: 2-line block ×3, first 2 shown]
	s_add_u32 s92, s3, s10
	v_cmp_eq_u32_e64 s[20:21], 2, v6
	s_addc_u32 s93, s8, 0
	s_and_b64 s[8:9], vcc, s[20:21]
	v_cmp_eq_u32_e64 s[20:21], 2, v4
	s_and_b64 s[10:11], s[6:7], s[20:21]
	v_cmp_eq_u32_e64 s[20:21], 2, v7
	s_and_b64 s[12:13], s[14:15], s[20:21]
	v_cmp_eq_u32_e64 s[20:21], 2, v5
	v_cndmask_b32_e64 v8, 0, 1, s[8:9]
	s_and_b64 s[36:37], s[18:19], s[20:21]
	v_cmp_ne_u32_e64 s[20:21], 0, v8
	v_cndmask_b32_e64 v8, 0, 1, s[10:11]
	s_bcnt1_i32_b64 s3, s[20:21]
	v_cmp_ne_u32_e64 s[20:21], 0, v8
	v_cndmask_b32_e64 v8, 0, 1, s[12:13]
	s_bcnt1_i32_b64 s8, s[20:21]
	;; [unrolled: 3-line block ×3, first 2 shown]
	v_cmp_ne_u32_e64 s[20:21], 0, v8
	s_bcnt1_i32_b64 s10, s[20:21]
	s_add_u32 s3, s3, s90
	s_addc_u32 s11, 0, s91
	s_add_u32 s3, s3, s8
	s_addc_u32 s8, s11, 0
	;; [unrolled: 2-line block ×3, first 2 shown]
	s_add_u32 s90, s3, s10
	v_cmp_eq_u32_e64 s[20:21], 3, v6
	s_addc_u32 s91, s8, 0
	s_and_b64 s[8:9], vcc, s[20:21]
	v_cmp_eq_u32_e32 vcc, 3, v4
	s_and_b64 s[6:7], s[6:7], vcc
	v_cmp_eq_u32_e32 vcc, 3, v7
	s_and_b64 s[10:11], s[14:15], vcc
	v_cmp_eq_u32_e32 vcc, 3, v5
	v_cndmask_b32_e64 v4, 0, 1, s[8:9]
	s_and_b64 s[12:13], s[18:19], vcc
	v_cmp_ne_u32_e32 vcc, 0, v4
	v_cndmask_b32_e64 v4, 0, 1, s[6:7]
	s_bcnt1_i32_b64 s3, vcc
	v_cmp_ne_u32_e32 vcc, 0, v4
	v_cndmask_b32_e64 v4, 0, 1, s[10:11]
	s_bcnt1_i32_b64 s6, vcc
	;; [unrolled: 3-line block ×3, first 2 shown]
	v_cmp_ne_u32_e32 vcc, 0, v4
	s_bcnt1_i32_b64 s8, vcc
	s_add_u32 s3, s3, s88
	s_addc_u32 s9, 0, s89
	s_add_u32 s3, s3, s6
	s_addc_u32 s6, s9, 0
	s_add_u32 s3, s3, s7
	v_add_co_u32_e32 v31, vcc, s1, v31
	s_addc_u32 s6, s6, 0
	v_addc_co_u32_e32 v32, vcc, 0, v32, vcc
	s_add_u32 s88, s3, s8
	v_cmp_le_u64_e32 vcc, s[42:43], v[31:32]
	s_addc_u32 s89, s6, 0
	v_mov_b32_e32 v4, s94
	v_mov_b32_e32 v6, s92
	;; [unrolled: 1-line block ×4, first 2 shown]
	s_or_b64 s[86:87], vcc, s[86:87]
	v_mov_b32_e32 v5, s95
	v_mov_b32_e32 v7, s93
	;; [unrolled: 1-line block ×4, first 2 shown]
	s_andn2_b64 exec, exec, s[86:87]
	s_cbranch_execnz .LBB71_90
; %bb.91:                               ;   in Loop: Header=BB71_32 Depth=1
	s_or_b64 exec, exec, s[86:87]
.LBB71_92:                              ;   in Loop: Header=BB71_32 Depth=1
	s_or_b64 exec, exec, s[84:85]
	v_mov_b32_e32 v32, s43
	v_add_co_u32_e32 v31, vcc, s42, v0
	s_and_b32 s46, s26, 0x7fffffff
	v_addc_co_u32_e32 v32, vcc, 0, v32, vcc
	v_cmp_gt_u64_e32 vcc, s[46:47], v[31:32]
	s_and_saveexec_b64 s[10:11], vcc
	s_cbranch_execz .LBB71_96
; %bb.93:                               ;   in Loop: Header=BB71_32 Depth=1
	v_lshl_add_u32 v33, s40, 3, v51
	s_lshl_b32 s0, s0, 1
	s_mov_b64 s[12:13], 0
.LBB71_94:                              ;   Parent Loop BB71_32 Depth=1
                                        ; =>  This Inner Loop Header: Depth=2
	ds_read_u16 v34, v33
	v_add_u32_e32 v33, s0, v33
	s_waitcnt lgkmcnt(0)
	v_cmp_lt_i16_e32 vcc, -1, v34
	v_cndmask_b32_e32 v35, v53, v54, vcc
	v_lshlrev_b32_e32 v36, 16, v34
	v_cmp_o_f32_e32 vcc, v36, v36
	v_xor_b32_sdwa v34, v35, v34 dst_sel:DWORD dst_unused:UNUSED_PAD src0_sel:DWORD src1_sel:WORD_0
	v_cndmask_b32_e32 v34, v53, v34, vcc
	v_and_b32_e32 v35, v34, v57
	v_bfe_u32 v34, v34, s53, 2
	v_cmp_eq_u32_e32 vcc, v35, v50
	v_cmp_eq_u32_e64 s[6:7], 0, v34
	s_and_b64 s[2:3], vcc, s[6:7]
	v_cndmask_b32_e64 v35, 0, 1, s[2:3]
	v_cmp_ne_u32_e64 s[6:7], 0, v35
	s_bcnt1_i32_b64 s1, s[6:7]
	v_add_co_u32_e64 v4, s[6:7], s1, v4
	v_addc_co_u32_e64 v5, s[6:7], 0, v5, s[6:7]
	v_cmp_eq_u32_e64 s[6:7], 1, v34
	s_and_b64 s[2:3], vcc, s[6:7]
	v_cndmask_b32_e64 v35, 0, 1, s[2:3]
	v_cmp_ne_u32_e64 s[6:7], 0, v35
	s_bcnt1_i32_b64 s1, s[6:7]
	v_add_co_u32_e64 v6, s[6:7], s1, v6
	v_addc_co_u32_e64 v7, s[6:7], 0, v7, s[6:7]
	;; [unrolled: 7-line block ×3, first 2 shown]
	v_cmp_eq_u32_e64 s[6:7], 3, v34
	s_and_b64 s[2:3], vcc, s[6:7]
	v_cndmask_b32_e64 v34, 0, 1, s[2:3]
	v_cmp_ne_u32_e32 vcc, 0, v34
	s_bcnt1_i32_b64 s1, vcc
	v_add_co_u32_e32 v10, vcc, s1, v10
	v_addc_co_u32_e32 v11, vcc, 0, v11, vcc
	v_add_co_u32_sdwa v31, vcc, v31, v2 dst_sel:DWORD dst_unused:UNUSED_PAD src0_sel:DWORD src1_sel:WORD_0
	v_addc_co_u32_e32 v32, vcc, 0, v32, vcc
	v_cmp_le_u64_e32 vcc, s[46:47], v[31:32]
	s_or_b64 s[12:13], vcc, s[12:13]
	s_andn2_b64 exec, exec, s[12:13]
	s_cbranch_execnz .LBB71_94
; %bb.95:                               ;   in Loop: Header=BB71_32 Depth=1
	s_or_b64 exec, exec, s[12:13]
.LBB71_96:                              ;   in Loop: Header=BB71_32 Depth=1
	s_or_b64 exec, exec, s[10:11]
	s_lshl_b32 s2, s69, 6
	s_and_saveexec_b64 s[0:1], s[4:5]
	s_cbranch_execnz .LBB71_67
	s_branch .LBB71_68
.LBB71_97:                              ;   in Loop: Header=BB71_32 Depth=1
                                        ; implicit-def: $sgpr84_sgpr85
	s_branch .LBB71_76
.LBB71_98:                              ;   in Loop: Header=BB71_32 Depth=1
	s_or_b64 exec, exec, s[12:13]
	s_waitcnt lgkmcnt(0)
	s_barrier
	s_and_saveexec_b64 s[0:1], s[64:65]
	s_cbranch_execz .LBB71_100
; %bb.99:                               ;   in Loop: Header=BB71_32 Depth=1
	ds_read_b32 v4, v3 offset:5136
	s_waitcnt lgkmcnt(0)
	v_ashrrev_i32_e32 v5, 31, v4
	ds_write_b64 v3, v[4:5] offset:5120
.LBB71_100:                             ;   in Loop: Header=BB71_32 Depth=1
	s_or_b64 exec, exec, s[0:1]
	s_waitcnt lgkmcnt(0)
	s_barrier
	s_mov_b64 s[0:1], -1
	s_and_b64 vcc, exec, s[10:11]
	s_cbranch_vccnz .LBB71_47
	s_branch .LBB71_62
.LBB71_101:                             ;   in Loop: Header=BB71_32 Depth=1
	v_mov_b32_e32 v4, 0
	v_mov_b32_e32 v5, 0
	s_mov_b32 s0, 0
.LBB71_102:                             ;   in Loop: Header=BB71_32 Depth=1
	v_readlane_b32 s8, v63, 28
	v_readlane_b32 s9, v63, 29
	s_andn2_b64 vcc, exec, s[8:9]
	s_cbranch_vccnz .LBB71_105
; %bb.103:                              ;   in Loop: Header=BB71_32 Depth=1
	s_lshl_b32 s1, s69, 9
	s_lshl_b32 s0, s0, 5
	s_add_i32 s1, s1, s0
	v_add_u32_e32 v2, s1, v49
	v_readlane_b32 s0, v63, 27
.LBB71_104:                             ;   Parent Loop BB71_32 Depth=1
                                        ; =>  This Inner Loop Header: Depth=2
	ds_read_b64 v[6:7], v2
	s_add_i32 s0, s0, -1
	v_add_u32_e32 v2, 32, v2
	s_cmp_lg_u32 s0, 0
	s_waitcnt lgkmcnt(0)
	v_add_co_u32_e32 v4, vcc, v6, v4
	v_addc_co_u32_e32 v5, vcc, v7, v5, vcc
	s_cbranch_scc1 .LBB71_104
.LBB71_105:                             ;   in Loop: Header=BB71_32 Depth=1
	v_add_lshl_u32 v2, s2, v41, 3
	ds_write_b64 v2, v[4:5] offset:3072
.LBB71_106:                             ;   in Loop: Header=BB71_32 Depth=1
	s_or_b64 exec, exec, s[6:7]
	s_lshl_b32 s0, s2, 3
	v_mov_b32_e32 v2, s0
	s_waitcnt lgkmcnt(0)
	s_barrier
	ds_read_b128 v[8:11], v2 offset:3088
	ds_read_b128 v[4:7], v2 offset:3072
	v_cmp_eq_u64_e64 s[6:7], 1, v[29:30]
	s_lshl_b32 s92, 3, s53
	s_not_b32 s8, s92
	s_waitcnt lgkmcnt(1)
	v_readfirstlane_b32 s84, v8
	s_waitcnt lgkmcnt(0)
	v_cmp_eq_u64_e32 vcc, 1, v[4:5]
	v_readfirstlane_b32 s85, v9
	v_readfirstlane_b32 s14, v10
	;; [unrolled: 1-line block ×3, first 2 shown]
	s_and_b64 s[20:21], vcc, s[6:7]
	s_mov_b64 s[6:7], -1
	s_mov_b64 s[0:1], -1
                                        ; implicit-def: $sgpr12_sgpr13
                                        ; implicit-def: $sgpr10_sgpr11
	s_and_saveexec_b64 s[18:19], s[20:21]
	s_cbranch_execz .LBB71_140
; %bb.107:                              ;   in Loop: Header=BB71_32 Depth=1
	ds_read_b64 v[8:9], v3 offset:5120
	s_waitcnt lgkmcnt(0)
	s_barrier
	v_readfirstlane_b32 s26, v8
	v_readfirstlane_b32 s27, v9
	s_mov_b64 s[0:1], exec
	v_readlane_b32 s2, v63, 10
	v_readlane_b32 s3, v63, 11
	s_and_b64 s[2:3], s[0:1], s[2:3]
	s_mov_b64 exec, s[2:3]
; %bb.108:                              ;   in Loop: Header=BB71_32 Depth=1
	ds_write_b16 v52, v3
; %bb.109:                              ;   in Loop: Header=BB71_32 Depth=1
	s_or_b64 exec, exec, s[0:1]
	v_cmp_lt_i64_e64 s[0:1], s[26:27], 1
	v_and_b32_e32 v50, s8, v50
	v_or_b32_e32 v57, s92, v57
	s_mov_b64 s[10:11], -1
	s_mov_b64 s[12:13], 0
	s_and_b64 vcc, exec, s[0:1]
	s_mov_b64 s[36:37], 0
	s_mov_b64 s[40:41], -1
	s_waitcnt lgkmcnt(0)
	s_barrier
                                        ; implicit-def: $vgpr58
	s_cbranch_vccz .LBB71_125
; %bb.110:                              ;   in Loop: Header=BB71_32 Depth=1
	s_mov_b32 s56, s47
	s_cmp_lg_u64 s[56:57], 0
	s_cbranch_scc0 .LBB71_112
; %bb.111:                              ;   in Loop: Header=BB71_32 Depth=1
	s_add_u32 s0, s33, 0
	s_addc_u32 s1, 0, 0
	s_xor_b64 s[36:37], s[0:1], 0
	v_cvt_f32_u32_e32 v2, s36
	v_cvt_f32_u32_e32 v8, s37
	s_sub_u32 s2, 0, s36
	s_subb_u32 s3, 0, s37
	v_mac_f32_e32 v2, 0x4f800000, v8
	v_rcp_f32_e32 v2, v2
	v_mul_f32_e32 v2, 0x5f7ffffc, v2
	v_mul_f32_e32 v8, 0x2f800000, v2
	v_trunc_f32_e32 v8, v8
	v_mac_f32_e32 v2, 0xcf800000, v8
	v_cvt_u32_f32_e32 v8, v8
	v_cvt_u32_f32_e32 v2, v2
	v_readfirstlane_b32 s9, v8
	v_readfirstlane_b32 s0, v2
	s_mul_i32 s1, s2, s9
	s_mul_hi_u32 s41, s2, s0
	s_mul_i32 s40, s3, s0
	s_add_i32 s1, s41, s1
	s_mul_i32 s42, s2, s0
	s_add_i32 s1, s1, s40
	s_mul_i32 s41, s0, s1
	s_mul_hi_u32 s43, s0, s42
	s_mul_hi_u32 s40, s0, s1
	s_add_u32 s41, s43, s41
	s_addc_u32 s40, 0, s40
	s_mul_hi_u32 s44, s9, s42
	s_mul_i32 s42, s9, s42
	s_add_u32 s41, s41, s42
	s_mul_hi_u32 s43, s9, s1
	s_addc_u32 s40, s40, s44
	s_addc_u32 s41, s43, 0
	s_mul_i32 s1, s9, s1
	s_add_u32 s1, s40, s1
	s_addc_u32 s40, 0, s41
	s_add_u32 s41, s0, s1
	s_cselect_b64 s[0:1], -1, 0
	s_cmp_lg_u64 s[0:1], 0
	s_addc_u32 s9, s9, s40
	s_mul_i32 s0, s2, s9
	s_mul_hi_u32 s1, s2, s41
	s_add_i32 s0, s1, s0
	s_mul_i32 s3, s3, s41
	s_add_i32 s0, s0, s3
	s_mul_i32 s2, s2, s41
	s_mul_hi_u32 s3, s9, s2
	s_mul_i32 s40, s9, s2
	s_mul_i32 s43, s41, s0
	s_mul_hi_u32 s2, s41, s2
	s_mul_hi_u32 s42, s41, s0
	s_add_u32 s2, s2, s43
	s_addc_u32 s42, 0, s42
	s_add_u32 s2, s2, s40
	s_mul_hi_u32 s1, s9, s0
	s_addc_u32 s2, s42, s3
	s_addc_u32 s1, s1, 0
	s_mul_i32 s0, s9, s0
	s_add_u32 s0, s2, s0
	s_addc_u32 s2, 0, s1
	s_add_u32 s40, s41, s0
	s_cselect_b64 s[0:1], -1, 0
	s_cmp_lg_u64 s[0:1], 0
	s_addc_u32 s9, s9, s2
	s_ashr_i32 s2, s57, 31
	v_readlane_b32 s0, v63, 19
	s_add_u32 s0, s0, s2
	s_mov_b32 s3, s2
	s_addc_u32 s1, s57, s2
	s_xor_b64 s[0:1], s[0:1], s[2:3]
	s_mul_i32 s42, s0, s9
	s_mul_hi_u32 s43, s0, s40
	s_mul_hi_u32 s41, s0, s9
	s_add_u32 s42, s43, s42
	s_addc_u32 s41, 0, s41
	s_mul_hi_u32 s44, s1, s40
	s_mul_i32 s40, s1, s40
	s_add_u32 s40, s42, s40
	s_mul_hi_u32 s43, s1, s9
	s_addc_u32 s40, s41, s44
	s_addc_u32 s41, s43, 0
	s_mul_i32 s9, s1, s9
	s_add_u32 s9, s40, s9
	s_addc_u32 s40, 0, s41
	s_mul_i32 s40, s36, s40
	s_mul_hi_u32 s41, s36, s9
	s_add_i32 s40, s41, s40
	s_mul_i32 s41, s37, s9
	s_add_i32 s44, s40, s41
	s_sub_i32 s42, s1, s44
	s_mul_i32 s9, s36, s9
	s_sub_u32 s0, s0, s9
	s_cselect_b64 s[40:41], -1, 0
	s_cmp_lg_u64 s[40:41], 0
	s_subb_u32 s9, s42, s37
	s_sub_u32 s45, s0, s36
	s_cselect_b64 s[42:43], -1, 0
	s_cmp_lg_u64 s[42:43], 0
	s_subb_u32 s46, s9, 0
	s_cmp_ge_u32 s46, s37
	s_cselect_b32 s56, -1, 0
	s_cmp_ge_u32 s45, s36
	s_cselect_b32 s60, -1, 0
	s_cmp_eq_u32 s46, s37
	s_cselect_b32 s56, s60, s56
	s_cmp_lg_u64 s[42:43], 0
	s_subb_u32 s9, s9, s37
	s_sub_u32 s60, s45, s36
	s_cselect_b64 s[42:43], -1, 0
	s_cmp_lg_u64 s[42:43], 0
	s_subb_u32 s9, s9, 0
	s_cmp_lg_u32 s56, 0
	s_cselect_b32 s42, s60, s45
	s_cselect_b32 s9, s9, s46
	s_cmp_lg_u64 s[40:41], 0
	s_subb_u32 s1, s1, s44
	s_cmp_ge_u32 s1, s37
	s_cselect_b32 s40, -1, 0
	s_cmp_ge_u32 s0, s36
	s_cselect_b32 s36, -1, 0
	s_cmp_eq_u32 s1, s37
	s_cselect_b32 s36, s36, s40
	s_cmp_lg_u32 s36, 0
	s_cselect_b32 s1, s9, s1
	s_cselect_b32 s0, s42, s0
	s_xor_b64 s[0:1], s[0:1], s[2:3]
	s_sub_u32 s0, s0, s2
	s_subb_u32 s1, s1, s2
	s_mov_b64 s[2:3], 0
	s_branch .LBB71_113
.LBB71_112:                             ;   in Loop: Header=BB71_32 Depth=1
	s_mov_b64 s[2:3], -1
                                        ; implicit-def: $sgpr0_sgpr1
.LBB71_113:                             ;   in Loop: Header=BB71_32 Depth=1
	s_andn2_b64 vcc, exec, s[2:3]
	v_readlane_b32 s56, v63, 36
	s_cbranch_vccnz .LBB71_115
; %bb.114:                              ;   in Loop: Header=BB71_32 Depth=1
	v_cvt_f32_u32_e32 v2, s33
	s_sub_i32 s0, 0, s33
	v_readlane_b32 s2, v63, 19
	v_rcp_iflag_f32_e32 v2, v2
	v_mul_f32_e32 v2, 0x4f7ffffe, v2
	v_cvt_u32_f32_e32 v2, v2
	v_readfirstlane_b32 s1, v2
	s_mul_i32 s0, s0, s1
	s_mul_hi_u32 s0, s1, s0
	s_add_i32 s1, s1, s0
	s_mul_hi_u32 s0, s2, s1
	s_mul_i32 s0, s0, s33
	s_sub_i32 s0, s2, s0
	s_sub_i32 s1, s0, s33
	s_cmp_ge_u32 s0, s33
	s_cselect_b32 s0, s1, s0
	s_sub_i32 s1, s0, s33
	s_cmp_ge_u32 s0, s33
	s_cselect_b32 s46, s1, s0
	s_mov_b64 s[0:1], s[46:47]
.LBB71_115:                             ;   in Loop: Header=BB71_32 Depth=1
	v_readlane_b32 s2, v63, 19
	s_sub_u32 s42, s2, s0
	s_subb_u32 s43, s57, s1
	v_cmp_gt_i64_e32 vcc, s[42:43], v[0:1]
	s_mov_b64 s[40:41], 0
	s_mov_b64 s[36:37], 0
                                        ; implicit-def: $vgpr58
	s_and_saveexec_b64 s[2:3], vcc
	s_cbranch_execz .LBB71_124
; %bb.116:                              ;   in Loop: Header=BB71_32 Depth=1
	v_mov_b32_e32 v8, v12
	v_mov_b32_e32 v11, v1
	;; [unrolled: 1-line block ×4, first 2 shown]
                                        ; implicit-def: $sgpr0_sgpr1
	s_branch .LBB71_119
.LBB71_117:                             ;   in Loop: Header=BB71_119 Depth=2
	s_or_b64 exec, exec, s[44:45]
	s_waitcnt lgkmcnt(0)
	s_barrier
	ds_read_b32 v2, v3 offset:3072
	s_mov_b64 s[44:45], -1
	s_mov_b64 s[60:61], -1
	s_waitcnt lgkmcnt(0)
	s_barrier
	v_and_b32_e32 v31, 0x7fff, v2
	v_cmp_ne_u32_e32 vcc, 0, v31
	s_cbranch_vccz .LBB71_122
.LBB71_118:                             ;   in Loop: Header=BB71_119 Depth=2
	s_and_b64 s[44:45], exec, s[44:45]
	s_or_b64 s[36:37], s[44:45], s[36:37]
	s_andn2_b64 s[0:1], s[0:1], exec
	s_and_b64 s[44:45], s[60:61], exec
	s_or_b64 s[0:1], s[0:1], s[44:45]
	s_andn2_b64 exec, exec, s[36:37]
	s_cbranch_execz .LBB71_123
.LBB71_119:                             ;   Parent Loop BB71_32 Depth=1
                                        ; =>  This Inner Loop Header: Depth=2
	v_cmp_gt_i64_e32 vcc, s[24:25], v[10:11]
	s_and_saveexec_b64 s[44:45], vcc
	s_cbranch_execz .LBB71_117
; %bb.120:                              ;   in Loop: Header=BB71_119 Depth=2
	global_load_ushort v2, v[8:9], off
	s_waitcnt vmcnt(0)
	v_cmp_lt_i16_e32 vcc, -1, v2
	v_cndmask_b32_e32 v31, v53, v54, vcc
	v_lshlrev_b32_e32 v32, 16, v2
	v_cmp_o_f32_e32 vcc, v32, v32
	v_xor_b32_sdwa v31, v31, v2 dst_sel:DWORD dst_unused:UNUSED_PAD src0_sel:DWORD src1_sel:WORD_0
	v_cndmask_b32_e32 v31, v53, v31, vcc
	v_and_b32_e32 v31, v31, v57
	v_cmp_eq_u32_e32 vcc, v31, v50
	s_and_b64 exec, exec, vcc
	s_cbranch_execz .LBB71_117
; %bb.121:                              ;   in Loop: Header=BB71_119 Depth=2
	v_perm_b32 v2, v2, s52, v56
	ds_write_b32 v3, v2 offset:3072
	s_branch .LBB71_117
.LBB71_122:                             ;   in Loop: Header=BB71_119 Depth=2
	v_add_co_u32_e32 v10, vcc, s33, v10
	v_addc_co_u32_e32 v11, vcc, 0, v11, vcc
	v_mov_b32_e32 v31, s51
	v_add_co_u32_e32 v8, vcc, s50, v8
	v_addc_co_u32_e32 v9, vcc, v9, v31, vcc
	v_cmp_le_i64_e32 vcc, s[42:43], v[10:11]
	s_mov_b64 s[60:61], 0
	s_orn2_b64 s[44:45], vcc, exec
	s_branch .LBB71_118
.LBB71_123:                             ;   in Loop: Header=BB71_32 Depth=1
	s_or_b64 exec, exec, s[36:37]
	v_lshrrev_b32_e32 v58, 16, v2
	s_and_b64 s[36:37], s[0:1], exec
.LBB71_124:                             ;   in Loop: Header=BB71_32 Depth=1
	s_or_b64 exec, exec, s[2:3]
.LBB71_125:                             ;   in Loop: Header=BB71_32 Depth=1
	s_and_b64 vcc, exec, s[40:41]
	s_cbranch_vccz .LBB71_139
; %bb.126:                              ;   in Loop: Header=BB71_32 Depth=1
	v_readlane_b32 s0, v63, 18
	s_add_u32 s9, s26, s0
	v_readlane_b32 s0, v63, 20
	s_addc_u32 s11, s27, s0
	s_mov_b32 s10, s47
	s_cmp_lg_u64 s[10:11], 0
	s_cbranch_scc0 .LBB71_157
; %bb.127:                              ;   in Loop: Header=BB71_32 Depth=1
	s_add_u32 s0, s33, 0
	s_addc_u32 s1, 0, 0
	s_xor_b64 s[12:13], s[0:1], 0
	v_cvt_f32_u32_e32 v2, s12
	v_cvt_f32_u32_e32 v8, s13
	s_sub_u32 s2, 0, s12
	s_subb_u32 s3, 0, s13
	v_mac_f32_e32 v2, 0x4f800000, v8
	v_rcp_f32_e32 v2, v2
	v_mul_f32_e32 v2, 0x5f7ffffc, v2
	v_mul_f32_e32 v8, 0x2f800000, v2
	v_trunc_f32_e32 v8, v8
	v_mac_f32_e32 v2, 0xcf800000, v8
	v_cvt_u32_f32_e32 v8, v8
	v_cvt_u32_f32_e32 v2, v2
	v_readfirstlane_b32 s10, v8
	v_readfirstlane_b32 s0, v2
	s_mul_i32 s1, s2, s10
	s_mul_hi_u32 s41, s2, s0
	s_mul_i32 s40, s3, s0
	s_add_i32 s1, s41, s1
	s_mul_i32 s42, s2, s0
	s_add_i32 s1, s1, s40
	s_mul_i32 s41, s0, s1
	s_mul_hi_u32 s43, s0, s42
	s_mul_hi_u32 s40, s0, s1
	s_add_u32 s41, s43, s41
	s_addc_u32 s40, 0, s40
	s_mul_hi_u32 s44, s10, s42
	s_mul_i32 s42, s10, s42
	s_add_u32 s41, s41, s42
	s_mul_hi_u32 s43, s10, s1
	s_addc_u32 s40, s40, s44
	s_addc_u32 s41, s43, 0
	s_mul_i32 s1, s10, s1
	s_add_u32 s1, s40, s1
	s_addc_u32 s40, 0, s41
	s_add_u32 s41, s0, s1
	s_cselect_b64 s[0:1], -1, 0
	s_cmp_lg_u64 s[0:1], 0
	s_addc_u32 s10, s10, s40
	s_mul_i32 s0, s2, s10
	s_mul_hi_u32 s1, s2, s41
	s_add_i32 s0, s1, s0
	s_mul_i32 s3, s3, s41
	s_add_i32 s0, s0, s3
	s_mul_i32 s2, s2, s41
	s_mul_hi_u32 s3, s10, s2
	s_mul_i32 s40, s10, s2
	s_mul_i32 s43, s41, s0
	s_mul_hi_u32 s2, s41, s2
	s_mul_hi_u32 s42, s41, s0
	s_add_u32 s2, s2, s43
	s_addc_u32 s42, 0, s42
	s_add_u32 s2, s2, s40
	s_mul_hi_u32 s1, s10, s0
	s_addc_u32 s2, s42, s3
	s_addc_u32 s1, s1, 0
	s_mul_i32 s0, s10, s0
	s_add_u32 s0, s2, s0
	s_addc_u32 s2, 0, s1
	s_add_u32 s40, s41, s0
	s_cselect_b64 s[0:1], -1, 0
	s_cmp_lg_u64 s[0:1], 0
	s_addc_u32 s10, s10, s2
	s_ashr_i32 s2, s11, 31
	s_add_u32 s0, s9, s2
	s_mov_b32 s3, s2
	s_addc_u32 s1, s11, s2
	s_xor_b64 s[0:1], s[0:1], s[2:3]
	s_mul_i32 s42, s0, s10
	s_mul_hi_u32 s43, s0, s40
	s_mul_hi_u32 s41, s0, s10
	s_add_u32 s42, s43, s42
	s_addc_u32 s41, 0, s41
	s_mul_hi_u32 s44, s1, s40
	s_mul_i32 s40, s1, s40
	s_add_u32 s40, s42, s40
	s_mul_hi_u32 s43, s1, s10
	s_addc_u32 s40, s41, s44
	s_addc_u32 s41, s43, 0
	s_mul_i32 s10, s1, s10
	s_add_u32 s10, s40, s10
	s_addc_u32 s40, 0, s41
	s_mul_i32 s40, s12, s40
	s_mul_hi_u32 s41, s12, s10
	s_add_i32 s40, s41, s40
	s_mul_i32 s41, s13, s10
	s_add_i32 s44, s40, s41
	s_sub_i32 s42, s1, s44
	s_mul_i32 s10, s12, s10
	s_sub_u32 s0, s0, s10
	s_cselect_b64 s[40:41], -1, 0
	s_cmp_lg_u64 s[40:41], 0
	s_subb_u32 s10, s42, s13
	s_sub_u32 s45, s0, s12
	s_cselect_b64 s[42:43], -1, 0
	s_cmp_lg_u64 s[42:43], 0
	s_subb_u32 s46, s10, 0
	s_cmp_ge_u32 s46, s13
	s_cselect_b32 s56, -1, 0
	s_cmp_ge_u32 s45, s12
	s_cselect_b32 s60, -1, 0
	s_cmp_eq_u32 s46, s13
	s_cselect_b32 s56, s60, s56
	s_cmp_lg_u64 s[42:43], 0
	s_subb_u32 s10, s10, s13
	s_sub_u32 s60, s45, s12
	s_cselect_b64 s[42:43], -1, 0
	s_cmp_lg_u64 s[42:43], 0
	s_subb_u32 s10, s10, 0
	s_cmp_lg_u32 s56, 0
	s_cselect_b32 s42, s60, s45
	s_cselect_b32 s10, s10, s46
	s_cmp_lg_u64 s[40:41], 0
	s_subb_u32 s1, s1, s44
	s_cmp_ge_u32 s1, s13
	s_cselect_b32 s40, -1, 0
	s_cmp_ge_u32 s0, s12
	s_cselect_b32 s12, -1, 0
	s_cmp_eq_u32 s1, s13
	s_cselect_b32 s12, s12, s40
	s_cmp_lg_u32 s12, 0
	s_cselect_b32 s1, s10, s1
	s_cselect_b32 s0, s42, s0
	s_xor_b64 s[0:1], s[0:1], s[2:3]
	s_sub_u32 s0, s0, s2
	v_readlane_b32 s56, v63, 36
	s_subb_u32 s1, s1, s2
	s_cbranch_execnz .LBB71_129
.LBB71_128:                             ;   in Loop: Header=BB71_32 Depth=1
	v_cvt_f32_u32_e32 v2, s33
	s_sub_i32 s0, 0, s33
	v_rcp_iflag_f32_e32 v2, v2
	v_mul_f32_e32 v2, 0x4f7ffffe, v2
	v_cvt_u32_f32_e32 v2, v2
	v_readfirstlane_b32 s1, v2
	s_mul_i32 s0, s0, s1
	s_mul_hi_u32 s0, s1, s0
	s_add_i32 s1, s1, s0
	s_mul_hi_u32 s0, s9, s1
	s_mul_i32 s0, s0, s33
	s_sub_i32 s0, s9, s0
	s_sub_i32 s1, s0, s33
	s_cmp_ge_u32 s0, s33
	s_cselect_b32 s0, s1, s0
	s_sub_i32 s1, s0, s33
	s_cmp_ge_u32 s0, s33
	s_cselect_b32 s46, s1, s0
	s_mov_b64 s[0:1], s[46:47]
.LBB71_129:                             ;   in Loop: Header=BB71_32 Depth=1
	s_sub_u32 s10, s9, s0
	s_subb_u32 s11, s11, s1
	v_cmp_gt_i64_e32 vcc, s[10:11], v[0:1]
                                        ; implicit-def: $vgpr58
	s_and_saveexec_b64 s[2:3], vcc
	s_cbranch_execz .LBB71_138
; %bb.130:                              ;   in Loop: Header=BB71_32 Depth=1
	v_mov_b32_e32 v9, v1
	s_mov_b64 s[0:1], 0
	v_mov_b32_e32 v2, v51
	v_mov_b32_e32 v8, v0
                                        ; implicit-def: $sgpr12_sgpr13
	s_branch .LBB71_133
.LBB71_131:                             ;   in Loop: Header=BB71_133 Depth=2
	s_or_b64 exec, exec, s[40:41]
	s_waitcnt lgkmcnt(0)
	s_barrier
	ds_read_b32 v10, v3 offset:3072
	s_mov_b64 s[40:41], -1
	s_mov_b64 s[42:43], -1
	s_waitcnt lgkmcnt(0)
	s_barrier
	v_and_b32_e32 v11, 0x7fff, v10
	v_cmp_ne_u32_e32 vcc, 0, v11
	s_cbranch_vccz .LBB71_136
.LBB71_132:                             ;   in Loop: Header=BB71_133 Depth=2
	s_and_b64 s[40:41], exec, s[40:41]
	s_or_b64 s[0:1], s[40:41], s[0:1]
	s_andn2_b64 s[12:13], s[12:13], exec
	s_and_b64 s[40:41], s[42:43], exec
	s_or_b64 s[12:13], s[12:13], s[40:41]
	s_andn2_b64 exec, exec, s[0:1]
	s_cbranch_execz .LBB71_137
.LBB71_133:                             ;   Parent Loop BB71_32 Depth=1
                                        ; =>  This Inner Loop Header: Depth=2
	v_cmp_gt_u64_e32 vcc, s[26:27], v[8:9]
	s_and_saveexec_b64 s[40:41], vcc
	s_cbranch_execz .LBB71_131
; %bb.134:                              ;   in Loop: Header=BB71_133 Depth=2
	ds_read_u16 v10, v2
	s_waitcnt lgkmcnt(0)
	v_cmp_lt_i16_e32 vcc, -1, v10
	v_cndmask_b32_e32 v11, v53, v54, vcc
	v_lshlrev_b32_e32 v31, 16, v10
	v_cmp_o_f32_e32 vcc, v31, v31
	v_xor_b32_sdwa v11, v11, v10 dst_sel:DWORD dst_unused:UNUSED_PAD src0_sel:DWORD src1_sel:WORD_0
	v_cndmask_b32_e32 v11, v53, v11, vcc
	v_and_b32_e32 v11, v11, v57
	v_cmp_eq_u32_e32 vcc, v11, v50
	s_and_b64 exec, exec, vcc
	s_cbranch_execz .LBB71_131
; %bb.135:                              ;   in Loop: Header=BB71_133 Depth=2
	v_perm_b32 v10, v10, s52, v56
	ds_write_b32 v3, v10 offset:3072
	s_branch .LBB71_131
.LBB71_136:                             ;   in Loop: Header=BB71_133 Depth=2
	v_add_co_u32_e32 v8, vcc, s33, v8
	v_addc_co_u32_e32 v9, vcc, 0, v9, vcc
	v_cmp_le_i64_e32 vcc, s[10:11], v[8:9]
	v_add_u32_e32 v2, s16, v2
	s_mov_b64 s[42:43], 0
	s_orn2_b64 s[40:41], vcc, exec
	s_branch .LBB71_132
.LBB71_137:                             ;   in Loop: Header=BB71_32 Depth=1
	s_or_b64 exec, exec, s[0:1]
	s_andn2_b64 s[0:1], s[36:37], exec
	s_and_b64 s[10:11], s[12:13], exec
	v_lshrrev_b32_e32 v58, 16, v10
	s_or_b64 s[36:37], s[0:1], s[10:11]
.LBB71_138:                             ;   in Loop: Header=BB71_32 Depth=1
	s_or_b64 exec, exec, s[2:3]
	s_mov_b64 s[10:11], 0
	s_mov_b64 s[12:13], -1
.LBB71_139:                             ;   in Loop: Header=BB71_32 Depth=1
	s_orn2_b64 s[0:1], s[36:37], exec
.LBB71_140:                             ;   in Loop: Header=BB71_32 Depth=1
	s_or_b64 exec, exec, s[18:19]
	s_andn2_b64 s[2:3], s[82:83], exec
	s_and_b64 s[12:13], s[12:13], exec
	s_or_b64 s[82:83], s[2:3], s[12:13]
	s_andn2_b64 s[2:3], s[80:81], exec
	s_and_b64 s[10:11], s[10:11], exec
	s_andn2_b64 s[78:79], s[78:79], exec
	s_or_b64 s[80:81], s[2:3], s[10:11]
                                        ; implicit-def: $vgpr8_vgpr9
	s_and_saveexec_b64 s[18:19], s[0:1]
	s_cbranch_execz .LBB71_31
; %bb.141:                              ;   in Loop: Header=BB71_32 Depth=1
	v_mov_b32_e32 v8, 1
	s_xor_b64 s[0:1], s[20:21], -1
	v_mov_b32_e32 v2, 1
	v_mov_b32_e32 v9, 0
	s_mov_b64 s[10:11], 0
	s_and_saveexec_b64 s[2:3], s[0:1]
	s_cbranch_execz .LBB71_150
; %bb.142:                              ;   in Loop: Header=BB71_32 Depth=1
	v_cmp_le_i64_e32 vcc, v[29:30], v[4:5]
	s_and_saveexec_b64 s[0:1], vcc
	s_xor_b64 s[0:1], exec, s[0:1]
	s_cbranch_execz .LBB71_147
; %bb.143:                              ;   in Loop: Header=BB71_32 Depth=1
	ds_read_b64 v[8:9], v3 offset:5120
	v_and_b32_e32 v50, s8, v50
	v_or_b32_e32 v57, s92, v57
	s_waitcnt lgkmcnt(0)
	v_cmp_ne_u64_e32 vcc, 0, v[8:9]
	s_cbranch_vccnz .LBB71_147
; %bb.144:                              ;   in Loop: Header=BB71_32 Depth=1
	s_and_saveexec_b64 s[6:7], s[64:65]
; %bb.145:                              ;   in Loop: Header=BB71_32 Depth=1
	ds_write_b64 v3, v[4:5] offset:5128
; %bb.146:                              ;   in Loop: Header=BB71_32 Depth=1
	s_or_b64 exec, exec, s[6:7]
	s_waitcnt lgkmcnt(0)
	s_barrier
.LBB71_147:                             ;   in Loop: Header=BB71_32 Depth=1
	s_or_saveexec_b64 s[0:1], s[0:1]
	s_mov_b64 s[6:7], 0
	v_mov_b32_e32 v2, 8
	s_xor_b64 exec, exec, s[0:1]
; %bb.148:                              ;   in Loop: Header=BB71_32 Depth=1
	v_sub_co_u32_e32 v29, vcc, v29, v4
	v_subb_co_u32_e32 v30, vcc, v30, v5, vcc
	v_mov_b32_e32 v2, 0
	s_mov_b64 s[6:7], exec
; %bb.149:                              ;   in Loop: Header=BB71_32 Depth=1
	s_or_b64 exec, exec, s[0:1]
	v_mov_b32_e32 v8, v29
	s_and_b64 s[10:11], s[6:7], exec
	v_mov_b32_e32 v9, v30
.LBB71_150:                             ;   in Loop: Header=BB71_32 Depth=1
	s_or_b64 exec, exec, s[2:3]
	s_mov_b64 s[20:21], -1
	s_mov_b64 s[0:1], -1
                                        ; implicit-def: $sgpr6_sgpr7
                                        ; implicit-def: $sgpr86_sgpr87
	s_and_saveexec_b64 s[2:3], s[10:11]
	s_xor_b64 s[26:27], exec, s[2:3]
	s_cbranch_execz .LBB71_296
; %bb.151:                              ;   in Loop: Header=BB71_32 Depth=1
	v_cmp_eq_u64_e32 vcc, 1, v[6:7]
	v_cmp_eq_u64_e64 s[6:7], 1, v[8:9]
                                        ; implicit-def: $sgpr86_sgpr87
	s_and_b64 s[40:41], vcc, s[6:7]
                                        ; implicit-def: $sgpr6_sgpr7
	s_and_saveexec_b64 s[42:43], s[40:41]
	s_cbranch_execz .LBB71_186
; %bb.152:                              ;   in Loop: Header=BB71_32 Depth=1
	ds_read_b64 v[4:5], v3 offset:5120
	s_waitcnt lgkmcnt(0)
	s_barrier
	v_readfirstlane_b32 s36, v4
	v_readfirstlane_b32 s37, v5
	s_mov_b64 s[0:1], exec
	v_readlane_b32 s2, v63, 10
	v_readlane_b32 s3, v63, 11
	s_and_b64 s[2:3], s[0:1], s[2:3]
	s_mov_b64 exec, s[2:3]
; %bb.153:                              ;   in Loop: Header=BB71_32 Depth=1
	ds_write_b16 v52, v3
; %bb.154:                              ;   in Loop: Header=BB71_32 Depth=1
	s_or_b64 exec, exec, s[0:1]
	v_cmp_gt_i64_e64 s[0:1], s[36:37], 0
	v_and_b32_e32 v4, s8, v50
	v_lshl_or_b32 v50, 1, s53, v4
	v_or_b32_e32 v57, s92, v57
	s_mov_b64 s[6:7], -1
	s_mov_b64 s[86:87], 0
	s_and_b64 vcc, exec, s[0:1]
	s_mov_b64 s[10:11], 0
	s_mov_b64 s[12:13], -1
	s_waitcnt lgkmcnt(0)
	s_barrier
                                        ; implicit-def: $vgpr58
	s_cbranch_vccnz .LBB71_171
; %bb.155:                              ;   in Loop: Header=BB71_32 Depth=1
	s_mov_b32 s56, s47
	s_cmp_lg_u64 s[56:57], 0
	s_cbranch_scc0 .LBB71_158
; %bb.156:                              ;   in Loop: Header=BB71_32 Depth=1
	s_add_u32 s0, s33, 0
	s_addc_u32 s1, 0, 0
	s_xor_b64 s[10:11], s[0:1], 0
	v_cvt_f32_u32_e32 v4, s10
	v_cvt_f32_u32_e32 v5, s11
	s_sub_u32 s2, 0, s10
	s_subb_u32 s3, 0, s11
	v_mac_f32_e32 v4, 0x4f800000, v5
	v_rcp_f32_e32 v4, v4
	v_mul_f32_e32 v4, 0x5f7ffffc, v4
	v_mul_f32_e32 v5, 0x2f800000, v4
	v_trunc_f32_e32 v5, v5
	v_mac_f32_e32 v4, 0xcf800000, v5
	v_cvt_u32_f32_e32 v5, v5
	v_cvt_u32_f32_e32 v4, v4
	v_readfirstlane_b32 s9, v5
	v_readfirstlane_b32 s0, v4
	s_mul_i32 s1, s2, s9
	s_mul_hi_u32 s13, s2, s0
	s_mul_i32 s12, s3, s0
	s_add_i32 s1, s13, s1
	s_mul_i32 s44, s2, s0
	s_add_i32 s1, s1, s12
	s_mul_i32 s13, s0, s1
	s_mul_hi_u32 s45, s0, s44
	s_mul_hi_u32 s12, s0, s1
	s_add_u32 s13, s45, s13
	s_addc_u32 s12, 0, s12
	s_mul_hi_u32 s46, s9, s44
	s_mul_i32 s44, s9, s44
	s_add_u32 s13, s13, s44
	s_mul_hi_u32 s45, s9, s1
	s_addc_u32 s12, s12, s46
	s_addc_u32 s13, s45, 0
	s_mul_i32 s1, s9, s1
	s_add_u32 s1, s12, s1
	s_addc_u32 s12, 0, s13
	s_add_u32 s13, s0, s1
	s_cselect_b64 s[0:1], -1, 0
	s_cmp_lg_u64 s[0:1], 0
	s_addc_u32 s9, s9, s12
	s_mul_i32 s0, s2, s9
	s_mul_hi_u32 s1, s2, s13
	s_add_i32 s0, s1, s0
	s_mul_i32 s3, s3, s13
	s_add_i32 s0, s0, s3
	s_mul_i32 s2, s2, s13
	s_mul_hi_u32 s3, s9, s2
	s_mul_i32 s12, s9, s2
	s_mul_i32 s45, s13, s0
	s_mul_hi_u32 s2, s13, s2
	s_mul_hi_u32 s44, s13, s0
	s_add_u32 s2, s2, s45
	s_addc_u32 s44, 0, s44
	s_add_u32 s2, s2, s12
	s_mul_hi_u32 s1, s9, s0
	s_addc_u32 s2, s44, s3
	s_addc_u32 s1, s1, 0
	s_mul_i32 s0, s9, s0
	s_add_u32 s0, s2, s0
	s_addc_u32 s2, 0, s1
	s_add_u32 s12, s13, s0
	s_cselect_b64 s[0:1], -1, 0
	s_cmp_lg_u64 s[0:1], 0
	s_addc_u32 s9, s9, s2
	s_ashr_i32 s2, s57, 31
	v_readlane_b32 s0, v63, 19
	s_add_u32 s0, s0, s2
	s_mov_b32 s3, s2
	s_addc_u32 s1, s57, s2
	s_xor_b64 s[0:1], s[0:1], s[2:3]
	s_mul_i32 s44, s0, s9
	s_mul_hi_u32 s45, s0, s12
	s_mul_hi_u32 s13, s0, s9
	s_add_u32 s44, s45, s44
	s_addc_u32 s13, 0, s13
	s_mul_hi_u32 s46, s1, s12
	s_mul_i32 s12, s1, s12
	s_add_u32 s12, s44, s12
	s_mul_hi_u32 s45, s1, s9
	s_addc_u32 s12, s13, s46
	s_addc_u32 s13, s45, 0
	s_mul_i32 s9, s1, s9
	s_add_u32 s9, s12, s9
	s_addc_u32 s12, 0, s13
	s_mul_i32 s12, s10, s12
	s_mul_hi_u32 s13, s10, s9
	s_add_i32 s12, s13, s12
	s_mul_i32 s13, s11, s9
	s_add_i32 s46, s12, s13
	s_sub_i32 s44, s1, s46
	s_mul_i32 s9, s10, s9
	s_sub_u32 s0, s0, s9
	s_cselect_b64 s[12:13], -1, 0
	s_cmp_lg_u64 s[12:13], 0
	s_subb_u32 s9, s44, s11
	s_sub_u32 s56, s0, s10
	s_cselect_b64 s[44:45], -1, 0
	s_cmp_lg_u64 s[44:45], 0
	s_subb_u32 s60, s9, 0
	s_cmp_ge_u32 s60, s11
	s_cselect_b32 s61, -1, 0
	s_cmp_ge_u32 s56, s10
	s_cselect_b32 s62, -1, 0
	s_cmp_eq_u32 s60, s11
	s_cselect_b32 s61, s62, s61
	s_cmp_lg_u64 s[44:45], 0
	s_subb_u32 s9, s9, s11
	s_sub_u32 s62, s56, s10
	s_cselect_b64 s[44:45], -1, 0
	s_cmp_lg_u64 s[44:45], 0
	s_subb_u32 s9, s9, 0
	s_cmp_lg_u32 s61, 0
	s_cselect_b32 s44, s62, s56
	s_cselect_b32 s9, s9, s60
	s_cmp_lg_u64 s[12:13], 0
	s_subb_u32 s1, s1, s46
	s_cmp_ge_u32 s1, s11
	s_cselect_b32 s12, -1, 0
	s_cmp_ge_u32 s0, s10
	s_cselect_b32 s10, -1, 0
	s_cmp_eq_u32 s1, s11
	s_cselect_b32 s10, s10, s12
	s_cmp_lg_u32 s10, 0
	s_cselect_b32 s1, s9, s1
	s_cselect_b32 s0, s44, s0
	s_xor_b64 s[0:1], s[0:1], s[2:3]
	s_sub_u32 s0, s0, s2
	s_subb_u32 s1, s1, s2
	s_mov_b64 s[2:3], 0
	s_branch .LBB71_159
.LBB71_157:                             ;   in Loop: Header=BB71_32 Depth=1
                                        ; implicit-def: $sgpr0_sgpr1
	s_branch .LBB71_128
.LBB71_158:                             ;   in Loop: Header=BB71_32 Depth=1
	s_mov_b64 s[2:3], -1
                                        ; implicit-def: $sgpr0_sgpr1
.LBB71_159:                             ;   in Loop: Header=BB71_32 Depth=1
	s_andn2_b64 vcc, exec, s[2:3]
	v_readlane_b32 s56, v63, 36
	s_cbranch_vccnz .LBB71_161
; %bb.160:                              ;   in Loop: Header=BB71_32 Depth=1
	v_cvt_f32_u32_e32 v4, s33
	s_sub_i32 s0, 0, s33
	v_readlane_b32 s2, v63, 19
	v_rcp_iflag_f32_e32 v4, v4
	v_mul_f32_e32 v4, 0x4f7ffffe, v4
	v_cvt_u32_f32_e32 v4, v4
	v_readfirstlane_b32 s1, v4
	s_mul_i32 s0, s0, s1
	s_mul_hi_u32 s0, s1, s0
	s_add_i32 s1, s1, s0
	s_mul_hi_u32 s0, s2, s1
	s_mul_i32 s0, s0, s33
	s_sub_i32 s0, s2, s0
	s_sub_i32 s1, s0, s33
	s_cmp_ge_u32 s0, s33
	s_cselect_b32 s0, s1, s0
	s_sub_i32 s1, s0, s33
	s_cmp_ge_u32 s0, s33
	s_cselect_b32 s46, s1, s0
	s_mov_b64 s[0:1], s[46:47]
.LBB71_161:                             ;   in Loop: Header=BB71_32 Depth=1
	v_readlane_b32 s2, v63, 19
	s_sub_u32 s2, s2, s0
	s_subb_u32 s3, s57, s1
	v_cmp_gt_i64_e32 vcc, s[2:3], v[0:1]
	s_mov_b64 s[12:13], 0
	s_mov_b64 s[10:11], 0
                                        ; implicit-def: $vgpr58
	s_and_saveexec_b64 s[44:45], vcc
	s_cbranch_execz .LBB71_170
; %bb.162:                              ;   in Loop: Header=BB71_32 Depth=1
	v_mov_b32_e32 v4, v12
	v_mov_b32_e32 v11, v1
	;; [unrolled: 1-line block ×4, first 2 shown]
                                        ; implicit-def: $sgpr60_sgpr61
	s_branch .LBB71_165
.LBB71_163:                             ;   in Loop: Header=BB71_165 Depth=2
	s_or_b64 exec, exec, s[0:1]
	s_waitcnt lgkmcnt(0)
	s_barrier
	ds_read_b32 v29, v3 offset:3072
	s_mov_b64 s[0:1], -1
	s_mov_b64 s[62:63], -1
	s_waitcnt lgkmcnt(0)
	s_barrier
	v_and_b32_e32 v30, 0x7fff, v29
	v_cmp_ne_u32_e32 vcc, 0, v30
	s_cbranch_vccz .LBB71_168
.LBB71_164:                             ;   in Loop: Header=BB71_165 Depth=2
	s_and_b64 s[0:1], exec, s[0:1]
	s_or_b64 s[10:11], s[0:1], s[10:11]
	s_andn2_b64 s[0:1], s[60:61], exec
	s_and_b64 s[60:61], s[62:63], exec
	s_or_b64 s[60:61], s[0:1], s[60:61]
	s_andn2_b64 exec, exec, s[10:11]
	s_cbranch_execz .LBB71_169
.LBB71_165:                             ;   Parent Loop BB71_32 Depth=1
                                        ; =>  This Inner Loop Header: Depth=2
	v_cmp_gt_i64_e32 vcc, s[24:25], v[10:11]
	s_and_saveexec_b64 s[0:1], vcc
	s_cbranch_execz .LBB71_163
; %bb.166:                              ;   in Loop: Header=BB71_165 Depth=2
	global_load_ushort v29, v[4:5], off
	s_waitcnt vmcnt(0)
	v_cmp_lt_i16_e32 vcc, -1, v29
	v_cndmask_b32_e32 v30, v53, v54, vcc
	v_lshlrev_b32_e32 v31, 16, v29
	v_cmp_o_f32_e32 vcc, v31, v31
	v_xor_b32_sdwa v30, v30, v29 dst_sel:DWORD dst_unused:UNUSED_PAD src0_sel:DWORD src1_sel:WORD_0
	v_cndmask_b32_e32 v30, v53, v30, vcc
	v_and_b32_e32 v30, v30, v57
	v_cmp_eq_u32_e32 vcc, v30, v50
	s_and_b64 exec, exec, vcc
	s_cbranch_execz .LBB71_163
; %bb.167:                              ;   in Loop: Header=BB71_165 Depth=2
	v_perm_b32 v29, v29, s52, v56
	ds_write_b32 v3, v29 offset:3072
	s_branch .LBB71_163
.LBB71_168:                             ;   in Loop: Header=BB71_165 Depth=2
	v_add_co_u32_e32 v10, vcc, s33, v10
	v_addc_co_u32_e32 v11, vcc, 0, v11, vcc
	v_mov_b32_e32 v30, s51
	v_add_co_u32_e32 v4, vcc, s50, v4
	v_addc_co_u32_e32 v5, vcc, v5, v30, vcc
	v_cmp_le_i64_e32 vcc, s[2:3], v[10:11]
	s_mov_b64 s[62:63], 0
	s_orn2_b64 s[0:1], vcc, exec
	s_branch .LBB71_164
.LBB71_169:                             ;   in Loop: Header=BB71_32 Depth=1
	s_or_b64 exec, exec, s[10:11]
	v_lshrrev_b32_e32 v58, 16, v29
	s_and_b64 s[10:11], s[60:61], exec
.LBB71_170:                             ;   in Loop: Header=BB71_32 Depth=1
	s_or_b64 exec, exec, s[44:45]
.LBB71_171:                             ;   in Loop: Header=BB71_32 Depth=1
	s_and_b64 vcc, exec, s[12:13]
	s_cbranch_vccz .LBB71_185
; %bb.172:                              ;   in Loop: Header=BB71_32 Depth=1
	v_readlane_b32 s0, v63, 18
	s_add_u32 s9, s36, s0
	v_readlane_b32 s0, v63, 20
	s_addc_u32 s7, s37, s0
	s_mov_b32 s6, s47
	s_cmp_lg_u64 s[6:7], 0
	s_cbranch_scc0 .LBB71_204
; %bb.173:                              ;   in Loop: Header=BB71_32 Depth=1
	s_add_u32 s0, s33, 0
	s_addc_u32 s1, 0, 0
	s_xor_b64 s[12:13], s[0:1], 0
	v_cvt_f32_u32_e32 v4, s12
	v_cvt_f32_u32_e32 v5, s13
	s_sub_u32 s2, 0, s12
	s_subb_u32 s3, 0, s13
	v_mac_f32_e32 v4, 0x4f800000, v5
	v_rcp_f32_e32 v4, v4
	v_mul_f32_e32 v4, 0x5f7ffffc, v4
	v_mul_f32_e32 v5, 0x2f800000, v4
	v_trunc_f32_e32 v5, v5
	v_mac_f32_e32 v4, 0xcf800000, v5
	v_cvt_u32_f32_e32 v5, v5
	v_cvt_u32_f32_e32 v4, v4
	v_readfirstlane_b32 s6, v5
	v_readfirstlane_b32 s0, v4
	s_mul_i32 s1, s2, s6
	s_mul_hi_u32 s45, s2, s0
	s_mul_i32 s44, s3, s0
	s_add_i32 s1, s45, s1
	s_mul_i32 s46, s2, s0
	s_add_i32 s1, s1, s44
	s_mul_i32 s45, s0, s1
	s_mul_hi_u32 s56, s0, s46
	s_mul_hi_u32 s44, s0, s1
	s_add_u32 s45, s56, s45
	s_addc_u32 s44, 0, s44
	s_mul_hi_u32 s60, s6, s46
	s_mul_i32 s46, s6, s46
	s_add_u32 s45, s45, s46
	s_mul_hi_u32 s56, s6, s1
	s_addc_u32 s44, s44, s60
	s_addc_u32 s45, s56, 0
	s_mul_i32 s1, s6, s1
	s_add_u32 s1, s44, s1
	s_addc_u32 s44, 0, s45
	s_add_u32 s45, s0, s1
	s_cselect_b64 s[0:1], -1, 0
	s_cmp_lg_u64 s[0:1], 0
	s_addc_u32 s6, s6, s44
	s_mul_i32 s0, s2, s6
	s_mul_hi_u32 s1, s2, s45
	s_add_i32 s0, s1, s0
	s_mul_i32 s3, s3, s45
	s_add_i32 s0, s0, s3
	s_mul_i32 s2, s2, s45
	s_mul_hi_u32 s3, s6, s2
	s_mul_i32 s44, s6, s2
	s_mul_i32 s56, s45, s0
	s_mul_hi_u32 s2, s45, s2
	s_mul_hi_u32 s46, s45, s0
	s_add_u32 s2, s2, s56
	s_addc_u32 s46, 0, s46
	s_add_u32 s2, s2, s44
	s_mul_hi_u32 s1, s6, s0
	s_addc_u32 s2, s46, s3
	s_addc_u32 s1, s1, 0
	s_mul_i32 s0, s6, s0
	s_add_u32 s0, s2, s0
	s_addc_u32 s2, 0, s1
	s_add_u32 s44, s45, s0
	s_cselect_b64 s[0:1], -1, 0
	s_cmp_lg_u64 s[0:1], 0
	s_addc_u32 s6, s6, s2
	s_ashr_i32 s2, s7, 31
	s_add_u32 s0, s9, s2
	s_mov_b32 s3, s2
	s_addc_u32 s1, s7, s2
	s_xor_b64 s[0:1], s[0:1], s[2:3]
	s_mul_i32 s46, s0, s6
	s_mul_hi_u32 s56, s0, s44
	s_mul_hi_u32 s45, s0, s6
	s_add_u32 s46, s56, s46
	s_addc_u32 s45, 0, s45
	s_mul_hi_u32 s60, s1, s44
	s_mul_i32 s44, s1, s44
	s_add_u32 s44, s46, s44
	s_mul_hi_u32 s56, s1, s6
	s_addc_u32 s44, s45, s60
	s_addc_u32 s45, s56, 0
	s_mul_i32 s6, s1, s6
	s_add_u32 s6, s44, s6
	s_addc_u32 s44, 0, s45
	s_mul_i32 s44, s12, s44
	s_mul_hi_u32 s45, s12, s6
	s_add_i32 s44, s45, s44
	s_mul_i32 s45, s13, s6
	s_add_i32 s46, s44, s45
	s_sub_i32 s56, s1, s46
	s_mul_i32 s6, s12, s6
	s_sub_u32 s0, s0, s6
	s_cselect_b64 s[44:45], -1, 0
	s_cmp_lg_u64 s[44:45], 0
	s_subb_u32 s6, s56, s13
	s_sub_u32 s56, s0, s12
	s_cselect_b64 s[60:61], -1, 0
	s_cmp_lg_u64 s[60:61], 0
	s_subb_u32 s62, s6, 0
	s_cmp_ge_u32 s62, s13
	s_cselect_b32 s63, -1, 0
	s_cmp_ge_u32 s56, s12
	s_cselect_b32 s64, -1, 0
	s_cmp_eq_u32 s62, s13
	s_cselect_b32 s63, s64, s63
	s_cmp_lg_u64 s[60:61], 0
	s_subb_u32 s6, s6, s13
	s_sub_u32 s64, s56, s12
	s_cselect_b64 s[60:61], -1, 0
	s_cmp_lg_u64 s[60:61], 0
	s_subb_u32 s6, s6, 0
	s_cmp_lg_u32 s63, 0
	s_cselect_b32 s56, s64, s56
	s_cselect_b32 s6, s6, s62
	s_cmp_lg_u64 s[44:45], 0
	s_subb_u32 s1, s1, s46
	s_cmp_ge_u32 s1, s13
	s_cselect_b32 s44, -1, 0
	s_cmp_ge_u32 s0, s12
	s_cselect_b32 s12, -1, 0
	s_cmp_eq_u32 s1, s13
	s_cselect_b32 s12, s12, s44
	s_cmp_lg_u32 s12, 0
	s_cselect_b32 s1, s6, s1
	s_cselect_b32 s0, s56, s0
	s_xor_b64 s[0:1], s[0:1], s[2:3]
	v_readlane_b32 s64, v63, 34
	s_sub_u32 s0, s0, s2
	v_readlane_b32 s65, v63, 35
	v_readlane_b32 s56, v63, 36
	s_subb_u32 s1, s1, s2
	s_cbranch_execnz .LBB71_175
.LBB71_174:                             ;   in Loop: Header=BB71_32 Depth=1
	v_cvt_f32_u32_e32 v4, s33
	s_sub_i32 s0, 0, s33
	v_rcp_iflag_f32_e32 v4, v4
	v_mul_f32_e32 v4, 0x4f7ffffe, v4
	v_cvt_u32_f32_e32 v4, v4
	v_readfirstlane_b32 s1, v4
	s_mul_i32 s0, s0, s1
	s_mul_hi_u32 s0, s1, s0
	s_add_i32 s1, s1, s0
	s_mul_hi_u32 s0, s9, s1
	s_mul_i32 s0, s0, s33
	s_sub_i32 s0, s9, s0
	s_sub_i32 s1, s0, s33
	s_cmp_ge_u32 s0, s33
	s_cselect_b32 s0, s1, s0
	s_sub_i32 s1, s0, s33
	s_cmp_ge_u32 s0, s33
	s_cselect_b32 s46, s1, s0
	s_mov_b64 s[0:1], s[46:47]
.LBB71_175:                             ;   in Loop: Header=BB71_32 Depth=1
	s_sub_u32 s6, s9, s0
	s_subb_u32 s7, s7, s1
	v_cmp_gt_i64_e32 vcc, s[6:7], v[0:1]
                                        ; implicit-def: $vgpr58
	s_and_saveexec_b64 s[2:3], vcc
	s_cbranch_execz .LBB71_184
; %bb.176:                              ;   in Loop: Header=BB71_32 Depth=1
	v_mov_b32_e32 v5, v1
	s_mov_b64 s[0:1], 0
	v_mov_b32_e32 v10, v51
	v_mov_b32_e32 v4, v0
                                        ; implicit-def: $sgpr12_sgpr13
	s_branch .LBB71_179
.LBB71_177:                             ;   in Loop: Header=BB71_179 Depth=2
	s_or_b64 exec, exec, s[44:45]
	s_waitcnt lgkmcnt(0)
	s_barrier
	ds_read_b32 v11, v3 offset:3072
	s_mov_b64 s[44:45], -1
	s_mov_b64 s[60:61], -1
	s_waitcnt lgkmcnt(0)
	s_barrier
	v_and_b32_e32 v29, 0x7fff, v11
	v_cmp_eq_u32_e32 vcc, 0, v29
	s_cbranch_vccnz .LBB71_182
.LBB71_178:                             ;   in Loop: Header=BB71_179 Depth=2
	s_and_b64 s[44:45], exec, s[44:45]
	s_or_b64 s[0:1], s[44:45], s[0:1]
	s_andn2_b64 s[12:13], s[12:13], exec
	s_and_b64 s[44:45], s[60:61], exec
	s_or_b64 s[12:13], s[12:13], s[44:45]
	s_andn2_b64 exec, exec, s[0:1]
	s_cbranch_execz .LBB71_183
.LBB71_179:                             ;   Parent Loop BB71_32 Depth=1
                                        ; =>  This Inner Loop Header: Depth=2
	v_cmp_gt_u64_e32 vcc, s[36:37], v[4:5]
	s_and_saveexec_b64 s[44:45], vcc
	s_cbranch_execz .LBB71_177
; %bb.180:                              ;   in Loop: Header=BB71_179 Depth=2
	ds_read_u16 v11, v10
	s_waitcnt lgkmcnt(0)
	v_cmp_lt_i16_e32 vcc, -1, v11
	v_cndmask_b32_e32 v29, v53, v54, vcc
	v_lshlrev_b32_e32 v30, 16, v11
	v_cmp_o_f32_e32 vcc, v30, v30
	v_xor_b32_sdwa v29, v29, v11 dst_sel:DWORD dst_unused:UNUSED_PAD src0_sel:DWORD src1_sel:WORD_0
	v_cndmask_b32_e32 v29, v53, v29, vcc
	v_and_b32_e32 v29, v29, v57
	v_cmp_eq_u32_e32 vcc, v29, v50
	s_and_b64 exec, exec, vcc
	s_cbranch_execz .LBB71_177
; %bb.181:                              ;   in Loop: Header=BB71_179 Depth=2
	v_perm_b32 v11, v11, s52, v56
	ds_write_b32 v3, v11 offset:3072
	s_branch .LBB71_177
.LBB71_182:                             ;   in Loop: Header=BB71_179 Depth=2
	v_add_co_u32_e32 v4, vcc, s33, v4
	v_addc_co_u32_e32 v5, vcc, 0, v5, vcc
	v_cmp_le_i64_e32 vcc, s[6:7], v[4:5]
	v_add_u32_e32 v10, s16, v10
	s_mov_b64 s[60:61], 0
	s_orn2_b64 s[44:45], vcc, exec
	s_branch .LBB71_178
.LBB71_183:                             ;   in Loop: Header=BB71_32 Depth=1
	s_or_b64 exec, exec, s[0:1]
	s_andn2_b64 s[0:1], s[10:11], exec
	s_and_b64 s[6:7], s[12:13], exec
	v_lshrrev_b32_e32 v58, 16, v11
	s_or_b64 s[10:11], s[0:1], s[6:7]
.LBB71_184:                             ;   in Loop: Header=BB71_32 Depth=1
	s_or_b64 exec, exec, s[2:3]
	s_mov_b64 s[6:7], 0
	s_mov_b64 s[86:87], -1
.LBB71_185:                             ;   in Loop: Header=BB71_32 Depth=1
	s_orn2_b64 s[0:1], s[10:11], exec
.LBB71_186:                             ;   in Loop: Header=BB71_32 Depth=1
	s_or_b64 exec, exec, s[42:43]
	s_mov_b64 s[2:3], 0
	s_and_saveexec_b64 s[88:89], s[0:1]
	s_cbranch_execz .LBB71_295
; %bb.187:                              ;   in Loop: Header=BB71_32 Depth=1
	v_mov_b32_e32 v4, 1
	s_xor_b64 s[0:1], s[40:41], -1
	v_mov_b32_e32 v2, 1
	v_mov_b32_e32 v5, 0
	s_and_saveexec_b64 s[10:11], s[0:1]
	s_cbranch_execz .LBB71_197
; %bb.188:                              ;   in Loop: Header=BB71_32 Depth=1
	v_cmp_le_i64_e32 vcc, v[8:9], v[6:7]
	s_and_saveexec_b64 s[0:1], vcc
	s_xor_b64 s[0:1], exec, s[0:1]
	s_cbranch_execz .LBB71_194
; %bb.189:                              ;   in Loop: Header=BB71_32 Depth=1
	ds_read_b64 v[4:5], v3 offset:5120
	v_and_b32_e32 v2, s8, v50
	v_lshl_or_b32 v50, 1, s53, v2
	v_or_b32_e32 v57, s92, v57
	s_waitcnt lgkmcnt(0)
	v_cmp_ne_u64_e32 vcc, 0, v[4:5]
	s_cbranch_vccnz .LBB71_193
; %bb.190:                              ;   in Loop: Header=BB71_32 Depth=1
	s_and_saveexec_b64 s[2:3], s[64:65]
; %bb.191:                              ;   in Loop: Header=BB71_32 Depth=1
	ds_write_b64 v3, v[6:7] offset:5128
; %bb.192:                              ;   in Loop: Header=BB71_32 Depth=1
	s_or_b64 exec, exec, s[2:3]
	s_waitcnt lgkmcnt(0)
	s_barrier
.LBB71_193:                             ;   in Loop: Header=BB71_32 Depth=1
                                        ; implicit-def: $vgpr4_vgpr5_vgpr6_vgpr7
.LBB71_194:                             ;   in Loop: Header=BB71_32 Depth=1
	s_or_saveexec_b64 s[0:1], s[0:1]
	s_mov_b64 s[2:3], 0
	v_mov_b32_e32 v2, 8
	s_xor_b64 exec, exec, s[0:1]
; %bb.195:                              ;   in Loop: Header=BB71_32 Depth=1
	v_sub_co_u32_e32 v8, vcc, v8, v6
	v_subb_co_u32_e32 v9, vcc, v9, v7, vcc
	v_mov_b32_e32 v2, 0
	s_mov_b64 s[2:3], exec
; %bb.196:                              ;   in Loop: Header=BB71_32 Depth=1
	s_or_b64 exec, exec, s[0:1]
	v_mov_b32_e32 v4, v8
	s_and_b64 s[2:3], s[2:3], exec
	v_mov_b32_e32 v5, v9
.LBB71_197:                             ;   in Loop: Header=BB71_32 Depth=1
	s_or_b64 exec, exec, s[10:11]
	s_mov_b64 s[0:1], -1
                                        ; implicit-def: $sgpr44_sgpr45
                                        ; implicit-def: $sgpr94_sgpr95
	s_and_saveexec_b64 s[90:91], s[2:3]
	s_cbranch_execz .LBB71_294
; %bb.198:                              ;   in Loop: Header=BB71_32 Depth=1
	s_cmp_eq_u64 s[84:85], 1
	v_cmp_eq_u64_e32 vcc, 1, v[4:5]
	s_cselect_b64 s[0:1], -1, 0
	s_and_b64 s[42:43], s[0:1], vcc
	s_mov_b64 s[0:1], -1
                                        ; implicit-def: $sgpr94_sgpr95
                                        ; implicit-def: $sgpr44_sgpr45
	s_and_saveexec_b64 s[40:41], s[42:43]
	s_cbranch_execz .LBB71_234
; %bb.199:                              ;   in Loop: Header=BB71_32 Depth=1
	ds_read_b64 v[6:7], v3 offset:5120
	s_waitcnt lgkmcnt(0)
	s_barrier
	v_readfirstlane_b32 s36, v6
	v_readfirstlane_b32 s37, v7
	s_mov_b64 s[0:1], exec
	v_readlane_b32 s2, v63, 10
	v_readlane_b32 s3, v63, 11
	s_and_b64 s[2:3], s[0:1], s[2:3]
	s_mov_b64 exec, s[2:3]
; %bb.200:                              ;   in Loop: Header=BB71_32 Depth=1
	ds_write_b16 v52, v3
; %bb.201:                              ;   in Loop: Header=BB71_32 Depth=1
	s_or_b64 exec, exec, s[0:1]
	v_cmp_gt_i64_e64 s[0:1], s[36:37], 0
	v_and_b32_e32 v6, s8, v50
	v_lshl_or_b32 v50, 2, s53, v6
	v_or_b32_e32 v57, s92, v57
	s_mov_b64 s[94:95], 0
	s_and_b64 vcc, exec, s[0:1]
	s_mov_b64 s[10:11], 0
	s_mov_b64 s[12:13], -1
	s_waitcnt lgkmcnt(0)
	s_barrier
                                        ; implicit-def: $vgpr58
	s_cbranch_vccnz .LBB71_218
; %bb.202:                              ;   in Loop: Header=BB71_32 Depth=1
	s_mov_b32 s56, s47
	s_cmp_lg_u64 s[56:57], 0
	s_cbranch_scc0 .LBB71_205
; %bb.203:                              ;   in Loop: Header=BB71_32 Depth=1
	s_add_u32 s0, s33, 0
	s_addc_u32 s1, 0, 0
	s_xor_b64 s[10:11], s[0:1], 0
	v_cvt_f32_u32_e32 v6, s10
	v_cvt_f32_u32_e32 v7, s11
	s_sub_u32 s2, 0, s10
	s_subb_u32 s3, 0, s11
	v_mac_f32_e32 v6, 0x4f800000, v7
	v_rcp_f32_e32 v6, v6
	v_mul_f32_e32 v6, 0x5f7ffffc, v6
	v_mul_f32_e32 v7, 0x2f800000, v6
	v_trunc_f32_e32 v7, v7
	v_mac_f32_e32 v6, 0xcf800000, v7
	v_cvt_u32_f32_e32 v7, v7
	v_cvt_u32_f32_e32 v6, v6
	v_readfirstlane_b32 s9, v7
	v_readfirstlane_b32 s0, v6
	s_mul_i32 s1, s2, s9
	s_mul_hi_u32 s13, s2, s0
	s_mul_i32 s12, s3, s0
	s_add_i32 s1, s13, s1
	s_mul_i32 s44, s2, s0
	s_add_i32 s1, s1, s12
	s_mul_i32 s13, s0, s1
	s_mul_hi_u32 s45, s0, s44
	s_mul_hi_u32 s12, s0, s1
	s_add_u32 s13, s45, s13
	s_addc_u32 s12, 0, s12
	s_mul_hi_u32 s46, s9, s44
	s_mul_i32 s44, s9, s44
	s_add_u32 s13, s13, s44
	s_mul_hi_u32 s45, s9, s1
	s_addc_u32 s12, s12, s46
	s_addc_u32 s13, s45, 0
	s_mul_i32 s1, s9, s1
	s_add_u32 s1, s12, s1
	s_addc_u32 s12, 0, s13
	s_add_u32 s13, s0, s1
	s_cselect_b64 s[0:1], -1, 0
	s_cmp_lg_u64 s[0:1], 0
	s_addc_u32 s9, s9, s12
	s_mul_i32 s0, s2, s9
	s_mul_hi_u32 s1, s2, s13
	s_add_i32 s0, s1, s0
	s_mul_i32 s3, s3, s13
	s_add_i32 s0, s0, s3
	s_mul_i32 s2, s2, s13
	s_mul_hi_u32 s3, s9, s2
	s_mul_i32 s12, s9, s2
	s_mul_i32 s45, s13, s0
	s_mul_hi_u32 s2, s13, s2
	s_mul_hi_u32 s44, s13, s0
	s_add_u32 s2, s2, s45
	s_addc_u32 s44, 0, s44
	s_add_u32 s2, s2, s12
	s_mul_hi_u32 s1, s9, s0
	s_addc_u32 s2, s44, s3
	s_addc_u32 s1, s1, 0
	s_mul_i32 s0, s9, s0
	s_add_u32 s0, s2, s0
	s_addc_u32 s2, 0, s1
	s_add_u32 s12, s13, s0
	s_cselect_b64 s[0:1], -1, 0
	s_cmp_lg_u64 s[0:1], 0
	s_addc_u32 s9, s9, s2
	s_ashr_i32 s2, s57, 31
	v_readlane_b32 s0, v63, 19
	s_add_u32 s0, s0, s2
	s_mov_b32 s3, s2
	s_addc_u32 s1, s57, s2
	s_xor_b64 s[0:1], s[0:1], s[2:3]
	s_mul_i32 s44, s0, s9
	s_mul_hi_u32 s45, s0, s12
	s_mul_hi_u32 s13, s0, s9
	s_add_u32 s44, s45, s44
	s_addc_u32 s13, 0, s13
	s_mul_hi_u32 s46, s1, s12
	s_mul_i32 s12, s1, s12
	s_add_u32 s12, s44, s12
	s_mul_hi_u32 s45, s1, s9
	s_addc_u32 s12, s13, s46
	s_addc_u32 s13, s45, 0
	s_mul_i32 s9, s1, s9
	s_add_u32 s9, s12, s9
	s_addc_u32 s12, 0, s13
	s_mul_i32 s12, s10, s12
	s_mul_hi_u32 s13, s10, s9
	s_add_i32 s12, s13, s12
	s_mul_i32 s13, s11, s9
	s_add_i32 s46, s12, s13
	s_sub_i32 s44, s1, s46
	s_mul_i32 s9, s10, s9
	s_sub_u32 s0, s0, s9
	s_cselect_b64 s[12:13], -1, 0
	s_cmp_lg_u64 s[12:13], 0
	s_subb_u32 s9, s44, s11
	s_sub_u32 s56, s0, s10
	s_cselect_b64 s[44:45], -1, 0
	s_cmp_lg_u64 s[44:45], 0
	s_subb_u32 s60, s9, 0
	s_cmp_ge_u32 s60, s11
	s_cselect_b32 s61, -1, 0
	s_cmp_ge_u32 s56, s10
	s_cselect_b32 s62, -1, 0
	s_cmp_eq_u32 s60, s11
	s_cselect_b32 s61, s62, s61
	s_cmp_lg_u64 s[44:45], 0
	s_subb_u32 s9, s9, s11
	s_sub_u32 s62, s56, s10
	s_cselect_b64 s[44:45], -1, 0
	s_cmp_lg_u64 s[44:45], 0
	s_subb_u32 s9, s9, 0
	s_cmp_lg_u32 s61, 0
	s_cselect_b32 s44, s62, s56
	s_cselect_b32 s9, s9, s60
	s_cmp_lg_u64 s[12:13], 0
	s_subb_u32 s1, s1, s46
	s_cmp_ge_u32 s1, s11
	s_cselect_b32 s12, -1, 0
	s_cmp_ge_u32 s0, s10
	s_cselect_b32 s10, -1, 0
	s_cmp_eq_u32 s1, s11
	s_cselect_b32 s10, s10, s12
	s_cmp_lg_u32 s10, 0
	s_cselect_b32 s1, s9, s1
	s_cselect_b32 s0, s44, s0
	s_xor_b64 s[0:1], s[0:1], s[2:3]
	s_sub_u32 s0, s0, s2
	s_subb_u32 s1, s1, s2
	s_mov_b64 s[2:3], 0
	s_branch .LBB71_206
.LBB71_204:                             ;   in Loop: Header=BB71_32 Depth=1
                                        ; implicit-def: $sgpr0_sgpr1
	s_branch .LBB71_174
.LBB71_205:                             ;   in Loop: Header=BB71_32 Depth=1
	s_mov_b64 s[2:3], -1
                                        ; implicit-def: $sgpr0_sgpr1
.LBB71_206:                             ;   in Loop: Header=BB71_32 Depth=1
	s_andn2_b64 vcc, exec, s[2:3]
	v_readlane_b32 s56, v63, 36
	s_cbranch_vccnz .LBB71_208
; %bb.207:                              ;   in Loop: Header=BB71_32 Depth=1
	v_cvt_f32_u32_e32 v6, s33
	s_sub_i32 s0, 0, s33
	v_readlane_b32 s2, v63, 19
	v_rcp_iflag_f32_e32 v6, v6
	v_mul_f32_e32 v6, 0x4f7ffffe, v6
	v_cvt_u32_f32_e32 v6, v6
	v_readfirstlane_b32 s1, v6
	s_mul_i32 s0, s0, s1
	s_mul_hi_u32 s0, s1, s0
	s_add_i32 s1, s1, s0
	s_mul_hi_u32 s0, s2, s1
	s_mul_i32 s0, s0, s33
	s_sub_i32 s0, s2, s0
	s_sub_i32 s1, s0, s33
	s_cmp_ge_u32 s0, s33
	s_cselect_b32 s0, s1, s0
	s_sub_i32 s1, s0, s33
	s_cmp_ge_u32 s0, s33
	s_cselect_b32 s46, s1, s0
	s_mov_b64 s[0:1], s[46:47]
.LBB71_208:                             ;   in Loop: Header=BB71_32 Depth=1
	v_readlane_b32 s2, v63, 19
	s_sub_u32 s2, s2, s0
	s_subb_u32 s3, s57, s1
	v_cmp_gt_i64_e32 vcc, s[2:3], v[0:1]
	s_mov_b64 s[12:13], 0
	s_mov_b64 s[10:11], 0
                                        ; implicit-def: $vgpr58
	s_and_saveexec_b64 s[44:45], vcc
	s_cbranch_execz .LBB71_217
; %bb.209:                              ;   in Loop: Header=BB71_32 Depth=1
	v_mov_b32_e32 v6, v12
	v_mov_b32_e32 v9, v1
	;; [unrolled: 1-line block ×4, first 2 shown]
                                        ; implicit-def: $sgpr60_sgpr61
	s_branch .LBB71_212
.LBB71_210:                             ;   in Loop: Header=BB71_212 Depth=2
	s_or_b64 exec, exec, s[0:1]
	s_waitcnt lgkmcnt(0)
	s_barrier
	ds_read_b32 v10, v3 offset:3072
	s_mov_b64 s[0:1], -1
	s_mov_b64 s[62:63], -1
	s_waitcnt lgkmcnt(0)
	s_barrier
	v_and_b32_e32 v11, 0x7fff, v10
	v_cmp_ne_u32_e32 vcc, 0, v11
	s_cbranch_vccz .LBB71_215
.LBB71_211:                             ;   in Loop: Header=BB71_212 Depth=2
	s_and_b64 s[0:1], exec, s[0:1]
	s_or_b64 s[10:11], s[0:1], s[10:11]
	s_andn2_b64 s[0:1], s[60:61], exec
	s_and_b64 s[60:61], s[62:63], exec
	s_or_b64 s[60:61], s[0:1], s[60:61]
	s_andn2_b64 exec, exec, s[10:11]
	s_cbranch_execz .LBB71_216
.LBB71_212:                             ;   Parent Loop BB71_32 Depth=1
                                        ; =>  This Inner Loop Header: Depth=2
	v_cmp_gt_i64_e32 vcc, s[24:25], v[8:9]
	s_and_saveexec_b64 s[0:1], vcc
	s_cbranch_execz .LBB71_210
; %bb.213:                              ;   in Loop: Header=BB71_212 Depth=2
	global_load_ushort v10, v[6:7], off
	s_waitcnt vmcnt(0)
	v_cmp_lt_i16_e32 vcc, -1, v10
	v_cndmask_b32_e32 v11, v53, v54, vcc
	v_lshlrev_b32_e32 v29, 16, v10
	v_cmp_o_f32_e32 vcc, v29, v29
	v_xor_b32_sdwa v11, v11, v10 dst_sel:DWORD dst_unused:UNUSED_PAD src0_sel:DWORD src1_sel:WORD_0
	v_cndmask_b32_e32 v11, v53, v11, vcc
	v_and_b32_e32 v11, v11, v57
	v_cmp_eq_u32_e32 vcc, v11, v50
	s_and_b64 exec, exec, vcc
	s_cbranch_execz .LBB71_210
; %bb.214:                              ;   in Loop: Header=BB71_212 Depth=2
	v_perm_b32 v10, v10, s52, v56
	ds_write_b32 v3, v10 offset:3072
	s_branch .LBB71_210
.LBB71_215:                             ;   in Loop: Header=BB71_212 Depth=2
	v_add_co_u32_e32 v8, vcc, s33, v8
	v_addc_co_u32_e32 v9, vcc, 0, v9, vcc
	v_mov_b32_e32 v11, s51
	v_add_co_u32_e32 v6, vcc, s50, v6
	v_addc_co_u32_e32 v7, vcc, v7, v11, vcc
	v_cmp_le_i64_e32 vcc, s[2:3], v[8:9]
	s_mov_b64 s[62:63], 0
	s_orn2_b64 s[0:1], vcc, exec
	s_branch .LBB71_211
.LBB71_216:                             ;   in Loop: Header=BB71_32 Depth=1
	s_or_b64 exec, exec, s[10:11]
	v_lshrrev_b32_e32 v58, 16, v10
	s_and_b64 s[10:11], s[60:61], exec
.LBB71_217:                             ;   in Loop: Header=BB71_32 Depth=1
	s_or_b64 exec, exec, s[44:45]
.LBB71_218:                             ;   in Loop: Header=BB71_32 Depth=1
	s_and_b64 vcc, exec, s[12:13]
	s_cbranch_vccz .LBB71_230
; %bb.219:                              ;   in Loop: Header=BB71_32 Depth=1
	v_readlane_b32 s0, v63, 18
	s_add_u32 s9, s36, s0
	v_readlane_b32 s0, v63, 20
	s_addc_u32 s13, s37, s0
	s_mov_b32 s12, s47
	s_cmp_lg_u64 s[12:13], 0
	s_cbranch_scc0 .LBB71_251
; %bb.220:                              ;   in Loop: Header=BB71_32 Depth=1
	s_add_u32 s0, s33, 0
	s_addc_u32 s1, 0, 0
	s_xor_b64 s[44:45], s[0:1], 0
	v_cvt_f32_u32_e32 v6, s44
	v_cvt_f32_u32_e32 v7, s45
	s_sub_u32 s2, 0, s44
	s_subb_u32 s3, 0, s45
	v_mac_f32_e32 v6, 0x4f800000, v7
	v_rcp_f32_e32 v6, v6
	v_mul_f32_e32 v6, 0x5f7ffffc, v6
	v_mul_f32_e32 v7, 0x2f800000, v6
	v_trunc_f32_e32 v7, v7
	v_mac_f32_e32 v6, 0xcf800000, v7
	v_cvt_u32_f32_e32 v7, v7
	v_cvt_u32_f32_e32 v6, v6
	v_readfirstlane_b32 s12, v7
	v_readfirstlane_b32 s0, v6
	s_mul_i32 s1, s2, s12
	s_mul_hi_u32 s56, s2, s0
	s_mul_i32 s46, s3, s0
	s_add_i32 s1, s56, s1
	s_mul_i32 s60, s2, s0
	s_add_i32 s1, s1, s46
	s_mul_i32 s56, s0, s1
	s_mul_hi_u32 s61, s0, s60
	s_mul_hi_u32 s46, s0, s1
	s_add_u32 s56, s61, s56
	s_addc_u32 s46, 0, s46
	s_mul_hi_u32 s62, s12, s60
	s_mul_i32 s60, s12, s60
	s_add_u32 s56, s56, s60
	s_mul_hi_u32 s61, s12, s1
	s_addc_u32 s46, s46, s62
	s_addc_u32 s56, s61, 0
	s_mul_i32 s1, s12, s1
	s_add_u32 s1, s46, s1
	s_addc_u32 s46, 0, s56
	s_add_u32 s56, s0, s1
	s_cselect_b64 s[0:1], -1, 0
	s_cmp_lg_u64 s[0:1], 0
	s_addc_u32 s12, s12, s46
	s_mul_i32 s0, s2, s12
	s_mul_hi_u32 s1, s2, s56
	s_add_i32 s0, s1, s0
	s_mul_i32 s3, s3, s56
	s_add_i32 s0, s0, s3
	s_mul_i32 s2, s2, s56
	s_mul_hi_u32 s3, s12, s2
	s_mul_i32 s46, s12, s2
	s_mul_i32 s61, s56, s0
	s_mul_hi_u32 s2, s56, s2
	s_mul_hi_u32 s60, s56, s0
	s_add_u32 s2, s2, s61
	s_addc_u32 s60, 0, s60
	s_add_u32 s2, s2, s46
	s_mul_hi_u32 s1, s12, s0
	s_addc_u32 s2, s60, s3
	s_addc_u32 s1, s1, 0
	s_mul_i32 s0, s12, s0
	s_add_u32 s0, s2, s0
	s_addc_u32 s2, 0, s1
	s_add_u32 s46, s56, s0
	s_cselect_b64 s[0:1], -1, 0
	s_cmp_lg_u64 s[0:1], 0
	s_addc_u32 s12, s12, s2
	s_ashr_i32 s2, s13, 31
	s_add_u32 s0, s9, s2
	s_mov_b32 s3, s2
	s_addc_u32 s1, s13, s2
	s_xor_b64 s[0:1], s[0:1], s[2:3]
	s_mul_i32 s60, s0, s12
	s_mul_hi_u32 s61, s0, s46
	s_mul_hi_u32 s56, s0, s12
	s_add_u32 s60, s61, s60
	s_addc_u32 s56, 0, s56
	s_mul_hi_u32 s62, s1, s46
	s_mul_i32 s46, s1, s46
	s_add_u32 s46, s60, s46
	s_mul_hi_u32 s61, s1, s12
	s_addc_u32 s46, s56, s62
	s_addc_u32 s56, s61, 0
	s_mul_i32 s12, s1, s12
	s_add_u32 s12, s46, s12
	s_addc_u32 s46, 0, s56
	s_mul_i32 s46, s44, s46
	s_mul_hi_u32 s56, s44, s12
	s_add_i32 s46, s56, s46
	s_mul_i32 s56, s45, s12
	s_add_i32 s46, s46, s56
	s_sub_i32 s56, s1, s46
	s_mul_i32 s12, s44, s12
	s_sub_u32 s0, s0, s12
	s_cselect_b64 s[60:61], -1, 0
	s_cmp_lg_u64 s[60:61], 0
	s_subb_u32 s12, s56, s45
	s_sub_u32 s56, s0, s44
	s_cselect_b64 s[62:63], -1, 0
	s_cmp_lg_u64 s[62:63], 0
	s_subb_u32 s64, s12, 0
	s_cmp_ge_u32 s64, s45
	s_cselect_b32 s65, -1, 0
	s_cmp_ge_u32 s56, s44
	s_cselect_b32 s93, -1, 0
	s_cmp_eq_u32 s64, s45
	s_cselect_b32 s65, s93, s65
	s_cmp_lg_u64 s[62:63], 0
	s_subb_u32 s12, s12, s45
	s_sub_u32 s93, s56, s44
	s_cselect_b64 s[62:63], -1, 0
	s_cmp_lg_u64 s[62:63], 0
	s_subb_u32 s12, s12, 0
	s_cmp_lg_u32 s65, 0
	s_cselect_b32 s56, s93, s56
	s_cselect_b32 s12, s12, s64
	s_cmp_lg_u64 s[60:61], 0
	s_subb_u32 s1, s1, s46
	s_cmp_ge_u32 s1, s45
	s_cselect_b32 s46, -1, 0
	s_cmp_ge_u32 s0, s44
	s_cselect_b32 s44, -1, 0
	s_cmp_eq_u32 s1, s45
	s_cselect_b32 s44, s44, s46
	s_cmp_lg_u32 s44, 0
	s_cselect_b32 s1, s12, s1
	s_cselect_b32 s0, s56, s0
	s_xor_b64 s[0:1], s[0:1], s[2:3]
	v_readlane_b32 s64, v63, 34
	s_sub_u32 s0, s0, s2
	v_readlane_b32 s65, v63, 35
	v_readlane_b32 s56, v63, 36
	s_subb_u32 s1, s1, s2
	s_cbranch_execnz .LBB71_222
.LBB71_221:                             ;   in Loop: Header=BB71_32 Depth=1
	v_cvt_f32_u32_e32 v6, s33
	s_sub_i32 s0, 0, s33
	v_rcp_iflag_f32_e32 v6, v6
	v_mul_f32_e32 v6, 0x4f7ffffe, v6
	v_cvt_u32_f32_e32 v6, v6
	v_readfirstlane_b32 s1, v6
	s_mul_i32 s0, s0, s1
	s_mul_hi_u32 s0, s1, s0
	s_add_i32 s1, s1, s0
	s_mul_hi_u32 s0, s9, s1
	s_mul_i32 s0, s0, s33
	s_sub_i32 s0, s9, s0
	s_sub_i32 s1, s0, s33
	s_cmp_ge_u32 s0, s33
	s_cselect_b32 s0, s1, s0
	s_sub_i32 s1, s0, s33
	s_cmp_ge_u32 s0, s33
	s_cselect_b32 s46, s1, s0
	s_mov_b64 s[0:1], s[46:47]
.LBB71_222:                             ;   in Loop: Header=BB71_32 Depth=1
	s_sub_u32 s12, s9, s0
	s_subb_u32 s13, s13, s1
	v_cmp_gt_i64_e32 vcc, s[12:13], v[0:1]
                                        ; implicit-def: $vgpr58
	s_and_saveexec_b64 s[2:3], vcc
	s_cbranch_execz .LBB71_232
; %bb.223:                              ;   in Loop: Header=BB71_32 Depth=1
	v_mov_b32_e32 v7, v1
	s_mov_b64 s[0:1], 0
	v_mov_b32_e32 v8, v51
	v_mov_b32_e32 v6, v0
                                        ; implicit-def: $sgpr44_sgpr45
	s_branch .LBB71_226
.LBB71_224:                             ;   in Loop: Header=BB71_226 Depth=2
	s_or_b64 exec, exec, s[60:61]
	s_waitcnt lgkmcnt(0)
	s_barrier
	ds_read_b32 v9, v3 offset:3072
	s_mov_b64 s[60:61], -1
	s_mov_b64 s[62:63], -1
	s_waitcnt lgkmcnt(0)
	s_barrier
	v_and_b32_e32 v10, 0x7fff, v9
	v_cmp_eq_u32_e32 vcc, 0, v10
	s_cbranch_vccnz .LBB71_229
.LBB71_225:                             ;   in Loop: Header=BB71_226 Depth=2
	s_and_b64 s[60:61], exec, s[60:61]
	s_or_b64 s[0:1], s[60:61], s[0:1]
	s_andn2_b64 s[44:45], s[44:45], exec
	s_and_b64 s[60:61], s[62:63], exec
	s_or_b64 s[44:45], s[44:45], s[60:61]
	s_andn2_b64 exec, exec, s[0:1]
	s_cbranch_execz .LBB71_231
.LBB71_226:                             ;   Parent Loop BB71_32 Depth=1
                                        ; =>  This Inner Loop Header: Depth=2
	v_cmp_gt_u64_e32 vcc, s[36:37], v[6:7]
	s_and_saveexec_b64 s[60:61], vcc
	s_cbranch_execz .LBB71_224
; %bb.227:                              ;   in Loop: Header=BB71_226 Depth=2
	ds_read_u16 v9, v8
	s_waitcnt lgkmcnt(0)
	v_cmp_lt_i16_e32 vcc, -1, v9
	v_cndmask_b32_e32 v10, v53, v54, vcc
	v_lshlrev_b32_e32 v11, 16, v9
	v_cmp_o_f32_e32 vcc, v11, v11
	v_xor_b32_sdwa v10, v10, v9 dst_sel:DWORD dst_unused:UNUSED_PAD src0_sel:DWORD src1_sel:WORD_0
	v_cndmask_b32_e32 v10, v53, v10, vcc
	v_and_b32_e32 v10, v10, v57
	v_cmp_eq_u32_e32 vcc, v10, v50
	s_and_b64 exec, exec, vcc
	s_cbranch_execz .LBB71_224
; %bb.228:                              ;   in Loop: Header=BB71_226 Depth=2
	v_perm_b32 v9, v9, s52, v56
	ds_write_b32 v3, v9 offset:3072
	s_branch .LBB71_224
.LBB71_229:                             ;   in Loop: Header=BB71_226 Depth=2
	v_add_co_u32_e32 v6, vcc, s33, v6
	v_addc_co_u32_e32 v7, vcc, 0, v7, vcc
	v_cmp_le_i64_e32 vcc, s[12:13], v[6:7]
	v_add_u32_e32 v8, s16, v8
	s_mov_b64 s[62:63], 0
	s_orn2_b64 s[60:61], vcc, exec
	s_branch .LBB71_225
.LBB71_230:                             ;   in Loop: Header=BB71_32 Depth=1
	s_mov_b64 s[44:45], -1
	s_branch .LBB71_233
.LBB71_231:                             ;   in Loop: Header=BB71_32 Depth=1
	s_or_b64 exec, exec, s[0:1]
	s_andn2_b64 s[0:1], s[10:11], exec
	s_and_b64 s[10:11], s[44:45], exec
	v_lshrrev_b32_e32 v58, 16, v9
	s_or_b64 s[10:11], s[0:1], s[10:11]
.LBB71_232:                             ;   in Loop: Header=BB71_32 Depth=1
	s_or_b64 exec, exec, s[2:3]
	s_mov_b64 s[44:45], 0
	s_mov_b64 s[94:95], -1
.LBB71_233:                             ;   in Loop: Header=BB71_32 Depth=1
	s_orn2_b64 s[0:1], s[10:11], exec
.LBB71_234:                             ;   in Loop: Header=BB71_32 Depth=1
	s_or_b64 exec, exec, s[40:41]
	s_mov_b64 s[2:3], 0
	s_and_saveexec_b64 s[40:41], s[0:1]
	s_cbranch_execz .LBB71_293
; %bb.235:                              ;   in Loop: Header=BB71_32 Depth=1
	v_mov_b32_e32 v6, 1
	s_xor_b64 s[0:1], s[42:43], -1
	v_mov_b32_e32 v2, 1
	v_mov_b32_e32 v7, 0
	s_and_saveexec_b64 s[10:11], s[0:1]
	s_cbranch_execz .LBB71_244
; %bb.236:                              ;   in Loop: Header=BB71_32 Depth=1
	v_cmp_ge_i64_e32 vcc, s[84:85], v[4:5]
	s_and_saveexec_b64 s[0:1], vcc
	s_xor_b64 s[0:1], exec, s[0:1]
	s_cbranch_execz .LBB71_241
; %bb.237:                              ;   in Loop: Header=BB71_32 Depth=1
	ds_read_b64 v[6:7], v3 offset:5120
	v_and_b32_e32 v2, s8, v50
	v_lshl_or_b32 v50, 2, s53, v2
	v_or_b32_e32 v57, s92, v57
	s_waitcnt lgkmcnt(0)
	v_cmp_ne_u64_e32 vcc, 0, v[6:7]
	s_cbranch_vccnz .LBB71_241
; %bb.238:                              ;   in Loop: Header=BB71_32 Depth=1
	s_and_saveexec_b64 s[2:3], s[64:65]
; %bb.239:                              ;   in Loop: Header=BB71_32 Depth=1
	v_mov_b32_e32 v6, s84
	v_mov_b32_e32 v7, s85
	ds_write_b64 v3, v[6:7] offset:5128
; %bb.240:                              ;   in Loop: Header=BB71_32 Depth=1
	s_or_b64 exec, exec, s[2:3]
	s_waitcnt lgkmcnt(0)
	s_barrier
.LBB71_241:                             ;   in Loop: Header=BB71_32 Depth=1
	s_or_saveexec_b64 s[0:1], s[0:1]
	s_mov_b64 s[2:3], 0
	v_mov_b32_e32 v2, 8
	s_xor_b64 exec, exec, s[0:1]
; %bb.242:                              ;   in Loop: Header=BB71_32 Depth=1
	v_subrev_co_u32_e32 v4, vcc, s84, v4
	v_mov_b32_e32 v2, s85
	v_subb_co_u32_e32 v5, vcc, v5, v2, vcc
	v_mov_b32_e32 v2, 0
	s_mov_b64 s[2:3], exec
; %bb.243:                              ;   in Loop: Header=BB71_32 Depth=1
	s_or_b64 exec, exec, s[0:1]
	v_mov_b32_e32 v7, v5
	s_and_b64 s[2:3], s[2:3], exec
	v_mov_b32_e32 v6, v4
.LBB71_244:                             ;   in Loop: Header=BB71_32 Depth=1
	s_or_b64 exec, exec, s[10:11]
	s_mov_b64 s[0:1], -1
                                        ; implicit-def: $sgpr10_sgpr11
                                        ; implicit-def: $sgpr12_sgpr13
	s_and_saveexec_b64 s[42:43], s[2:3]
	s_cbranch_execz .LBB71_292
; %bb.245:                              ;   in Loop: Header=BB71_32 Depth=1
	s_cmp_eq_u64 s[14:15], 1
	v_cmp_eq_u64_e32 vcc, 1, v[6:7]
	v_writelane_b32 v63, s44, 37
	s_cselect_b64 s[0:1], -1, 0
	v_writelane_b32 v63, s45, 38
	s_and_b64 s[2:3], s[0:1], vcc
	s_mov_b64 s[0:1], -1
                                        ; implicit-def: $sgpr10_sgpr11
                                        ; implicit-def: $sgpr12_sgpr13
	s_mov_b64 s[36:37], exec
	v_writelane_b32 v63, s2, 39
	v_writelane_b32 v63, s3, 40
	s_and_b64 s[2:3], s[36:37], s[2:3]
	s_mov_b64 exec, s[2:3]
	s_cbranch_execz .LBB71_280
; %bb.246:                              ;   in Loop: Header=BB71_32 Depth=1
	ds_read_b64 v[4:5], v3 offset:5120
	s_waitcnt lgkmcnt(0)
	s_barrier
	v_readfirstlane_b32 s44, v4
	v_readfirstlane_b32 s45, v5
	s_mov_b64 s[0:1], exec
	v_readlane_b32 s2, v63, 10
	v_readlane_b32 s3, v63, 11
	s_and_b64 s[2:3], s[0:1], s[2:3]
	s_mov_b64 exec, s[2:3]
; %bb.247:                              ;   in Loop: Header=BB71_32 Depth=1
	ds_write_b16 v52, v3
; %bb.248:                              ;   in Loop: Header=BB71_32 Depth=1
	s_or_b64 exec, exec, s[0:1]
	v_cmp_gt_i64_e64 s[0:1], s[44:45], 0
	v_or_b32_e32 v50, s92, v50
	v_or_b32_e32 v57, s92, v57
	s_mov_b64 s[12:13], -1
	s_mov_b64 s[10:11], 0
	s_and_b64 vcc, exec, s[0:1]
	s_mov_b64 s[60:61], 0
	s_mov_b64 s[62:63], -1
	s_waitcnt lgkmcnt(0)
	s_barrier
                                        ; implicit-def: $vgpr58
	s_cbranch_vccnz .LBB71_265
; %bb.249:                              ;   in Loop: Header=BB71_32 Depth=1
	s_mov_b32 s56, s47
	s_cmp_lg_u64 s[56:57], 0
	s_cbranch_scc0 .LBB71_252
; %bb.250:                              ;   in Loop: Header=BB71_32 Depth=1
	s_add_u32 s0, s33, 0
	s_addc_u32 s1, 0, 0
	s_xor_b64 s[60:61], s[0:1], 0
	v_cvt_f32_u32_e32 v4, s60
	v_cvt_f32_u32_e32 v5, s61
	s_sub_u32 s2, 0, s60
	s_subb_u32 s3, 0, s61
	v_mac_f32_e32 v4, 0x4f800000, v5
	v_rcp_f32_e32 v4, v4
	v_mul_f32_e32 v4, 0x5f7ffffc, v4
	v_mul_f32_e32 v5, 0x2f800000, v4
	v_trunc_f32_e32 v5, v5
	v_mac_f32_e32 v4, 0xcf800000, v5
	v_cvt_u32_f32_e32 v5, v5
	v_cvt_u32_f32_e32 v4, v4
	v_readfirstlane_b32 s8, v5
	v_readfirstlane_b32 s0, v4
	s_mul_i32 s1, s2, s8
	s_mul_hi_u32 s46, s2, s0
	s_mul_i32 s9, s3, s0
	s_add_i32 s1, s46, s1
	s_mul_i32 s56, s2, s0
	s_add_i32 s1, s1, s9
	s_mul_i32 s46, s0, s1
	s_mul_hi_u32 s62, s0, s56
	s_mul_hi_u32 s9, s0, s1
	s_add_u32 s46, s62, s46
	s_addc_u32 s9, 0, s9
	s_mul_hi_u32 s63, s8, s56
	s_mul_i32 s56, s8, s56
	s_add_u32 s46, s46, s56
	s_mul_hi_u32 s62, s8, s1
	s_addc_u32 s9, s9, s63
	s_addc_u32 s46, s62, 0
	s_mul_i32 s1, s8, s1
	s_add_u32 s1, s9, s1
	s_addc_u32 s9, 0, s46
	s_add_u32 s46, s0, s1
	s_cselect_b64 s[0:1], -1, 0
	s_cmp_lg_u64 s[0:1], 0
	s_addc_u32 s8, s8, s9
	s_mul_i32 s0, s2, s8
	s_mul_hi_u32 s1, s2, s46
	s_add_i32 s0, s1, s0
	s_mul_i32 s3, s3, s46
	s_add_i32 s0, s0, s3
	s_mul_i32 s2, s2, s46
	s_mul_hi_u32 s3, s8, s2
	s_mul_i32 s9, s8, s2
	s_mul_i32 s62, s46, s0
	s_mul_hi_u32 s2, s46, s2
	s_mul_hi_u32 s56, s46, s0
	s_add_u32 s2, s2, s62
	s_addc_u32 s56, 0, s56
	s_add_u32 s2, s2, s9
	s_mul_hi_u32 s1, s8, s0
	s_addc_u32 s2, s56, s3
	s_addc_u32 s1, s1, 0
	s_mul_i32 s0, s8, s0
	s_add_u32 s0, s2, s0
	s_addc_u32 s2, 0, s1
	s_add_u32 s9, s46, s0
	s_cselect_b64 s[0:1], -1, 0
	s_cmp_lg_u64 s[0:1], 0
	s_addc_u32 s8, s8, s2
	s_ashr_i32 s2, s57, 31
	v_readlane_b32 s0, v63, 19
	s_add_u32 s0, s0, s2
	s_mov_b32 s3, s2
	s_addc_u32 s1, s57, s2
	s_xor_b64 s[0:1], s[0:1], s[2:3]
	s_mul_i32 s56, s0, s8
	s_mul_hi_u32 s62, s0, s9
	s_mul_hi_u32 s46, s0, s8
	s_add_u32 s56, s62, s56
	s_addc_u32 s46, 0, s46
	s_mul_hi_u32 s63, s1, s9
	s_mul_i32 s9, s1, s9
	s_add_u32 s9, s56, s9
	s_mul_hi_u32 s62, s1, s8
	s_addc_u32 s9, s46, s63
	s_addc_u32 s46, s62, 0
	s_mul_i32 s8, s1, s8
	s_add_u32 s8, s9, s8
	s_addc_u32 s9, 0, s46
	s_mul_i32 s9, s60, s9
	s_mul_hi_u32 s46, s60, s8
	s_add_i32 s9, s46, s9
	s_mul_i32 s46, s61, s8
	s_add_i32 s46, s9, s46
	s_sub_i32 s56, s1, s46
	s_mul_i32 s8, s60, s8
	s_sub_u32 s0, s0, s8
	s_cselect_b64 s[8:9], -1, 0
	s_cmp_lg_u64 s[8:9], 0
	s_subb_u32 s56, s56, s61
	s_sub_u32 s64, s0, s60
	s_cselect_b64 s[62:63], -1, 0
	s_cmp_lg_u64 s[62:63], 0
	s_subb_u32 s65, s56, 0
	s_cmp_ge_u32 s65, s61
	s_cselect_b32 s84, -1, 0
	s_cmp_ge_u32 s64, s60
	s_cselect_b32 s85, -1, 0
	s_cmp_eq_u32 s65, s61
	s_cselect_b32 s84, s85, s84
	s_cmp_lg_u64 s[62:63], 0
	s_subb_u32 s56, s56, s61
	s_sub_u32 s85, s64, s60
	s_cselect_b64 s[62:63], -1, 0
	s_cmp_lg_u64 s[62:63], 0
	s_subb_u32 s56, s56, 0
	s_cmp_lg_u32 s84, 0
	s_cselect_b32 s62, s85, s64
	s_cselect_b32 s56, s56, s65
	s_cmp_lg_u64 s[8:9], 0
	s_subb_u32 s1, s1, s46
	s_cmp_ge_u32 s1, s61
	s_cselect_b32 s8, -1, 0
	s_cmp_ge_u32 s0, s60
	s_cselect_b32 s9, -1, 0
	s_cmp_eq_u32 s1, s61
	s_cselect_b32 s8, s9, s8
	s_cmp_lg_u32 s8, 0
	s_cselect_b32 s1, s56, s1
	s_cselect_b32 s0, s62, s0
	s_xor_b64 s[0:1], s[0:1], s[2:3]
	s_sub_u32 s0, s0, s2
	s_subb_u32 s1, s1, s2
	s_mov_b64 s[2:3], 0
	s_branch .LBB71_253
.LBB71_251:                             ;   in Loop: Header=BB71_32 Depth=1
                                        ; implicit-def: $sgpr0_sgpr1
	s_branch .LBB71_221
.LBB71_252:                             ;   in Loop: Header=BB71_32 Depth=1
	s_mov_b64 s[2:3], -1
                                        ; implicit-def: $sgpr0_sgpr1
.LBB71_253:                             ;   in Loop: Header=BB71_32 Depth=1
	s_andn2_b64 vcc, exec, s[2:3]
	v_readlane_b32 s56, v63, 36
	s_cbranch_vccnz .LBB71_255
; %bb.254:                              ;   in Loop: Header=BB71_32 Depth=1
	v_cvt_f32_u32_e32 v4, s33
	s_sub_i32 s0, 0, s33
	v_readlane_b32 s2, v63, 19
	v_rcp_iflag_f32_e32 v4, v4
	v_mul_f32_e32 v4, 0x4f7ffffe, v4
	v_cvt_u32_f32_e32 v4, v4
	v_readfirstlane_b32 s1, v4
	s_mul_i32 s0, s0, s1
	s_mul_hi_u32 s0, s1, s0
	s_add_i32 s1, s1, s0
	s_mul_hi_u32 s0, s2, s1
	s_mul_i32 s0, s0, s33
	s_sub_i32 s0, s2, s0
	s_sub_i32 s1, s0, s33
	s_cmp_ge_u32 s0, s33
	s_cselect_b32 s0, s1, s0
	s_sub_i32 s1, s0, s33
	s_cmp_ge_u32 s0, s33
	s_cselect_b32 s46, s1, s0
	s_mov_b64 s[0:1], s[46:47]
.LBB71_255:                             ;   in Loop: Header=BB71_32 Depth=1
	v_readlane_b32 s2, v63, 19
	s_sub_u32 s84, s2, s0
	s_subb_u32 s85, s57, s1
	v_cmp_gt_i64_e32 vcc, s[84:85], v[0:1]
	s_mov_b64 s[62:63], 0
	s_mov_b64 s[60:61], 0
                                        ; implicit-def: $vgpr58
	s_and_saveexec_b64 s[2:3], vcc
	s_cbranch_execz .LBB71_264
; %bb.256:                              ;   in Loop: Header=BB71_32 Depth=1
	v_mov_b32_e32 v4, v12
	v_mov_b32_e32 v9, v1
	v_mov_b32_e32 v5, v13
	v_mov_b32_e32 v8, v0
                                        ; implicit-def: $sgpr0_sgpr1
	s_branch .LBB71_259
.LBB71_257:                             ;   in Loop: Header=BB71_259 Depth=2
	s_or_b64 exec, exec, s[64:65]
	s_waitcnt lgkmcnt(0)
	s_barrier
	ds_read_b32 v10, v3 offset:3072
	s_mov_b64 s[64:65], -1
	s_mov_b64 s[8:9], -1
	s_waitcnt lgkmcnt(0)
	s_barrier
	v_and_b32_e32 v11, 0x7fff, v10
	v_cmp_ne_u32_e32 vcc, 0, v11
	s_cbranch_vccz .LBB71_262
.LBB71_258:                             ;   in Loop: Header=BB71_259 Depth=2
	s_and_b64 s[64:65], exec, s[64:65]
	s_or_b64 s[60:61], s[64:65], s[60:61]
	s_andn2_b64 s[0:1], s[0:1], exec
	s_and_b64 s[8:9], s[8:9], exec
	s_or_b64 s[0:1], s[0:1], s[8:9]
	s_andn2_b64 exec, exec, s[60:61]
	s_cbranch_execz .LBB71_263
.LBB71_259:                             ;   Parent Loop BB71_32 Depth=1
                                        ; =>  This Inner Loop Header: Depth=2
	v_cmp_gt_i64_e32 vcc, s[24:25], v[8:9]
	s_and_saveexec_b64 s[64:65], vcc
	s_cbranch_execz .LBB71_257
; %bb.260:                              ;   in Loop: Header=BB71_259 Depth=2
	global_load_ushort v10, v[4:5], off
	s_waitcnt vmcnt(0)
	v_cmp_lt_i16_e32 vcc, -1, v10
	v_cndmask_b32_e32 v11, v53, v54, vcc
	v_lshlrev_b32_e32 v29, 16, v10
	v_cmp_o_f32_e32 vcc, v29, v29
	v_xor_b32_sdwa v11, v11, v10 dst_sel:DWORD dst_unused:UNUSED_PAD src0_sel:DWORD src1_sel:WORD_0
	v_cndmask_b32_e32 v11, v53, v11, vcc
	v_and_b32_e32 v11, v11, v57
	v_cmp_eq_u32_e32 vcc, v11, v50
	s_and_b64 exec, exec, vcc
	s_cbranch_execz .LBB71_257
; %bb.261:                              ;   in Loop: Header=BB71_259 Depth=2
	v_perm_b32 v10, v10, s52, v56
	ds_write_b32 v3, v10 offset:3072
	s_branch .LBB71_257
.LBB71_262:                             ;   in Loop: Header=BB71_259 Depth=2
	v_add_co_u32_e32 v8, vcc, s33, v8
	v_addc_co_u32_e32 v9, vcc, 0, v9, vcc
	v_mov_b32_e32 v11, s51
	v_add_co_u32_e32 v4, vcc, s50, v4
	v_addc_co_u32_e32 v5, vcc, v5, v11, vcc
	v_cmp_le_i64_e32 vcc, s[84:85], v[8:9]
	s_mov_b64 s[8:9], 0
	s_orn2_b64 s[64:65], vcc, exec
	s_branch .LBB71_258
.LBB71_263:                             ;   in Loop: Header=BB71_32 Depth=1
	s_or_b64 exec, exec, s[60:61]
	v_lshrrev_b32_e32 v58, 16, v10
	s_and_b64 s[60:61], s[0:1], exec
.LBB71_264:                             ;   in Loop: Header=BB71_32 Depth=1
	s_or_b64 exec, exec, s[2:3]
	v_readlane_b32 s64, v63, 34
	v_readlane_b32 s65, v63, 35
.LBB71_265:                             ;   in Loop: Header=BB71_32 Depth=1
	s_and_b64 vcc, exec, s[62:63]
	s_cbranch_vccz .LBB71_279
; %bb.266:                              ;   in Loop: Header=BB71_32 Depth=1
	v_readlane_b32 s0, v63, 18
	s_add_u32 s8, s44, s0
	v_readlane_b32 s0, v63, 20
	s_addc_u32 s11, s45, s0
	s_mov_b32 s10, s47
	s_cmp_lg_u64 s[10:11], 0
	s_cbranch_scc0 .LBB71_299
; %bb.267:                              ;   in Loop: Header=BB71_32 Depth=1
	s_add_u32 s0, s33, 0
	s_addc_u32 s1, 0, 0
	s_xor_b64 s[12:13], s[0:1], 0
	v_cvt_f32_u32_e32 v4, s12
	v_cvt_f32_u32_e32 v5, s13
	s_sub_u32 s2, 0, s12
	s_subb_u32 s3, 0, s13
	v_mac_f32_e32 v4, 0x4f800000, v5
	v_rcp_f32_e32 v4, v4
	v_mul_f32_e32 v4, 0x5f7ffffc, v4
	v_mul_f32_e32 v5, 0x2f800000, v4
	v_trunc_f32_e32 v5, v5
	v_mac_f32_e32 v4, 0xcf800000, v5
	v_cvt_u32_f32_e32 v5, v5
	v_cvt_u32_f32_e32 v4, v4
	v_readfirstlane_b32 s9, v5
	v_readfirstlane_b32 s0, v4
	s_mul_i32 s1, s2, s9
	s_mul_hi_u32 s46, s2, s0
	s_mul_i32 s10, s3, s0
	s_add_i32 s1, s46, s1
	s_mul_i32 s56, s2, s0
	s_add_i32 s1, s1, s10
	s_mul_i32 s46, s0, s1
	s_mul_hi_u32 s62, s0, s56
	s_mul_hi_u32 s10, s0, s1
	s_add_u32 s46, s62, s46
	s_addc_u32 s10, 0, s10
	s_mul_hi_u32 s63, s9, s56
	s_mul_i32 s56, s9, s56
	s_add_u32 s46, s46, s56
	s_mul_hi_u32 s62, s9, s1
	s_addc_u32 s10, s10, s63
	s_addc_u32 s46, s62, 0
	s_mul_i32 s1, s9, s1
	s_add_u32 s1, s10, s1
	s_addc_u32 s10, 0, s46
	s_add_u32 s46, s0, s1
	s_cselect_b64 s[0:1], -1, 0
	s_cmp_lg_u64 s[0:1], 0
	s_addc_u32 s9, s9, s10
	s_mul_i32 s0, s2, s9
	s_mul_hi_u32 s1, s2, s46
	s_add_i32 s0, s1, s0
	s_mul_i32 s3, s3, s46
	s_add_i32 s0, s0, s3
	s_mul_i32 s2, s2, s46
	s_mul_hi_u32 s3, s9, s2
	s_mul_i32 s10, s9, s2
	s_mul_i32 s62, s46, s0
	s_mul_hi_u32 s2, s46, s2
	s_mul_hi_u32 s56, s46, s0
	s_add_u32 s2, s2, s62
	s_addc_u32 s56, 0, s56
	s_add_u32 s2, s2, s10
	s_mul_hi_u32 s1, s9, s0
	s_addc_u32 s2, s56, s3
	s_addc_u32 s1, s1, 0
	s_mul_i32 s0, s9, s0
	s_add_u32 s0, s2, s0
	s_addc_u32 s2, 0, s1
	s_add_u32 s10, s46, s0
	s_cselect_b64 s[0:1], -1, 0
	s_cmp_lg_u64 s[0:1], 0
	s_addc_u32 s9, s9, s2
	s_ashr_i32 s2, s11, 31
	s_add_u32 s0, s8, s2
	s_mov_b32 s3, s2
	s_addc_u32 s1, s11, s2
	s_xor_b64 s[0:1], s[0:1], s[2:3]
	s_mul_i32 s56, s0, s9
	s_mul_hi_u32 s62, s0, s10
	s_mul_hi_u32 s46, s0, s9
	s_add_u32 s56, s62, s56
	s_addc_u32 s46, 0, s46
	s_mul_hi_u32 s63, s1, s10
	s_mul_i32 s10, s1, s10
	s_add_u32 s10, s56, s10
	s_mul_hi_u32 s62, s1, s9
	s_addc_u32 s10, s46, s63
	s_addc_u32 s46, s62, 0
	s_mul_i32 s9, s1, s9
	s_add_u32 s9, s10, s9
	s_addc_u32 s10, 0, s46
	s_mul_i32 s10, s12, s10
	s_mul_hi_u32 s46, s12, s9
	s_add_i32 s10, s46, s10
	s_mul_i32 s46, s13, s9
	s_add_i32 s10, s10, s46
	s_sub_i32 s46, s1, s10
	s_mul_i32 s9, s12, s9
	s_sub_u32 s0, s0, s9
	s_cselect_b64 s[62:63], -1, 0
	s_cmp_lg_u64 s[62:63], 0
	s_subb_u32 s9, s46, s13
	s_sub_u32 s46, s0, s12
	s_cselect_b64 s[64:65], -1, 0
	s_cmp_lg_u64 s[64:65], 0
	s_subb_u32 s56, s9, 0
	s_cmp_ge_u32 s56, s13
	s_cselect_b32 s84, -1, 0
	s_cmp_ge_u32 s46, s12
	s_cselect_b32 s85, -1, 0
	s_cmp_eq_u32 s56, s13
	s_cselect_b32 s84, s85, s84
	s_cmp_lg_u64 s[64:65], 0
	s_subb_u32 s9, s9, s13
	s_sub_u32 s85, s46, s12
	s_cselect_b64 s[64:65], -1, 0
	s_cmp_lg_u64 s[64:65], 0
	s_subb_u32 s9, s9, 0
	s_cmp_lg_u32 s84, 0
	s_cselect_b32 s46, s85, s46
	s_cselect_b32 s9, s9, s56
	s_cmp_lg_u64 s[62:63], 0
	s_subb_u32 s1, s1, s10
	s_cmp_ge_u32 s1, s13
	s_cselect_b32 s10, -1, 0
	s_cmp_ge_u32 s0, s12
	s_cselect_b32 s12, -1, 0
	s_cmp_eq_u32 s1, s13
	s_cselect_b32 s10, s12, s10
	s_cmp_lg_u32 s10, 0
	s_cselect_b32 s1, s9, s1
	s_cselect_b32 s0, s46, s0
	s_xor_b64 s[0:1], s[0:1], s[2:3]
	v_readlane_b32 s64, v63, 34
	s_sub_u32 s0, s0, s2
	v_readlane_b32 s65, v63, 35
	v_readlane_b32 s56, v63, 36
	s_subb_u32 s1, s1, s2
	s_cbranch_execnz .LBB71_269
.LBB71_268:                             ;   in Loop: Header=BB71_32 Depth=1
	v_cvt_f32_u32_e32 v4, s33
	s_sub_i32 s0, 0, s33
	v_rcp_iflag_f32_e32 v4, v4
	v_mul_f32_e32 v4, 0x4f7ffffe, v4
	v_cvt_u32_f32_e32 v4, v4
	v_readfirstlane_b32 s1, v4
	s_mul_i32 s0, s0, s1
	s_mul_hi_u32 s0, s1, s0
	s_add_i32 s1, s1, s0
	s_mul_hi_u32 s0, s8, s1
	s_mul_i32 s0, s0, s33
	s_sub_i32 s0, s8, s0
	s_sub_i32 s1, s0, s33
	s_cmp_ge_u32 s0, s33
	s_cselect_b32 s0, s1, s0
	s_sub_i32 s1, s0, s33
	s_cmp_ge_u32 s0, s33
	s_cselect_b32 s46, s1, s0
	s_mov_b64 s[0:1], s[46:47]
.LBB71_269:                             ;   in Loop: Header=BB71_32 Depth=1
	s_sub_u32 s10, s8, s0
	s_subb_u32 s11, s11, s1
	v_cmp_gt_i64_e32 vcc, s[10:11], v[0:1]
                                        ; implicit-def: $vgpr58
	s_and_saveexec_b64 s[2:3], vcc
	s_cbranch_execz .LBB71_278
; %bb.270:                              ;   in Loop: Header=BB71_32 Depth=1
	v_mov_b32_e32 v5, v1
	s_mov_b64 s[0:1], 0
	v_mov_b32_e32 v8, v51
	v_mov_b32_e32 v4, v0
                                        ; implicit-def: $sgpr12_sgpr13
	s_branch .LBB71_273
.LBB71_271:                             ;   in Loop: Header=BB71_273 Depth=2
	s_or_b64 exec, exec, s[62:63]
	s_waitcnt lgkmcnt(0)
	s_barrier
	ds_read_b32 v9, v3 offset:3072
	s_mov_b64 s[62:63], -1
	s_mov_b64 s[8:9], -1
	s_waitcnt lgkmcnt(0)
	s_barrier
	v_and_b32_e32 v10, 0x7fff, v9
	v_cmp_eq_u32_e32 vcc, 0, v10
	s_cbranch_vccnz .LBB71_276
.LBB71_272:                             ;   in Loop: Header=BB71_273 Depth=2
	s_and_b64 s[62:63], exec, s[62:63]
	s_or_b64 s[0:1], s[62:63], s[0:1]
	s_andn2_b64 s[12:13], s[12:13], exec
	s_and_b64 s[8:9], s[8:9], exec
	s_or_b64 s[12:13], s[12:13], s[8:9]
	s_andn2_b64 exec, exec, s[0:1]
	s_cbranch_execz .LBB71_277
.LBB71_273:                             ;   Parent Loop BB71_32 Depth=1
                                        ; =>  This Inner Loop Header: Depth=2
	v_cmp_gt_u64_e32 vcc, s[44:45], v[4:5]
	s_and_saveexec_b64 s[62:63], vcc
	s_cbranch_execz .LBB71_271
; %bb.274:                              ;   in Loop: Header=BB71_273 Depth=2
	ds_read_u16 v9, v8
	s_waitcnt lgkmcnt(0)
	v_cmp_lt_i16_e32 vcc, -1, v9
	v_cndmask_b32_e32 v10, v53, v54, vcc
	v_lshlrev_b32_e32 v11, 16, v9
	v_cmp_o_f32_e32 vcc, v11, v11
	v_xor_b32_sdwa v10, v10, v9 dst_sel:DWORD dst_unused:UNUSED_PAD src0_sel:DWORD src1_sel:WORD_0
	v_cndmask_b32_e32 v10, v53, v10, vcc
	v_and_b32_e32 v10, v10, v57
	v_cmp_eq_u32_e32 vcc, v10, v50
	s_and_b64 exec, exec, vcc
	s_cbranch_execz .LBB71_271
; %bb.275:                              ;   in Loop: Header=BB71_273 Depth=2
	v_perm_b32 v9, v9, s52, v56
	ds_write_b32 v3, v9 offset:3072
	s_branch .LBB71_271
.LBB71_276:                             ;   in Loop: Header=BB71_273 Depth=2
	v_add_co_u32_e32 v4, vcc, s33, v4
	v_addc_co_u32_e32 v5, vcc, 0, v5, vcc
	v_cmp_le_i64_e32 vcc, s[10:11], v[4:5]
	v_add_u32_e32 v8, s16, v8
	s_mov_b64 s[8:9], 0
	s_orn2_b64 s[62:63], vcc, exec
	s_branch .LBB71_272
.LBB71_277:                             ;   in Loop: Header=BB71_32 Depth=1
	s_or_b64 exec, exec, s[0:1]
	s_andn2_b64 s[0:1], s[60:61], exec
	s_and_b64 s[8:9], s[12:13], exec
	v_lshrrev_b32_e32 v58, 16, v9
	s_or_b64 s[60:61], s[0:1], s[8:9]
.LBB71_278:                             ;   in Loop: Header=BB71_32 Depth=1
	s_or_b64 exec, exec, s[2:3]
	s_mov_b64 s[12:13], 0
	s_mov_b64 s[10:11], -1
.LBB71_279:                             ;   in Loop: Header=BB71_32 Depth=1
	s_orn2_b64 s[0:1], s[60:61], exec
.LBB71_280:                             ;   in Loop: Header=BB71_32 Depth=1
	s_or_b64 exec, exec, s[36:37]
	s_mov_b64 s[2:3], 0
	s_and_saveexec_b64 s[36:37], s[0:1]
	v_readlane_b32 s44, v63, 37
	v_readlane_b32 s45, v63, 38
	s_cbranch_execz .LBB71_291
; %bb.281:                              ;   in Loop: Header=BB71_32 Depth=1
	v_readlane_b32 s0, v63, 39
	v_readlane_b32 s1, v63, 40
	v_mov_b32_e32 v4, 1
	s_xor_b64 s[0:1], s[0:1], -1
	v_mov_b32_e32 v5, 0
	v_mov_b32_e32 v2, 1
	s_and_saveexec_b64 s[2:3], s[0:1]
	s_cbranch_execz .LBB71_290
; %bb.282:                              ;   in Loop: Header=BB71_32 Depth=1
	v_cmp_ge_i64_e32 vcc, s[14:15], v[6:7]
	s_and_saveexec_b64 s[0:1], vcc
	s_xor_b64 s[0:1], exec, s[0:1]
	s_cbranch_execz .LBB71_287
; %bb.283:                              ;   in Loop: Header=BB71_32 Depth=1
	ds_read_b64 v[4:5], v3 offset:5120
	v_or_b32_e32 v50, s92, v50
	v_or_b32_e32 v57, s92, v57
	s_waitcnt lgkmcnt(0)
	v_cmp_ne_u64_e32 vcc, 0, v[4:5]
	s_cbranch_vccnz .LBB71_287
; %bb.284:                              ;   in Loop: Header=BB71_32 Depth=1
	s_and_saveexec_b64 s[8:9], s[64:65]
; %bb.285:                              ;   in Loop: Header=BB71_32 Depth=1
	v_mov_b32_e32 v4, s14
	v_mov_b32_e32 v5, s15
	ds_write_b64 v3, v[4:5] offset:5128
; %bb.286:                              ;   in Loop: Header=BB71_32 Depth=1
	s_or_b64 exec, exec, s[8:9]
	s_waitcnt lgkmcnt(0)
	s_barrier
.LBB71_287:                             ;   in Loop: Header=BB71_32 Depth=1
	s_andn2_saveexec_b64 s[0:1], s[0:1]
; %bb.288:                              ;   in Loop: Header=BB71_32 Depth=1
	v_mov_b32_e32 v2, s15
	v_subrev_co_u32_e32 v6, vcc, s14, v6
	v_subb_co_u32_e32 v7, vcc, v7, v2, vcc
; %bb.289:                              ;   in Loop: Header=BB71_32 Depth=1
	s_or_b64 exec, exec, s[0:1]
	v_mov_b32_e32 v4, v6
	v_readlane_b32 s44, v63, 37
	v_mov_b32_e32 v2, 8
	v_mov_b32_e32 v5, v7
	v_readlane_b32 s45, v63, 38
.LBB71_290:                             ;   in Loop: Header=BB71_32 Depth=1
	s_or_b64 exec, exec, s[2:3]
	v_mov_b32_e32 v7, v5
	s_mov_b64 s[2:3], exec
	v_mov_b32_e32 v6, v4
.LBB71_291:                             ;   in Loop: Header=BB71_32 Depth=1
	s_or_b64 exec, exec, s[36:37]
	s_orn2_b64 s[0:1], s[2:3], exec
.LBB71_292:                             ;   in Loop: Header=BB71_32 Depth=1
	s_or_b64 exec, exec, s[42:43]
	s_andn2_b64 s[2:3], s[94:95], exec
	s_and_b64 s[8:9], s[10:11], exec
	s_or_b64 s[94:95], s[2:3], s[8:9]
	s_andn2_b64 s[2:3], s[44:45], exec
	s_and_b64 s[8:9], s[12:13], exec
	v_mov_b32_e32 v4, v6
	s_or_b64 s[44:45], s[2:3], s[8:9]
	s_and_b64 s[2:3], s[0:1], exec
	v_mov_b32_e32 v5, v7
.LBB71_293:                             ;   in Loop: Header=BB71_32 Depth=1
	s_or_b64 exec, exec, s[40:41]
	s_orn2_b64 s[0:1], s[2:3], exec
.LBB71_294:                             ;   in Loop: Header=BB71_32 Depth=1
	s_or_b64 exec, exec, s[90:91]
	s_andn2_b64 s[2:3], s[86:87], exec
	s_and_b64 s[8:9], s[94:95], exec
	s_or_b64 s[86:87], s[2:3], s[8:9]
	s_andn2_b64 s[2:3], s[6:7], exec
	s_and_b64 s[6:7], s[44:45], exec
	v_mov_b32_e32 v9, v5
	s_or_b64 s[6:7], s[2:3], s[6:7]
	s_and_b64 s[2:3], s[0:1], exec
	v_mov_b32_e32 v8, v4
.LBB71_295:                             ;   in Loop: Header=BB71_32 Depth=1
	s_or_b64 exec, exec, s[88:89]
	s_orn2_b64 s[0:1], s[2:3], exec
.LBB71_296:                             ;   in Loop: Header=BB71_32 Depth=1
	s_or_b64 exec, exec, s[26:27]
	s_mov_b64 s[2:3], 0
	s_and_saveexec_b64 s[8:9], s[0:1]
	s_xor_b64 s[0:1], exec, s[8:9]
	s_cbranch_execz .LBB71_30
; %bb.297:                              ;   in Loop: Header=BB71_32 Depth=1
	v_and_b32_e32 v2, 7, v2
	v_cmp_eq_u32_e32 vcc, 0, v2
	s_mov_b64 s[10:11], -1
	s_mov_b64 s[2:3], -1
	s_and_saveexec_b64 s[12:13], vcc
	s_cbranch_execz .LBB71_29
; %bb.298:                              ;   in Loop: Header=BB71_32 Depth=1
	s_xor_b32 s69, s69, 1
	s_add_i32 s14, s53, -2
	s_cmp_eq_u32 s53, 0
	s_cselect_b64 s[8:9], -1, 0
	s_xor_b64 s[2:3], exec, -1
	s_orn2_b64 s[10:11], s[8:9], exec
	s_mov_b32 s53, s14
	s_branch .LBB71_29
.LBB71_299:                             ;   in Loop: Header=BB71_32 Depth=1
                                        ; implicit-def: $sgpr0_sgpr1
	s_branch .LBB71_268
.LBB71_300:
	s_or_b64 exec, exec, s[70:71]
	s_xor_b64 s[6:7], s[76:77], -1
	s_xor_b64 s[4:5], s[72:73], -1
	;; [unrolled: 1-line block ×3, first 2 shown]
	s_mov_b64 s[0:1], 0
	s_and_saveexec_b64 s[8:9], s[4:5]
	s_xor_b64 s[4:5], exec, s[8:9]
	s_cbranch_execnz .LBB71_305
; %bb.301:
	s_andn2_saveexec_b64 s[2:3], s[4:5]
	s_cbranch_execnz .LBB71_327
.LBB71_302:
	s_or_b64 exec, exec, s[2:3]
	s_and_saveexec_b64 s[2:3], s[0:1]
.LBB71_303:
	; divergent unreachable
.LBB71_304:
	s_endpgm
.LBB71_305:
	s_and_saveexec_b64 s[0:1], s[6:7]
	s_xor_b64 s[6:7], exec, s[0:1]
	s_cbranch_execz .LBB71_325
; %bb.306:
	s_and_saveexec_b64 s[0:1], s[2:3]
	s_xor_b64 s[0:1], exec, s[0:1]
; %bb.307:
	v_and_b32_e32 v2, 0x8000, v50
	v_mov_b32_e32 v3, 0x8000
	v_mov_b32_e32 v4, 0xffff
	v_cmp_eq_u32_e32 vcc, 0, v2
	v_cndmask_b32_e32 v2, v3, v4, vcc
	v_xor_b32_e32 v58, v2, v50
; %bb.308:
	s_or_b64 exec, exec, s[0:1]
	s_and_saveexec_b64 s[0:1], s[64:65]
; %bb.309:
	v_mov_b32_e32 v2, 0
	v_mov_b32_e32 v3, s24
	ds_write_b32 v2, v3 offset:5140
; %bb.310:
	s_or_b64 exec, exec, s[0:1]
	s_waitcnt lgkmcnt(0)
	s_barrier
	s_mov_b64 s[8:9], exec
	v_readlane_b32 s0, v63, 14
	v_readlane_b32 s1, v63, 15
	s_and_b64 s[0:1], s[8:9], s[0:1]
	s_mov_b64 exec, s[0:1]
	s_cbranch_execz .LBB71_322
; %bb.311:
	v_mov_b32_e32 v2, 0
	ds_read_b32 v4, v2 offset:5140
	v_lshlrev_b32_e32 v6, 16, v58
	v_cmp_u_f32_e32 vcc, v6, v6
	s_mov_b64 s[10:11], 0
	s_xor_b64 s[12:13], vcc, -1
	s_waitcnt lgkmcnt(0)
	v_ashrrev_i32_e32 v5, 31, v4
                                        ; implicit-def: $sgpr14_sgpr15
                                        ; implicit-def: $sgpr16_sgpr17
                                        ; implicit-def: $sgpr18_sgpr19
	s_branch .LBB71_314
.LBB71_312:                             ;   in Loop: Header=BB71_314 Depth=1
	s_or_b64 exec, exec, s[30:31]
	s_andn2_b64 s[2:3], s[18:19], exec
	s_and_b64 s[18:19], s[20:21], exec
	s_or_b64 s[18:19], s[2:3], s[18:19]
	s_andn2_b64 s[2:3], s[16:17], exec
	s_and_b64 s[16:17], s[26:27], exec
	s_or_b64 s[16:17], s[2:3], s[16:17]
.LBB71_313:                             ;   in Loop: Header=BB71_314 Depth=1
	s_or_b64 exec, exec, s[0:1]
	s_and_b64 s[0:1], exec, s[16:17]
	s_or_b64 s[10:11], s[0:1], s[10:11]
	s_andn2_b64 s[0:1], s[14:15], exec
	s_and_b64 s[2:3], s[18:19], exec
	s_or_b64 s[14:15], s[0:1], s[2:3]
	s_andn2_b64 exec, exec, s[10:11]
	s_cbranch_execz .LBB71_317
.LBB71_314:                             ; =>This Inner Loop Header: Depth=1
	v_mov_b32_e32 v3, v1
	v_mov_b32_e32 v2, v0
	v_cmp_lt_i64_e32 vcc, v[2:3], v[4:5]
	s_or_b64 s[18:19], s[18:19], exec
	s_or_b64 s[16:17], s[16:17], exec
                                        ; implicit-def: $vgpr0_vgpr1
	s_and_saveexec_b64 s[0:1], vcc
	s_cbranch_execz .LBB71_313
; %bb.315:                              ;   in Loop: Header=BB71_314 Depth=1
	global_load_ushort v0, v[12:13], off
	s_mov_b64 s[26:27], -1
	s_mov_b64 s[20:21], 0
	s_waitcnt vmcnt(0)
	v_lshlrev_b32_e32 v0, 16, v0
	v_cmp_o_f32_e64 s[2:3], v0, v0
	v_cmp_neq_f32_e32 vcc, v0, v6
	s_or_b64 s[2:3], s[12:13], s[2:3]
	s_and_b64 s[2:3], vcc, s[2:3]
                                        ; implicit-def: $vgpr0_vgpr1
	s_and_saveexec_b64 s[30:31], s[2:3]
	s_cbranch_execz .LBB71_312
; %bb.316:                              ;   in Loop: Header=BB71_314 Depth=1
	v_add_co_u32_e32 v0, vcc, s33, v2
	v_addc_co_u32_e32 v1, vcc, 0, v3, vcc
	v_cmp_le_i64_e32 vcc, s[24:25], v[0:1]
	v_mov_b32_e32 v3, s51
	v_add_co_u32_e64 v12, s[2:3], s50, v12
	s_mov_b64 s[20:21], exec
	v_addc_co_u32_e64 v13, s[2:3], v13, v3, s[2:3]
	s_orn2_b64 s[26:27], vcc, exec
	s_branch .LBB71_312
.LBB71_317:
	s_or_b64 exec, exec, s[10:11]
	s_xor_b64 s[0:1], s[14:15], -1
	s_and_saveexec_b64 s[2:3], s[0:1]
	s_xor_b64 s[2:3], exec, s[2:3]
	s_cbranch_execz .LBB71_322
; %bb.318:
	s_mov_b64 s[0:1], exec
	s_brev_b32 s2, -2
.LBB71_319:                             ; =>This Inner Loop Header: Depth=1
	s_ff1_i32_b64 s3, s[0:1]
	v_readlane_b32 s12, v2, s3
	s_lshl_b64 s[10:11], 1, s3
	s_min_i32 s2, s2, s12
	s_andn2_b64 s[0:1], s[0:1], s[10:11]
	s_cmp_lg_u64 s[0:1], 0
	s_cbranch_scc1 .LBB71_319
; %bb.320:
	v_mbcnt_lo_u32_b32 v0, exec_lo, 0
	v_mbcnt_hi_u32_b32 v0, exec_hi, v0
	v_cmp_eq_u32_e32 vcc, 0, v0
	s_and_saveexec_b64 s[0:1], vcc
	s_xor_b64 s[0:1], exec, s[0:1]
; %bb.321:
	v_mov_b32_e32 v0, 0
	v_mov_b32_e32 v1, s2
	ds_min_i32 v0, v1 offset:5140
.LBB71_322:
	s_or_b64 exec, exec, s[8:9]
	s_waitcnt lgkmcnt(0)
	s_barrier
	s_and_saveexec_b64 s[0:1], s[64:65]
	s_cbranch_execz .LBB71_324
; %bb.323:
	v_readlane_b32 s8, v63, 0
	v_readlane_b32 s9, v63, 1
	s_mul_i32 s2, s8, s29
	s_mul_hi_u32 s3, s8, s28
	s_add_i32 s2, s3, s2
	s_mul_i32 s3, s9, s28
	v_readlane_b32 s10, v63, 2
	s_add_i32 s3, s2, s3
	s_mul_i32 s2, s8, s28
	v_readlane_b32 s11, v63, 3
	s_mul_i32 s8, s10, s39
	s_mul_hi_u32 s9, s10, s38
	s_add_i32 s8, s9, s8
	s_mul_i32 s9, s11, s38
	s_add_i32 s9, s8, s9
	s_mul_i32 s8, s10, s38
	s_lshl_b64 s[2:3], s[2:3], 1
	v_readlane_b32 s10, v63, 4
	v_readlane_b32 s11, v63, 5
	s_add_u32 s10, s10, s2
	s_addc_u32 s11, s11, s3
	s_lshl_b64 s[2:3], s[22:23], 1
	v_mov_b32_e32 v2, 0
	s_add_u32 s2, s10, s2
	ds_read_b32 v0, v2 offset:5140
	s_addc_u32 s3, s11, s3
	s_lshl_b64 s[8:9], s[8:9], 3
	v_readlane_b32 s10, v63, 6
	v_readlane_b32 s11, v63, 7
	s_add_u32 s10, s10, s8
	s_addc_u32 s11, s11, s9
	s_lshl_b64 s[8:9], s[34:35], 3
	s_add_u32 s8, s10, s8
	s_addc_u32 s9, s11, s9
	s_waitcnt lgkmcnt(0)
	v_ashrrev_i32_e32 v1, 31, v0
	global_store_dwordx2 v2, v[0:1], s[8:9]
	global_store_short v2, v58, s[2:3]
.LBB71_324:
	s_or_b64 exec, exec, s[0:1]
.LBB71_325:
	s_or_saveexec_b64 s[0:1], s[6:7]
	s_mov_b64 s[2:3], 0
	s_xor_b64 exec, exec, s[0:1]
	s_cbranch_execnz .LBB71_328
.LBB71_326:
	s_or_b64 exec, exec, s[0:1]
	s_and_b64 s[0:1], s[2:3], exec
	s_andn2_saveexec_b64 s[2:3], s[4:5]
	s_cbranch_execz .LBB71_302
.LBB71_327:
	s_or_b64 s[0:1], s[0:1], exec
	s_trap 2
	s_or_b64 exec, exec, s[2:3]
	s_and_saveexec_b64 s[2:3], s[0:1]
	s_cbranch_execnz .LBB71_303
	s_branch .LBB71_304
.LBB71_328:
	s_mov_b64 s[2:3], exec
	s_trap 2
	s_branch .LBB71_326
	.section	.rodata,"a",@progbits
	.p2align	6, 0x0
	.amdhsa_kernel _ZN2at6native12_GLOBAL__N_114gatherKthValueIN3c108BFloat16ElLin1EEEvNS_4cuda6detail10TensorInfoIKT_T0_EESA_SA_SA_SA_NS7_IS8_SA_EENS7_IlSA_EE
		.amdhsa_group_segment_fixed_size 5144
		.amdhsa_private_segment_fixed_size 0
		.amdhsa_kernarg_size 1536
		.amdhsa_user_sgpr_count 6
		.amdhsa_user_sgpr_private_segment_buffer 1
		.amdhsa_user_sgpr_dispatch_ptr 0
		.amdhsa_user_sgpr_queue_ptr 0
		.amdhsa_user_sgpr_kernarg_segment_ptr 1
		.amdhsa_user_sgpr_dispatch_id 0
		.amdhsa_user_sgpr_flat_scratch_init 0
		.amdhsa_user_sgpr_private_segment_size 0
		.amdhsa_uses_dynamic_stack 0
		.amdhsa_system_sgpr_private_segment_wavefront_offset 0
		.amdhsa_system_sgpr_workgroup_id_x 1
		.amdhsa_system_sgpr_workgroup_id_y 1
		.amdhsa_system_sgpr_workgroup_id_z 1
		.amdhsa_system_sgpr_workgroup_info 0
		.amdhsa_system_vgpr_workitem_id 0
		.amdhsa_next_free_vgpr 64
		.amdhsa_next_free_sgpr 96
		.amdhsa_reserve_vcc 1
		.amdhsa_reserve_flat_scratch 0
		.amdhsa_float_round_mode_32 0
		.amdhsa_float_round_mode_16_64 0
		.amdhsa_float_denorm_mode_32 3
		.amdhsa_float_denorm_mode_16_64 3
		.amdhsa_dx10_clamp 1
		.amdhsa_ieee_mode 1
		.amdhsa_fp16_overflow 0
		.amdhsa_exception_fp_ieee_invalid_op 0
		.amdhsa_exception_fp_denorm_src 0
		.amdhsa_exception_fp_ieee_div_zero 0
		.amdhsa_exception_fp_ieee_overflow 0
		.amdhsa_exception_fp_ieee_underflow 0
		.amdhsa_exception_fp_ieee_inexact 0
		.amdhsa_exception_int_div_zero 0
	.end_amdhsa_kernel
	.section	.text._ZN2at6native12_GLOBAL__N_114gatherKthValueIN3c108BFloat16ElLin1EEEvNS_4cuda6detail10TensorInfoIKT_T0_EESA_SA_SA_SA_NS7_IS8_SA_EENS7_IlSA_EE,"axG",@progbits,_ZN2at6native12_GLOBAL__N_114gatherKthValueIN3c108BFloat16ElLin1EEEvNS_4cuda6detail10TensorInfoIKT_T0_EESA_SA_SA_SA_NS7_IS8_SA_EENS7_IlSA_EE,comdat
.Lfunc_end71:
	.size	_ZN2at6native12_GLOBAL__N_114gatherKthValueIN3c108BFloat16ElLin1EEEvNS_4cuda6detail10TensorInfoIKT_T0_EESA_SA_SA_SA_NS7_IS8_SA_EENS7_IlSA_EE, .Lfunc_end71-_ZN2at6native12_GLOBAL__N_114gatherKthValueIN3c108BFloat16ElLin1EEEvNS_4cuda6detail10TensorInfoIKT_T0_EESA_SA_SA_SA_NS7_IS8_SA_EENS7_IlSA_EE
                                        ; -- End function
	.set _ZN2at6native12_GLOBAL__N_114gatherKthValueIN3c108BFloat16ElLin1EEEvNS_4cuda6detail10TensorInfoIKT_T0_EESA_SA_SA_SA_NS7_IS8_SA_EENS7_IlSA_EE.num_vgpr, 64
	.set _ZN2at6native12_GLOBAL__N_114gatherKthValueIN3c108BFloat16ElLin1EEEvNS_4cuda6detail10TensorInfoIKT_T0_EESA_SA_SA_SA_NS7_IS8_SA_EENS7_IlSA_EE.num_agpr, 0
	.set _ZN2at6native12_GLOBAL__N_114gatherKthValueIN3c108BFloat16ElLin1EEEvNS_4cuda6detail10TensorInfoIKT_T0_EESA_SA_SA_SA_NS7_IS8_SA_EENS7_IlSA_EE.numbered_sgpr, 96
	.set _ZN2at6native12_GLOBAL__N_114gatherKthValueIN3c108BFloat16ElLin1EEEvNS_4cuda6detail10TensorInfoIKT_T0_EESA_SA_SA_SA_NS7_IS8_SA_EENS7_IlSA_EE.num_named_barrier, 0
	.set _ZN2at6native12_GLOBAL__N_114gatherKthValueIN3c108BFloat16ElLin1EEEvNS_4cuda6detail10TensorInfoIKT_T0_EESA_SA_SA_SA_NS7_IS8_SA_EENS7_IlSA_EE.private_seg_size, 0
	.set _ZN2at6native12_GLOBAL__N_114gatherKthValueIN3c108BFloat16ElLin1EEEvNS_4cuda6detail10TensorInfoIKT_T0_EESA_SA_SA_SA_NS7_IS8_SA_EENS7_IlSA_EE.uses_vcc, 1
	.set _ZN2at6native12_GLOBAL__N_114gatherKthValueIN3c108BFloat16ElLin1EEEvNS_4cuda6detail10TensorInfoIKT_T0_EESA_SA_SA_SA_NS7_IS8_SA_EENS7_IlSA_EE.uses_flat_scratch, 0
	.set _ZN2at6native12_GLOBAL__N_114gatherKthValueIN3c108BFloat16ElLin1EEEvNS_4cuda6detail10TensorInfoIKT_T0_EESA_SA_SA_SA_NS7_IS8_SA_EENS7_IlSA_EE.has_dyn_sized_stack, 0
	.set _ZN2at6native12_GLOBAL__N_114gatherKthValueIN3c108BFloat16ElLin1EEEvNS_4cuda6detail10TensorInfoIKT_T0_EESA_SA_SA_SA_NS7_IS8_SA_EENS7_IlSA_EE.has_recursion, 0
	.set _ZN2at6native12_GLOBAL__N_114gatherKthValueIN3c108BFloat16ElLin1EEEvNS_4cuda6detail10TensorInfoIKT_T0_EESA_SA_SA_SA_NS7_IS8_SA_EENS7_IlSA_EE.has_indirect_call, 0
	.section	.AMDGPU.csdata,"",@progbits
; Kernel info:
; codeLenInByte = 19396
; TotalNumSgprs: 100
; NumVgprs: 64
; ScratchSize: 0
; MemoryBound: 0
; FloatMode: 240
; IeeeMode: 1
; LDSByteSize: 5144 bytes/workgroup (compile time only)
; SGPRBlocks: 12
; VGPRBlocks: 15
; NumSGPRsForWavesPerEU: 100
; NumVGPRsForWavesPerEU: 64
; Occupancy: 4
; WaveLimiterHint : 1
; COMPUTE_PGM_RSRC2:SCRATCH_EN: 0
; COMPUTE_PGM_RSRC2:USER_SGPR: 6
; COMPUTE_PGM_RSRC2:TRAP_HANDLER: 0
; COMPUTE_PGM_RSRC2:TGID_X_EN: 1
; COMPUTE_PGM_RSRC2:TGID_Y_EN: 1
; COMPUTE_PGM_RSRC2:TGID_Z_EN: 1
; COMPUTE_PGM_RSRC2:TIDIG_COMP_CNT: 0
	.section	.text._ZN2at6native12_GLOBAL__N_112gatherMedianIhjLi1EEEvNS_4cuda6detail10TensorInfoIT_T0_EENS5_IlS7_EENS5_IKS6_S7_EES7_S7_S7_b,"axG",@progbits,_ZN2at6native12_GLOBAL__N_112gatherMedianIhjLi1EEEvNS_4cuda6detail10TensorInfoIT_T0_EENS5_IlS7_EENS5_IKS6_S7_EES7_S7_S7_b,comdat
	.globl	_ZN2at6native12_GLOBAL__N_112gatherMedianIhjLi1EEEvNS_4cuda6detail10TensorInfoIT_T0_EENS5_IlS7_EENS5_IKS6_S7_EES7_S7_S7_b ; -- Begin function _ZN2at6native12_GLOBAL__N_112gatherMedianIhjLi1EEEvNS_4cuda6detail10TensorInfoIT_T0_EENS5_IlS7_EENS5_IKS6_S7_EES7_S7_S7_b
	.p2align	8
	.type	_ZN2at6native12_GLOBAL__N_112gatherMedianIhjLi1EEEvNS_4cuda6detail10TensorInfoIT_T0_EENS5_IlS7_EENS5_IKS6_S7_EES7_S7_S7_b,@function
_ZN2at6native12_GLOBAL__N_112gatherMedianIhjLi1EEEvNS_4cuda6detail10TensorInfoIT_T0_EENS5_IlS7_EENS5_IKS6_S7_EES7_S7_S7_b: ; @_ZN2at6native12_GLOBAL__N_112gatherMedianIhjLi1EEEvNS_4cuda6detail10TensorInfoIT_T0_EENS5_IlS7_EENS5_IKS6_S7_EES7_S7_S7_b
; %bb.0:
	s_load_dwordx2 s[12:13], s[4:5], 0x298
	s_load_dwordx4 s[36:39], s[4:5], 0x288
	s_add_u32 s10, s4, 0x298
	s_addc_u32 s11, s5, 0
	s_waitcnt lgkmcnt(0)
	s_mul_i32 s0, s13, s8
	s_add_i32 s0, s0, s7
	s_mul_i32 s0, s0, s12
	s_add_i32 s18, s0, s6
	s_cmp_ge_u32 s18, s37
	s_cbranch_scc1 .LBB72_251
; %bb.1:
	v_cmp_eq_u32_e64 s[0:1], 0, v0
	s_and_saveexec_b64 s[2:3], s[0:1]
; %bb.2:
	v_mov_b32_e32 v1, 0
	v_mov_b32_e32 v2, v1
	ds_write_b64 v1, v[1:2] offset:4096
; %bb.3:
	s_or_b64 exec, exec, s[2:3]
	v_mov_b32_e32 v1, 0
	s_waitcnt lgkmcnt(0)
	s_barrier
	s_barrier
	ds_read_b64 v[1:2], v1 offset:4096
	s_load_dwordx2 s[2:3], s[4:5], 0x1b0
	s_bitcmp1_b32 s39, 0
	s_cselect_b64 s[16:17], -1, 0
	s_mov_b32 s7, s36
	s_waitcnt lgkmcnt(0)
	v_readfirstlane_b32 s8, v1
	v_readfirstlane_b32 s9, v2
	v_cmp_lt_i64_e64 s[14:15], s[8:9], 1
	s_or_b64 s[14:15], s[16:17], s[14:15]
	s_andn2_b64 vcc, exec, s[14:15]
	s_cbranch_vccnz .LBB72_5
; %bb.4:
	s_not_b64 s[8:9], s[8:9]
	s_add_u32 s7, s8, s36
	s_addc_u32 s9, s9, 0
	s_lshr_b32 s8, s9, 31
	s_add_u32 s8, s7, s8
	s_addc_u32 s9, s9, 0
	s_lshr_b64 s[8:9], s[8:9], 1
	s_add_i32 s7, s8, 1
.LBB72_5:
	s_load_dwordx2 s[8:9], s[4:5], 0xd8
                                        ; implicit-def: $vgpr52 : SGPR spill to VGPR lane
	s_waitcnt lgkmcnt(0)
	v_writelane_b32 v52, s8, 0
	v_writelane_b32 v52, s9, 1
	s_load_dword s13, s[4:5], 0x21c
	s_load_dwordx2 s[8:9], s[4:5], 0x0
	s_waitcnt lgkmcnt(0)
	v_writelane_b32 v52, s8, 2
	v_writelane_b32 v52, s9, 3
	s_and_saveexec_b64 s[8:9], s[0:1]
	s_cbranch_execz .LBB72_7
; %bb.6:
	v_mov_b32_e32 v1, 0
	v_mov_b32_e32 v2, s36
	ds_write_b32 v1, v1 offset:4112
	ds_write_b64 v1, v[1:2] offset:4104
.LBB72_7:
	s_or_b64 exec, exec, s[8:9]
	s_load_dword s8, s[4:5], 0x144
                                        ; kill: killed $sgpr4 killed $sgpr5
	s_waitcnt lgkmcnt(0)
	s_barrier
	s_mul_i32 s13, s13, s18
	v_writelane_b32 v52, s8, 4
	s_load_dword s8, s[4:5], 0x6c
	s_add_u32 s40, s2, s13
	s_load_dword s4, s[10:11], 0xc
	v_mbcnt_lo_u32_b32 v1, -1, 0
	s_addc_u32 s41, s3, 0
	s_waitcnt lgkmcnt(0)
	v_writelane_b32 v52, s8, 5
	v_writelane_b32 v52, s18, 6
	v_cmp_gt_u32_e64 s[2:3], s36, v0
	s_and_b32 s39, s4, 0xffff
	v_mbcnt_hi_u32_b32 v19, -1, v1
	v_writelane_b32 v52, s2, 7
	v_cmp_gt_u32_e32 vcc, 64, v0
	v_cmp_gt_i32_e64 s[8:9], 4, v19
	s_add_i32 s13, s39, -1
	v_writelane_b32 v52, s3, 8
	s_lshl_b32 s37, s39, 2
	s_bfe_u32 s2, s4, 0xa0006
	s_and_b64 s[44:45], vcc, s[8:9]
	s_add_i32 s20, s13, s36
	s_cmpk_gt_u32 s36, 0xc00
	v_lshlrev_b64 v[2:3], v19, -1
	s_cselect_b64 s[46:47], -1, 0
	s_cmp_gt_u32 s39, 63
	s_cselect_b64 s[48:49], -1, 0
	v_not_b32_e32 v23, v2
	v_lshrrev_b32_e32 v2, 2, v0
	s_cmp_lt_u32 s6, s12
	v_and_b32_e32 v2, 0xf0, v2
	s_cselect_b32 s3, 12, 18
	v_or_b32_e32 v24, 0xc00, v2
	s_add_u32 s8, s10, s3
	v_add_u32_e32 v2, 2, v0
	s_addc_u32 s9, s11, 0
	v_max_u32_e32 v2, s36, v2
	v_writelane_b32 v52, s8, 9
	v_xad_u32 v2, v0, -1, v2
	v_not_b32_e32 v22, v3
	v_writelane_b32 v52, s9, 10
	v_add_u32_e32 v3, -4, v2
	v_cmp_lt_u32_e64 s[8:9], 31, v2
	v_lshrrev_b32_e32 v4, 2, v3
	v_writelane_b32 v52, s8, 11
	v_add_u32_e32 v4, 1, v4
	v_writelane_b32 v52, s9, 12
	v_cmp_lt_u32_e64 s[10:11], 11, v3
	v_and_b32_e32 v5, 3, v4
	v_writelane_b32 v52, s10, 13
	v_writelane_b32 v52, s11, 14
	v_cmp_ne_u32_e64 s[10:11], 0, v5
	v_and_b32_e32 v25, -4, v2
	v_writelane_b32 v52, s10, 15
	v_writelane_b32 v52, s11, 16
	v_cmp_ne_u32_e64 s[10:11], v2, v25
	v_cvt_f32_u32_e32 v2, s37
	s_add_i32 s3, s2, -1
	s_bfe_u32 s6, s39, 0x30006
	s_and_b32 s3, s3, 0xffff
	v_rcp_iflag_f32_e32 v2, v2
	v_writelane_b32 v52, s10, 17
	s_cmp_gt_u32 s3, 6
	v_writelane_b32 v52, s11, 18
	s_cselect_b64 s[10:11], -1, 0
	v_mul_f32_e32 v2, 0x4f7ffffe, v2
	v_writelane_b32 v52, s10, 19
	s_and_b32 s9, s2, 0x3f8
	v_cvt_u32_f32_e32 v2, v2
	v_writelane_b32 v52, s11, 20
	s_cmp_lg_u32 s6, 0
	v_writelane_b32 v52, s6, 21
	s_cselect_b64 s[2:3], -1, 0
	v_writelane_b32 v52, s2, 22
	v_writelane_b32 v52, s3, 23
	v_readfirstlane_b32 s3, v2
	v_cvt_f32_u32_e32 v2, s39
	s_sub_i32 s2, 0, s37
	s_mul_i32 s2, s2, s3
	s_mul_hi_u32 s2, s3, s2
	s_add_i32 s2, s3, s2
	v_rcp_iflag_f32_e32 v2, v2
	s_mul_hi_u32 s3, s36, s2
	s_mul_i32 s3, s3, s37
	s_sub_i32 s3, s36, s3
	s_sub_i32 s6, s3, s37
	v_mul_f32_e32 v2, 0x4f7ffffe, v2
	s_cmp_ge_u32 s3, s37
	v_cvt_u32_f32_e32 v2, v2
	s_cselect_b32 s3, s6, s3
	s_sub_i32 s6, s3, s37
	s_cmp_ge_u32 s3, s37
	s_cselect_b32 s6, s6, s3
	s_sub_i32 s10, 0, s39
	v_readfirstlane_b32 s11, v2
	s_mul_i32 s10, s10, s11
	s_mul_hi_u32 s10, s11, s10
	s_add_i32 s51, s11, s10
	s_mul_hi_u32 s10, s20, s51
	s_mul_i32 s10, s10, s39
	s_sub_i32 s10, s20, s10
	s_sub_i32 s3, s36, s6
	;; [unrolled: 1-line block ×3, first 2 shown]
	s_cmp_ge_u32 s10, s39
	s_cselect_b32 s10, s11, s10
	v_lshlrev_b32_e32 v18, 2, v0
	s_sub_i32 s11, s10, s39
	s_cmp_ge_u32 s10, s39
	v_mul_lo_u32 v2, s38, v18
	s_cselect_b32 s10, s11, s10
	s_sub_i32 s52, s20, s10
	v_cmp_gt_u32_e64 s[10:11], s52, v0
	v_mul_lo_u32 v17, s38, v0
	v_writelane_b32 v52, s10, 24
	v_add_u32_e32 v30, s38, v2
	v_or_b32_e32 v2, 2, v18
	v_add_u32_e32 v28, s3, v0
	v_writelane_b32 v52, s11, 25
	v_mul_lo_u32 v31, s38, v2
	v_or_b32_e32 v2, 3, v18
	s_add_i32 s10, s39, s36
	v_mul_lo_u32 v3, v28, s38
	v_mul_lo_u32 v33, s38, v2
	v_add_u32_e32 v2, s10, v0
	v_subrev_u32_e32 v2, s6, v2
	v_mov_b32_e32 v1, s41
	v_add_co_u32_e32 v13, vcc, s40, v17
	v_mul_lo_u32 v35, s38, v2
	v_addc_co_u32_e32 v14, vcc, 0, v1, vcc
	v_lshlrev_b32_e32 v1, 2, v19
	v_and_b32_e32 v27, 0x7ffffffc, v4
	v_mov_b32_e32 v4, s41
	v_add_co_u32_e32 v15, vcc, s40, v3
	s_mul_i32 s33, s38, s39
	s_mov_b32 s50, 0
	v_cmp_eq_u32_e64 s[4:5], 0, v19
	v_cmp_gt_u32_e64 s[22:23], 2, v0
	v_mov_b32_e32 v20, 0
	v_and_b32_e32 v21, 0x100, v1
	v_add_u32_e32 v26, v0, v25
	s_mov_b32 s12, s38
	s_mov_b32 s14, s38
	;; [unrolled: 1-line block ×4, first 2 shown]
	v_cmp_gt_u32_e64 s[16:17], s3, v18
	v_cmp_gt_u32_e64 s[18:19], s36, v28
	v_addc_co_u32_e32 v16, vcc, 0, v4, vcc
	v_lshlrev_b32_e32 v29, 2, v5
	s_lshl_b32 s53, s33, 2
	v_lshlrev_b32_e32 v34, 2, v17
	v_or_b32_e32 v36, 0xc00, v1
	s_mov_b64 s[56:57], 0
	v_mov_b32_e32 v37, 6
	v_mov_b32_e32 v41, s7
	s_mov_b32 s54, 0xc0c0004
	v_mov_b32_e32 v38, 8
	v_mov_b32_e32 v40, 0
	;; [unrolled: 1-line block ×4, first 2 shown]
                                        ; implicit-def: $sgpr58_sgpr59
                                        ; implicit-def: $sgpr62_sgpr63
                                        ; implicit-def: $sgpr60_sgpr61
                                        ; implicit-def: $sgpr66_sgpr67
                                        ; implicit-def: $sgpr68_sgpr69
                                        ; implicit-def: $sgpr64_sgpr65
	s_branch .LBB72_11
.LBB72_8:                               ;   in Loop: Header=BB72_11 Depth=1
	s_or_b64 exec, exec, s[42:43]
	s_and_b64 s[70:71], s[34:35], exec
	s_andn2_b64 s[30:31], s[30:31], exec
	s_andn2_b64 s[28:29], s[28:29], exec
	s_orn2_b64 s[24:25], s[24:25], exec
.LBB72_9:                               ;   in Loop: Header=BB72_11 Depth=1
	s_or_b64 exec, exec, s[26:27]
	s_andn2_b64 s[20:21], s[64:65], exec
	s_and_b64 s[26:27], s[70:71], exec
	s_or_b64 s[64:65], s[20:21], s[26:27]
	s_andn2_b64 s[20:21], s[68:69], exec
	s_and_b64 s[26:27], s[30:31], exec
	s_or_b64 s[68:69], s[20:21], s[26:27]
	;; [unrolled: 3-line block ×3, first 2 shown]
	s_orn2_b64 s[24:25], s[24:25], exec
.LBB72_10:                              ;   in Loop: Header=BB72_11 Depth=1
	s_or_b64 exec, exec, s[6:7]
	s_and_b64 s[6:7], exec, s[24:25]
	s_or_b64 s[56:57], s[6:7], s[56:57]
	s_andn2_b64 s[6:7], s[60:61], exec
	s_and_b64 s[20:21], s[64:65], exec
	s_or_b64 s[60:61], s[6:7], s[20:21]
	s_andn2_b64 s[6:7], s[62:63], exec
	s_and_b64 s[20:21], s[68:69], exec
	;; [unrolled: 3-line block ×3, first 2 shown]
	s_or_b64 s[58:59], s[6:7], s[20:21]
	s_mov_b32 s50, s10
	v_mov_b32_e32 v41, v4
	s_andn2_b64 exec, exec, s[56:57]
	s_cbranch_execz .LBB72_247
.LBB72_11:                              ; =>This Loop Header: Depth=1
                                        ;     Child Loop BB72_16 Depth 2
                                        ;     Child Loop BB72_37 Depth 2
	;; [unrolled: 1-line block ×18, first 2 shown]
	ds_read_b64 v[1:2], v20 offset:4104
	s_waitcnt lgkmcnt(0)
	v_readfirstlane_b32 s34, v1
	s_cmp_lg_u32 s34, 0
	s_cbranch_scc1 .LBB72_56
; %bb.12:                               ;   in Loop: Header=BB72_11 Depth=1
	s_and_b64 vcc, exec, s[46:47]
	s_cbranch_vccz .LBB72_24
; %bb.13:                               ;   in Loop: Header=BB72_11 Depth=1
	s_movk_i32 s6, 0xc01
	v_cmp_gt_u32_e32 vcc, s6, v2
	s_mov_b64 s[24:25], 0
	s_mov_b64 s[6:7], 0
	s_cbranch_vccz .LBB72_25
; %bb.14:                               ;   in Loop: Header=BB72_11 Depth=1
	v_readlane_b32 s6, v52, 9
	v_readlane_b32 s7, v52, 10
	s_nop 4
	global_load_ushort v1, v20, s[6:7]
	global_load_ubyte v4, v[13:14], off
	s_mov_b64 s[26:27], 0
	v_mov_b32_e32 v5, v0
	s_waitcnt vmcnt(1)
	v_add_u32_e32 v2, v0, v1
	v_mul_lo_u32 v2, s38, v2
	v_mul_lo_u32 v3, s38, v1
	s_branch .LBB72_16
.LBB72_15:                              ;   in Loop: Header=BB72_16 Depth=2
	s_or_b64 exec, exec, s[6:7]
	v_add_u32_e32 v2, v2, v3
	v_mov_b32_e32 v4, v6
	s_andn2_b64 exec, exec, s[26:27]
	s_cbranch_execz .LBB72_31
.LBB72_16:                              ;   Parent Loop BB72_11 Depth=1
                                        ; =>  This Inner Loop Header: Depth=2
	v_add_u32_e32 v5, v5, v1
	v_cmp_gt_u32_e64 s[6:7], s36, v5
	v_cmp_le_u32_e32 vcc, s36, v5
	s_waitcnt lgkmcnt(0)
	v_mov_b32_e32 v7, 0
	v_mov_b32_e32 v6, 0
	s_and_saveexec_b64 s[10:11], s[6:7]
	s_cbranch_execz .LBB72_18
; %bb.17:                               ;   in Loop: Header=BB72_16 Depth=2
	global_load_ubyte v6, v2, s[40:41]
.LBB72_18:                              ;   in Loop: Header=BB72_16 Depth=2
	s_or_b64 exec, exec, s[10:11]
	s_waitcnt vmcnt(0)
	v_and_b32_e32 v8, v4, v39
	v_cmp_eq_u32_sdwa s[28:29], v8, v32 src0_sel:BYTE_0 src1_sel:DWORD
	s_cmp_lg_u64 s[28:29], 0
	s_cselect_b64 s[6:7], -1, 0
	s_and_b64 s[6:7], s[4:5], s[6:7]
	s_and_saveexec_b64 s[30:31], s[6:7]
	s_cbranch_execz .LBB72_22
; %bb.19:                               ;   in Loop: Header=BB72_16 Depth=2
	s_mov_b64 s[34:35], exec
	v_mbcnt_lo_u32_b32 v7, s34, 0
	v_mbcnt_hi_u32_b32 v7, s35, v7
	s_bcnt1_i32_b64 s20, s[28:29]
	v_cmp_eq_u32_e64 s[6:7], 0, v7
                                        ; implicit-def: $vgpr8
	s_and_saveexec_b64 s[10:11], s[6:7]
; %bb.20:                               ;   in Loop: Header=BB72_16 Depth=2
	s_bcnt1_i32_b64 s6, s[34:35]
	s_mul_i32 s6, s20, s6
	v_mov_b32_e32 v8, s6
	ds_add_rtn_u32 v8, v20, v8 offset:4112
; %bb.21:                               ;   in Loop: Header=BB72_16 Depth=2
	s_or_b64 exec, exec, s[10:11]
	s_waitcnt lgkmcnt(0)
	v_readfirstlane_b32 s6, v8
	v_mov_b32_e32 v8, s6
	v_mad_u32_u24 v7, s20, v7, v8
.LBB72_22:                              ;   in Loop: Header=BB72_16 Depth=2
	s_or_b64 exec, exec, s[30:31]
	ds_bpermute_b32 v7, v21, v7
	s_and_b64 s[6:7], exec, vcc
	s_or_b64 s[26:27], s[6:7], s[26:27]
	s_and_saveexec_b64 s[6:7], s[28:29]
	s_cbranch_execz .LBB72_15
; %bb.23:                               ;   in Loop: Header=BB72_16 Depth=2
	v_and_b32_e32 v9, s28, v23
	v_and_b32_e32 v8, s29, v22
	v_bcnt_u32_b32 v9, v9, 0
	v_bcnt_u32_b32 v8, v8, v9
	s_waitcnt lgkmcnt(0)
	v_add_u32_e32 v7, v7, v8
	ds_write_b8 v7, v4
	s_branch .LBB72_15
.LBB72_24:                              ;   in Loop: Header=BB72_11 Depth=1
	s_mov_b64 s[24:25], -1
	s_mov_b64 s[6:7], 0
.LBB72_25:                              ;   in Loop: Header=BB72_11 Depth=1
	s_and_b64 vcc, exec, s[24:25]
	s_cbranch_vccz .LBB72_54
.LBB72_26:                              ;   in Loop: Header=BB72_11 Depth=1
	s_mov_b64 s[24:25], exec
	v_readlane_b32 s6, v52, 7
	v_readlane_b32 s7, v52, 8
	s_and_b64 s[6:7], s[24:25], s[6:7]
	s_mov_b64 exec, s[6:7]
	s_cbranch_execz .LBB72_51
; %bb.27:                               ;   in Loop: Header=BB72_11 Depth=1
	v_readlane_b32 s6, v52, 9
	v_readlane_b32 s7, v52, 10
	s_nop 4
	global_load_ushort v1, v20, s[6:7]
	global_load_ubyte v43, v[13:14], off
	v_mov_b32_e32 v2, v0
	s_waitcnt vmcnt(1)
	v_readfirstlane_b32 s10, v1
	v_add_u32_e32 v1, v0, v1
	v_cmp_gt_u32_e32 vcc, s36, v1
	s_and_saveexec_b64 s[26:27], vcc
	s_cbranch_execz .LBB72_50
; %bb.28:                               ;   in Loop: Header=BB72_11 Depth=1
	v_readlane_b32 s28, v52, 11
	s_mov_b64 s[6:7], 0
	s_mul_i32 s11, s38, s10
	v_readlane_b32 s29, v52, 12
                                        ; implicit-def: $vgpr2
                                        ; implicit-def: $vgpr5
                                        ; implicit-def: $vgpr3
                                        ; implicit-def: $vgpr4
	s_and_saveexec_b64 s[20:21], s[28:29]
	s_xor_b64 s[28:29], exec, s[20:21]
	s_cbranch_execnz .LBB72_34
; %bb.29:                               ;   in Loop: Header=BB72_11 Depth=1
	s_andn2_saveexec_b64 s[28:29], s[28:29]
	s_cbranch_execnz .LBB72_45
.LBB72_30:                              ;   in Loop: Header=BB72_11 Depth=1
	s_or_b64 exec, exec, s[28:29]
	s_and_saveexec_b64 s[28:29], s[6:7]
	s_cbranch_execnz .LBB72_46
	s_branch .LBB72_49
.LBB72_31:                              ;   in Loop: Header=BB72_11 Depth=1
	s_or_b64 exec, exec, s[26:27]
	s_waitcnt lgkmcnt(0)
	s_barrier
	s_and_saveexec_b64 s[6:7], s[0:1]
	s_cbranch_execz .LBB72_33
; %bb.32:                               ;   in Loop: Header=BB72_11 Depth=1
	ds_read_b32 v1, v20 offset:4112
	s_waitcnt lgkmcnt(0)
	ds_write_b32 v20, v1 offset:4104
.LBB72_33:                              ;   in Loop: Header=BB72_11 Depth=1
	s_or_b64 exec, exec, s[6:7]
	s_waitcnt lgkmcnt(0)
	s_barrier
	s_mov_b64 s[6:7], -1
	s_and_b64 vcc, exec, s[24:25]
	s_cbranch_vccnz .LBB72_26
	s_branch .LBB72_54
.LBB72_34:                              ;   in Loop: Header=BB72_11 Depth=1
	v_cvt_f32_u32_e32 v2, s10
	s_sub_i32 s7, 0, s10
	v_add_u32_e32 v4, s10, v1
	v_max_u32_e32 v4, s36, v4
	v_rcp_iflag_f32_e32 v2, v2
	s_lshl_b32 s6, s10, 1
	v_sub_u32_e32 v4, v4, v0
	v_cmp_ne_u32_e32 vcc, s6, v4
	v_mul_f32_e32 v2, 0x4f7ffffe, v2
	v_cvt_u32_f32_e32 v2, v2
	v_cndmask_b32_e64 v5, 0, 1, vcc
	v_or_b32_e32 v5, s6, v5
	v_sub_u32_e32 v4, v4, v5
	v_mul_lo_u32 v3, s7, v2
	s_not_b32 s6, s11
	s_ashr_i32 s30, s6, 31
	s_abs_i32 s20, s11
	v_mul_hi_u32 v3, v2, v3
	s_cmp_eq_u32 s10, 1
	v_add_u32_e32 v2, v2, v3
	v_mul_hi_u32 v2, v4, v2
	v_mul_lo_u32 v3, s38, v1
	v_mul_lo_u32 v5, v2, s10
	v_add_u32_e32 v6, 1, v2
	v_xor_b32_e32 v3, s30, v3
	s_mov_b64 s[30:31], -1
	v_sub_u32_e32 v4, v4, v5
	v_cmp_le_u32_e64 s[6:7], s10, v4
	v_subrev_u32_e32 v5, s10, v4
	v_cndmask_b32_e64 v2, v2, v6, s[6:7]
	v_cndmask_b32_e64 v4, v4, v5, s[6:7]
	v_add_u32_e32 v5, 1, v2
	v_cmp_le_u32_e64 s[6:7], s10, v4
	v_cndmask_b32_e64 v2, v2, v5, s[6:7]
	v_addc_co_u32_e32 v2, vcc, 0, v2, vcc
	v_mul_hi_u32 v4, s20, v2
	v_mul_lo_u32 v2, s20, v2
	s_cselect_b64 s[20:21], -1, 0
	v_cmp_eq_u32_e32 vcc, 0, v4
	v_cmp_le_u32_e64 s[6:7], v2, v3
	s_and_b64 s[20:21], vcc, s[20:21]
	s_and_b64 s[20:21], s[20:21], s[6:7]
	v_mov_b32_e32 v3, v0
                                        ; implicit-def: $vgpr2
	s_and_saveexec_b64 s[6:7], s[20:21]
	s_cbranch_execz .LBB72_44
; %bb.35:                               ;   in Loop: Header=BB72_11 Depth=1
	v_add_u32_e32 v4, 3, v1
	v_add_u32_e32 v3, 2, v1
	;; [unrolled: 1-line block ×3, first 2 shown]
	v_mov_b32_e32 v8, v4
	s_waitcnt vmcnt(0)
	v_lshlrev_b32_e32 v44, 24, v43
	v_mov_b32_e32 v9, 0
	v_mov_b32_e32 v7, v3
	;; [unrolled: 1-line block ×4, first 2 shown]
                                        ; implicit-def: $vgpr43
	s_mov_b64 s[30:31], exec
	v_readlane_b32 s20, v52, 13
	v_readlane_b32 s21, v52, 14
	s_and_b64 s[20:21], s[30:31], s[20:21]
	s_mov_b64 exec, s[20:21]
	s_cbranch_execz .LBB72_39
; %bb.36:                               ;   in Loop: Header=BB72_11 Depth=1
	v_mov_b32_e32 v8, v4
	s_mov_b32 s34, 0
	s_mov_b64 s[70:71], 0
	v_mov_b32_e32 v42, v27
	v_mov_b32_e32 v7, v3
	;; [unrolled: 1-line block ×4, first 2 shown]
	s_mov_b32 s20, 0xc0c0007
.LBB72_37:                              ;   Parent Loop BB72_11 Depth=1
                                        ; =>  This Inner Loop Header: Depth=2
	v_mul_lo_u32 v2, v5, s12
	v_mul_lo_u32 v9, v6, s14
	v_mul_lo_u32 v11, v7, s15
	v_mov_b32_e32 v12, s41
	v_add_co_u32_e32 v2, vcc, s40, v2
	v_addc_co_u32_e32 v3, vcc, 0, v12, vcc
	v_mul_lo_u32 v4, v8, s8
	v_add_co_u32_e32 v9, vcc, s40, v9
	v_addc_co_u32_e32 v10, vcc, 0, v12, vcc
	v_add_co_u32_e32 v45, vcc, s40, v11
	v_addc_co_u32_e32 v46, vcc, 0, v12, vcc
	v_add_co_u32_e32 v47, vcc, s40, v4
	global_load_ubyte v4, v[45:46], off
	s_nop 0
	global_load_ubyte v9, v[9:10], off
	v_add_u32_e32 v10, 4, v7
	global_load_ubyte v2, v[2:3], off
	v_add_u32_e32 v3, 4, v6
	v_mul_lo_u32 v43, v10, s15
	v_mul_lo_u32 v10, v3, s14
	v_addc_co_u32_e32 v48, vcc, 0, v12, vcc
	v_add_u32_e32 v11, 4, v8
	v_mul_lo_u32 v45, v11, s8
	v_add_u32_e32 v42, -4, v42
	s_waitcnt vmcnt(1)
	v_perm_b32 v4, v9, v4, s54
	s_waitcnt vmcnt(0)
	v_perm_b32 v2, v44, v2, s20
	v_lshl_or_b32 v9, v4, 16, v2
	v_add_u32_e32 v2, 4, v5
	v_mul_lo_u32 v2, v2, s12
	v_add_u32_e32 v4, s34, v0
	s_add_i32 s34, s34, 16
	v_add_co_u32_e32 v2, vcc, s40, v2
	v_addc_co_u32_e32 v3, vcc, 0, v12, vcc
	v_add_co_u32_e32 v10, vcc, s40, v10
	v_addc_co_u32_e32 v11, vcc, 0, v12, vcc
	;; [unrolled: 2-line block ×3, first 2 shown]
	global_load_ubyte v47, v[47:48], off
	s_nop 0
	global_load_ubyte v2, v[2:3], off
	s_nop 0
	;; [unrolled: 2-line block ×3, first 2 shown]
	global_load_ubyte v10, v[10:11], off
	v_add_co_u32_e32 v45, vcc, s40, v45
	v_addc_co_u32_e32 v46, vcc, 0, v12, vcc
	v_add_u32_e32 v11, 8, v7
	v_add_u32_e32 v43, 8, v8
	v_mul_lo_u32 v51, v43, s8
	v_mul_lo_u32 v11, v11, s15
	s_waitcnt vmcnt(2)
	v_perm_b32 v2, v47, v2, s54
	s_waitcnt vmcnt(0)
	v_perm_b32 v3, v10, v3, s54
	v_lshl_or_b32 v10, v3, 16, v2
	v_add_u32_e32 v2, 8, v5
	v_mul_lo_u32 v2, v2, s12
	v_add_u32_e32 v3, 8, v6
	v_mul_lo_u32 v3, v3, s14
	v_add_co_u32_e32 v43, vcc, s40, v2
	v_addc_co_u32_e32 v44, vcc, 0, v12, vcc
	v_add_co_u32_e32 v47, vcc, s40, v3
	v_addc_co_u32_e32 v48, vcc, 0, v12, vcc
	v_add_co_u32_e32 v49, vcc, s40, v11
	global_load_ubyte v11, v[43:44], off
	s_nop 0
	global_load_ubyte v43, v[45:46], off
	v_addc_co_u32_e32 v50, vcc, 0, v12, vcc
	v_add_u32_e32 v46, 12, v8
	v_add_co_u32_e32 v2, vcc, s40, v51
	v_addc_co_u32_e32 v3, vcc, 0, v12, vcc
	v_add_u32_e32 v45, 12, v7
	v_add_u32_e32 v8, 16, v8
	;; [unrolled: 1-line block ×3, first 2 shown]
	s_waitcnt vmcnt(0)
	v_perm_b32 v11, v43, v11, s54
	global_load_ubyte v43, v[49:50], off
	global_load_ubyte v44, v[47:48], off
	v_mul_lo_u32 v50, v46, s8
	v_mul_lo_u32 v48, v45, s15
	s_waitcnt vmcnt(0)
	v_perm_b32 v43, v44, v43, s54
	v_lshl_or_b32 v11, v43, 16, v11
	v_add_u32_e32 v43, 12, v5
	v_mul_lo_u32 v43, v43, s12
	v_add_u32_e32 v44, 12, v6
	v_mul_lo_u32 v46, v44, s14
	v_add_u32_e32 v6, 16, v6
	v_add_co_u32_e32 v44, vcc, s40, v43
	v_addc_co_u32_e32 v45, vcc, 0, v12, vcc
	v_add_co_u32_e32 v46, vcc, s40, v46
	v_addc_co_u32_e32 v47, vcc, 0, v12, vcc
	;; [unrolled: 2-line block ×4, first 2 shown]
	global_load_ubyte v43, v[50:51], off
	global_load_ubyte v12, v[46:47], off
	s_nop 0
	global_load_ubyte v45, v[44:45], off
	v_cmp_eq_u32_e32 vcc, 0, v42
	global_load_ubyte v46, v[48:49], off
	v_add_u32_e32 v5, 16, v5
	global_load_ubyte v2, v[2:3], off
	s_or_b64 s[70:71], vcc, s[70:71]
	s_waitcnt vmcnt(2)
	v_perm_b32 v44, v45, v12, s54
	s_waitcnt vmcnt(1)
	v_perm_b32 v3, v12, v46, s54
	v_perm_b32 v47, v46, v43, s54
	s_waitcnt vmcnt(0)
	v_perm_b32 v2, v2, v45, s54
	v_lshl_or_b32 v12, v3, 16, v2
	v_lshl_or_b32 v44, v47, 16, v44
	ds_write_b128 v4, v[9:12]
	v_mov_b32_e32 v9, s34
	s_andn2_b64 exec, exec, s[70:71]
	s_cbranch_execnz .LBB72_37
; %bb.38:                               ;   in Loop: Header=BB72_11 Depth=1
	s_or_b64 exec, exec, s[70:71]
.LBB72_39:                              ;   in Loop: Header=BB72_11 Depth=1
	s_or_b64 exec, exec, s[30:31]
	s_mov_b64 s[30:31], exec
	v_readlane_b32 s20, v52, 15
	v_readlane_b32 s21, v52, 16
	s_and_b64 s[20:21], s[30:31], s[20:21]
	s_mov_b64 exec, s[20:21]
	s_cbranch_execz .LBB72_43
; %bb.40:                               ;   in Loop: Header=BB72_11 Depth=1
	v_add_u32_e32 v2, v0, v9
	s_mov_b64 s[70:71], 0
	v_mov_b32_e32 v3, v29
	s_mov_b32 s20, 0xc0c0007
.LBB72_41:                              ;   Parent Loop BB72_11 Depth=1
                                        ; =>  This Inner Loop Header: Depth=2
	v_mul_lo_u32 v9, v5, s12
	v_mul_lo_u32 v11, v6, s14
	v_mul_lo_u32 v42, v7, s15
	v_mov_b32_e32 v46, s41
	v_add_co_u32_e32 v9, vcc, s40, v9
	v_addc_co_u32_e32 v10, vcc, 0, v46, vcc
	v_mul_lo_u32 v4, v8, s8
	v_add_co_u32_e32 v11, vcc, s40, v11
	v_addc_co_u32_e32 v12, vcc, 0, v46, vcc
	v_add_co_u32_e32 v42, vcc, s40, v42
	v_addc_co_u32_e32 v43, vcc, 0, v46, vcc
	;; [unrolled: 2-line block ×3, first 2 shown]
	global_load_ubyte v4, v[11:12], off
	s_nop 0
	global_load_ubyte v11, v[42:43], off
	s_nop 0
	;; [unrolled: 2-line block ×3, first 2 shown]
	global_load_ubyte v9, v[9:10], off
	v_add_u32_e32 v3, -4, v3
	v_cmp_eq_u32_e32 vcc, 0, v3
	v_add_u32_e32 v8, 4, v8
	v_add_u32_e32 v7, 4, v7
	;; [unrolled: 1-line block ×4, first 2 shown]
	s_or_b64 s[70:71], vcc, s[70:71]
	s_waitcnt vmcnt(1)
	v_perm_b32 v12, v11, v43, s54
	s_waitcnt vmcnt(0)
	v_perm_b32 v10, v9, v4, s54
	v_perm_b32 v4, v4, v11, s54
	;; [unrolled: 1-line block ×3, first 2 shown]
	v_lshl_or_b32 v4, v4, 16, v9
	v_lshl_or_b32 v44, v12, 16, v10
	ds_write_b32 v2, v4
	v_add_u32_e32 v2, 4, v2
	s_andn2_b64 exec, exec, s[70:71]
	s_cbranch_execnz .LBB72_41
; %bb.42:                               ;   in Loop: Header=BB72_11 Depth=1
	s_or_b64 exec, exec, s[70:71]
.LBB72_43:                              ;   in Loop: Header=BB72_11 Depth=1
	s_or_b64 exec, exec, s[30:31]
	v_readlane_b32 s20, v52, 17
	v_add_u32_e32 v1, v1, v25
	v_readlane_b32 s21, v52, 18
	v_add_u32_e32 v2, -1, v1
	s_orn2_b64 s[30:31], s[20:21], exec
	v_mov_b32_e32 v3, v26
.LBB72_44:                              ;   in Loop: Header=BB72_11 Depth=1
	s_or_b64 exec, exec, s[6:7]
	v_mov_b32_e32 v4, s11
	s_and_b64 s[6:7], s[30:31], exec
	s_waitcnt vmcnt(0)
	v_mov_b32_e32 v5, v43
	s_andn2_saveexec_b64 s[28:29], s[28:29]
	s_cbranch_execz .LBB72_30
.LBB72_45:                              ;   in Loop: Header=BB72_11 Depth=1
	v_mov_b32_e32 v4, s11
	s_or_b64 s[6:7], s[6:7], exec
	s_waitcnt vmcnt(0)
	v_mov_b32_e32 v5, v43
	v_mov_b32_e32 v3, v0
	s_or_b64 exec, exec, s[28:29]
	s_and_saveexec_b64 s[28:29], s[6:7]
	s_cbranch_execz .LBB72_49
.LBB72_46:                              ;   in Loop: Header=BB72_11 Depth=1
	v_mul_lo_u32 v2, s38, v1
	s_sub_i32 s11, 0, s10
	s_mov_b64 s[6:7], 0
.LBB72_47:                              ;   Parent Loop BB72_11 Depth=1
                                        ; =>  This Inner Loop Header: Depth=2
	global_load_ubyte v43, v2, s[40:41]
	v_mov_b32_e32 v6, v1
	v_add_u32_e32 v1, s10, v6
	v_cmp_le_u32_e32 vcc, s36, v1
	ds_write_b8 v3, v5
	v_add_u32_e32 v2, v2, v4
	v_mov_b32_e32 v3, v6
	s_or_b64 s[6:7], vcc, s[6:7]
	s_waitcnt vmcnt(0)
	v_mov_b32_e32 v5, v43
	s_andn2_b64 exec, exec, s[6:7]
	s_cbranch_execnz .LBB72_47
; %bb.48:                               ;   in Loop: Header=BB72_11 Depth=1
	s_or_b64 exec, exec, s[6:7]
	v_add_u32_e32 v2, s11, v1
.LBB72_49:                              ;   in Loop: Header=BB72_11 Depth=1
	s_or_b64 exec, exec, s[28:29]
.LBB72_50:                              ;   in Loop: Header=BB72_11 Depth=1
	s_or_b64 exec, exec, s[26:27]
	s_waitcnt vmcnt(0)
	ds_write_b8 v2, v43
.LBB72_51:                              ;   in Loop: Header=BB72_11 Depth=1
	s_or_b64 exec, exec, s[24:25]
	s_waitcnt lgkmcnt(0)
	s_barrier
	s_and_saveexec_b64 s[6:7], s[0:1]
; %bb.52:                               ;   in Loop: Header=BB72_11 Depth=1
	v_mov_b32_e32 v1, s36
	ds_write_b32 v20, v1 offset:4104
; %bb.53:                               ;   in Loop: Header=BB72_11 Depth=1
	s_or_b64 exec, exec, s[6:7]
	s_mov_b64 s[6:7], -1
	s_waitcnt lgkmcnt(0)
	s_barrier
.LBB72_54:                              ;   in Loop: Header=BB72_11 Depth=1
	s_mov_b32 s34, 0
	s_and_b64 vcc, exec, s[6:7]
	s_cbranch_vccz .LBB72_56
; %bb.55:                               ;   in Loop: Header=BB72_11 Depth=1
	ds_read_b32 v1, v20 offset:4104
	s_waitcnt lgkmcnt(0)
	v_readfirstlane_b32 s34, v1
.LBB72_56:                              ;   in Loop: Header=BB72_11 Depth=1
	s_cmp_lt_i32 s34, 1
	s_mov_b64 s[6:7], -1
                                        ; implicit-def: $vgpr4
	s_cbranch_scc1 .LBB72_66
; %bb.57:                               ;   in Loop: Header=BB72_11 Depth=1
	s_and_b64 vcc, exec, s[6:7]
	s_cbranch_vccnz .LBB72_77
.LBB72_58:                              ;   in Loop: Header=BB72_11 Depth=1
	s_lshl_b32 s10, s50, 6
	s_and_saveexec_b64 s[6:7], s[4:5]
.LBB72_59:                              ;   in Loop: Header=BB72_11 Depth=1
	v_lshl_add_u32 v5, s10, 2, v24
	ds_write_b128 v5, v[1:4]
.LBB72_60:                              ;   in Loop: Header=BB72_11 Depth=1
	s_or_b64 exec, exec, s[6:7]
	s_waitcnt lgkmcnt(0)
	s_barrier
	s_and_saveexec_b64 s[6:7], s[44:45]
	s_cbranch_execz .LBB72_91
; %bb.61:                               ;   in Loop: Header=BB72_11 Depth=1
	s_andn2_b64 vcc, exec, s[48:49]
	v_mov_b32_e32 v1, 0
	s_cbranch_vccnz .LBB72_90
; %bb.62:                               ;   in Loop: Header=BB72_11 Depth=1
	v_readlane_b32 s20, v52, 19
	v_readlane_b32 s21, v52, 20
	s_andn2_b64 vcc, exec, s[20:21]
	s_cbranch_vccnz .LBB72_86
; %bb.63:                               ;   in Loop: Header=BB72_11 Depth=1
	v_lshl_add_u32 v2, s50, 8, v36
	s_mov_b32 s11, 0
	v_mov_b32_e32 v1, 0
.LBB72_64:                              ;   Parent Loop BB72_11 Depth=1
                                        ; =>  This Inner Loop Header: Depth=2
	ds_read2_b32 v[3:4], v2 offset1:4
	ds_read2_b32 v[5:6], v2 offset0:8 offset1:12
	ds_read2_b32 v[7:8], v2 offset0:16 offset1:20
	;; [unrolled: 1-line block ×3, first 2 shown]
	s_add_i32 s11, s11, 8
	s_waitcnt lgkmcnt(3)
	v_add3_u32 v1, v3, v1, v4
	s_waitcnt lgkmcnt(2)
	v_add3_u32 v1, v5, v1, v6
	;; [unrolled: 2-line block ×3, first 2 shown]
	v_add_u32_e32 v2, 0x80, v2
	s_cmp_eq_u32 s9, s11
	s_waitcnt lgkmcnt(0)
	v_add3_u32 v1, v9, v1, v10
	s_cbranch_scc0 .LBB72_64
; %bb.65:                               ;   in Loop: Header=BB72_11 Depth=1
	s_mov_b32 s11, s9
	s_branch .LBB72_87
.LBB72_66:                              ;   in Loop: Header=BB72_11 Depth=1
	v_mov_b32_e32 v1, 0
	v_mov_b32_e32 v2, 0
	;; [unrolled: 1-line block ×4, first 2 shown]
	s_and_saveexec_b64 s[30:31], s[16:17]
	s_cbranch_execz .LBB72_70
; %bb.67:                               ;   in Loop: Header=BB72_11 Depth=1
	s_mov_b32 s10, 0
	s_mov_b64 s[70:71], 0
	s_mov_b32 s11, 0
	s_mov_b32 s35, 0
	;; [unrolled: 1-line block ×4, first 2 shown]
	v_mov_b32_e32 v5, v18
.LBB72_68:                              ;   Parent Loop BB72_11 Depth=1
                                        ; =>  This Inner Loop Header: Depth=2
	v_add_u32_e32 v1, s10, v34
	global_load_ubyte v1, v1, s[40:41]
	v_add_u32_e32 v2, s10, v30
	global_load_ubyte v2, v2, s[40:41]
	;; [unrolled: 2-line block ×4, first 2 shown]
	v_add_u32_e32 v5, s37, v5
	s_add_i32 s10, s10, s53
	s_waitcnt vmcnt(3)
	v_and_b32_e32 v6, v39, v1
	v_bfe_u32 v1, v1, v37, 2
	v_cmp_eq_u32_e32 vcc, v6, v32
	s_waitcnt vmcnt(2)
	v_and_b32_e32 v6, v39, v2
	v_bfe_u32 v2, v2, v37, 2
	v_cmp_eq_u32_e64 s[28:29], 0, v1
	v_cmp_eq_u32_e64 s[6:7], v6, v32
	s_waitcnt vmcnt(1)
	v_and_b32_e32 v6, v39, v3
	v_bfe_u32 v3, v3, v37, 2
	s_and_b64 s[20:21], vcc, s[28:29]
	v_cmp_eq_u32_e64 s[28:29], 0, v2
	v_cmp_eq_u32_e64 s[24:25], v6, v32
	s_waitcnt vmcnt(0)
	v_and_b32_e32 v6, v39, v4
	v_bfe_u32 v4, v4, v37, 2
	s_and_b64 s[72:73], s[6:7], s[28:29]
	v_cmp_eq_u32_e64 s[28:29], 0, v3
	v_cmp_eq_u32_e64 s[26:27], v6, v32
	s_and_b64 s[74:75], s[24:25], s[28:29]
	v_cmp_eq_u32_e64 s[28:29], 0, v4
	v_cndmask_b32_e64 v6, 0, 1, s[20:21]
	s_and_b64 s[76:77], s[26:27], s[28:29]
	v_cmp_ne_u32_e64 s[28:29], 0, v6
	v_cndmask_b32_e64 v6, 0, 1, s[72:73]
	s_bcnt1_i32_b64 s20, s[28:29]
	v_cmp_ne_u32_e64 s[28:29], 0, v6
	v_cndmask_b32_e64 v6, 0, 1, s[74:75]
	s_bcnt1_i32_b64 s21, s[28:29]
	v_cmp_ne_u32_e64 s[28:29], 0, v6
	v_cndmask_b32_e64 v6, 0, 1, s[76:77]
	s_add_i32 s20, s43, s20
	s_bcnt1_i32_b64 s55, s[28:29]
	v_cmp_ne_u32_e64 s[28:29], 0, v6
	s_add_i32 s20, s20, s21
	s_bcnt1_i32_b64 s28, s[28:29]
	s_add_i32 s20, s20, s55
	s_add_i32 s43, s20, s28
	v_cmp_eq_u32_e64 s[28:29], 1, v1
	s_and_b64 s[20:21], vcc, s[28:29]
	v_cmp_eq_u32_e64 s[28:29], 1, v2
	s_and_b64 s[72:73], s[6:7], s[28:29]
	v_cmp_eq_u32_e64 s[28:29], 1, v3
	s_and_b64 s[74:75], s[24:25], s[28:29]
	v_cmp_eq_u32_e64 s[28:29], 1, v4
	v_cndmask_b32_e64 v6, 0, 1, s[20:21]
	s_and_b64 s[76:77], s[26:27], s[28:29]
	v_cmp_ne_u32_e64 s[28:29], 0, v6
	v_cndmask_b32_e64 v6, 0, 1, s[72:73]
	s_bcnt1_i32_b64 s20, s[28:29]
	v_cmp_ne_u32_e64 s[28:29], 0, v6
	v_cndmask_b32_e64 v6, 0, 1, s[74:75]
	s_bcnt1_i32_b64 s21, s[28:29]
	v_cmp_ne_u32_e64 s[28:29], 0, v6
	v_cndmask_b32_e64 v6, 0, 1, s[76:77]
	s_add_i32 s20, s42, s20
	s_bcnt1_i32_b64 s55, s[28:29]
	v_cmp_ne_u32_e64 s[28:29], 0, v6
	s_add_i32 s20, s20, s21
	s_bcnt1_i32_b64 s28, s[28:29]
	s_add_i32 s20, s20, s55
	s_add_i32 s42, s20, s28
	v_cmp_eq_u32_e64 s[28:29], 2, v1
	s_and_b64 s[20:21], vcc, s[28:29]
	v_cmp_eq_u32_e64 s[28:29], 2, v2
	s_and_b64 s[72:73], s[6:7], s[28:29]
	v_cmp_eq_u32_e64 s[28:29], 2, v3
	s_and_b64 s[74:75], s[24:25], s[28:29]
	v_cmp_eq_u32_e64 s[28:29], 2, v4
	v_cndmask_b32_e64 v6, 0, 1, s[20:21]
	s_and_b64 s[76:77], s[26:27], s[28:29]
	v_cmp_ne_u32_e64 s[28:29], 0, v6
	v_cndmask_b32_e64 v6, 0, 1, s[72:73]
	s_bcnt1_i32_b64 s20, s[28:29]
	v_cmp_ne_u32_e64 s[28:29], 0, v6
	v_cndmask_b32_e64 v6, 0, 1, s[74:75]
	s_bcnt1_i32_b64 s21, s[28:29]
	v_cmp_ne_u32_e64 s[28:29], 0, v6
	v_cndmask_b32_e64 v6, 0, 1, s[76:77]
	s_add_i32 s20, s35, s20
	s_bcnt1_i32_b64 s55, s[28:29]
	v_cmp_ne_u32_e64 s[28:29], 0, v6
	s_add_i32 s20, s20, s21
	s_bcnt1_i32_b64 s28, s[28:29]
	s_add_i32 s20, s20, s55
	s_add_i32 s35, s20, s28
	v_cmp_eq_u32_e64 s[28:29], 3, v1
	s_and_b64 s[20:21], vcc, s[28:29]
	v_cmp_eq_u32_e32 vcc, 3, v2
	s_and_b64 s[6:7], s[6:7], vcc
	v_cmp_eq_u32_e32 vcc, 3, v3
	s_and_b64 s[24:25], s[24:25], vcc
	v_cmp_eq_u32_e32 vcc, 3, v4
	v_cndmask_b32_e64 v1, 0, 1, s[20:21]
	s_and_b64 s[26:27], s[26:27], vcc
	v_cmp_ne_u32_e32 vcc, 0, v1
	v_cndmask_b32_e64 v1, 0, 1, s[6:7]
	s_bcnt1_i32_b64 s20, vcc
	v_cmp_ne_u32_e32 vcc, 0, v1
	v_cndmask_b32_e64 v1, 0, 1, s[24:25]
	s_bcnt1_i32_b64 s6, vcc
	v_cmp_ne_u32_e32 vcc, 0, v1
	v_cndmask_b32_e64 v1, 0, 1, s[26:27]
	s_add_i32 s11, s11, s20
	s_bcnt1_i32_b64 s7, vcc
	v_cmp_ne_u32_e32 vcc, 0, v1
	s_add_i32 s6, s11, s6
	s_bcnt1_i32_b64 s21, vcc
	s_add_i32 s6, s6, s7
	s_add_i32 s11, s6, s21
	v_cmp_le_u32_e32 vcc, s3, v5
	s_or_b64 s[70:71], vcc, s[70:71]
	v_mov_b32_e32 v1, s43
	v_mov_b32_e32 v2, s42
	;; [unrolled: 1-line block ×4, first 2 shown]
	s_andn2_b64 exec, exec, s[70:71]
	s_cbranch_execnz .LBB72_68
; %bb.69:                               ;   in Loop: Header=BB72_11 Depth=1
	s_or_b64 exec, exec, s[70:71]
.LBB72_70:                              ;   in Loop: Header=BB72_11 Depth=1
	s_or_b64 exec, exec, s[30:31]
	s_and_saveexec_b64 s[24:25], s[18:19]
	s_cbranch_execz .LBB72_76
; %bb.71:                               ;   in Loop: Header=BB72_11 Depth=1
	global_load_ubyte v8, v[15:16], off
	s_mov_b64 s[26:27], 0
	v_mov_b32_e32 v5, v35
	v_mov_b32_e32 v6, v28
	s_branch .LBB72_73
.LBB72_72:                              ;   in Loop: Header=BB72_73 Depth=2
	s_or_b64 exec, exec, s[10:11]
	s_waitcnt vmcnt(0)
	v_and_b32_e32 v8, 0xff, v8
	s_and_b64 s[6:7], exec, vcc
	v_and_b32_e32 v9, v39, v8
	v_bfe_u32 v8, v8, v37, 2
	s_or_b64 s[26:27], s[6:7], s[26:27]
	v_cmp_eq_u32_e32 vcc, v9, v32
	v_cmp_eq_u32_e64 s[6:7], 0, v8
	s_and_b64 s[6:7], vcc, s[6:7]
	v_cndmask_b32_e64 v9, 0, 1, s[6:7]
	v_cmp_ne_u32_e64 s[6:7], 0, v9
	s_bcnt1_i32_b64 s6, s[6:7]
	v_add_u32_e32 v1, s6, v1
	v_cmp_eq_u32_e64 s[6:7], 1, v8
	s_and_b64 s[6:7], vcc, s[6:7]
	v_cndmask_b32_e64 v9, 0, 1, s[6:7]
	v_cmp_ne_u32_e64 s[6:7], 0, v9
	s_bcnt1_i32_b64 s6, s[6:7]
	v_add_u32_e32 v2, s6, v2
	v_cmp_eq_u32_e64 s[6:7], 2, v8
	s_and_b64 s[6:7], vcc, s[6:7]
	v_cndmask_b32_e64 v9, 0, 1, s[6:7]
	v_cmp_ne_u32_e64 s[6:7], 0, v9
	s_bcnt1_i32_b64 s6, s[6:7]
	v_add_u32_e32 v3, s6, v3
	v_cmp_eq_u32_e64 s[6:7], 3, v8
	s_and_b64 s[6:7], vcc, s[6:7]
	v_cndmask_b32_e64 v8, 0, 1, s[6:7]
	v_cmp_ne_u32_e32 vcc, 0, v8
	s_bcnt1_i32_b64 s6, vcc
	v_add_u32_e32 v4, s6, v4
	v_add_u32_e32 v5, s33, v5
	v_mov_b32_e32 v8, v7
	s_andn2_b64 exec, exec, s[26:27]
	s_cbranch_execz .LBB72_75
.LBB72_73:                              ;   Parent Loop BB72_11 Depth=1
                                        ; =>  This Inner Loop Header: Depth=2
	v_add_u32_e32 v6, s39, v6
	v_cmp_gt_u32_e64 s[6:7], s36, v6
	v_cmp_le_u32_e32 vcc, s36, v6
	v_mov_b32_e32 v7, 0
	s_and_saveexec_b64 s[10:11], s[6:7]
	s_cbranch_execz .LBB72_72
; %bb.74:                               ;   in Loop: Header=BB72_73 Depth=2
	global_load_ubyte v7, v5, s[40:41]
	s_branch .LBB72_72
.LBB72_75:                              ;   in Loop: Header=BB72_11 Depth=1
	s_or_b64 exec, exec, s[26:27]
.LBB72_76:                              ;   in Loop: Header=BB72_11 Depth=1
	s_or_b64 exec, exec, s[24:25]
	s_branch .LBB72_58
.LBB72_77:                              ;   in Loop: Header=BB72_11 Depth=1
	s_mul_hi_u32 s6, s34, s2
	s_mul_i32 s6, s6, s37
	s_sub_i32 s6, s34, s6
	s_sub_i32 s7, s6, s37
	s_cmp_ge_u32 s6, s37
	s_cselect_b32 s6, s7, s6
	s_sub_i32 s7, s6, s37
	s_cmp_ge_u32 s6, s37
	s_cselect_b32 s6, s7, s6
	s_sub_i32 s10, s34, s6
	v_cmp_gt_u32_e32 vcc, s10, v18
	v_mov_b32_e32 v1, 0
	v_mov_b32_e32 v2, 0
	;; [unrolled: 1-line block ×4, first 2 shown]
	s_and_saveexec_b64 s[30:31], vcc
	s_cbranch_execz .LBB72_81
; %bb.78:                               ;   in Loop: Header=BB72_11 Depth=1
	s_mov_b32 s11, 0
	s_mov_b64 s[70:71], 0
	s_mov_b32 s35, 0
	s_mov_b32 s42, 0
	;; [unrolled: 1-line block ×3, first 2 shown]
	v_mov_b32_e32 v5, v18
.LBB72_79:                              ;   Parent Loop BB72_11 Depth=1
                                        ; =>  This Inner Loop Header: Depth=2
	ds_read_b32 v1, v5
	v_add_u32_e32 v5, s37, v5
	s_waitcnt lgkmcnt(0)
	v_and_b32_e32 v3, 0xff, v1
	v_bfe_u32 v4, v1, 8, 8
	v_and_b32_e32 v6, v39, v3
	v_bfe_u32 v3, v3, v37, 2
	v_lshrrev_b32_e32 v2, 24, v1
	v_bfe_u32 v1, v1, 16, 8
	v_cmp_eq_u32_e32 vcc, v6, v32
	v_and_b32_e32 v6, v39, v4
	v_bfe_u32 v4, v4, v37, 2
	v_cmp_eq_u32_e64 s[28:29], 0, v3
	v_cmp_eq_u32_e64 s[6:7], v6, v32
	v_and_b32_e32 v6, v39, v1
	v_bfe_u32 v1, v1, v37, 2
	s_and_b64 s[20:21], vcc, s[28:29]
	v_cmp_eq_u32_e64 s[28:29], 0, v4
	v_cmp_eq_u32_e64 s[24:25], v6, v32
	v_and_b32_e32 v6, v39, v2
	v_bfe_u32 v2, v2, v37, 2
	s_and_b64 s[72:73], s[6:7], s[28:29]
	v_cmp_eq_u32_e64 s[28:29], 0, v1
	v_cmp_eq_u32_e64 s[26:27], v6, v32
	s_and_b64 s[74:75], s[24:25], s[28:29]
	v_cmp_eq_u32_e64 s[28:29], 0, v2
	v_cndmask_b32_e64 v6, 0, 1, s[20:21]
	s_and_b64 s[76:77], s[26:27], s[28:29]
	v_cmp_ne_u32_e64 s[28:29], 0, v6
	v_cndmask_b32_e64 v6, 0, 1, s[72:73]
	s_bcnt1_i32_b64 s20, s[28:29]
	v_cmp_ne_u32_e64 s[28:29], 0, v6
	v_cndmask_b32_e64 v6, 0, 1, s[74:75]
	s_bcnt1_i32_b64 s21, s[28:29]
	v_cmp_ne_u32_e64 s[28:29], 0, v6
	v_cndmask_b32_e64 v6, 0, 1, s[76:77]
	s_add_i32 s20, s43, s20
	s_bcnt1_i32_b64 s55, s[28:29]
	v_cmp_ne_u32_e64 s[28:29], 0, v6
	s_add_i32 s20, s20, s21
	s_bcnt1_i32_b64 s28, s[28:29]
	s_add_i32 s20, s20, s55
	s_add_i32 s43, s20, s28
	v_cmp_eq_u32_e64 s[28:29], 1, v3
	s_and_b64 s[20:21], vcc, s[28:29]
	v_cmp_eq_u32_e64 s[28:29], 1, v4
	s_and_b64 s[72:73], s[6:7], s[28:29]
	v_cmp_eq_u32_e64 s[28:29], 1, v1
	s_and_b64 s[74:75], s[24:25], s[28:29]
	v_cmp_eq_u32_e64 s[28:29], 1, v2
	v_cndmask_b32_e64 v6, 0, 1, s[20:21]
	s_and_b64 s[76:77], s[26:27], s[28:29]
	v_cmp_ne_u32_e64 s[28:29], 0, v6
	v_cndmask_b32_e64 v6, 0, 1, s[72:73]
	s_bcnt1_i32_b64 s20, s[28:29]
	v_cmp_ne_u32_e64 s[28:29], 0, v6
	v_cndmask_b32_e64 v6, 0, 1, s[74:75]
	s_bcnt1_i32_b64 s21, s[28:29]
	v_cmp_ne_u32_e64 s[28:29], 0, v6
	v_cndmask_b32_e64 v6, 0, 1, s[76:77]
	s_add_i32 s20, s42, s20
	s_bcnt1_i32_b64 s55, s[28:29]
	v_cmp_ne_u32_e64 s[28:29], 0, v6
	s_add_i32 s20, s20, s21
	s_bcnt1_i32_b64 s28, s[28:29]
	s_add_i32 s20, s20, s55
	s_add_i32 s42, s20, s28
	v_cmp_eq_u32_e64 s[28:29], 2, v3
	s_and_b64 s[20:21], vcc, s[28:29]
	v_cmp_eq_u32_e64 s[28:29], 2, v4
	s_and_b64 s[72:73], s[6:7], s[28:29]
	v_cmp_eq_u32_e64 s[28:29], 2, v1
	s_and_b64 s[74:75], s[24:25], s[28:29]
	v_cmp_eq_u32_e64 s[28:29], 2, v2
	v_cndmask_b32_e64 v6, 0, 1, s[20:21]
	s_and_b64 s[76:77], s[26:27], s[28:29]
	v_cmp_ne_u32_e64 s[28:29], 0, v6
	v_cndmask_b32_e64 v6, 0, 1, s[72:73]
	s_bcnt1_i32_b64 s20, s[28:29]
	v_cmp_ne_u32_e64 s[28:29], 0, v6
	v_cndmask_b32_e64 v6, 0, 1, s[74:75]
	s_bcnt1_i32_b64 s21, s[28:29]
	v_cmp_ne_u32_e64 s[28:29], 0, v6
	v_cndmask_b32_e64 v6, 0, 1, s[76:77]
	s_add_i32 s20, s35, s20
	s_bcnt1_i32_b64 s55, s[28:29]
	v_cmp_ne_u32_e64 s[28:29], 0, v6
	s_add_i32 s20, s20, s21
	s_bcnt1_i32_b64 s28, s[28:29]
	s_add_i32 s20, s20, s55
	s_add_i32 s35, s20, s28
	v_cmp_eq_u32_e64 s[28:29], 3, v3
	s_and_b64 s[20:21], vcc, s[28:29]
	v_cmp_eq_u32_e32 vcc, 3, v4
	s_and_b64 s[6:7], s[6:7], vcc
	v_cmp_eq_u32_e32 vcc, 3, v1
	s_and_b64 s[24:25], s[24:25], vcc
	v_cmp_eq_u32_e32 vcc, 3, v2
	v_cndmask_b32_e64 v1, 0, 1, s[20:21]
	s_and_b64 s[26:27], s[26:27], vcc
	v_cmp_ne_u32_e32 vcc, 0, v1
	v_cndmask_b32_e64 v1, 0, 1, s[6:7]
	s_bcnt1_i32_b64 s20, vcc
	v_cmp_ne_u32_e32 vcc, 0, v1
	v_cndmask_b32_e64 v1, 0, 1, s[24:25]
	s_bcnt1_i32_b64 s6, vcc
	v_cmp_ne_u32_e32 vcc, 0, v1
	v_cndmask_b32_e64 v1, 0, 1, s[26:27]
	s_add_i32 s11, s11, s20
	s_bcnt1_i32_b64 s7, vcc
	v_cmp_ne_u32_e32 vcc, 0, v1
	s_add_i32 s6, s11, s6
	s_bcnt1_i32_b64 s21, vcc
	s_add_i32 s6, s6, s7
	s_add_i32 s11, s6, s21
	v_cmp_le_u32_e32 vcc, s10, v5
	s_or_b64 s[70:71], vcc, s[70:71]
	v_mov_b32_e32 v1, s43
	v_mov_b32_e32 v2, s42
	;; [unrolled: 1-line block ×4, first 2 shown]
	s_andn2_b64 exec, exec, s[70:71]
	s_cbranch_execnz .LBB72_79
; %bb.80:                               ;   in Loop: Header=BB72_11 Depth=1
	s_or_b64 exec, exec, s[70:71]
.LBB72_81:                              ;   in Loop: Header=BB72_11 Depth=1
	s_or_b64 exec, exec, s[30:31]
	v_add_u32_e32 v5, s10, v0
	v_cmp_gt_u32_e32 vcc, s34, v5
	s_and_saveexec_b64 s[70:71], vcc
	s_cbranch_execz .LBB72_85
; %bb.82:                               ;   in Loop: Header=BB72_11 Depth=1
	s_mov_b64 s[72:73], 0
.LBB72_83:                              ;   Parent Loop BB72_11 Depth=1
                                        ; =>  This Inner Loop Header: Depth=2
	ds_read_u8 v6, v5
	v_add_u32_e32 v5, s39, v5
	v_cmp_le_u32_e32 vcc, s34, v5
	s_waitcnt lgkmcnt(0)
	v_and_b32_e32 v7, v39, v6
	v_bfe_u32 v6, v6, v37, 2
	v_cmp_eq_u32_e64 s[6:7], v7, v32
	v_cmp_eq_u32_e64 s[24:25], 0, v6
	;; [unrolled: 1-line block ×3, first 2 shown]
	s_and_b64 s[10:11], s[6:7], s[24:25]
	v_cmp_eq_u32_e64 s[28:29], 2, v6
	v_cmp_eq_u32_e64 s[30:31], 3, v6
	v_cndmask_b32_e64 v6, 0, 1, s[10:11]
	s_and_b64 s[10:11], s[6:7], s[26:27]
	v_cndmask_b32_e64 v7, 0, 1, s[10:11]
	s_and_b64 s[10:11], s[6:7], s[28:29]
	s_and_b64 s[6:7], s[6:7], s[30:31]
	v_cndmask_b32_e64 v8, 0, 1, s[10:11]
	v_cndmask_b32_e64 v9, 0, 1, s[6:7]
	v_cmp_ne_u32_e64 s[6:7], 0, v6
	v_cmp_ne_u32_e64 s[24:25], 0, v7
	;; [unrolled: 1-line block ×4, first 2 shown]
	s_bcnt1_i32_b64 s6, s[6:7]
	s_bcnt1_i32_b64 s7, s[24:25]
	;; [unrolled: 1-line block ×4, first 2 shown]
	v_add_u32_e32 v1, s6, v1
	v_add_u32_e32 v2, s7, v2
	;; [unrolled: 1-line block ×3, first 2 shown]
	s_or_b64 s[72:73], vcc, s[72:73]
	v_add_u32_e32 v4, s11, v4
	s_andn2_b64 exec, exec, s[72:73]
	s_cbranch_execnz .LBB72_83
; %bb.84:                               ;   in Loop: Header=BB72_11 Depth=1
	s_or_b64 exec, exec, s[72:73]
.LBB72_85:                              ;   in Loop: Header=BB72_11 Depth=1
	s_or_b64 exec, exec, s[70:71]
	s_lshl_b32 s10, s50, 6
	s_and_saveexec_b64 s[6:7], s[4:5]
	s_cbranch_execnz .LBB72_59
	s_branch .LBB72_60
.LBB72_86:                              ;   in Loop: Header=BB72_11 Depth=1
	v_mov_b32_e32 v1, 0
	s_mov_b32 s11, 0
.LBB72_87:                              ;   in Loop: Header=BB72_11 Depth=1
	v_readlane_b32 s20, v52, 22
	v_readlane_b32 s21, v52, 23
	s_andn2_b64 vcc, exec, s[20:21]
	s_cbranch_vccnz .LBB72_90
; %bb.88:                               ;   in Loop: Header=BB72_11 Depth=1
	s_lshl_b32 s20, s50, 8
	s_lshl_b32 s11, s11, 4
	s_add_i32 s20, s20, s11
	v_add_u32_e32 v2, s20, v36
	v_readlane_b32 s11, v52, 21
.LBB72_89:                              ;   Parent Loop BB72_11 Depth=1
                                        ; =>  This Inner Loop Header: Depth=2
	ds_read_b32 v3, v2
	s_add_i32 s11, s11, -1
	v_add_u32_e32 v2, 16, v2
	s_cmp_lg_u32 s11, 0
	s_waitcnt lgkmcnt(0)
	v_add_u32_e32 v1, v3, v1
	s_cbranch_scc1 .LBB72_89
.LBB72_90:                              ;   in Loop: Header=BB72_11 Depth=1
	v_add_lshl_u32 v2, s10, v19, 2
	ds_write_b32 v2, v1 offset:3072
.LBB72_91:                              ;   in Loop: Header=BB72_11 Depth=1
	s_or_b64 exec, exec, s[6:7]
	s_lshl_b32 s6, s10, 2
	v_mov_b32_e32 v1, s6
	s_waitcnt lgkmcnt(0)
	s_barrier
	ds_read_b128 v[1:4], v1 offset:3072
	v_cmp_eq_u32_e32 vcc, 1, v41
	s_mov_b64 s[24:25], -1
	s_mov_b64 s[34:35], -1
                                        ; implicit-def: $sgpr30_sgpr31
                                        ; implicit-def: $sgpr28_sgpr29
	s_waitcnt lgkmcnt(0)
	v_readfirstlane_b32 s78, v1
	s_cmp_eq_u32 s78, 1
	v_lshlrev_b32_e64 v1, v37, 3
	s_cselect_b64 s[6:7], -1, 0
	v_readfirstlane_b32 s82, v2
	v_readfirstlane_b32 s90, v3
	;; [unrolled: 1-line block ×3, first 2 shown]
	v_not_b32_e32 v3, v1
	s_and_b64 s[26:27], s[6:7], vcc
	s_and_saveexec_b64 s[6:7], s[26:27]
	s_cbranch_execz .LBB72_117
; %bb.92:                               ;   in Loop: Header=BB72_11 Depth=1
	ds_read_b32 v2, v20 offset:4104
	s_waitcnt lgkmcnt(0)
	s_barrier
	v_readfirstlane_b32 s20, v2
	s_and_saveexec_b64 s[10:11], s[22:23]
; %bb.93:                               ;   in Loop: Header=BB72_11 Depth=1
	ds_write_b8 v0, v20 offset:3072
; %bb.94:                               ;   in Loop: Header=BB72_11 Depth=1
	s_or_b64 exec, exec, s[10:11]
	v_and_b32_e32 v32, v32, v3
	v_or_b32_e32 v39, v39, v1
	s_mov_b64 s[28:29], -1
	s_mov_b64 s[30:31], 0
	s_cmp_eq_u32 s20, 0
	s_mov_b64 s[70:71], 0
	s_mov_b64 s[72:73], -1
	s_waitcnt lgkmcnt(0)
	s_barrier
                                        ; implicit-def: $vgpr40
	s_cbranch_scc1 .LBB72_105
; %bb.95:                               ;   in Loop: Header=BB72_11 Depth=1
	s_add_i32 s10, s20, s13
	s_mul_hi_u32 s11, s10, s51
	s_mul_i32 s11, s11, s39
	s_sub_i32 s11, s10, s11
	s_sub_i32 s21, s11, s39
	s_cmp_ge_u32 s11, s39
	s_cselect_b32 s11, s21, s11
	s_sub_i32 s21, s11, s39
	s_cmp_ge_u32 s11, s39
	s_cselect_b32 s11, s21, s11
	s_sub_i32 s10, s10, s11
	v_cmp_gt_u32_e32 vcc, s10, v0
	s_mov_b64 s[72:73], 0
                                        ; implicit-def: $vgpr40
	s_and_saveexec_b64 s[74:75], vcc
	s_cbranch_execz .LBB72_104
; %bb.96:                               ;   in Loop: Header=BB72_11 Depth=1
	v_mov_b32_e32 v2, v0
                                        ; implicit-def: $sgpr34_sgpr35
	s_branch .LBB72_99
.LBB72_97:                              ;   in Loop: Header=BB72_99 Depth=2
	s_or_b64 exec, exec, s[42:43]
	s_waitcnt lgkmcnt(0)
	s_barrier
	ds_read_u16 v4, v20 offset:3072
	s_mov_b64 s[42:43], -1
	s_waitcnt lgkmcnt(0)
	s_barrier
	v_cmp_ne_u32_sdwa s[76:77], v4, v20 src0_sel:BYTE_0 src1_sel:DWORD
	s_and_b64 vcc, exec, s[76:77]
	s_mov_b64 s[76:77], -1
	s_cbranch_vccz .LBB72_102
.LBB72_98:                              ;   in Loop: Header=BB72_99 Depth=2
	s_and_b64 s[42:43], exec, s[42:43]
	s_or_b64 s[70:71], s[42:43], s[70:71]
	s_andn2_b64 s[34:35], s[34:35], exec
	s_and_b64 s[42:43], s[76:77], exec
	s_or_b64 s[34:35], s[34:35], s[42:43]
	s_andn2_b64 exec, exec, s[70:71]
	s_cbranch_execz .LBB72_103
.LBB72_99:                              ;   Parent Loop BB72_11 Depth=1
                                        ; =>  This Inner Loop Header: Depth=2
	v_cmp_gt_u32_e32 vcc, s20, v2
	s_and_saveexec_b64 s[42:43], vcc
	s_cbranch_execz .LBB72_97
; %bb.100:                              ;   in Loop: Header=BB72_99 Depth=2
	ds_read_u8 v4, v2
	s_waitcnt lgkmcnt(0)
	v_and_b32_e32 v5, v4, v39
	v_cmp_eq_u32_sdwa s[76:77], v5, v32 src0_sel:BYTE_0 src1_sel:DWORD
	s_and_b64 exec, exec, s[76:77]
	s_cbranch_execz .LBB72_97
; %bb.101:                              ;   in Loop: Header=BB72_99 Depth=2
	v_lshlrev_b16_e32 v4, 8, v4
	v_or_b32_e32 v4, 1, v4
	ds_write_b16 v20, v4 offset:3072
	s_branch .LBB72_97
.LBB72_102:                             ;   in Loop: Header=BB72_99 Depth=2
	v_add_u32_e32 v2, s39, v2
	v_cmp_le_u32_e32 vcc, s10, v2
	s_mov_b64 s[76:77], 0
	s_orn2_b64 s[42:43], vcc, exec
	s_branch .LBB72_98
.LBB72_103:                             ;   in Loop: Header=BB72_11 Depth=1
	s_or_b64 exec, exec, s[70:71]
	v_lshrrev_b32_sdwa v40, v38, v4 dst_sel:DWORD dst_unused:UNUSED_PAD src0_sel:DWORD src1_sel:WORD_0
	s_and_b64 s[70:71], s[34:35], exec
.LBB72_104:                             ;   in Loop: Header=BB72_11 Depth=1
	s_or_b64 exec, exec, s[74:75]
.LBB72_105:                             ;   in Loop: Header=BB72_11 Depth=1
	s_and_b64 vcc, exec, s[72:73]
	s_cbranch_vccz .LBB72_116
; %bb.106:                              ;   in Loop: Header=BB72_11 Depth=1
                                        ; implicit-def: $vgpr40
	s_mov_b64 s[28:29], exec
	v_readlane_b32 s10, v52, 24
	v_readlane_b32 s11, v52, 25
	s_and_b64 s[10:11], s[28:29], s[10:11]
	s_mov_b64 exec, s[10:11]
	s_cbranch_execz .LBB72_115
; %bb.107:                              ;   in Loop: Header=BB72_11 Depth=1
	s_mov_b64 s[30:31], 0
	v_mov_b32_e32 v2, v17
	v_mov_b32_e32 v4, v0
                                        ; implicit-def: $sgpr72_sgpr73
	s_branch .LBB72_110
.LBB72_108:                             ;   in Loop: Header=BB72_110 Depth=2
	s_or_b64 exec, exec, s[34:35]
	s_waitcnt lgkmcnt(0)
	s_barrier
	ds_read_u16 v5, v20 offset:3072
	s_mov_b64 s[34:35], -1
	s_mov_b64 s[42:43], -1
	s_waitcnt lgkmcnt(0)
	s_barrier
	v_cmp_ne_u32_sdwa s[10:11], v5, v20 src0_sel:BYTE_0 src1_sel:DWORD
	s_and_b64 vcc, exec, s[10:11]
	s_cbranch_vccz .LBB72_113
.LBB72_109:                             ;   in Loop: Header=BB72_110 Depth=2
	s_and_b64 s[10:11], exec, s[34:35]
	s_or_b64 s[30:31], s[10:11], s[30:31]
	s_andn2_b64 s[10:11], s[72:73], exec
	s_and_b64 s[20:21], s[42:43], exec
	s_or_b64 s[72:73], s[10:11], s[20:21]
	s_andn2_b64 exec, exec, s[30:31]
	s_cbranch_execz .LBB72_114
.LBB72_110:                             ;   Parent Loop BB72_11 Depth=1
                                        ; =>  This Inner Loop Header: Depth=2
	v_cmp_gt_u32_e32 vcc, s36, v4
	s_and_saveexec_b64 s[34:35], vcc
	s_cbranch_execz .LBB72_108
; %bb.111:                              ;   in Loop: Header=BB72_110 Depth=2
	global_load_ubyte v5, v2, s[40:41]
	s_waitcnt vmcnt(0)
	v_and_b32_e32 v6, v5, v39
	v_cmp_eq_u32_sdwa s[10:11], v6, v32 src0_sel:BYTE_0 src1_sel:DWORD
	s_and_b64 exec, exec, s[10:11]
	s_cbranch_execz .LBB72_108
; %bb.112:                              ;   in Loop: Header=BB72_110 Depth=2
	v_lshlrev_b16_e32 v5, 8, v5
	v_or_b32_e32 v5, 1, v5
	ds_write_b16 v20, v5 offset:3072
	s_branch .LBB72_108
.LBB72_113:                             ;   in Loop: Header=BB72_110 Depth=2
	v_add_u32_e32 v4, s39, v4
	v_cmp_le_u32_e32 vcc, s52, v4
	v_add_u32_e32 v2, s33, v2
	s_mov_b64 s[42:43], 0
	s_orn2_b64 s[34:35], vcc, exec
	s_branch .LBB72_109
.LBB72_114:                             ;   in Loop: Header=BB72_11 Depth=1
	s_or_b64 exec, exec, s[30:31]
	s_andn2_b64 s[10:11], s[70:71], exec
	s_and_b64 s[20:21], s[72:73], exec
	v_lshrrev_b32_sdwa v40, v38, v5 dst_sel:DWORD dst_unused:UNUSED_PAD src0_sel:DWORD src1_sel:WORD_0
	s_or_b64 s[70:71], s[10:11], s[20:21]
.LBB72_115:                             ;   in Loop: Header=BB72_11 Depth=1
	s_or_b64 exec, exec, s[28:29]
	s_mov_b64 s[28:29], 0
	s_mov_b64 s[30:31], -1
.LBB72_116:                             ;   in Loop: Header=BB72_11 Depth=1
	s_orn2_b64 s[34:35], s[70:71], exec
.LBB72_117:                             ;   in Loop: Header=BB72_11 Depth=1
	s_or_b64 exec, exec, s[6:7]
	s_andn2_b64 s[6:7], s[68:69], exec
	s_and_b64 s[20:21], s[30:31], exec
	s_or_b64 s[68:69], s[6:7], s[20:21]
	s_andn2_b64 s[6:7], s[66:67], exec
	s_and_b64 s[20:21], s[28:29], exec
	v_readfirstlane_b32 s10, v0
	s_andn2_b64 s[64:65], s[64:65], exec
	s_or_b64 s[66:67], s[6:7], s[20:21]
                                        ; implicit-def: $vgpr4
	s_and_saveexec_b64 s[6:7], s[34:35]
	s_cbranch_execz .LBB72_10
; %bb.118:                              ;   in Loop: Header=BB72_11 Depth=1
	s_xor_b64 s[10:11], s[26:27], -1
	s_mov_b64 s[26:27], 0
	v_mov_b32_e32 v4, 1
	v_mov_b32_e32 v2, 1
	s_and_saveexec_b64 s[24:25], s[10:11]
	s_cbranch_execz .LBB72_127
; %bb.119:                              ;   in Loop: Header=BB72_11 Depth=1
	v_cmp_ge_u32_e32 vcc, s78, v41
	s_and_saveexec_b64 s[10:11], vcc
	s_xor_b64 s[26:27], exec, s[10:11]
	s_cbranch_execz .LBB72_124
; %bb.120:                              ;   in Loop: Header=BB72_11 Depth=1
	ds_read_b32 v2, v20 offset:4104
	v_and_b32_e32 v32, v32, v3
	v_or_b32_e32 v39, v39, v1
	s_waitcnt lgkmcnt(0)
	v_cmp_ne_u32_e32 vcc, 0, v2
	s_cbranch_vccnz .LBB72_124
; %bb.121:                              ;   in Loop: Header=BB72_11 Depth=1
	s_and_saveexec_b64 s[10:11], s[0:1]
; %bb.122:                              ;   in Loop: Header=BB72_11 Depth=1
	v_mov_b32_e32 v2, s78
	ds_write_b32 v20, v2 offset:4108
; %bb.123:                              ;   in Loop: Header=BB72_11 Depth=1
	s_or_b64 exec, exec, s[10:11]
	s_waitcnt lgkmcnt(0)
	s_barrier
.LBB72_124:                             ;   in Loop: Header=BB72_11 Depth=1
	s_or_saveexec_b64 s[26:27], s[26:27]
	s_mov_b64 s[28:29], 0
	v_mov_b32_e32 v2, 8
	s_xor_b64 exec, exec, s[26:27]
; %bb.125:                              ;   in Loop: Header=BB72_11 Depth=1
	s_mov_b64 s[28:29], exec
	v_subrev_u32_e32 v41, s78, v41
	v_mov_b32_e32 v2, 0
; %bb.126:                              ;   in Loop: Header=BB72_11 Depth=1
	s_or_b64 exec, exec, s[26:27]
	s_and_b64 s[26:27], s[28:29], exec
	v_mov_b32_e32 v4, v41
.LBB72_127:                             ;   in Loop: Header=BB72_11 Depth=1
	s_or_b64 exec, exec, s[24:25]
	s_mov_b64 s[24:25], -1
	s_mov_b64 s[34:35], -1
                                        ; implicit-def: $sgpr28_sgpr29
                                        ; implicit-def: $sgpr30_sgpr31
	s_and_saveexec_b64 s[10:11], s[26:27]
	s_xor_b64 s[26:27], exec, s[10:11]
	s_cbranch_execz .LBB72_244
; %bb.128:                              ;   in Loop: Header=BB72_11 Depth=1
	s_cmp_eq_u32 s82, 1
	s_cselect_b64 s[10:11], -1, 0
	v_cmp_eq_u32_e32 vcc, 1, v4
	s_and_b64 s[72:73], s[10:11], vcc
                                        ; implicit-def: $sgpr30_sgpr31
                                        ; implicit-def: $sgpr28_sgpr29
	s_and_saveexec_b64 s[70:71], s[72:73]
	s_cbranch_execz .LBB72_154
; %bb.129:                              ;   in Loop: Header=BB72_11 Depth=1
	ds_read_b32 v5, v20 offset:4104
	s_waitcnt lgkmcnt(0)
	s_barrier
	v_readfirstlane_b32 s83, v5
	s_and_saveexec_b64 s[10:11], s[22:23]
; %bb.130:                              ;   in Loop: Header=BB72_11 Depth=1
	ds_write_b8 v0, v20 offset:3072
; %bb.131:                              ;   in Loop: Header=BB72_11 Depth=1
	s_or_b64 exec, exec, s[10:11]
	v_and_b32_e32 v5, v32, v3
	v_lshl_or_b32 v32, 1, v37, v5
	v_or_b32_e32 v39, v39, v1
	s_mov_b64 s[28:29], -1
	s_mov_b64 s[30:31], 0
	s_cmp_eq_u32 s83, 0
	s_mov_b64 s[74:75], 0
	s_mov_b64 s[76:77], -1
	s_waitcnt lgkmcnt(0)
	s_barrier
                                        ; implicit-def: $vgpr40
	s_cbranch_scc1 .LBB72_142
; %bb.132:                              ;   in Loop: Header=BB72_11 Depth=1
	s_add_i32 s10, s83, s13
	s_mul_hi_u32 s11, s10, s51
	s_mul_i32 s11, s11, s39
	s_sub_i32 s11, s10, s11
	s_sub_i32 s20, s11, s39
	s_cmp_ge_u32 s11, s39
	s_cselect_b32 s11, s20, s11
	s_sub_i32 s20, s11, s39
	s_cmp_ge_u32 s11, s39
	s_cselect_b32 s11, s20, s11
	s_sub_i32 s10, s10, s11
	v_cmp_gt_u32_e32 vcc, s10, v0
	s_mov_b64 s[76:77], 0
                                        ; implicit-def: $vgpr40
	s_and_saveexec_b64 s[78:79], vcc
	s_cbranch_execz .LBB72_141
; %bb.133:                              ;   in Loop: Header=BB72_11 Depth=1
	v_mov_b32_e32 v5, v0
                                        ; implicit-def: $sgpr80_sgpr81
	s_branch .LBB72_136
.LBB72_134:                             ;   in Loop: Header=BB72_136 Depth=2
	s_or_b64 exec, exec, s[34:35]
	s_waitcnt lgkmcnt(0)
	s_barrier
	ds_read_u16 v6, v20 offset:3072
	s_mov_b64 s[34:35], -1
	s_mov_b64 s[42:43], -1
	s_waitcnt lgkmcnt(0)
	s_barrier
	v_cmp_ne_u32_sdwa s[20:21], v6, v20 src0_sel:BYTE_0 src1_sel:DWORD
	s_and_b64 vcc, exec, s[20:21]
	s_cbranch_vccz .LBB72_139
.LBB72_135:                             ;   in Loop: Header=BB72_136 Depth=2
	s_and_b64 s[20:21], exec, s[34:35]
	s_or_b64 s[74:75], s[20:21], s[74:75]
	s_andn2_b64 s[20:21], s[80:81], exec
	s_and_b64 s[34:35], s[42:43], exec
	s_or_b64 s[80:81], s[20:21], s[34:35]
	s_andn2_b64 exec, exec, s[74:75]
	s_cbranch_execz .LBB72_140
.LBB72_136:                             ;   Parent Loop BB72_11 Depth=1
                                        ; =>  This Inner Loop Header: Depth=2
	v_cmp_gt_u32_e32 vcc, s83, v5
	s_and_saveexec_b64 s[34:35], vcc
	s_cbranch_execz .LBB72_134
; %bb.137:                              ;   in Loop: Header=BB72_136 Depth=2
	ds_read_u8 v6, v5
	s_waitcnt lgkmcnt(0)
	v_and_b32_e32 v7, v6, v39
	v_cmp_eq_u32_sdwa s[20:21], v7, v32 src0_sel:BYTE_0 src1_sel:DWORD
	s_and_b64 exec, exec, s[20:21]
	s_cbranch_execz .LBB72_134
; %bb.138:                              ;   in Loop: Header=BB72_136 Depth=2
	v_lshlrev_b16_e32 v6, 8, v6
	v_or_b32_e32 v6, 1, v6
	ds_write_b16 v20, v6 offset:3072
	s_branch .LBB72_134
.LBB72_139:                             ;   in Loop: Header=BB72_136 Depth=2
	v_add_u32_e32 v5, s39, v5
	v_cmp_le_u32_e32 vcc, s10, v5
	s_mov_b64 s[42:43], 0
	s_orn2_b64 s[34:35], vcc, exec
	s_branch .LBB72_135
.LBB72_140:                             ;   in Loop: Header=BB72_11 Depth=1
	s_or_b64 exec, exec, s[74:75]
	v_lshrrev_b32_sdwa v40, v38, v6 dst_sel:DWORD dst_unused:UNUSED_PAD src0_sel:DWORD src1_sel:WORD_0
	s_and_b64 s[74:75], s[80:81], exec
.LBB72_141:                             ;   in Loop: Header=BB72_11 Depth=1
	s_or_b64 exec, exec, s[78:79]
.LBB72_142:                             ;   in Loop: Header=BB72_11 Depth=1
	s_and_b64 vcc, exec, s[76:77]
	s_cbranch_vccz .LBB72_153
; %bb.143:                              ;   in Loop: Header=BB72_11 Depth=1
                                        ; implicit-def: $vgpr40
	s_mov_b64 s[28:29], exec
	v_readlane_b32 s10, v52, 24
	v_readlane_b32 s11, v52, 25
	s_and_b64 s[10:11], s[28:29], s[10:11]
	s_mov_b64 exec, s[10:11]
	s_cbranch_execz .LBB72_152
; %bb.144:                              ;   in Loop: Header=BB72_11 Depth=1
	s_mov_b64 s[30:31], 0
	v_mov_b32_e32 v5, v17
	v_mov_b32_e32 v6, v0
                                        ; implicit-def: $sgpr76_sgpr77
	s_branch .LBB72_147
.LBB72_145:                             ;   in Loop: Header=BB72_147 Depth=2
	s_or_b64 exec, exec, s[34:35]
	s_waitcnt lgkmcnt(0)
	s_barrier
	ds_read_u16 v7, v20 offset:3072
	s_mov_b64 s[34:35], -1
	s_mov_b64 s[42:43], -1
	s_waitcnt lgkmcnt(0)
	s_barrier
	v_cmp_eq_u32_sdwa s[10:11], v7, v20 src0_sel:BYTE_0 src1_sel:DWORD
	s_and_b64 vcc, exec, s[10:11]
	s_cbranch_vccnz .LBB72_150
.LBB72_146:                             ;   in Loop: Header=BB72_147 Depth=2
	s_and_b64 s[10:11], exec, s[34:35]
	s_or_b64 s[30:31], s[10:11], s[30:31]
	s_andn2_b64 s[10:11], s[76:77], exec
	s_and_b64 s[20:21], s[42:43], exec
	s_or_b64 s[76:77], s[10:11], s[20:21]
	s_andn2_b64 exec, exec, s[30:31]
	s_cbranch_execz .LBB72_151
.LBB72_147:                             ;   Parent Loop BB72_11 Depth=1
                                        ; =>  This Inner Loop Header: Depth=2
	v_cmp_gt_u32_e32 vcc, s36, v6
	s_and_saveexec_b64 s[34:35], vcc
	s_cbranch_execz .LBB72_145
; %bb.148:                              ;   in Loop: Header=BB72_147 Depth=2
	global_load_ubyte v7, v5, s[40:41]
	s_waitcnt vmcnt(0)
	v_and_b32_e32 v8, v7, v39
	v_cmp_eq_u32_sdwa s[10:11], v8, v32 src0_sel:BYTE_0 src1_sel:DWORD
	s_and_b64 exec, exec, s[10:11]
	s_cbranch_execz .LBB72_145
; %bb.149:                              ;   in Loop: Header=BB72_147 Depth=2
	v_lshlrev_b16_e32 v7, 8, v7
	v_or_b32_e32 v7, 1, v7
	ds_write_b16 v20, v7 offset:3072
	s_branch .LBB72_145
.LBB72_150:                             ;   in Loop: Header=BB72_147 Depth=2
	v_add_u32_e32 v6, s39, v6
	v_cmp_le_u32_e32 vcc, s52, v6
	v_add_u32_e32 v5, s33, v5
	s_mov_b64 s[42:43], 0
	s_orn2_b64 s[34:35], vcc, exec
	s_branch .LBB72_146
.LBB72_151:                             ;   in Loop: Header=BB72_11 Depth=1
	s_or_b64 exec, exec, s[30:31]
	s_andn2_b64 s[10:11], s[74:75], exec
	s_and_b64 s[20:21], s[76:77], exec
	v_lshrrev_b32_sdwa v40, v38, v7 dst_sel:DWORD dst_unused:UNUSED_PAD src0_sel:DWORD src1_sel:WORD_0
	s_or_b64 s[74:75], s[10:11], s[20:21]
.LBB72_152:                             ;   in Loop: Header=BB72_11 Depth=1
	s_or_b64 exec, exec, s[28:29]
	s_mov_b64 s[28:29], 0
	s_mov_b64 s[30:31], -1
.LBB72_153:                             ;   in Loop: Header=BB72_11 Depth=1
	s_orn2_b64 s[34:35], s[74:75], exec
.LBB72_154:                             ;   in Loop: Header=BB72_11 Depth=1
	s_or_b64 exec, exec, s[70:71]
	s_mov_b64 s[74:75], 0
	s_and_saveexec_b64 s[70:71], s[34:35]
	s_cbranch_execz .LBB72_243
; %bb.155:                              ;   in Loop: Header=BB72_11 Depth=1
	s_xor_b64 s[10:11], s[72:73], -1
	s_mov_b64 s[78:79], 0
	v_mov_b32_e32 v5, 1
	v_mov_b32_e32 v2, 1
	s_and_saveexec_b64 s[72:73], s[10:11]
	s_cbranch_execz .LBB72_161
; %bb.156:                              ;   in Loop: Header=BB72_11 Depth=1
	v_cmp_ge_u32_e32 vcc, s82, v4
	s_and_saveexec_b64 s[10:11], vcc
	s_xor_b64 s[34:35], exec, s[10:11]
	s_cbranch_execz .LBB72_158
; %bb.157:                              ;   in Loop: Header=BB72_11 Depth=1
	ds_read_b32 v2, v20 offset:4104
	v_and_b32_e32 v5, v32, v3
	v_lshl_or_b32 v32, 1, v37, v5
	v_or_b32_e32 v39, v39, v1
	s_waitcnt lgkmcnt(0)
	v_cmp_ne_u32_e32 vcc, 0, v2
	s_cbranch_vccz .LBB72_174
.LBB72_158:                             ;   in Loop: Header=BB72_11 Depth=1
	s_or_saveexec_b64 s[34:35], s[34:35]
	v_mov_b32_e32 v2, 8
	s_xor_b64 exec, exec, s[34:35]
.LBB72_159:                             ;   in Loop: Header=BB72_11 Depth=1
	s_mov_b64 s[74:75], exec
	v_subrev_u32_e32 v4, s82, v4
	v_mov_b32_e32 v2, 0
.LBB72_160:                             ;   in Loop: Header=BB72_11 Depth=1
	s_or_b64 exec, exec, s[34:35]
	s_and_b64 s[78:79], s[74:75], exec
	v_mov_b32_e32 v5, v4
.LBB72_161:                             ;   in Loop: Header=BB72_11 Depth=1
	s_or_b64 exec, exec, s[72:73]
	s_mov_b64 s[34:35], -1
                                        ; implicit-def: $sgpr74_sgpr75
                                        ; implicit-def: $sgpr76_sgpr77
	s_and_saveexec_b64 s[72:73], s[78:79]
	s_cbranch_execz .LBB72_242
; %bb.162:                              ;   in Loop: Header=BB72_11 Depth=1
	s_cmp_eq_u32 s90, 1
	s_cselect_b64 s[10:11], -1, 0
	v_cmp_eq_u32_e32 vcc, 1, v5
	s_and_b64 s[80:81], s[10:11], vcc
                                        ; implicit-def: $sgpr76_sgpr77
                                        ; implicit-def: $sgpr74_sgpr75
	s_and_saveexec_b64 s[78:79], s[80:81]
	s_cbranch_execz .LBB72_191
; %bb.163:                              ;   in Loop: Header=BB72_11 Depth=1
	ds_read_b32 v4, v20 offset:4104
	s_waitcnt lgkmcnt(0)
	s_barrier
	v_readfirstlane_b32 s91, v4
	s_and_saveexec_b64 s[10:11], s[22:23]
; %bb.164:                              ;   in Loop: Header=BB72_11 Depth=1
	ds_write_b8 v0, v20 offset:3072
; %bb.165:                              ;   in Loop: Header=BB72_11 Depth=1
	s_or_b64 exec, exec, s[10:11]
	v_and_b32_e32 v4, v32, v3
	v_lshl_or_b32 v32, 2, v37, v4
	v_or_b32_e32 v39, v39, v1
	s_mov_b64 s[74:75], -1
	s_mov_b64 s[76:77], 0
	s_cmp_eq_u32 s91, 0
	s_mov_b64 s[82:83], 0
	s_mov_b64 s[84:85], -1
	s_waitcnt lgkmcnt(0)
	s_barrier
                                        ; implicit-def: $vgpr40
	s_cbranch_scc1 .LBB72_179
; %bb.166:                              ;   in Loop: Header=BB72_11 Depth=1
	s_add_i32 s10, s91, s13
	s_mul_hi_u32 s11, s10, s51
	s_mul_i32 s11, s11, s39
	s_sub_i32 s11, s10, s11
	s_sub_i32 s20, s11, s39
	s_cmp_ge_u32 s11, s39
	s_cselect_b32 s11, s20, s11
	s_sub_i32 s20, s11, s39
	s_cmp_ge_u32 s11, s39
	s_cselect_b32 s11, s20, s11
	s_sub_i32 s10, s10, s11
	v_cmp_gt_u32_e32 vcc, s10, v0
	s_mov_b64 s[84:85], 0
                                        ; implicit-def: $vgpr40
	s_and_saveexec_b64 s[86:87], vcc
	s_cbranch_execz .LBB72_178
; %bb.167:                              ;   in Loop: Header=BB72_11 Depth=1
	v_mov_b32_e32 v4, v0
                                        ; implicit-def: $sgpr88_sgpr89
	s_branch .LBB72_170
.LBB72_168:                             ;   in Loop: Header=BB72_170 Depth=2
	s_or_b64 exec, exec, s[34:35]
	s_waitcnt lgkmcnt(0)
	s_barrier
	ds_read_u16 v6, v20 offset:3072
	s_mov_b64 s[34:35], -1
	s_mov_b64 s[42:43], -1
	s_waitcnt lgkmcnt(0)
	s_barrier
	v_cmp_ne_u32_sdwa s[20:21], v6, v20 src0_sel:BYTE_0 src1_sel:DWORD
	s_and_b64 vcc, exec, s[20:21]
	s_cbranch_vccz .LBB72_173
.LBB72_169:                             ;   in Loop: Header=BB72_170 Depth=2
	s_and_b64 s[20:21], exec, s[34:35]
	s_or_b64 s[82:83], s[20:21], s[82:83]
	s_andn2_b64 s[20:21], s[88:89], exec
	s_and_b64 s[34:35], s[42:43], exec
	s_or_b64 s[88:89], s[20:21], s[34:35]
	s_andn2_b64 exec, exec, s[82:83]
	s_cbranch_execz .LBB72_177
.LBB72_170:                             ;   Parent Loop BB72_11 Depth=1
                                        ; =>  This Inner Loop Header: Depth=2
	v_cmp_gt_u32_e32 vcc, s91, v4
	s_and_saveexec_b64 s[34:35], vcc
	s_cbranch_execz .LBB72_168
; %bb.171:                              ;   in Loop: Header=BB72_170 Depth=2
	ds_read_u8 v6, v4
	s_waitcnt lgkmcnt(0)
	v_and_b32_e32 v7, v6, v39
	v_cmp_eq_u32_sdwa s[20:21], v7, v32 src0_sel:BYTE_0 src1_sel:DWORD
	s_and_b64 exec, exec, s[20:21]
	s_cbranch_execz .LBB72_168
; %bb.172:                              ;   in Loop: Header=BB72_170 Depth=2
	v_lshlrev_b16_e32 v6, 8, v6
	v_or_b32_e32 v6, 1, v6
	ds_write_b16 v20, v6 offset:3072
	s_branch .LBB72_168
.LBB72_173:                             ;   in Loop: Header=BB72_170 Depth=2
	v_add_u32_e32 v4, s39, v4
	v_cmp_le_u32_e32 vcc, s10, v4
	s_mov_b64 s[42:43], 0
	s_orn2_b64 s[34:35], vcc, exec
	s_branch .LBB72_169
.LBB72_174:                             ;   in Loop: Header=BB72_11 Depth=1
	s_and_saveexec_b64 s[10:11], s[0:1]
; %bb.175:                              ;   in Loop: Header=BB72_11 Depth=1
	v_mov_b32_e32 v2, s82
	ds_write_b32 v20, v2 offset:4108
; %bb.176:                              ;   in Loop: Header=BB72_11 Depth=1
	s_or_b64 exec, exec, s[10:11]
	s_waitcnt lgkmcnt(0)
	s_barrier
	s_or_saveexec_b64 s[34:35], s[34:35]
	v_mov_b32_e32 v2, 8
	s_xor_b64 exec, exec, s[34:35]
	s_cbranch_execnz .LBB72_159
	s_branch .LBB72_160
.LBB72_177:                             ;   in Loop: Header=BB72_11 Depth=1
	s_or_b64 exec, exec, s[82:83]
	v_lshrrev_b32_sdwa v40, v38, v6 dst_sel:DWORD dst_unused:UNUSED_PAD src0_sel:DWORD src1_sel:WORD_0
	s_and_b64 s[82:83], s[88:89], exec
.LBB72_178:                             ;   in Loop: Header=BB72_11 Depth=1
	s_or_b64 exec, exec, s[86:87]
.LBB72_179:                             ;   in Loop: Header=BB72_11 Depth=1
	s_and_b64 vcc, exec, s[84:85]
	s_cbranch_vccz .LBB72_190
; %bb.180:                              ;   in Loop: Header=BB72_11 Depth=1
                                        ; implicit-def: $vgpr40
	s_mov_b64 s[74:75], exec
	v_readlane_b32 s10, v52, 24
	v_readlane_b32 s11, v52, 25
	s_and_b64 s[10:11], s[74:75], s[10:11]
	s_mov_b64 exec, s[10:11]
	s_cbranch_execz .LBB72_189
; %bb.181:                              ;   in Loop: Header=BB72_11 Depth=1
	s_mov_b64 s[76:77], 0
	v_mov_b32_e32 v4, v17
	v_mov_b32_e32 v6, v0
                                        ; implicit-def: $sgpr84_sgpr85
	s_branch .LBB72_184
.LBB72_182:                             ;   in Loop: Header=BB72_184 Depth=2
	s_or_b64 exec, exec, s[34:35]
	s_waitcnt lgkmcnt(0)
	s_barrier
	ds_read_u16 v7, v20 offset:3072
	s_mov_b64 s[34:35], -1
	s_mov_b64 s[42:43], -1
	s_waitcnt lgkmcnt(0)
	s_barrier
	v_cmp_eq_u32_sdwa s[10:11], v7, v20 src0_sel:BYTE_0 src1_sel:DWORD
	s_and_b64 vcc, exec, s[10:11]
	s_cbranch_vccnz .LBB72_187
.LBB72_183:                             ;   in Loop: Header=BB72_184 Depth=2
	s_and_b64 s[10:11], exec, s[34:35]
	s_or_b64 s[76:77], s[10:11], s[76:77]
	s_andn2_b64 s[10:11], s[84:85], exec
	s_and_b64 s[20:21], s[42:43], exec
	s_or_b64 s[84:85], s[10:11], s[20:21]
	s_andn2_b64 exec, exec, s[76:77]
	s_cbranch_execz .LBB72_188
.LBB72_184:                             ;   Parent Loop BB72_11 Depth=1
                                        ; =>  This Inner Loop Header: Depth=2
	v_cmp_gt_u32_e32 vcc, s36, v6
	s_and_saveexec_b64 s[34:35], vcc
	s_cbranch_execz .LBB72_182
; %bb.185:                              ;   in Loop: Header=BB72_184 Depth=2
	global_load_ubyte v7, v4, s[40:41]
	s_waitcnt vmcnt(0)
	v_and_b32_e32 v8, v7, v39
	v_cmp_eq_u32_sdwa s[10:11], v8, v32 src0_sel:BYTE_0 src1_sel:DWORD
	s_and_b64 exec, exec, s[10:11]
	s_cbranch_execz .LBB72_182
; %bb.186:                              ;   in Loop: Header=BB72_184 Depth=2
	v_lshlrev_b16_e32 v7, 8, v7
	v_or_b32_e32 v7, 1, v7
	ds_write_b16 v20, v7 offset:3072
	s_branch .LBB72_182
.LBB72_187:                             ;   in Loop: Header=BB72_184 Depth=2
	v_add_u32_e32 v6, s39, v6
	v_cmp_le_u32_e32 vcc, s52, v6
	v_add_u32_e32 v4, s33, v4
	s_mov_b64 s[42:43], 0
	s_orn2_b64 s[34:35], vcc, exec
	s_branch .LBB72_183
.LBB72_188:                             ;   in Loop: Header=BB72_11 Depth=1
	s_or_b64 exec, exec, s[76:77]
	s_andn2_b64 s[10:11], s[82:83], exec
	s_and_b64 s[20:21], s[84:85], exec
	v_lshrrev_b32_sdwa v40, v38, v7 dst_sel:DWORD dst_unused:UNUSED_PAD src0_sel:DWORD src1_sel:WORD_0
	s_or_b64 s[82:83], s[10:11], s[20:21]
.LBB72_189:                             ;   in Loop: Header=BB72_11 Depth=1
	s_or_b64 exec, exec, s[74:75]
	s_mov_b64 s[74:75], 0
	s_mov_b64 s[76:77], -1
.LBB72_190:                             ;   in Loop: Header=BB72_11 Depth=1
	s_orn2_b64 s[34:35], s[82:83], exec
.LBB72_191:                             ;   in Loop: Header=BB72_11 Depth=1
	s_or_b64 exec, exec, s[78:79]
	s_mov_b64 s[82:83], 0
	s_and_saveexec_b64 s[78:79], s[34:35]
	s_cbranch_execz .LBB72_241
; %bb.192:                              ;   in Loop: Header=BB72_11 Depth=1
	s_xor_b64 s[10:11], s[80:81], -1
	s_mov_b64 s[86:87], 0
	v_mov_b32_e32 v4, 1
	v_mov_b32_e32 v2, 1
	s_and_saveexec_b64 s[80:81], s[10:11]
	s_cbranch_execz .LBB72_201
; %bb.193:                              ;   in Loop: Header=BB72_11 Depth=1
	v_cmp_ge_u32_e32 vcc, s90, v5
	s_and_saveexec_b64 s[10:11], vcc
	s_xor_b64 s[34:35], exec, s[10:11]
	s_cbranch_execz .LBB72_198
; %bb.194:                              ;   in Loop: Header=BB72_11 Depth=1
	v_and_b32_e32 v2, v32, v3
	v_lshl_or_b32 v32, 2, v37, v2
	ds_read_b32 v2, v20 offset:4104
	v_or_b32_e32 v39, v39, v1
	s_waitcnt lgkmcnt(0)
	v_cmp_ne_u32_e32 vcc, 0, v2
	s_cbranch_vccnz .LBB72_198
; %bb.195:                              ;   in Loop: Header=BB72_11 Depth=1
	s_and_saveexec_b64 s[10:11], s[0:1]
; %bb.196:                              ;   in Loop: Header=BB72_11 Depth=1
	v_mov_b32_e32 v2, s90
	ds_write_b32 v20, v2 offset:4108
; %bb.197:                              ;   in Loop: Header=BB72_11 Depth=1
	s_or_b64 exec, exec, s[10:11]
	s_waitcnt lgkmcnt(0)
	s_barrier
.LBB72_198:                             ;   in Loop: Header=BB72_11 Depth=1
	s_or_saveexec_b64 s[34:35], s[34:35]
	v_mov_b32_e32 v2, 8
	s_xor_b64 exec, exec, s[34:35]
; %bb.199:                              ;   in Loop: Header=BB72_11 Depth=1
	v_subrev_u32_e32 v5, s90, v5
	v_mov_b32_e32 v2, 0
	s_mov_b64 s[82:83], exec
; %bb.200:                              ;   in Loop: Header=BB72_11 Depth=1
	s_or_b64 exec, exec, s[34:35]
	s_and_b64 s[86:87], s[82:83], exec
	v_mov_b32_e32 v4, v5
.LBB72_201:                             ;   in Loop: Header=BB72_11 Depth=1
	s_or_b64 exec, exec, s[80:81]
	s_mov_b64 s[34:35], -1
                                        ; implicit-def: $sgpr84_sgpr85
                                        ; implicit-def: $sgpr82_sgpr83
	s_and_saveexec_b64 s[80:81], s[86:87]
	s_cbranch_execz .LBB72_240
; %bb.202:                              ;   in Loop: Header=BB72_11 Depth=1
	s_cmp_eq_u32 s55, 1
	s_cselect_b64 s[10:11], -1, 0
	v_cmp_eq_u32_e32 vcc, 1, v4
	s_and_b64 s[86:87], s[10:11], vcc
                                        ; implicit-def: $sgpr84_sgpr85
                                        ; implicit-def: $sgpr82_sgpr83
	s_and_saveexec_b64 s[88:89], s[86:87]
	s_cbranch_execz .LBB72_228
; %bb.203:                              ;   in Loop: Header=BB72_11 Depth=1
	ds_read_b32 v3, v20 offset:4104
	s_waitcnt lgkmcnt(0)
	s_barrier
	v_readfirstlane_b32 s20, v3
	s_and_saveexec_b64 s[10:11], s[22:23]
; %bb.204:                              ;   in Loop: Header=BB72_11 Depth=1
	ds_write_b8 v0, v20 offset:3072
; %bb.205:                              ;   in Loop: Header=BB72_11 Depth=1
	s_or_b64 exec, exec, s[10:11]
	v_or_b32_e32 v32, v32, v1
	v_or_b32_e32 v39, v39, v1
	s_mov_b64 s[82:83], -1
	s_mov_b64 s[84:85], 0
	s_cmp_eq_u32 s20, 0
	s_mov_b64 s[90:91], 0
	s_mov_b64 s[92:93], -1
	s_waitcnt lgkmcnt(0)
	s_barrier
                                        ; implicit-def: $vgpr40
	s_cbranch_scc1 .LBB72_216
; %bb.206:                              ;   in Loop: Header=BB72_11 Depth=1
	s_add_i32 s10, s20, s13
	s_mul_hi_u32 s11, s10, s51
	s_mul_i32 s11, s11, s39
	s_sub_i32 s11, s10, s11
	s_sub_i32 s21, s11, s39
	s_cmp_ge_u32 s11, s39
	s_cselect_b32 s11, s21, s11
	s_sub_i32 s21, s11, s39
	s_cmp_ge_u32 s11, s39
	s_cselect_b32 s11, s21, s11
	s_sub_i32 s21, s10, s11
	v_cmp_gt_u32_e32 vcc, s21, v0
	s_mov_b64 s[92:93], 0
                                        ; implicit-def: $vgpr40
	s_and_saveexec_b64 s[94:95], vcc
	s_cbranch_execz .LBB72_215
; %bb.207:                              ;   in Loop: Header=BB72_11 Depth=1
	v_mov_b32_e32 v3, v0
                                        ; implicit-def: $sgpr34_sgpr35
	s_branch .LBB72_210
.LBB72_208:                             ;   in Loop: Header=BB72_210 Depth=2
	s_or_b64 exec, exec, s[42:43]
	s_waitcnt lgkmcnt(0)
	s_barrier
	ds_read_u16 v5, v20 offset:3072
	s_mov_b64 s[42:43], -1
	s_waitcnt lgkmcnt(0)
	s_barrier
	v_cmp_ne_u32_sdwa s[10:11], v5, v20 src0_sel:BYTE_0 src1_sel:DWORD
	s_and_b64 vcc, exec, s[10:11]
	s_mov_b64 s[10:11], -1
	s_cbranch_vccz .LBB72_213
.LBB72_209:                             ;   in Loop: Header=BB72_210 Depth=2
	s_and_b64 s[42:43], exec, s[42:43]
	s_or_b64 s[90:91], s[42:43], s[90:91]
	s_andn2_b64 s[34:35], s[34:35], exec
	s_and_b64 s[10:11], s[10:11], exec
	s_or_b64 s[34:35], s[34:35], s[10:11]
	s_andn2_b64 exec, exec, s[90:91]
	s_cbranch_execz .LBB72_214
.LBB72_210:                             ;   Parent Loop BB72_11 Depth=1
                                        ; =>  This Inner Loop Header: Depth=2
	v_cmp_gt_u32_e32 vcc, s20, v3
	s_and_saveexec_b64 s[42:43], vcc
	s_cbranch_execz .LBB72_208
; %bb.211:                              ;   in Loop: Header=BB72_210 Depth=2
	ds_read_u8 v5, v3
	s_waitcnt lgkmcnt(0)
	v_and_b32_e32 v6, v5, v39
	v_cmp_eq_u32_sdwa s[10:11], v6, v32 src0_sel:BYTE_0 src1_sel:DWORD
	s_and_b64 exec, exec, s[10:11]
	s_cbranch_execz .LBB72_208
; %bb.212:                              ;   in Loop: Header=BB72_210 Depth=2
	v_lshlrev_b16_e32 v5, 8, v5
	v_or_b32_e32 v5, 1, v5
	ds_write_b16 v20, v5 offset:3072
	s_branch .LBB72_208
.LBB72_213:                             ;   in Loop: Header=BB72_210 Depth=2
	v_add_u32_e32 v3, s39, v3
	v_cmp_le_u32_e32 vcc, s21, v3
	s_mov_b64 s[10:11], 0
	s_orn2_b64 s[42:43], vcc, exec
	s_branch .LBB72_209
.LBB72_214:                             ;   in Loop: Header=BB72_11 Depth=1
	s_or_b64 exec, exec, s[90:91]
	v_lshrrev_b32_sdwa v40, v38, v5 dst_sel:DWORD dst_unused:UNUSED_PAD src0_sel:DWORD src1_sel:WORD_0
	s_and_b64 s[90:91], s[34:35], exec
.LBB72_215:                             ;   in Loop: Header=BB72_11 Depth=1
	s_or_b64 exec, exec, s[94:95]
.LBB72_216:                             ;   in Loop: Header=BB72_11 Depth=1
	s_and_b64 vcc, exec, s[92:93]
	s_cbranch_vccz .LBB72_227
; %bb.217:                              ;   in Loop: Header=BB72_11 Depth=1
                                        ; implicit-def: $vgpr40
	s_mov_b64 s[82:83], exec
	v_readlane_b32 s10, v52, 24
	v_readlane_b32 s11, v52, 25
	s_and_b64 s[10:11], s[82:83], s[10:11]
	s_mov_b64 exec, s[10:11]
	s_cbranch_execz .LBB72_226
; %bb.218:                              ;   in Loop: Header=BB72_11 Depth=1
	s_mov_b64 s[84:85], 0
	v_mov_b32_e32 v3, v17
	v_mov_b32_e32 v5, v0
                                        ; implicit-def: $sgpr92_sgpr93
	s_branch .LBB72_221
.LBB72_219:                             ;   in Loop: Header=BB72_221 Depth=2
	s_or_b64 exec, exec, s[34:35]
	s_waitcnt lgkmcnt(0)
	s_barrier
	ds_read_u16 v6, v20 offset:3072
	s_mov_b64 s[34:35], -1
	s_mov_b64 s[42:43], -1
	s_waitcnt lgkmcnt(0)
	s_barrier
	v_cmp_eq_u32_sdwa s[10:11], v6, v20 src0_sel:BYTE_0 src1_sel:DWORD
	s_and_b64 vcc, exec, s[10:11]
	s_cbranch_vccnz .LBB72_224
.LBB72_220:                             ;   in Loop: Header=BB72_221 Depth=2
	s_and_b64 s[10:11], exec, s[34:35]
	s_or_b64 s[84:85], s[10:11], s[84:85]
	s_andn2_b64 s[10:11], s[92:93], exec
	s_and_b64 s[20:21], s[42:43], exec
	s_or_b64 s[92:93], s[10:11], s[20:21]
	s_andn2_b64 exec, exec, s[84:85]
	s_cbranch_execz .LBB72_225
.LBB72_221:                             ;   Parent Loop BB72_11 Depth=1
                                        ; =>  This Inner Loop Header: Depth=2
	v_cmp_gt_u32_e32 vcc, s36, v5
	s_and_saveexec_b64 s[34:35], vcc
	s_cbranch_execz .LBB72_219
; %bb.222:                              ;   in Loop: Header=BB72_221 Depth=2
	global_load_ubyte v6, v3, s[40:41]
	s_waitcnt vmcnt(0)
	v_and_b32_e32 v7, v6, v39
	v_cmp_eq_u32_sdwa s[10:11], v7, v32 src0_sel:BYTE_0 src1_sel:DWORD
	s_and_b64 exec, exec, s[10:11]
	s_cbranch_execz .LBB72_219
; %bb.223:                              ;   in Loop: Header=BB72_221 Depth=2
	v_lshlrev_b16_e32 v6, 8, v6
	v_or_b32_e32 v6, 1, v6
	ds_write_b16 v20, v6 offset:3072
	s_branch .LBB72_219
.LBB72_224:                             ;   in Loop: Header=BB72_221 Depth=2
	v_add_u32_e32 v5, s39, v5
	v_cmp_le_u32_e32 vcc, s52, v5
	v_add_u32_e32 v3, s33, v3
	s_mov_b64 s[42:43], 0
	s_orn2_b64 s[34:35], vcc, exec
	s_branch .LBB72_220
.LBB72_225:                             ;   in Loop: Header=BB72_11 Depth=1
	s_or_b64 exec, exec, s[84:85]
	s_andn2_b64 s[10:11], s[90:91], exec
	s_and_b64 s[20:21], s[92:93], exec
	v_lshrrev_b32_sdwa v40, v38, v6 dst_sel:DWORD dst_unused:UNUSED_PAD src0_sel:DWORD src1_sel:WORD_0
	s_or_b64 s[90:91], s[10:11], s[20:21]
.LBB72_226:                             ;   in Loop: Header=BB72_11 Depth=1
	s_or_b64 exec, exec, s[82:83]
	s_mov_b64 s[82:83], 0
	s_mov_b64 s[84:85], -1
.LBB72_227:                             ;   in Loop: Header=BB72_11 Depth=1
	s_orn2_b64 s[34:35], s[90:91], exec
.LBB72_228:                             ;   in Loop: Header=BB72_11 Depth=1
	s_or_b64 exec, exec, s[88:89]
	s_mov_b64 s[90:91], 0
	s_and_saveexec_b64 s[88:89], s[34:35]
	s_cbranch_execz .LBB72_239
; %bb.229:                              ;   in Loop: Header=BB72_11 Depth=1
	s_xor_b64 s[10:11], s[86:87], -1
	v_mov_b32_e32 v2, 1
	v_mov_b32_e32 v3, 1
	s_and_saveexec_b64 s[86:87], s[10:11]
	s_cbranch_execz .LBB72_238
; %bb.230:                              ;   in Loop: Header=BB72_11 Depth=1
	v_cmp_ge_u32_e32 vcc, s55, v4
	s_and_saveexec_b64 s[10:11], vcc
	s_xor_b64 s[34:35], exec, s[10:11]
	s_cbranch_execz .LBB72_235
; %bb.231:                              ;   in Loop: Header=BB72_11 Depth=1
	v_or_b32_e32 v32, v32, v1
	v_or_b32_e32 v39, v39, v1
	ds_read_b32 v1, v20 offset:4104
	s_waitcnt lgkmcnt(0)
	v_cmp_ne_u32_e32 vcc, 0, v1
	s_cbranch_vccnz .LBB72_235
; %bb.232:                              ;   in Loop: Header=BB72_11 Depth=1
	s_and_saveexec_b64 s[10:11], s[0:1]
; %bb.233:                              ;   in Loop: Header=BB72_11 Depth=1
	v_mov_b32_e32 v1, s55
	ds_write_b32 v20, v1 offset:4108
; %bb.234:                              ;   in Loop: Header=BB72_11 Depth=1
	s_or_b64 exec, exec, s[10:11]
	s_waitcnt lgkmcnt(0)
	s_barrier
.LBB72_235:                             ;   in Loop: Header=BB72_11 Depth=1
	s_andn2_saveexec_b64 s[34:35], s[34:35]
; %bb.236:                              ;   in Loop: Header=BB72_11 Depth=1
	v_subrev_u32_e32 v4, s55, v4
; %bb.237:                              ;   in Loop: Header=BB72_11 Depth=1
	s_or_b64 exec, exec, s[34:35]
	v_mov_b32_e32 v2, 8
	v_mov_b32_e32 v3, v4
.LBB72_238:                             ;   in Loop: Header=BB72_11 Depth=1
	s_or_b64 exec, exec, s[86:87]
	s_mov_b64 s[90:91], exec
	v_mov_b32_e32 v4, v3
.LBB72_239:                             ;   in Loop: Header=BB72_11 Depth=1
	s_or_b64 exec, exec, s[88:89]
	s_orn2_b64 s[34:35], s[90:91], exec
.LBB72_240:                             ;   in Loop: Header=BB72_11 Depth=1
	s_or_b64 exec, exec, s[80:81]
	s_andn2_b64 s[10:11], s[76:77], exec
	s_and_b64 s[20:21], s[84:85], exec
	s_or_b64 s[76:77], s[10:11], s[20:21]
	s_andn2_b64 s[10:11], s[74:75], exec
	s_and_b64 s[20:21], s[82:83], exec
	s_or_b64 s[74:75], s[10:11], s[20:21]
	s_and_b64 s[82:83], s[34:35], exec
	v_mov_b32_e32 v5, v4
.LBB72_241:                             ;   in Loop: Header=BB72_11 Depth=1
	s_or_b64 exec, exec, s[78:79]
	s_orn2_b64 s[34:35], s[82:83], exec
.LBB72_242:                             ;   in Loop: Header=BB72_11 Depth=1
	s_or_b64 exec, exec, s[72:73]
	s_andn2_b64 s[10:11], s[30:31], exec
	s_and_b64 s[20:21], s[76:77], exec
	s_or_b64 s[30:31], s[10:11], s[20:21]
	s_andn2_b64 s[10:11], s[28:29], exec
	s_and_b64 s[20:21], s[74:75], exec
	s_or_b64 s[28:29], s[10:11], s[20:21]
	s_and_b64 s[74:75], s[34:35], exec
	v_mov_b32_e32 v4, v5
.LBB72_243:                             ;   in Loop: Header=BB72_11 Depth=1
	s_or_b64 exec, exec, s[70:71]
	s_orn2_b64 s[34:35], s[74:75], exec
.LBB72_244:                             ;   in Loop: Header=BB72_11 Depth=1
	s_or_b64 exec, exec, s[26:27]
	s_mov_b64 s[70:71], 0
                                        ; implicit-def: $sgpr10
	s_and_saveexec_b64 s[20:21], s[34:35]
	s_xor_b64 s[26:27], exec, s[20:21]
	s_cbranch_execz .LBB72_9
; %bb.245:                              ;   in Loop: Header=BB72_11 Depth=1
	v_and_b32_e32 v1, 7, v2
	v_cmp_eq_u32_e32 vcc, 0, v1
	s_mov_b64 s[24:25], -1
	s_mov_b64 s[34:35], -1
                                        ; implicit-def: $sgpr10
	s_and_saveexec_b64 s[42:43], vcc
	s_cbranch_execz .LBB72_8
; %bb.246:                              ;   in Loop: Header=BB72_11 Depth=1
	v_add_u32_e32 v1, -2, v37
	v_cmp_eq_u32_e32 vcc, 0, v37
	s_xor_b32 s10, s50, 1
	s_xor_b64 s[34:35], exec, -1
	s_orn2_b64 s[24:25], vcc, exec
	v_mov_b32_e32 v37, v1
	s_branch .LBB72_8
.LBB72_247:
	s_or_b64 exec, exec, s[56:57]
	s_xor_b64 s[8:9], s[62:63], -1
	s_xor_b64 s[0:1], s[58:59], -1
	;; [unrolled: 1-line block ×3, first 2 shown]
	s_mov_b64 s[4:5], 0
	s_and_saveexec_b64 s[2:3], s[0:1]
	s_xor_b64 s[0:1], exec, s[2:3]
	s_cbranch_execnz .LBB72_252
; %bb.248:
	s_andn2_saveexec_b64 s[0:1], s[0:1]
	s_cbranch_execnz .LBB72_265
.LBB72_249:
	s_or_b64 exec, exec, s[0:1]
	s_and_saveexec_b64 s[0:1], s[4:5]
.LBB72_250:
	; divergent unreachable
.LBB72_251:
	s_endpgm
.LBB72_252:
	s_and_saveexec_b64 s[2:3], s[8:9]
	s_xor_b64 s[4:5], exec, s[2:3]
	s_cbranch_execz .LBB72_263
; %bb.253:
	s_and_saveexec_b64 s[2:3], s[6:7]
	s_xor_b64 s[6:7], exec, s[2:3]
; %bb.254:
	v_mov_b32_e32 v40, v32
; %bb.255:
	s_or_b64 exec, exec, s[6:7]
	v_readlane_b32 s18, v52, 6
	v_readlane_b32 s2, v52, 5
	s_mul_i32 s2, s2, s18
	v_mov_b32_e32 v1, s2
	v_readlane_b32 s2, v52, 2
	v_readlane_b32 s3, v52, 3
	s_nop 4
	global_store_byte v1, v40, s[2:3]
	s_mov_b64 s[6:7], exec
	v_readlane_b32 s2, v52, 7
	v_readlane_b32 s3, v52, 8
	s_and_b64 s[2:3], s[6:7], s[2:3]
	s_mov_b64 exec, s[2:3]
	s_cbranch_execz .LBB72_262
; %bb.256:
	s_mov_b64 s[2:3], 0
                                        ; implicit-def: $sgpr8_sgpr9
                                        ; implicit-def: $sgpr12_sgpr13
                                        ; implicit-def: $sgpr10_sgpr11
	s_branch .LBB72_258
.LBB72_257:                             ;   in Loop: Header=BB72_258 Depth=1
	s_or_b64 exec, exec, s[14:15]
	s_and_b64 s[14:15], exec, s[12:13]
	s_or_b64 s[2:3], s[14:15], s[2:3]
	s_andn2_b64 s[8:9], s[8:9], exec
	s_and_b64 s[14:15], s[10:11], exec
	s_or_b64 s[8:9], s[8:9], s[14:15]
	s_andn2_b64 exec, exec, s[2:3]
	s_cbranch_execz .LBB72_260
.LBB72_258:                             ; =>This Inner Loop Header: Depth=1
	global_load_ubyte v2, v17, s[40:41]
	v_mov_b32_e32 v1, v0
	s_or_b64 s[10:11], s[10:11], exec
	s_or_b64 s[12:13], s[12:13], exec
                                        ; implicit-def: $vgpr0
	s_waitcnt vmcnt(0)
	v_cmp_ne_u16_sdwa s[16:17], v2, v40 src0_sel:DWORD src1_sel:BYTE_0
	s_and_saveexec_b64 s[14:15], s[16:17]
	s_cbranch_execz .LBB72_257
; %bb.259:                              ;   in Loop: Header=BB72_258 Depth=1
	v_add_u32_e32 v0, s39, v1
	v_cmp_le_u32_e32 vcc, s36, v0
	s_andn2_b64 s[12:13], s[12:13], exec
	s_and_b64 s[16:17], vcc, exec
	v_add_u32_e32 v17, s33, v17
	s_andn2_b64 s[10:11], s[10:11], exec
	s_or_b64 s[12:13], s[12:13], s[16:17]
	s_branch .LBB72_257
.LBB72_260:
	s_or_b64 exec, exec, s[2:3]
	s_and_saveexec_b64 s[2:3], s[8:9]
	s_xor_b64 s[2:3], exec, s[2:3]
	s_cbranch_execz .LBB72_262
; %bb.261:
	v_readlane_b32 s2, v52, 4
	s_mul_i32 s2, s2, s18
	s_mov_b32 s3, 0
	s_lshl_b64 s[2:3], s[2:3], 3
	v_readlane_b32 s8, v52, 0
	v_readlane_b32 s9, v52, 1
	s_add_u32 s2, s8, s2
	s_addc_u32 s3, s9, s3
	v_mov_b32_e32 v2, 0
	global_store_dwordx2 v2, v[1:2], s[2:3]
.LBB72_262:
	s_or_b64 exec, exec, s[6:7]
.LBB72_263:
	s_or_saveexec_b64 s[2:3], s[4:5]
	s_mov_b64 s[4:5], 0
	s_xor_b64 exec, exec, s[2:3]
	s_cbranch_execnz .LBB72_266
.LBB72_264:
	s_or_b64 exec, exec, s[2:3]
	s_and_b64 s[4:5], s[4:5], exec
	s_andn2_saveexec_b64 s[0:1], s[0:1]
	s_cbranch_execz .LBB72_249
.LBB72_265:
	s_or_b64 s[4:5], s[4:5], exec
	s_trap 2
	s_or_b64 exec, exec, s[0:1]
	s_and_saveexec_b64 s[0:1], s[4:5]
	s_cbranch_execnz .LBB72_250
	s_branch .LBB72_251
.LBB72_266:
	s_mov_b64 s[4:5], exec
	s_trap 2
	s_branch .LBB72_264
	.section	.rodata,"a",@progbits
	.p2align	6, 0x0
	.amdhsa_kernel _ZN2at6native12_GLOBAL__N_112gatherMedianIhjLi1EEEvNS_4cuda6detail10TensorInfoIT_T0_EENS5_IlS7_EENS5_IKS6_S7_EES7_S7_S7_b
		.amdhsa_group_segment_fixed_size 4120
		.amdhsa_private_segment_fixed_size 0
		.amdhsa_kernarg_size 920
		.amdhsa_user_sgpr_count 6
		.amdhsa_user_sgpr_private_segment_buffer 1
		.amdhsa_user_sgpr_dispatch_ptr 0
		.amdhsa_user_sgpr_queue_ptr 0
		.amdhsa_user_sgpr_kernarg_segment_ptr 1
		.amdhsa_user_sgpr_dispatch_id 0
		.amdhsa_user_sgpr_flat_scratch_init 0
		.amdhsa_user_sgpr_private_segment_size 0
		.amdhsa_uses_dynamic_stack 0
		.amdhsa_system_sgpr_private_segment_wavefront_offset 0
		.amdhsa_system_sgpr_workgroup_id_x 1
		.amdhsa_system_sgpr_workgroup_id_y 1
		.amdhsa_system_sgpr_workgroup_id_z 1
		.amdhsa_system_sgpr_workgroup_info 0
		.amdhsa_system_vgpr_workitem_id 0
		.amdhsa_next_free_vgpr 53
		.amdhsa_next_free_sgpr 96
		.amdhsa_reserve_vcc 1
		.amdhsa_reserve_flat_scratch 0
		.amdhsa_float_round_mode_32 0
		.amdhsa_float_round_mode_16_64 0
		.amdhsa_float_denorm_mode_32 3
		.amdhsa_float_denorm_mode_16_64 3
		.amdhsa_dx10_clamp 1
		.amdhsa_ieee_mode 1
		.amdhsa_fp16_overflow 0
		.amdhsa_exception_fp_ieee_invalid_op 0
		.amdhsa_exception_fp_denorm_src 0
		.amdhsa_exception_fp_ieee_div_zero 0
		.amdhsa_exception_fp_ieee_overflow 0
		.amdhsa_exception_fp_ieee_underflow 0
		.amdhsa_exception_fp_ieee_inexact 0
		.amdhsa_exception_int_div_zero 0
	.end_amdhsa_kernel
	.section	.text._ZN2at6native12_GLOBAL__N_112gatherMedianIhjLi1EEEvNS_4cuda6detail10TensorInfoIT_T0_EENS5_IlS7_EENS5_IKS6_S7_EES7_S7_S7_b,"axG",@progbits,_ZN2at6native12_GLOBAL__N_112gatherMedianIhjLi1EEEvNS_4cuda6detail10TensorInfoIT_T0_EENS5_IlS7_EENS5_IKS6_S7_EES7_S7_S7_b,comdat
.Lfunc_end72:
	.size	_ZN2at6native12_GLOBAL__N_112gatherMedianIhjLi1EEEvNS_4cuda6detail10TensorInfoIT_T0_EENS5_IlS7_EENS5_IKS6_S7_EES7_S7_S7_b, .Lfunc_end72-_ZN2at6native12_GLOBAL__N_112gatherMedianIhjLi1EEEvNS_4cuda6detail10TensorInfoIT_T0_EENS5_IlS7_EENS5_IKS6_S7_EES7_S7_S7_b
                                        ; -- End function
	.set _ZN2at6native12_GLOBAL__N_112gatherMedianIhjLi1EEEvNS_4cuda6detail10TensorInfoIT_T0_EENS5_IlS7_EENS5_IKS6_S7_EES7_S7_S7_b.num_vgpr, 53
	.set _ZN2at6native12_GLOBAL__N_112gatherMedianIhjLi1EEEvNS_4cuda6detail10TensorInfoIT_T0_EENS5_IlS7_EENS5_IKS6_S7_EES7_S7_S7_b.num_agpr, 0
	.set _ZN2at6native12_GLOBAL__N_112gatherMedianIhjLi1EEEvNS_4cuda6detail10TensorInfoIT_T0_EENS5_IlS7_EENS5_IKS6_S7_EES7_S7_S7_b.numbered_sgpr, 96
	.set _ZN2at6native12_GLOBAL__N_112gatherMedianIhjLi1EEEvNS_4cuda6detail10TensorInfoIT_T0_EENS5_IlS7_EENS5_IKS6_S7_EES7_S7_S7_b.num_named_barrier, 0
	.set _ZN2at6native12_GLOBAL__N_112gatherMedianIhjLi1EEEvNS_4cuda6detail10TensorInfoIT_T0_EENS5_IlS7_EENS5_IKS6_S7_EES7_S7_S7_b.private_seg_size, 0
	.set _ZN2at6native12_GLOBAL__N_112gatherMedianIhjLi1EEEvNS_4cuda6detail10TensorInfoIT_T0_EENS5_IlS7_EENS5_IKS6_S7_EES7_S7_S7_b.uses_vcc, 1
	.set _ZN2at6native12_GLOBAL__N_112gatherMedianIhjLi1EEEvNS_4cuda6detail10TensorInfoIT_T0_EENS5_IlS7_EENS5_IKS6_S7_EES7_S7_S7_b.uses_flat_scratch, 0
	.set _ZN2at6native12_GLOBAL__N_112gatherMedianIhjLi1EEEvNS_4cuda6detail10TensorInfoIT_T0_EENS5_IlS7_EENS5_IKS6_S7_EES7_S7_S7_b.has_dyn_sized_stack, 0
	.set _ZN2at6native12_GLOBAL__N_112gatherMedianIhjLi1EEEvNS_4cuda6detail10TensorInfoIT_T0_EENS5_IlS7_EENS5_IKS6_S7_EES7_S7_S7_b.has_recursion, 0
	.set _ZN2at6native12_GLOBAL__N_112gatherMedianIhjLi1EEEvNS_4cuda6detail10TensorInfoIT_T0_EENS5_IlS7_EENS5_IKS6_S7_EES7_S7_S7_b.has_indirect_call, 0
	.section	.AMDGPU.csdata,"",@progbits
; Kernel info:
; codeLenInByte = 9780
; TotalNumSgprs: 100
; NumVgprs: 53
; ScratchSize: 0
; MemoryBound: 0
; FloatMode: 240
; IeeeMode: 1
; LDSByteSize: 4120 bytes/workgroup (compile time only)
; SGPRBlocks: 12
; VGPRBlocks: 13
; NumSGPRsForWavesPerEU: 100
; NumVGPRsForWavesPerEU: 53
; Occupancy: 4
; WaveLimiterHint : 1
; COMPUTE_PGM_RSRC2:SCRATCH_EN: 0
; COMPUTE_PGM_RSRC2:USER_SGPR: 6
; COMPUTE_PGM_RSRC2:TRAP_HANDLER: 0
; COMPUTE_PGM_RSRC2:TGID_X_EN: 1
; COMPUTE_PGM_RSRC2:TGID_Y_EN: 1
; COMPUTE_PGM_RSRC2:TGID_Z_EN: 1
; COMPUTE_PGM_RSRC2:TIDIG_COMP_CNT: 0
	.section	.text._ZN2at6native12_GLOBAL__N_112gatherMedianIhjLi2EEEvNS_4cuda6detail10TensorInfoIT_T0_EENS5_IlS7_EENS5_IKS6_S7_EES7_S7_S7_b,"axG",@progbits,_ZN2at6native12_GLOBAL__N_112gatherMedianIhjLi2EEEvNS_4cuda6detail10TensorInfoIT_T0_EENS5_IlS7_EENS5_IKS6_S7_EES7_S7_S7_b,comdat
	.globl	_ZN2at6native12_GLOBAL__N_112gatherMedianIhjLi2EEEvNS_4cuda6detail10TensorInfoIT_T0_EENS5_IlS7_EENS5_IKS6_S7_EES7_S7_S7_b ; -- Begin function _ZN2at6native12_GLOBAL__N_112gatherMedianIhjLi2EEEvNS_4cuda6detail10TensorInfoIT_T0_EENS5_IlS7_EENS5_IKS6_S7_EES7_S7_S7_b
	.p2align	8
	.type	_ZN2at6native12_GLOBAL__N_112gatherMedianIhjLi2EEEvNS_4cuda6detail10TensorInfoIT_T0_EENS5_IlS7_EENS5_IKS6_S7_EES7_S7_S7_b,@function
_ZN2at6native12_GLOBAL__N_112gatherMedianIhjLi2EEEvNS_4cuda6detail10TensorInfoIT_T0_EENS5_IlS7_EENS5_IKS6_S7_EES7_S7_S7_b: ; @_ZN2at6native12_GLOBAL__N_112gatherMedianIhjLi2EEEvNS_4cuda6detail10TensorInfoIT_T0_EENS5_IlS7_EENS5_IKS6_S7_EES7_S7_S7_b
; %bb.0:
	s_load_dwordx2 s[12:13], s[4:5], 0x298
	s_load_dwordx4 s[36:39], s[4:5], 0x288
	s_add_u32 s10, s4, 0x298
	s_addc_u32 s11, s5, 0
	s_waitcnt lgkmcnt(0)
	s_mul_i32 s0, s13, s8
	s_add_i32 s0, s0, s7
	s_mul_i32 s0, s0, s12
	s_add_i32 s19, s0, s6
	s_cmp_ge_u32 s19, s37
	s_cbranch_scc1 .LBB73_251
; %bb.1:
	s_load_dword s0, s[4:5], 0xc
	s_load_dword s1, s[4:5], 0xe4
	;; [unrolled: 1-line block ×3, first 2 shown]
                                        ; implicit-def: $vgpr52 : SGPR spill to VGPR lane
	s_waitcnt lgkmcnt(0)
	v_cvt_f32_u32_e32 v1, s0
	v_cvt_f32_u32_e32 v2, s1
	;; [unrolled: 1-line block ×3, first 2 shown]
	v_writelane_b32 v52, s0, 0
	v_rcp_iflag_f32_e32 v1, v1
	v_rcp_iflag_f32_e32 v2, v2
	;; [unrolled: 1-line block ×3, first 2 shown]
	s_sub_i32 s0, 0, s0
	v_mul_f32_e32 v1, 0x4f7ffffe, v1
	v_cvt_u32_f32_e32 v1, v1
	v_mul_f32_e32 v3, 0x4f7ffffe, v3
	v_mul_f32_e32 v2, 0x4f7ffffe, v2
	v_cvt_u32_f32_e32 v3, v3
	v_cvt_u32_f32_e32 v2, v2
	v_readfirstlane_b32 s17, v1
	s_mul_i32 s0, s0, s17
	s_mul_hi_u32 s8, s17, s0
	s_sub_i32 s0, 0, s13
	v_readfirstlane_b32 s7, v3
	v_writelane_b32 v52, s1, 1
	s_sub_i32 s1, 0, s1
	v_readfirstlane_b32 s18, v2
	s_mul_i32 s0, s0, s7
	s_mul_i32 s1, s1, s18
	s_mul_hi_u32 s0, s7, s0
	s_mul_hi_u32 s9, s18, s1
	s_add_i32 s7, s7, s0
	v_cmp_eq_u32_e64 s[0:1], 0, v0
	s_and_saveexec_b64 s[2:3], s[0:1]
; %bb.2:
	v_mov_b32_e32 v1, 0
	v_mov_b32_e32 v2, v1
	ds_write_b64 v1, v[1:2] offset:4096
; %bb.3:
	s_or_b64 exec, exec, s[2:3]
	v_mov_b32_e32 v1, 0
	s_waitcnt lgkmcnt(0)
	s_barrier
	s_barrier
	ds_read_b64 v[1:2], v1 offset:4096
	s_add_i32 s17, s17, s8
	s_add_i32 s18, s18, s9
	s_load_dwordx2 s[8:9], s[4:5], 0x21c
	s_load_dwordx2 s[2:3], s[4:5], 0x1b0
	s_bitcmp1_b32 s39, 0
	s_waitcnt lgkmcnt(0)
	v_readfirstlane_b32 s14, v1
	v_readfirstlane_b32 s15, v2
	v_cmp_lt_i64_e64 s[20:21], s[14:15], 1
	s_cselect_b64 s[22:23], -1, 0
	s_or_b64 s[20:21], s[22:23], s[20:21]
	s_mul_hi_u32 s16, s19, s7
	s_andn2_b64 vcc, exec, s[20:21]
	s_mov_b32 s7, s36
	s_cbranch_vccnz .LBB73_5
; %bb.4:
	s_not_b64 s[14:15], s[14:15]
	s_add_u32 s7, s14, s36
	s_addc_u32 s15, s15, 0
	s_lshr_b32 s14, s15, 31
	s_add_u32 s14, s7, s14
	s_addc_u32 s15, s15, 0
	s_lshr_b64 s[14:15], s[14:15], 1
	s_add_i32 s7, s14, 1
.LBB73_5:
	s_load_dwordx2 s[14:15], s[4:5], 0x144
                                        ; kill: killed $sgpr4 killed $sgpr5
	s_waitcnt lgkmcnt(0)
	v_writelane_b32 v52, s14, 2
	v_writelane_b32 v52, s15, 3
	s_load_dwordx2 s[14:15], s[4:5], 0xd8
	s_waitcnt lgkmcnt(0)
	v_writelane_b32 v52, s14, 4
	v_writelane_b32 v52, s15, 5
	s_load_dwordx2 s[14:15], s[4:5], 0x6c
	;; [unrolled: 4-line block ×3, first 2 shown]
	s_mul_hi_u32 s4, s19, s17
	s_waitcnt lgkmcnt(0)
	v_writelane_b32 v52, s14, 8
	v_writelane_b32 v52, s15, 9
	;; [unrolled: 1-line block ×3, first 2 shown]
	s_mul_hi_u32 s4, s19, s18
	v_writelane_b32 v52, s4, 11
	s_and_saveexec_b64 s[4:5], s[0:1]
	s_cbranch_execz .LBB73_7
; %bb.6:
	v_mov_b32_e32 v1, 0
	v_mov_b32_e32 v2, s36
	ds_write_b32 v1, v1 offset:4112
	ds_write_b64 v1, v[1:2] offset:4104
.LBB73_7:
	s_or_b64 exec, exec, s[4:5]
	s_mul_i32 s4, s16, s13
	s_sub_i32 s4, s19, s4
	s_add_i32 s5, s16, 1
	s_sub_i32 s14, s4, s13
	s_cmp_ge_u32 s4, s13
	s_cselect_b32 s5, s5, s16
	s_cselect_b32 s4, s14, s4
	s_add_i32 s14, s5, 1
	s_cmp_ge_u32 s4, s13
	s_cselect_b32 s4, s14, s5
	s_mul_i32 s5, s4, s13
	s_sub_i32 s5, s19, s5
	s_mul_i32 s5, s5, s9
	s_mul_i32 s4, s4, s8
	s_add_i32 s4, s4, s5
	s_waitcnt lgkmcnt(0)
	s_barrier
	s_load_dword s5, s[10:11], 0xc
	s_add_u32 s40, s2, s4
	v_mbcnt_lo_u32_b32 v1, -1, 0
	v_writelane_b32 v52, s19, 12
	s_addc_u32 s41, s3, 0
	v_cmp_gt_u32_e64 s[2:3], s36, v0
	s_waitcnt lgkmcnt(0)
	s_and_b32 s45, s5, 0xffff
	v_mbcnt_hi_u32_b32 v19, -1, v1
	v_writelane_b32 v52, s2, 13
	v_cmp_gt_u32_e32 vcc, 64, v0
	v_cmp_gt_i32_e64 s[8:9], 4, v19
	s_add_i32 s15, s45, -1
	v_writelane_b32 v52, s3, 14
	s_lshl_b32 s14, s45, 2
	s_bfe_u32 s2, s5, 0xa0006
	s_and_b64 s[46:47], vcc, s[8:9]
	s_add_i32 s13, s15, s36
	s_cmpk_gt_u32 s36, 0xc00
	v_lshlrev_b64 v[2:3], v19, -1
	s_cselect_b64 s[48:49], -1, 0
	s_cmp_gt_u32 s45, 63
	s_cselect_b64 s[50:51], -1, 0
	v_not_b32_e32 v23, v2
	v_lshrrev_b32_e32 v2, 2, v0
	s_cmp_lt_u32 s6, s12
	v_and_b32_e32 v2, 0xf0, v2
	s_cselect_b32 s3, 12, 18
	v_or_b32_e32 v24, 0xc00, v2
	s_add_u32 s8, s10, s3
	v_add_u32_e32 v2, 2, v0
	s_addc_u32 s9, s11, 0
	v_max_u32_e32 v2, s36, v2
	v_writelane_b32 v52, s8, 15
	v_xad_u32 v2, v0, -1, v2
	v_not_b32_e32 v22, v3
	v_writelane_b32 v52, s9, 16
	v_add_u32_e32 v3, -4, v2
	v_cmp_lt_u32_e64 s[8:9], 31, v2
	v_lshrrev_b32_e32 v4, 2, v3
	v_writelane_b32 v52, s8, 17
	v_add_u32_e32 v4, 1, v4
	v_writelane_b32 v52, s9, 18
	v_cmp_lt_u32_e64 s[10:11], 11, v3
	v_and_b32_e32 v5, 3, v4
	v_writelane_b32 v52, s10, 19
	v_writelane_b32 v52, s11, 20
	v_cmp_ne_u32_e64 s[10:11], 0, v5
	v_and_b32_e32 v25, -4, v2
	v_writelane_b32 v52, s10, 21
	v_writelane_b32 v52, s11, 22
	v_cmp_ne_u32_e64 s[10:11], v2, v25
	v_cvt_f32_u32_e32 v2, s14
	s_add_i32 s3, s2, -1
	s_bfe_u32 s6, s45, 0x30006
	s_and_b32 s3, s3, 0xffff
	v_rcp_iflag_f32_e32 v2, v2
	v_writelane_b32 v52, s10, 23
	s_cmp_gt_u32 s3, 6
	v_writelane_b32 v52, s11, 24
	v_mul_f32_e32 v2, 0x4f7ffffe, v2
	v_cvt_u32_f32_e32 v2, v2
	s_cselect_b64 s[10:11], -1, 0
	v_writelane_b32 v52, s10, 25
	v_writelane_b32 v52, s11, 26
	s_and_b32 s2, s2, 0x3f8
	v_writelane_b32 v52, s6, 27
	s_cmp_lg_u32 s6, 0
	v_readfirstlane_b32 s6, v2
	v_cvt_f32_u32_e32 v2, s45
	s_cselect_b64 s[10:11], -1, 0
	s_sub_i32 s3, 0, s14
	s_mul_i32 s3, s3, s6
	s_mul_hi_u32 s3, s6, s3
	s_add_i32 s3, s6, s3
	v_rcp_iflag_f32_e32 v2, v2
	s_mul_hi_u32 s6, s36, s3
	s_mul_i32 s6, s6, s14
	v_writelane_b32 v52, s10, 28
	s_sub_i32 s6, s36, s6
	v_writelane_b32 v52, s11, 29
	s_sub_i32 s10, s6, s14
	v_mul_f32_e32 v2, 0x4f7ffffe, v2
	s_cmp_ge_u32 s6, s14
	v_cvt_u32_f32_e32 v2, v2
	s_cselect_b32 s6, s10, s6
	s_sub_i32 s10, s6, s14
	s_cmp_ge_u32 s6, s14
	s_cselect_b32 s6, s10, s6
	s_sub_i32 s10, 0, s45
	v_readfirstlane_b32 s11, v2
	s_mul_i32 s10, s10, s11
	s_mul_hi_u32 s10, s11, s10
	s_add_i32 s54, s11, s10
	s_mul_hi_u32 s10, s13, s54
	s_mul_i32 s10, s10, s45
	s_sub_i32 s10, s13, s10
	s_sub_i32 s53, s36, s6
	;; [unrolled: 1-line block ×3, first 2 shown]
	s_cmp_ge_u32 s10, s45
	s_cselect_b32 s10, s11, s10
	v_lshlrev_b32_e32 v18, 2, v0
	s_sub_i32 s11, s10, s45
	s_cmp_ge_u32 s10, s45
	v_mul_lo_u32 v2, s38, v18
	s_cselect_b32 s10, s11, s10
	s_sub_i32 s55, s13, s10
	v_cmp_gt_u32_e64 s[10:11], s55, v0
	v_mul_lo_u32 v17, s38, v0
	v_writelane_b32 v52, s10, 30
	v_add_u32_e32 v30, s38, v2
	v_or_b32_e32 v2, 2, v18
	v_add_u32_e32 v28, s53, v0
	v_writelane_b32 v52, s11, 31
	v_mul_lo_u32 v31, s38, v2
	v_or_b32_e32 v2, 3, v18
	s_add_i32 s10, s45, s36
	v_mul_lo_u32 v3, v28, s38
	v_mul_lo_u32 v33, s38, v2
	v_add_u32_e32 v2, s10, v0
	v_subrev_u32_e32 v2, s6, v2
	v_mov_b32_e32 v1, s41
	v_add_co_u32_e32 v13, vcc, s40, v17
	v_mul_lo_u32 v35, s38, v2
	v_addc_co_u32_e32 v14, vcc, 0, v1, vcc
	v_lshlrev_b32_e32 v1, 2, v19
	v_and_b32_e32 v27, 0x7ffffffc, v4
	v_mov_b32_e32 v4, s41
	v_add_co_u32_e32 v15, vcc, s40, v3
	s_mul_i32 s39, s38, s45
	s_mov_b32 s52, 0
	v_cmp_eq_u32_e64 s[4:5], 0, v19
	v_cmp_gt_u32_e64 s[22:23], 2, v0
	v_mov_b32_e32 v20, 0
	v_and_b32_e32 v21, 0x100, v1
	v_add_u32_e32 v26, v0, v25
	s_mov_b32 s8, s38
	s_mov_b32 s9, s38
	;; [unrolled: 1-line block ×4, first 2 shown]
	v_cmp_gt_u32_e64 s[16:17], s53, v18
	v_cmp_gt_u32_e64 s[18:19], s36, v28
	v_addc_co_u32_e32 v16, vcc, 0, v4, vcc
	v_lshlrev_b32_e32 v29, 2, v5
	s_lshl_b32 s56, s39, 2
	v_lshlrev_b32_e32 v34, 2, v17
	v_or_b32_e32 v36, 0xc00, v1
	s_mov_b64 s[58:59], 0
	v_mov_b32_e32 v37, 6
	v_mov_b32_e32 v41, s7
	s_mov_b32 s57, 0xc0c0004
	v_mov_b32_e32 v38, 8
	v_mov_b32_e32 v40, 0
	v_mov_b32_e32 v32, 0
	v_mov_b32_e32 v39, 0
                                        ; implicit-def: $sgpr60_sgpr61
                                        ; implicit-def: $sgpr64_sgpr65
                                        ; implicit-def: $sgpr62_sgpr63
                                        ; implicit-def: $sgpr68_sgpr69
                                        ; implicit-def: $sgpr70_sgpr71
                                        ; implicit-def: $sgpr66_sgpr67
	s_branch .LBB73_11
.LBB73_8:                               ;   in Loop: Header=BB73_11 Depth=1
	s_or_b64 exec, exec, s[10:11]
	s_and_b64 s[34:35], s[30:31], exec
	s_andn2_b64 s[72:73], s[72:73], exec
	s_andn2_b64 s[28:29], s[28:29], exec
	s_orn2_b64 s[24:25], s[24:25], exec
.LBB73_9:                               ;   in Loop: Header=BB73_11 Depth=1
	s_or_b64 exec, exec, s[26:27]
	s_andn2_b64 s[10:11], s[66:67], exec
	s_and_b64 s[12:13], s[34:35], exec
	s_or_b64 s[66:67], s[10:11], s[12:13]
	s_andn2_b64 s[10:11], s[70:71], exec
	s_and_b64 s[12:13], s[72:73], exec
	s_or_b64 s[70:71], s[10:11], s[12:13]
	;; [unrolled: 3-line block ×3, first 2 shown]
	s_orn2_b64 s[24:25], s[24:25], exec
.LBB73_10:                              ;   in Loop: Header=BB73_11 Depth=1
	s_or_b64 exec, exec, s[6:7]
	s_and_b64 s[6:7], exec, s[24:25]
	s_or_b64 s[58:59], s[6:7], s[58:59]
	s_andn2_b64 s[6:7], s[62:63], exec
	s_and_b64 s[10:11], s[66:67], exec
	s_or_b64 s[62:63], s[6:7], s[10:11]
	s_andn2_b64 s[6:7], s[64:65], exec
	s_and_b64 s[10:11], s[70:71], exec
	;; [unrolled: 3-line block ×3, first 2 shown]
	s_or_b64 s[60:61], s[6:7], s[10:11]
	s_mov_b32 s52, s42
	v_mov_b32_e32 v41, v4
	s_andn2_b64 exec, exec, s[58:59]
	s_cbranch_execz .LBB73_247
.LBB73_11:                              ; =>This Loop Header: Depth=1
                                        ;     Child Loop BB73_16 Depth 2
                                        ;     Child Loop BB73_37 Depth 2
	;; [unrolled: 1-line block ×18, first 2 shown]
	ds_read_b64 v[1:2], v20 offset:4104
	s_waitcnt lgkmcnt(0)
	v_readfirstlane_b32 s12, v1
	s_cmp_lg_u32 s12, 0
	s_cbranch_scc1 .LBB73_56
; %bb.12:                               ;   in Loop: Header=BB73_11 Depth=1
	s_and_b64 vcc, exec, s[48:49]
	s_cbranch_vccz .LBB73_24
; %bb.13:                               ;   in Loop: Header=BB73_11 Depth=1
	s_movk_i32 s6, 0xc01
	v_cmp_gt_u32_e32 vcc, s6, v2
	s_mov_b64 s[24:25], 0
	s_mov_b64 s[6:7], 0
	s_cbranch_vccz .LBB73_25
; %bb.14:                               ;   in Loop: Header=BB73_11 Depth=1
	v_readlane_b32 s6, v52, 15
	v_readlane_b32 s7, v52, 16
	s_nop 4
	global_load_ushort v1, v20, s[6:7]
	global_load_ubyte v4, v[13:14], off
	s_mov_b64 s[26:27], 0
	v_mov_b32_e32 v5, v0
	s_waitcnt vmcnt(1)
	v_add_u32_e32 v2, v0, v1
	v_mul_lo_u32 v2, s38, v2
	v_mul_lo_u32 v3, s38, v1
	s_branch .LBB73_16
.LBB73_15:                              ;   in Loop: Header=BB73_16 Depth=2
	s_or_b64 exec, exec, s[6:7]
	v_add_u32_e32 v2, v2, v3
	v_mov_b32_e32 v4, v6
	s_andn2_b64 exec, exec, s[26:27]
	s_cbranch_execz .LBB73_31
.LBB73_16:                              ;   Parent Loop BB73_11 Depth=1
                                        ; =>  This Inner Loop Header: Depth=2
	v_add_u32_e32 v5, v5, v1
	v_cmp_gt_u32_e64 s[6:7], s36, v5
	v_cmp_le_u32_e32 vcc, s36, v5
	s_waitcnt lgkmcnt(0)
	v_mov_b32_e32 v7, 0
	v_mov_b32_e32 v6, 0
	s_and_saveexec_b64 s[10:11], s[6:7]
	s_cbranch_execz .LBB73_18
; %bb.17:                               ;   in Loop: Header=BB73_16 Depth=2
	global_load_ubyte v6, v2, s[40:41]
.LBB73_18:                              ;   in Loop: Header=BB73_16 Depth=2
	s_or_b64 exec, exec, s[10:11]
	s_waitcnt vmcnt(0)
	v_and_b32_e32 v8, v4, v39
	v_cmp_eq_u32_sdwa s[28:29], v8, v32 src0_sel:BYTE_0 src1_sel:DWORD
	s_cmp_lg_u64 s[28:29], 0
	s_cselect_b64 s[6:7], -1, 0
	s_and_b64 s[6:7], s[4:5], s[6:7]
	s_and_saveexec_b64 s[30:31], s[6:7]
	s_cbranch_execz .LBB73_22
; %bb.19:                               ;   in Loop: Header=BB73_16 Depth=2
	s_mov_b64 s[12:13], exec
	v_mbcnt_lo_u32_b32 v7, s12, 0
	v_mbcnt_hi_u32_b32 v7, s13, v7
	s_bcnt1_i32_b64 s20, s[28:29]
	v_cmp_eq_u32_e64 s[6:7], 0, v7
                                        ; implicit-def: $vgpr8
	s_and_saveexec_b64 s[10:11], s[6:7]
; %bb.20:                               ;   in Loop: Header=BB73_16 Depth=2
	s_bcnt1_i32_b64 s6, s[12:13]
	s_mul_i32 s6, s20, s6
	v_mov_b32_e32 v8, s6
	ds_add_rtn_u32 v8, v20, v8 offset:4112
; %bb.21:                               ;   in Loop: Header=BB73_16 Depth=2
	s_or_b64 exec, exec, s[10:11]
	s_waitcnt lgkmcnt(0)
	v_readfirstlane_b32 s6, v8
	v_mov_b32_e32 v8, s6
	v_mad_u32_u24 v7, s20, v7, v8
.LBB73_22:                              ;   in Loop: Header=BB73_16 Depth=2
	s_or_b64 exec, exec, s[30:31]
	ds_bpermute_b32 v7, v21, v7
	s_and_b64 s[6:7], exec, vcc
	s_or_b64 s[26:27], s[6:7], s[26:27]
	s_and_saveexec_b64 s[6:7], s[28:29]
	s_cbranch_execz .LBB73_15
; %bb.23:                               ;   in Loop: Header=BB73_16 Depth=2
	v_and_b32_e32 v9, s28, v23
	v_and_b32_e32 v8, s29, v22
	v_bcnt_u32_b32 v9, v9, 0
	v_bcnt_u32_b32 v8, v8, v9
	s_waitcnt lgkmcnt(0)
	v_add_u32_e32 v7, v7, v8
	ds_write_b8 v7, v4
	s_branch .LBB73_15
.LBB73_24:                              ;   in Loop: Header=BB73_11 Depth=1
	s_mov_b64 s[24:25], -1
	s_mov_b64 s[6:7], 0
.LBB73_25:                              ;   in Loop: Header=BB73_11 Depth=1
	s_and_b64 vcc, exec, s[24:25]
	s_cbranch_vccz .LBB73_54
.LBB73_26:                              ;   in Loop: Header=BB73_11 Depth=1
	s_mov_b64 s[24:25], exec
	v_readlane_b32 s6, v52, 13
	v_readlane_b32 s7, v52, 14
	s_and_b64 s[6:7], s[24:25], s[6:7]
	s_mov_b64 exec, s[6:7]
	s_cbranch_execz .LBB73_51
; %bb.27:                               ;   in Loop: Header=BB73_11 Depth=1
	v_readlane_b32 s6, v52, 15
	v_readlane_b32 s7, v52, 16
	s_nop 4
	global_load_ushort v1, v20, s[6:7]
	global_load_ubyte v43, v[13:14], off
	v_mov_b32_e32 v2, v0
	s_waitcnt vmcnt(1)
	v_readfirstlane_b32 s10, v1
	v_add_u32_e32 v1, v0, v1
	v_cmp_gt_u32_e32 vcc, s36, v1
	s_and_saveexec_b64 s[26:27], vcc
	s_cbranch_execz .LBB73_50
; %bb.28:                               ;   in Loop: Header=BB73_11 Depth=1
	s_mov_b64 s[6:7], 0
	s_mul_i32 s11, s38, s10
                                        ; implicit-def: $vgpr2
                                        ; implicit-def: $vgpr5
                                        ; implicit-def: $vgpr3
                                        ; implicit-def: $vgpr4
	s_mov_b64 s[12:13], exec
	v_readlane_b32 s20, v52, 17
	v_readlane_b32 s21, v52, 18
	s_and_b64 s[20:21], s[12:13], s[20:21]
	s_xor_b64 s[28:29], s[20:21], s[12:13]
	s_mov_b64 exec, s[20:21]
	s_cbranch_execnz .LBB73_34
; %bb.29:                               ;   in Loop: Header=BB73_11 Depth=1
	s_andn2_saveexec_b64 s[28:29], s[28:29]
	s_cbranch_execnz .LBB73_45
.LBB73_30:                              ;   in Loop: Header=BB73_11 Depth=1
	s_or_b64 exec, exec, s[28:29]
	s_and_saveexec_b64 s[28:29], s[6:7]
	s_cbranch_execnz .LBB73_46
	s_branch .LBB73_49
.LBB73_31:                              ;   in Loop: Header=BB73_11 Depth=1
	s_or_b64 exec, exec, s[26:27]
	s_waitcnt lgkmcnt(0)
	s_barrier
	s_and_saveexec_b64 s[6:7], s[0:1]
	s_cbranch_execz .LBB73_33
; %bb.32:                               ;   in Loop: Header=BB73_11 Depth=1
	ds_read_b32 v1, v20 offset:4112
	s_waitcnt lgkmcnt(0)
	ds_write_b32 v20, v1 offset:4104
.LBB73_33:                              ;   in Loop: Header=BB73_11 Depth=1
	s_or_b64 exec, exec, s[6:7]
	s_waitcnt lgkmcnt(0)
	s_barrier
	s_mov_b64 s[6:7], -1
	s_and_b64 vcc, exec, s[24:25]
	s_cbranch_vccnz .LBB73_26
	s_branch .LBB73_54
.LBB73_34:                              ;   in Loop: Header=BB73_11 Depth=1
	v_cvt_f32_u32_e32 v2, s10
	s_sub_i32 s7, 0, s10
	v_add_u32_e32 v4, s10, v1
	v_max_u32_e32 v4, s36, v4
	v_rcp_iflag_f32_e32 v2, v2
	s_lshl_b32 s6, s10, 1
	v_sub_u32_e32 v4, v4, v0
	v_cmp_ne_u32_e32 vcc, s6, v4
	v_mul_f32_e32 v2, 0x4f7ffffe, v2
	v_cvt_u32_f32_e32 v2, v2
	v_cndmask_b32_e64 v5, 0, 1, vcc
	v_or_b32_e32 v5, s6, v5
	v_sub_u32_e32 v4, v4, v5
	v_mul_lo_u32 v3, s7, v2
	s_not_b32 s6, s11
	s_ashr_i32 s20, s6, 31
	s_abs_i32 s12, s11
	v_mul_hi_u32 v3, v2, v3
	s_cmp_eq_u32 s10, 1
	s_mov_b64 s[30:31], -1
	v_add_u32_e32 v2, v2, v3
	v_mul_hi_u32 v2, v4, v2
	v_mul_lo_u32 v3, s38, v1
	v_mul_lo_u32 v5, v2, s10
	v_add_u32_e32 v6, 1, v2
	v_xor_b32_e32 v3, s20, v3
	v_sub_u32_e32 v4, v4, v5
	v_cmp_le_u32_e64 s[6:7], s10, v4
	v_subrev_u32_e32 v5, s10, v4
	v_cndmask_b32_e64 v2, v2, v6, s[6:7]
	v_cndmask_b32_e64 v4, v4, v5, s[6:7]
	v_add_u32_e32 v5, 1, v2
	v_cmp_le_u32_e64 s[6:7], s10, v4
	v_cndmask_b32_e64 v2, v2, v5, s[6:7]
	v_addc_co_u32_e32 v2, vcc, 0, v2, vcc
	v_mul_hi_u32 v4, s12, v2
	v_mul_lo_u32 v2, s12, v2
	s_cselect_b64 s[12:13], -1, 0
	v_cmp_eq_u32_e32 vcc, 0, v4
	v_cmp_le_u32_e64 s[6:7], v2, v3
	s_and_b64 s[12:13], vcc, s[12:13]
	s_and_b64 s[12:13], s[12:13], s[6:7]
	v_mov_b32_e32 v3, v0
                                        ; implicit-def: $vgpr2
	s_and_saveexec_b64 s[6:7], s[12:13]
	s_cbranch_execz .LBB73_44
; %bb.35:                               ;   in Loop: Header=BB73_11 Depth=1
	v_add_u32_e32 v4, 3, v1
	v_add_u32_e32 v3, 2, v1
	;; [unrolled: 1-line block ×3, first 2 shown]
	v_mov_b32_e32 v8, v4
	s_waitcnt vmcnt(0)
	v_lshlrev_b32_e32 v44, 24, v43
	v_mov_b32_e32 v9, 0
	v_mov_b32_e32 v7, v3
	;; [unrolled: 1-line block ×4, first 2 shown]
                                        ; implicit-def: $vgpr43
	s_mov_b64 s[72:73], exec
	v_readlane_b32 s12, v52, 19
	v_readlane_b32 s13, v52, 20
	s_and_b64 s[12:13], s[72:73], s[12:13]
	s_mov_b64 exec, s[12:13]
	s_cbranch_execz .LBB73_39
; %bb.36:                               ;   in Loop: Header=BB73_11 Depth=1
	v_mov_b32_e32 v8, v4
	s_mov_b32 s12, 0
	s_mov_b64 s[74:75], 0
	v_mov_b32_e32 v42, v27
	v_mov_b32_e32 v7, v3
	;; [unrolled: 1-line block ×4, first 2 shown]
	s_mov_b32 s13, 0xc0c0007
.LBB73_37:                              ;   Parent Loop BB73_11 Depth=1
                                        ; =>  This Inner Loop Header: Depth=2
	v_mul_lo_u32 v2, v5, s8
	v_mul_lo_u32 v9, v6, s9
	;; [unrolled: 1-line block ×3, first 2 shown]
	v_mov_b32_e32 v12, s41
	v_add_co_u32_e32 v2, vcc, s40, v2
	v_addc_co_u32_e32 v3, vcc, 0, v12, vcc
	v_mul_lo_u32 v4, v8, s44
	v_add_co_u32_e32 v9, vcc, s40, v9
	v_addc_co_u32_e32 v10, vcc, 0, v12, vcc
	v_add_co_u32_e32 v45, vcc, s40, v11
	v_addc_co_u32_e32 v46, vcc, 0, v12, vcc
	v_add_co_u32_e32 v47, vcc, s40, v4
	global_load_ubyte v4, v[45:46], off
	s_nop 0
	global_load_ubyte v9, v[9:10], off
	v_add_u32_e32 v10, 4, v7
	global_load_ubyte v2, v[2:3], off
	v_add_u32_e32 v3, 4, v6
	v_mul_lo_u32 v43, v10, s37
	v_mul_lo_u32 v10, v3, s9
	v_addc_co_u32_e32 v48, vcc, 0, v12, vcc
	v_add_u32_e32 v11, 4, v8
	v_mul_lo_u32 v45, v11, s44
	v_add_u32_e32 v42, -4, v42
	s_waitcnt vmcnt(1)
	v_perm_b32 v4, v9, v4, s57
	s_waitcnt vmcnt(0)
	v_perm_b32 v2, v44, v2, s13
	v_lshl_or_b32 v9, v4, 16, v2
	v_add_u32_e32 v2, 4, v5
	v_mul_lo_u32 v2, v2, s8
	v_add_u32_e32 v4, s12, v0
	s_add_i32 s12, s12, 16
	v_add_co_u32_e32 v2, vcc, s40, v2
	v_addc_co_u32_e32 v3, vcc, 0, v12, vcc
	v_add_co_u32_e32 v10, vcc, s40, v10
	v_addc_co_u32_e32 v11, vcc, 0, v12, vcc
	;; [unrolled: 2-line block ×3, first 2 shown]
	global_load_ubyte v47, v[47:48], off
	s_nop 0
	global_load_ubyte v2, v[2:3], off
	s_nop 0
	;; [unrolled: 2-line block ×3, first 2 shown]
	global_load_ubyte v10, v[10:11], off
	v_add_co_u32_e32 v45, vcc, s40, v45
	v_addc_co_u32_e32 v46, vcc, 0, v12, vcc
	v_add_u32_e32 v11, 8, v7
	v_add_u32_e32 v43, 8, v8
	v_mul_lo_u32 v51, v43, s44
	v_mul_lo_u32 v11, v11, s37
	s_waitcnt vmcnt(2)
	v_perm_b32 v2, v47, v2, s57
	s_waitcnt vmcnt(0)
	v_perm_b32 v3, v10, v3, s57
	v_lshl_or_b32 v10, v3, 16, v2
	v_add_u32_e32 v2, 8, v5
	v_mul_lo_u32 v2, v2, s8
	v_add_u32_e32 v3, 8, v6
	v_mul_lo_u32 v3, v3, s9
	v_add_co_u32_e32 v43, vcc, s40, v2
	v_addc_co_u32_e32 v44, vcc, 0, v12, vcc
	v_add_co_u32_e32 v47, vcc, s40, v3
	v_addc_co_u32_e32 v48, vcc, 0, v12, vcc
	v_add_co_u32_e32 v49, vcc, s40, v11
	global_load_ubyte v11, v[43:44], off
	s_nop 0
	global_load_ubyte v43, v[45:46], off
	v_addc_co_u32_e32 v50, vcc, 0, v12, vcc
	v_add_u32_e32 v46, 12, v8
	v_add_co_u32_e32 v2, vcc, s40, v51
	v_addc_co_u32_e32 v3, vcc, 0, v12, vcc
	v_add_u32_e32 v45, 12, v7
	v_add_u32_e32 v8, 16, v8
	;; [unrolled: 1-line block ×3, first 2 shown]
	s_waitcnt vmcnt(0)
	v_perm_b32 v11, v43, v11, s57
	global_load_ubyte v43, v[49:50], off
	global_load_ubyte v44, v[47:48], off
	v_mul_lo_u32 v50, v46, s44
	v_mul_lo_u32 v48, v45, s37
	s_waitcnt vmcnt(0)
	v_perm_b32 v43, v44, v43, s57
	v_lshl_or_b32 v11, v43, 16, v11
	v_add_u32_e32 v43, 12, v5
	v_mul_lo_u32 v43, v43, s8
	v_add_u32_e32 v44, 12, v6
	v_mul_lo_u32 v46, v44, s9
	v_add_u32_e32 v6, 16, v6
	v_add_co_u32_e32 v44, vcc, s40, v43
	v_addc_co_u32_e32 v45, vcc, 0, v12, vcc
	v_add_co_u32_e32 v46, vcc, s40, v46
	v_addc_co_u32_e32 v47, vcc, 0, v12, vcc
	;; [unrolled: 2-line block ×4, first 2 shown]
	global_load_ubyte v43, v[50:51], off
	global_load_ubyte v12, v[46:47], off
	s_nop 0
	global_load_ubyte v45, v[44:45], off
	v_cmp_eq_u32_e32 vcc, 0, v42
	global_load_ubyte v46, v[48:49], off
	v_add_u32_e32 v5, 16, v5
	global_load_ubyte v2, v[2:3], off
	s_or_b64 s[74:75], vcc, s[74:75]
	s_waitcnt vmcnt(2)
	v_perm_b32 v44, v45, v12, s57
	s_waitcnt vmcnt(1)
	v_perm_b32 v3, v12, v46, s57
	v_perm_b32 v47, v46, v43, s57
	s_waitcnt vmcnt(0)
	v_perm_b32 v2, v2, v45, s57
	v_lshl_or_b32 v12, v3, 16, v2
	v_lshl_or_b32 v44, v47, 16, v44
	ds_write_b128 v4, v[9:12]
	v_mov_b32_e32 v9, s12
	s_andn2_b64 exec, exec, s[74:75]
	s_cbranch_execnz .LBB73_37
; %bb.38:                               ;   in Loop: Header=BB73_11 Depth=1
	s_or_b64 exec, exec, s[74:75]
.LBB73_39:                              ;   in Loop: Header=BB73_11 Depth=1
	s_or_b64 exec, exec, s[72:73]
	s_mov_b64 s[30:31], exec
	v_readlane_b32 s12, v52, 21
	v_readlane_b32 s13, v52, 22
	s_and_b64 s[12:13], s[30:31], s[12:13]
	s_mov_b64 exec, s[12:13]
	s_cbranch_execz .LBB73_43
; %bb.40:                               ;   in Loop: Header=BB73_11 Depth=1
	v_add_u32_e32 v2, v0, v9
	s_mov_b64 s[34:35], 0
	v_mov_b32_e32 v3, v29
	s_mov_b32 s12, 0xc0c0007
.LBB73_41:                              ;   Parent Loop BB73_11 Depth=1
                                        ; =>  This Inner Loop Header: Depth=2
	v_mul_lo_u32 v9, v5, s8
	v_mul_lo_u32 v11, v6, s9
	;; [unrolled: 1-line block ×3, first 2 shown]
	v_mov_b32_e32 v46, s41
	v_add_co_u32_e32 v9, vcc, s40, v9
	v_addc_co_u32_e32 v10, vcc, 0, v46, vcc
	v_mul_lo_u32 v4, v8, s44
	v_add_co_u32_e32 v11, vcc, s40, v11
	v_addc_co_u32_e32 v12, vcc, 0, v46, vcc
	v_add_co_u32_e32 v42, vcc, s40, v42
	v_addc_co_u32_e32 v43, vcc, 0, v46, vcc
	;; [unrolled: 2-line block ×3, first 2 shown]
	global_load_ubyte v4, v[11:12], off
	s_nop 0
	global_load_ubyte v11, v[42:43], off
	s_nop 0
	;; [unrolled: 2-line block ×3, first 2 shown]
	global_load_ubyte v9, v[9:10], off
	v_add_u32_e32 v3, -4, v3
	v_cmp_eq_u32_e32 vcc, 0, v3
	v_add_u32_e32 v8, 4, v8
	v_add_u32_e32 v7, 4, v7
	;; [unrolled: 1-line block ×4, first 2 shown]
	s_or_b64 s[34:35], vcc, s[34:35]
	s_waitcnt vmcnt(1)
	v_perm_b32 v12, v11, v43, s57
	s_waitcnt vmcnt(0)
	v_perm_b32 v10, v9, v4, s57
	v_perm_b32 v4, v4, v11, s57
	;; [unrolled: 1-line block ×3, first 2 shown]
	v_lshl_or_b32 v4, v4, 16, v9
	v_lshl_or_b32 v44, v12, 16, v10
	ds_write_b32 v2, v4
	v_add_u32_e32 v2, 4, v2
	s_andn2_b64 exec, exec, s[34:35]
	s_cbranch_execnz .LBB73_41
; %bb.42:                               ;   in Loop: Header=BB73_11 Depth=1
	s_or_b64 exec, exec, s[34:35]
.LBB73_43:                              ;   in Loop: Header=BB73_11 Depth=1
	s_or_b64 exec, exec, s[30:31]
	v_readlane_b32 s12, v52, 23
	v_add_u32_e32 v1, v1, v25
	v_readlane_b32 s13, v52, 24
	v_add_u32_e32 v2, -1, v1
	s_orn2_b64 s[30:31], s[12:13], exec
	v_mov_b32_e32 v3, v26
.LBB73_44:                              ;   in Loop: Header=BB73_11 Depth=1
	s_or_b64 exec, exec, s[6:7]
	v_mov_b32_e32 v4, s11
	s_and_b64 s[6:7], s[30:31], exec
	s_waitcnt vmcnt(0)
	v_mov_b32_e32 v5, v43
	s_andn2_saveexec_b64 s[28:29], s[28:29]
	s_cbranch_execz .LBB73_30
.LBB73_45:                              ;   in Loop: Header=BB73_11 Depth=1
	v_mov_b32_e32 v4, s11
	s_or_b64 s[6:7], s[6:7], exec
	s_waitcnt vmcnt(0)
	v_mov_b32_e32 v5, v43
	v_mov_b32_e32 v3, v0
	s_or_b64 exec, exec, s[28:29]
	s_and_saveexec_b64 s[28:29], s[6:7]
	s_cbranch_execz .LBB73_49
.LBB73_46:                              ;   in Loop: Header=BB73_11 Depth=1
	v_mul_lo_u32 v2, s38, v1
	s_sub_i32 s11, 0, s10
	s_mov_b64 s[6:7], 0
.LBB73_47:                              ;   Parent Loop BB73_11 Depth=1
                                        ; =>  This Inner Loop Header: Depth=2
	global_load_ubyte v43, v2, s[40:41]
	v_mov_b32_e32 v6, v1
	v_add_u32_e32 v1, s10, v6
	v_cmp_le_u32_e32 vcc, s36, v1
	ds_write_b8 v3, v5
	v_add_u32_e32 v2, v2, v4
	v_mov_b32_e32 v3, v6
	s_or_b64 s[6:7], vcc, s[6:7]
	s_waitcnt vmcnt(0)
	v_mov_b32_e32 v5, v43
	s_andn2_b64 exec, exec, s[6:7]
	s_cbranch_execnz .LBB73_47
; %bb.48:                               ;   in Loop: Header=BB73_11 Depth=1
	s_or_b64 exec, exec, s[6:7]
	v_add_u32_e32 v2, s11, v1
.LBB73_49:                              ;   in Loop: Header=BB73_11 Depth=1
	s_or_b64 exec, exec, s[28:29]
.LBB73_50:                              ;   in Loop: Header=BB73_11 Depth=1
	s_or_b64 exec, exec, s[26:27]
	s_waitcnt vmcnt(0)
	ds_write_b8 v2, v43
.LBB73_51:                              ;   in Loop: Header=BB73_11 Depth=1
	s_or_b64 exec, exec, s[24:25]
	s_waitcnt lgkmcnt(0)
	s_barrier
	s_and_saveexec_b64 s[6:7], s[0:1]
; %bb.52:                               ;   in Loop: Header=BB73_11 Depth=1
	v_mov_b32_e32 v1, s36
	ds_write_b32 v20, v1 offset:4104
; %bb.53:                               ;   in Loop: Header=BB73_11 Depth=1
	s_or_b64 exec, exec, s[6:7]
	s_mov_b64 s[6:7], -1
	s_waitcnt lgkmcnt(0)
	s_barrier
.LBB73_54:                              ;   in Loop: Header=BB73_11 Depth=1
	s_mov_b32 s12, 0
	s_and_b64 vcc, exec, s[6:7]
	s_cbranch_vccz .LBB73_56
; %bb.55:                               ;   in Loop: Header=BB73_11 Depth=1
	ds_read_b32 v1, v20 offset:4104
	s_waitcnt lgkmcnt(0)
	v_readfirstlane_b32 s12, v1
.LBB73_56:                              ;   in Loop: Header=BB73_11 Depth=1
	s_cmp_lt_i32 s12, 1
	s_mov_b64 s[6:7], -1
                                        ; implicit-def: $vgpr4
	s_cbranch_scc1 .LBB73_66
; %bb.57:                               ;   in Loop: Header=BB73_11 Depth=1
	s_and_b64 vcc, exec, s[6:7]
	s_cbranch_vccnz .LBB73_77
.LBB73_58:                              ;   in Loop: Header=BB73_11 Depth=1
	s_lshl_b32 s10, s52, 6
	s_and_saveexec_b64 s[6:7], s[4:5]
.LBB73_59:                              ;   in Loop: Header=BB73_11 Depth=1
	v_lshl_add_u32 v5, s10, 2, v24
	ds_write_b128 v5, v[1:4]
.LBB73_60:                              ;   in Loop: Header=BB73_11 Depth=1
	s_or_b64 exec, exec, s[6:7]
	s_waitcnt lgkmcnt(0)
	s_barrier
	s_and_saveexec_b64 s[6:7], s[46:47]
	s_cbranch_execz .LBB73_91
; %bb.61:                               ;   in Loop: Header=BB73_11 Depth=1
	s_andn2_b64 vcc, exec, s[50:51]
	v_mov_b32_e32 v1, 0
	s_cbranch_vccnz .LBB73_90
; %bb.62:                               ;   in Loop: Header=BB73_11 Depth=1
	v_readlane_b32 s12, v52, 25
	v_readlane_b32 s13, v52, 26
	s_andn2_b64 vcc, exec, s[12:13]
	s_cbranch_vccnz .LBB73_86
; %bb.63:                               ;   in Loop: Header=BB73_11 Depth=1
	v_lshl_add_u32 v2, s52, 8, v36
	s_mov_b32 s11, 0
	v_mov_b32_e32 v1, 0
.LBB73_64:                              ;   Parent Loop BB73_11 Depth=1
                                        ; =>  This Inner Loop Header: Depth=2
	ds_read2_b32 v[3:4], v2 offset1:4
	ds_read2_b32 v[5:6], v2 offset0:8 offset1:12
	ds_read2_b32 v[7:8], v2 offset0:16 offset1:20
	;; [unrolled: 1-line block ×3, first 2 shown]
	s_add_i32 s11, s11, 8
	s_waitcnt lgkmcnt(3)
	v_add3_u32 v1, v3, v1, v4
	s_waitcnt lgkmcnt(2)
	v_add3_u32 v1, v5, v1, v6
	;; [unrolled: 2-line block ×3, first 2 shown]
	v_add_u32_e32 v2, 0x80, v2
	s_cmp_eq_u32 s2, s11
	s_waitcnt lgkmcnt(0)
	v_add3_u32 v1, v9, v1, v10
	s_cbranch_scc0 .LBB73_64
; %bb.65:                               ;   in Loop: Header=BB73_11 Depth=1
	s_mov_b32 s11, s2
	s_branch .LBB73_87
.LBB73_66:                              ;   in Loop: Header=BB73_11 Depth=1
	v_mov_b32_e32 v1, 0
	v_mov_b32_e32 v2, 0
	;; [unrolled: 1-line block ×4, first 2 shown]
	s_and_saveexec_b64 s[72:73], s[16:17]
	s_cbranch_execz .LBB73_70
; %bb.67:                               ;   in Loop: Header=BB73_11 Depth=1
	s_mov_b32 s10, 0
	s_mov_b64 s[74:75], 0
	s_mov_b32 s11, 0
	s_mov_b32 s13, 0
	;; [unrolled: 1-line block ×4, first 2 shown]
	v_mov_b32_e32 v5, v18
.LBB73_68:                              ;   Parent Loop BB73_11 Depth=1
                                        ; =>  This Inner Loop Header: Depth=2
	v_add_u32_e32 v1, s10, v34
	global_load_ubyte v1, v1, s[40:41]
	v_add_u32_e32 v2, s10, v30
	global_load_ubyte v2, v2, s[40:41]
	v_add_u32_e32 v3, s10, v31
	global_load_ubyte v3, v3, s[40:41]
	v_add_u32_e32 v4, s10, v33
	global_load_ubyte v4, v4, s[40:41]
	v_add_u32_e32 v5, s14, v5
	s_add_i32 s10, s10, s56
	s_waitcnt vmcnt(3)
	v_and_b32_e32 v6, v39, v1
	v_bfe_u32 v1, v1, v37, 2
	v_cmp_eq_u32_e32 vcc, v6, v32
	s_waitcnt vmcnt(2)
	v_and_b32_e32 v6, v39, v2
	v_bfe_u32 v2, v2, v37, 2
	v_cmp_eq_u32_e64 s[28:29], 0, v1
	v_cmp_eq_u32_e64 s[6:7], v6, v32
	s_waitcnt vmcnt(1)
	v_and_b32_e32 v6, v39, v3
	v_bfe_u32 v3, v3, v37, 2
	s_and_b64 s[20:21], vcc, s[28:29]
	v_cmp_eq_u32_e64 s[28:29], 0, v2
	v_cmp_eq_u32_e64 s[24:25], v6, v32
	s_waitcnt vmcnt(0)
	v_and_b32_e32 v6, v39, v4
	v_bfe_u32 v4, v4, v37, 2
	s_and_b64 s[34:35], s[6:7], s[28:29]
	v_cmp_eq_u32_e64 s[28:29], 0, v3
	v_cmp_eq_u32_e64 s[26:27], v6, v32
	s_and_b64 s[42:43], s[24:25], s[28:29]
	v_cmp_eq_u32_e64 s[28:29], 0, v4
	v_cndmask_b32_e64 v6, 0, 1, s[20:21]
	s_and_b64 s[76:77], s[26:27], s[28:29]
	v_cmp_ne_u32_e64 s[28:29], 0, v6
	v_cndmask_b32_e64 v6, 0, 1, s[34:35]
	s_bcnt1_i32_b64 s20, s[28:29]
	v_cmp_ne_u32_e64 s[28:29], 0, v6
	v_cndmask_b32_e64 v6, 0, 1, s[42:43]
	s_bcnt1_i32_b64 s21, s[28:29]
	v_cmp_ne_u32_e64 s[28:29], 0, v6
	v_cndmask_b32_e64 v6, 0, 1, s[76:77]
	s_add_i32 s20, s31, s20
	s_bcnt1_i32_b64 s33, s[28:29]
	v_cmp_ne_u32_e64 s[28:29], 0, v6
	s_add_i32 s20, s20, s21
	s_bcnt1_i32_b64 s28, s[28:29]
	s_add_i32 s20, s20, s33
	s_add_i32 s31, s20, s28
	v_cmp_eq_u32_e64 s[28:29], 1, v1
	s_and_b64 s[20:21], vcc, s[28:29]
	v_cmp_eq_u32_e64 s[28:29], 1, v2
	s_and_b64 s[34:35], s[6:7], s[28:29]
	v_cmp_eq_u32_e64 s[28:29], 1, v3
	s_and_b64 s[42:43], s[24:25], s[28:29]
	v_cmp_eq_u32_e64 s[28:29], 1, v4
	v_cndmask_b32_e64 v6, 0, 1, s[20:21]
	s_and_b64 s[76:77], s[26:27], s[28:29]
	v_cmp_ne_u32_e64 s[28:29], 0, v6
	v_cndmask_b32_e64 v6, 0, 1, s[34:35]
	s_bcnt1_i32_b64 s20, s[28:29]
	v_cmp_ne_u32_e64 s[28:29], 0, v6
	v_cndmask_b32_e64 v6, 0, 1, s[42:43]
	s_bcnt1_i32_b64 s21, s[28:29]
	v_cmp_ne_u32_e64 s[28:29], 0, v6
	v_cndmask_b32_e64 v6, 0, 1, s[76:77]
	s_add_i32 s20, s30, s20
	s_bcnt1_i32_b64 s33, s[28:29]
	v_cmp_ne_u32_e64 s[28:29], 0, v6
	s_add_i32 s20, s20, s21
	s_bcnt1_i32_b64 s28, s[28:29]
	s_add_i32 s20, s20, s33
	s_add_i32 s30, s20, s28
	v_cmp_eq_u32_e64 s[28:29], 2, v1
	s_and_b64 s[20:21], vcc, s[28:29]
	v_cmp_eq_u32_e64 s[28:29], 2, v2
	s_and_b64 s[34:35], s[6:7], s[28:29]
	v_cmp_eq_u32_e64 s[28:29], 2, v3
	s_and_b64 s[42:43], s[24:25], s[28:29]
	v_cmp_eq_u32_e64 s[28:29], 2, v4
	v_cndmask_b32_e64 v6, 0, 1, s[20:21]
	s_and_b64 s[76:77], s[26:27], s[28:29]
	v_cmp_ne_u32_e64 s[28:29], 0, v6
	v_cndmask_b32_e64 v6, 0, 1, s[34:35]
	s_bcnt1_i32_b64 s20, s[28:29]
	v_cmp_ne_u32_e64 s[28:29], 0, v6
	v_cndmask_b32_e64 v6, 0, 1, s[42:43]
	s_bcnt1_i32_b64 s21, s[28:29]
	v_cmp_ne_u32_e64 s[28:29], 0, v6
	v_cndmask_b32_e64 v6, 0, 1, s[76:77]
	s_add_i32 s13, s13, s20
	s_bcnt1_i32_b64 s33, s[28:29]
	v_cmp_ne_u32_e64 s[28:29], 0, v6
	s_add_i32 s13, s13, s21
	s_bcnt1_i32_b64 s28, s[28:29]
	s_add_i32 s13, s13, s33
	s_add_i32 s13, s13, s28
	v_cmp_eq_u32_e64 s[28:29], 3, v1
	s_and_b64 s[20:21], vcc, s[28:29]
	v_cmp_eq_u32_e32 vcc, 3, v2
	s_and_b64 s[6:7], s[6:7], vcc
	v_cmp_eq_u32_e32 vcc, 3, v3
	s_and_b64 s[24:25], s[24:25], vcc
	v_cmp_eq_u32_e32 vcc, 3, v4
	v_cndmask_b32_e64 v1, 0, 1, s[20:21]
	s_and_b64 s[26:27], s[26:27], vcc
	v_cmp_ne_u32_e32 vcc, 0, v1
	v_cndmask_b32_e64 v1, 0, 1, s[6:7]
	s_bcnt1_i32_b64 s20, vcc
	v_cmp_ne_u32_e32 vcc, 0, v1
	v_cndmask_b32_e64 v1, 0, 1, s[24:25]
	s_bcnt1_i32_b64 s6, vcc
	v_cmp_ne_u32_e32 vcc, 0, v1
	v_cndmask_b32_e64 v1, 0, 1, s[26:27]
	s_add_i32 s11, s11, s20
	s_bcnt1_i32_b64 s7, vcc
	v_cmp_ne_u32_e32 vcc, 0, v1
	s_add_i32 s6, s11, s6
	s_bcnt1_i32_b64 s21, vcc
	s_add_i32 s6, s6, s7
	s_add_i32 s11, s6, s21
	v_cmp_le_u32_e32 vcc, s53, v5
	s_or_b64 s[74:75], vcc, s[74:75]
	v_mov_b32_e32 v1, s31
	v_mov_b32_e32 v2, s30
	;; [unrolled: 1-line block ×4, first 2 shown]
	s_andn2_b64 exec, exec, s[74:75]
	s_cbranch_execnz .LBB73_68
; %bb.69:                               ;   in Loop: Header=BB73_11 Depth=1
	s_or_b64 exec, exec, s[74:75]
.LBB73_70:                              ;   in Loop: Header=BB73_11 Depth=1
	s_or_b64 exec, exec, s[72:73]
	s_and_saveexec_b64 s[24:25], s[18:19]
	s_cbranch_execz .LBB73_76
; %bb.71:                               ;   in Loop: Header=BB73_11 Depth=1
	global_load_ubyte v8, v[15:16], off
	s_mov_b64 s[26:27], 0
	v_mov_b32_e32 v5, v35
	v_mov_b32_e32 v6, v28
	s_branch .LBB73_73
.LBB73_72:                              ;   in Loop: Header=BB73_73 Depth=2
	s_or_b64 exec, exec, s[10:11]
	s_waitcnt vmcnt(0)
	v_and_b32_e32 v8, 0xff, v8
	s_and_b64 s[6:7], exec, vcc
	v_and_b32_e32 v9, v39, v8
	v_bfe_u32 v8, v8, v37, 2
	s_or_b64 s[26:27], s[6:7], s[26:27]
	v_cmp_eq_u32_e32 vcc, v9, v32
	v_cmp_eq_u32_e64 s[6:7], 0, v8
	s_and_b64 s[6:7], vcc, s[6:7]
	v_cndmask_b32_e64 v9, 0, 1, s[6:7]
	v_cmp_ne_u32_e64 s[6:7], 0, v9
	s_bcnt1_i32_b64 s6, s[6:7]
	v_add_u32_e32 v1, s6, v1
	v_cmp_eq_u32_e64 s[6:7], 1, v8
	s_and_b64 s[6:7], vcc, s[6:7]
	v_cndmask_b32_e64 v9, 0, 1, s[6:7]
	v_cmp_ne_u32_e64 s[6:7], 0, v9
	s_bcnt1_i32_b64 s6, s[6:7]
	v_add_u32_e32 v2, s6, v2
	;; [unrolled: 6-line block ×3, first 2 shown]
	v_cmp_eq_u32_e64 s[6:7], 3, v8
	s_and_b64 s[6:7], vcc, s[6:7]
	v_cndmask_b32_e64 v8, 0, 1, s[6:7]
	v_cmp_ne_u32_e32 vcc, 0, v8
	s_bcnt1_i32_b64 s6, vcc
	v_add_u32_e32 v4, s6, v4
	v_add_u32_e32 v5, s39, v5
	v_mov_b32_e32 v8, v7
	s_andn2_b64 exec, exec, s[26:27]
	s_cbranch_execz .LBB73_75
.LBB73_73:                              ;   Parent Loop BB73_11 Depth=1
                                        ; =>  This Inner Loop Header: Depth=2
	v_add_u32_e32 v6, s45, v6
	v_cmp_gt_u32_e64 s[6:7], s36, v6
	v_cmp_le_u32_e32 vcc, s36, v6
	v_mov_b32_e32 v7, 0
	s_and_saveexec_b64 s[10:11], s[6:7]
	s_cbranch_execz .LBB73_72
; %bb.74:                               ;   in Loop: Header=BB73_73 Depth=2
	global_load_ubyte v7, v5, s[40:41]
	s_branch .LBB73_72
.LBB73_75:                              ;   in Loop: Header=BB73_11 Depth=1
	s_or_b64 exec, exec, s[26:27]
.LBB73_76:                              ;   in Loop: Header=BB73_11 Depth=1
	s_or_b64 exec, exec, s[24:25]
	s_branch .LBB73_58
.LBB73_77:                              ;   in Loop: Header=BB73_11 Depth=1
	s_mul_hi_u32 s6, s12, s3
	s_mul_i32 s6, s6, s14
	s_sub_i32 s6, s12, s6
	s_sub_i32 s7, s6, s14
	s_cmp_ge_u32 s6, s14
	s_cselect_b32 s6, s7, s6
	s_sub_i32 s7, s6, s14
	s_cmp_ge_u32 s6, s14
	s_cselect_b32 s6, s7, s6
	s_sub_i32 s10, s12, s6
	v_cmp_gt_u32_e32 vcc, s10, v18
	v_mov_b32_e32 v1, 0
	v_mov_b32_e32 v2, 0
	;; [unrolled: 1-line block ×4, first 2 shown]
	s_and_saveexec_b64 s[72:73], vcc
	s_cbranch_execz .LBB73_81
; %bb.78:                               ;   in Loop: Header=BB73_11 Depth=1
	s_mov_b32 s11, 0
	s_mov_b64 s[74:75], 0
	s_mov_b32 s13, 0
	s_mov_b32 s30, 0
	s_mov_b32 s31, 0
	v_mov_b32_e32 v5, v18
.LBB73_79:                              ;   Parent Loop BB73_11 Depth=1
                                        ; =>  This Inner Loop Header: Depth=2
	ds_read_b32 v1, v5
	v_add_u32_e32 v5, s14, v5
	s_waitcnt lgkmcnt(0)
	v_and_b32_e32 v3, 0xff, v1
	v_bfe_u32 v4, v1, 8, 8
	v_and_b32_e32 v6, v39, v3
	v_bfe_u32 v3, v3, v37, 2
	v_lshrrev_b32_e32 v2, 24, v1
	v_bfe_u32 v1, v1, 16, 8
	v_cmp_eq_u32_e32 vcc, v6, v32
	v_and_b32_e32 v6, v39, v4
	v_bfe_u32 v4, v4, v37, 2
	v_cmp_eq_u32_e64 s[28:29], 0, v3
	v_cmp_eq_u32_e64 s[6:7], v6, v32
	v_and_b32_e32 v6, v39, v1
	v_bfe_u32 v1, v1, v37, 2
	s_and_b64 s[20:21], vcc, s[28:29]
	v_cmp_eq_u32_e64 s[28:29], 0, v4
	v_cmp_eq_u32_e64 s[24:25], v6, v32
	v_and_b32_e32 v6, v39, v2
	v_bfe_u32 v2, v2, v37, 2
	s_and_b64 s[34:35], s[6:7], s[28:29]
	v_cmp_eq_u32_e64 s[28:29], 0, v1
	v_cmp_eq_u32_e64 s[26:27], v6, v32
	s_and_b64 s[42:43], s[24:25], s[28:29]
	v_cmp_eq_u32_e64 s[28:29], 0, v2
	v_cndmask_b32_e64 v6, 0, 1, s[20:21]
	s_and_b64 s[76:77], s[26:27], s[28:29]
	v_cmp_ne_u32_e64 s[28:29], 0, v6
	v_cndmask_b32_e64 v6, 0, 1, s[34:35]
	s_bcnt1_i32_b64 s20, s[28:29]
	v_cmp_ne_u32_e64 s[28:29], 0, v6
	v_cndmask_b32_e64 v6, 0, 1, s[42:43]
	s_bcnt1_i32_b64 s21, s[28:29]
	v_cmp_ne_u32_e64 s[28:29], 0, v6
	v_cndmask_b32_e64 v6, 0, 1, s[76:77]
	s_add_i32 s20, s31, s20
	s_bcnt1_i32_b64 s33, s[28:29]
	v_cmp_ne_u32_e64 s[28:29], 0, v6
	s_add_i32 s20, s20, s21
	s_bcnt1_i32_b64 s28, s[28:29]
	s_add_i32 s20, s20, s33
	s_add_i32 s31, s20, s28
	v_cmp_eq_u32_e64 s[28:29], 1, v3
	s_and_b64 s[20:21], vcc, s[28:29]
	v_cmp_eq_u32_e64 s[28:29], 1, v4
	s_and_b64 s[34:35], s[6:7], s[28:29]
	v_cmp_eq_u32_e64 s[28:29], 1, v1
	s_and_b64 s[42:43], s[24:25], s[28:29]
	v_cmp_eq_u32_e64 s[28:29], 1, v2
	v_cndmask_b32_e64 v6, 0, 1, s[20:21]
	s_and_b64 s[76:77], s[26:27], s[28:29]
	v_cmp_ne_u32_e64 s[28:29], 0, v6
	v_cndmask_b32_e64 v6, 0, 1, s[34:35]
	s_bcnt1_i32_b64 s20, s[28:29]
	v_cmp_ne_u32_e64 s[28:29], 0, v6
	v_cndmask_b32_e64 v6, 0, 1, s[42:43]
	s_bcnt1_i32_b64 s21, s[28:29]
	v_cmp_ne_u32_e64 s[28:29], 0, v6
	v_cndmask_b32_e64 v6, 0, 1, s[76:77]
	s_add_i32 s20, s30, s20
	s_bcnt1_i32_b64 s33, s[28:29]
	v_cmp_ne_u32_e64 s[28:29], 0, v6
	s_add_i32 s20, s20, s21
	s_bcnt1_i32_b64 s28, s[28:29]
	s_add_i32 s20, s20, s33
	s_add_i32 s30, s20, s28
	v_cmp_eq_u32_e64 s[28:29], 2, v3
	s_and_b64 s[20:21], vcc, s[28:29]
	v_cmp_eq_u32_e64 s[28:29], 2, v4
	s_and_b64 s[34:35], s[6:7], s[28:29]
	v_cmp_eq_u32_e64 s[28:29], 2, v1
	s_and_b64 s[42:43], s[24:25], s[28:29]
	v_cmp_eq_u32_e64 s[28:29], 2, v2
	v_cndmask_b32_e64 v6, 0, 1, s[20:21]
	s_and_b64 s[76:77], s[26:27], s[28:29]
	v_cmp_ne_u32_e64 s[28:29], 0, v6
	v_cndmask_b32_e64 v6, 0, 1, s[34:35]
	s_bcnt1_i32_b64 s20, s[28:29]
	v_cmp_ne_u32_e64 s[28:29], 0, v6
	v_cndmask_b32_e64 v6, 0, 1, s[42:43]
	s_bcnt1_i32_b64 s21, s[28:29]
	v_cmp_ne_u32_e64 s[28:29], 0, v6
	v_cndmask_b32_e64 v6, 0, 1, s[76:77]
	s_add_i32 s13, s13, s20
	s_bcnt1_i32_b64 s33, s[28:29]
	v_cmp_ne_u32_e64 s[28:29], 0, v6
	s_add_i32 s13, s13, s21
	s_bcnt1_i32_b64 s28, s[28:29]
	s_add_i32 s13, s13, s33
	s_add_i32 s13, s13, s28
	v_cmp_eq_u32_e64 s[28:29], 3, v3
	s_and_b64 s[20:21], vcc, s[28:29]
	v_cmp_eq_u32_e32 vcc, 3, v4
	s_and_b64 s[6:7], s[6:7], vcc
	v_cmp_eq_u32_e32 vcc, 3, v1
	s_and_b64 s[24:25], s[24:25], vcc
	v_cmp_eq_u32_e32 vcc, 3, v2
	v_cndmask_b32_e64 v1, 0, 1, s[20:21]
	s_and_b64 s[26:27], s[26:27], vcc
	v_cmp_ne_u32_e32 vcc, 0, v1
	v_cndmask_b32_e64 v1, 0, 1, s[6:7]
	s_bcnt1_i32_b64 s20, vcc
	v_cmp_ne_u32_e32 vcc, 0, v1
	v_cndmask_b32_e64 v1, 0, 1, s[24:25]
	s_bcnt1_i32_b64 s6, vcc
	v_cmp_ne_u32_e32 vcc, 0, v1
	v_cndmask_b32_e64 v1, 0, 1, s[26:27]
	s_add_i32 s11, s11, s20
	s_bcnt1_i32_b64 s7, vcc
	v_cmp_ne_u32_e32 vcc, 0, v1
	s_add_i32 s6, s11, s6
	s_bcnt1_i32_b64 s21, vcc
	s_add_i32 s6, s6, s7
	s_add_i32 s11, s6, s21
	v_cmp_le_u32_e32 vcc, s10, v5
	s_or_b64 s[74:75], vcc, s[74:75]
	v_mov_b32_e32 v1, s31
	v_mov_b32_e32 v2, s30
	;; [unrolled: 1-line block ×4, first 2 shown]
	s_andn2_b64 exec, exec, s[74:75]
	s_cbranch_execnz .LBB73_79
; %bb.80:                               ;   in Loop: Header=BB73_11 Depth=1
	s_or_b64 exec, exec, s[74:75]
.LBB73_81:                              ;   in Loop: Header=BB73_11 Depth=1
	s_or_b64 exec, exec, s[72:73]
	v_add_u32_e32 v5, s10, v0
	v_cmp_gt_u32_e32 vcc, s12, v5
	s_and_saveexec_b64 s[24:25], vcc
	s_cbranch_execz .LBB73_85
; %bb.82:                               ;   in Loop: Header=BB73_11 Depth=1
	s_mov_b64 s[26:27], 0
.LBB73_83:                              ;   Parent Loop BB73_11 Depth=1
                                        ; =>  This Inner Loop Header: Depth=2
	ds_read_u8 v6, v5
	v_add_u32_e32 v5, s45, v5
	s_waitcnt lgkmcnt(0)
	v_and_b32_e32 v7, v39, v6
	v_bfe_u32 v6, v6, v37, 2
	v_cmp_eq_u32_e32 vcc, v7, v32
	v_cmp_eq_u32_e64 s[6:7], 0, v6
	s_and_b64 s[6:7], vcc, s[6:7]
	v_cndmask_b32_e64 v7, 0, 1, s[6:7]
	v_cmp_ne_u32_e64 s[6:7], 0, v7
	s_bcnt1_i32_b64 s6, s[6:7]
	v_add_u32_e32 v1, s6, v1
	v_cmp_eq_u32_e64 s[6:7], 1, v6
	s_and_b64 s[6:7], vcc, s[6:7]
	v_cndmask_b32_e64 v7, 0, 1, s[6:7]
	v_cmp_ne_u32_e64 s[6:7], 0, v7
	s_bcnt1_i32_b64 s6, s[6:7]
	v_add_u32_e32 v2, s6, v2
	;; [unrolled: 6-line block ×3, first 2 shown]
	v_cmp_eq_u32_e64 s[6:7], 3, v6
	s_and_b64 s[6:7], vcc, s[6:7]
	v_cndmask_b32_e64 v6, 0, 1, s[6:7]
	v_cmp_ne_u32_e32 vcc, 0, v6
	s_bcnt1_i32_b64 s6, vcc
	v_cmp_le_u32_e32 vcc, s12, v5
	v_add_u32_e32 v4, s6, v4
	s_or_b64 s[26:27], vcc, s[26:27]
	s_andn2_b64 exec, exec, s[26:27]
	s_cbranch_execnz .LBB73_83
; %bb.84:                               ;   in Loop: Header=BB73_11 Depth=1
	s_or_b64 exec, exec, s[26:27]
.LBB73_85:                              ;   in Loop: Header=BB73_11 Depth=1
	s_or_b64 exec, exec, s[24:25]
	s_lshl_b32 s10, s52, 6
	s_and_saveexec_b64 s[6:7], s[4:5]
	s_cbranch_execnz .LBB73_59
	s_branch .LBB73_60
.LBB73_86:                              ;   in Loop: Header=BB73_11 Depth=1
	v_mov_b32_e32 v1, 0
	s_mov_b32 s11, 0
.LBB73_87:                              ;   in Loop: Header=BB73_11 Depth=1
	v_readlane_b32 s12, v52, 28
	v_readlane_b32 s13, v52, 29
	s_andn2_b64 vcc, exec, s[12:13]
	s_cbranch_vccnz .LBB73_90
; %bb.88:                               ;   in Loop: Header=BB73_11 Depth=1
	s_lshl_b32 s12, s52, 8
	s_lshl_b32 s11, s11, 4
	s_add_i32 s12, s12, s11
	v_add_u32_e32 v2, s12, v36
	v_readlane_b32 s11, v52, 27
.LBB73_89:                              ;   Parent Loop BB73_11 Depth=1
                                        ; =>  This Inner Loop Header: Depth=2
	ds_read_b32 v3, v2
	s_add_i32 s11, s11, -1
	v_add_u32_e32 v2, 16, v2
	s_cmp_lg_u32 s11, 0
	s_waitcnt lgkmcnt(0)
	v_add_u32_e32 v1, v3, v1
	s_cbranch_scc1 .LBB73_89
.LBB73_90:                              ;   in Loop: Header=BB73_11 Depth=1
	v_add_lshl_u32 v2, s10, v19, 2
	ds_write_b32 v2, v1 offset:3072
.LBB73_91:                              ;   in Loop: Header=BB73_11 Depth=1
	s_or_b64 exec, exec, s[6:7]
	s_lshl_b32 s6, s10, 2
	v_mov_b32_e32 v1, s6
	s_waitcnt lgkmcnt(0)
	s_barrier
	ds_read_b128 v[1:4], v1 offset:3072
	v_cmp_eq_u32_e32 vcc, 1, v41
	s_mov_b64 s[24:25], -1
	s_mov_b64 s[30:31], -1
                                        ; implicit-def: $sgpr72_sgpr73
                                        ; implicit-def: $sgpr28_sgpr29
	s_waitcnt lgkmcnt(0)
	v_readfirstlane_b32 s78, v1
	s_cmp_eq_u32 s78, 1
	v_lshlrev_b32_e64 v1, v37, 3
	s_cselect_b64 s[6:7], -1, 0
	v_readfirstlane_b32 s13, v2
	v_readfirstlane_b32 s12, v3
	;; [unrolled: 1-line block ×3, first 2 shown]
	v_not_b32_e32 v3, v1
	s_and_b64 s[26:27], s[6:7], vcc
	s_and_saveexec_b64 s[6:7], s[26:27]
	s_cbranch_execz .LBB73_117
; %bb.92:                               ;   in Loop: Header=BB73_11 Depth=1
	ds_read_b32 v2, v20 offset:4104
	s_waitcnt lgkmcnt(0)
	s_barrier
	v_readfirstlane_b32 s20, v2
	s_and_saveexec_b64 s[10:11], s[22:23]
; %bb.93:                               ;   in Loop: Header=BB73_11 Depth=1
	ds_write_b8 v0, v20 offset:3072
; %bb.94:                               ;   in Loop: Header=BB73_11 Depth=1
	s_or_b64 exec, exec, s[10:11]
	v_and_b32_e32 v32, v32, v3
	v_or_b32_e32 v39, v39, v1
	s_mov_b64 s[28:29], -1
	s_mov_b64 s[72:73], 0
	s_cmp_eq_u32 s20, 0
	s_mov_b64 s[74:75], 0
	s_mov_b64 s[76:77], -1
	s_waitcnt lgkmcnt(0)
	s_barrier
                                        ; implicit-def: $vgpr40
	s_cbranch_scc1 .LBB73_105
; %bb.95:                               ;   in Loop: Header=BB73_11 Depth=1
	s_add_i32 s10, s20, s15
	s_mul_hi_u32 s11, s10, s54
	s_mul_i32 s11, s11, s45
	s_sub_i32 s11, s10, s11
	s_sub_i32 s21, s11, s45
	s_cmp_ge_u32 s11, s45
	s_cselect_b32 s11, s21, s11
	s_sub_i32 s21, s11, s45
	s_cmp_ge_u32 s11, s45
	s_cselect_b32 s11, s21, s11
	s_sub_i32 s21, s10, s11
	v_cmp_gt_u32_e32 vcc, s21, v0
	s_mov_b64 s[76:77], 0
                                        ; implicit-def: $vgpr40
	s_and_saveexec_b64 s[30:31], vcc
	s_cbranch_execz .LBB73_104
; %bb.96:                               ;   in Loop: Header=BB73_11 Depth=1
	s_mov_b64 s[34:35], 0
	v_mov_b32_e32 v2, v0
                                        ; implicit-def: $sgpr42_sgpr43
	s_branch .LBB73_99
.LBB73_97:                              ;   in Loop: Header=BB73_99 Depth=2
	s_or_b64 exec, exec, s[10:11]
	s_waitcnt lgkmcnt(0)
	s_barrier
	ds_read_u16 v4, v20 offset:3072
	s_mov_b64 s[10:11], -1
	s_waitcnt lgkmcnt(0)
	s_barrier
	v_cmp_ne_u32_sdwa s[74:75], v4, v20 src0_sel:BYTE_0 src1_sel:DWORD
	s_and_b64 vcc, exec, s[74:75]
	s_mov_b64 s[74:75], -1
	s_cbranch_vccz .LBB73_102
.LBB73_98:                              ;   in Loop: Header=BB73_99 Depth=2
	s_and_b64 s[10:11], exec, s[10:11]
	s_or_b64 s[34:35], s[10:11], s[34:35]
	s_andn2_b64 s[10:11], s[42:43], exec
	s_and_b64 s[42:43], s[74:75], exec
	s_or_b64 s[42:43], s[10:11], s[42:43]
	s_andn2_b64 exec, exec, s[34:35]
	s_cbranch_execz .LBB73_103
.LBB73_99:                              ;   Parent Loop BB73_11 Depth=1
                                        ; =>  This Inner Loop Header: Depth=2
	v_cmp_gt_u32_e32 vcc, s20, v2
	s_and_saveexec_b64 s[10:11], vcc
	s_cbranch_execz .LBB73_97
; %bb.100:                              ;   in Loop: Header=BB73_99 Depth=2
	ds_read_u8 v4, v2
	s_waitcnt lgkmcnt(0)
	v_and_b32_e32 v5, v4, v39
	v_cmp_eq_u32_sdwa s[74:75], v5, v32 src0_sel:BYTE_0 src1_sel:DWORD
	s_and_b64 exec, exec, s[74:75]
	s_cbranch_execz .LBB73_97
; %bb.101:                              ;   in Loop: Header=BB73_99 Depth=2
	v_lshlrev_b16_e32 v4, 8, v4
	v_or_b32_e32 v4, 1, v4
	ds_write_b16 v20, v4 offset:3072
	s_branch .LBB73_97
.LBB73_102:                             ;   in Loop: Header=BB73_99 Depth=2
	v_add_u32_e32 v2, s45, v2
	v_cmp_le_u32_e32 vcc, s21, v2
	s_mov_b64 s[74:75], 0
	s_orn2_b64 s[10:11], vcc, exec
	s_branch .LBB73_98
.LBB73_103:                             ;   in Loop: Header=BB73_11 Depth=1
	s_or_b64 exec, exec, s[34:35]
	v_lshrrev_b32_sdwa v40, v38, v4 dst_sel:DWORD dst_unused:UNUSED_PAD src0_sel:DWORD src1_sel:WORD_0
	s_and_b64 s[74:75], s[42:43], exec
.LBB73_104:                             ;   in Loop: Header=BB73_11 Depth=1
	s_or_b64 exec, exec, s[30:31]
.LBB73_105:                             ;   in Loop: Header=BB73_11 Depth=1
	s_and_b64 vcc, exec, s[76:77]
	s_cbranch_vccz .LBB73_116
; %bb.106:                              ;   in Loop: Header=BB73_11 Depth=1
                                        ; implicit-def: $vgpr40
	s_mov_b64 s[28:29], exec
	v_readlane_b32 s10, v52, 30
	v_readlane_b32 s11, v52, 31
	s_and_b64 s[10:11], s[28:29], s[10:11]
	s_mov_b64 exec, s[10:11]
	s_cbranch_execz .LBB73_115
; %bb.107:                              ;   in Loop: Header=BB73_11 Depth=1
	s_mov_b64 s[30:31], 0
	v_mov_b32_e32 v2, v17
	v_mov_b32_e32 v4, v0
                                        ; implicit-def: $sgpr34_sgpr35
	s_branch .LBB73_110
.LBB73_108:                             ;   in Loop: Header=BB73_110 Depth=2
	s_or_b64 exec, exec, s[10:11]
	s_waitcnt lgkmcnt(0)
	s_barrier
	ds_read_u16 v5, v20 offset:3072
	s_mov_b64 s[10:11], -1
	s_mov_b64 s[42:43], -1
	s_waitcnt lgkmcnt(0)
	s_barrier
	v_cmp_ne_u32_sdwa s[20:21], v5, v20 src0_sel:BYTE_0 src1_sel:DWORD
	s_and_b64 vcc, exec, s[20:21]
	s_cbranch_vccz .LBB73_113
.LBB73_109:                             ;   in Loop: Header=BB73_110 Depth=2
	s_and_b64 s[10:11], exec, s[10:11]
	s_or_b64 s[30:31], s[10:11], s[30:31]
	s_andn2_b64 s[10:11], s[34:35], exec
	s_and_b64 s[20:21], s[42:43], exec
	s_or_b64 s[34:35], s[10:11], s[20:21]
	s_andn2_b64 exec, exec, s[30:31]
	s_cbranch_execz .LBB73_114
.LBB73_110:                             ;   Parent Loop BB73_11 Depth=1
                                        ; =>  This Inner Loop Header: Depth=2
	v_cmp_gt_u32_e32 vcc, s36, v4
	s_and_saveexec_b64 s[10:11], vcc
	s_cbranch_execz .LBB73_108
; %bb.111:                              ;   in Loop: Header=BB73_110 Depth=2
	global_load_ubyte v5, v2, s[40:41]
	s_waitcnt vmcnt(0)
	v_and_b32_e32 v6, v5, v39
	v_cmp_eq_u32_sdwa s[20:21], v6, v32 src0_sel:BYTE_0 src1_sel:DWORD
	s_and_b64 exec, exec, s[20:21]
	s_cbranch_execz .LBB73_108
; %bb.112:                              ;   in Loop: Header=BB73_110 Depth=2
	v_lshlrev_b16_e32 v5, 8, v5
	v_or_b32_e32 v5, 1, v5
	ds_write_b16 v20, v5 offset:3072
	s_branch .LBB73_108
.LBB73_113:                             ;   in Loop: Header=BB73_110 Depth=2
	v_add_u32_e32 v4, s45, v4
	v_cmp_le_u32_e32 vcc, s55, v4
	v_add_u32_e32 v2, s39, v2
	s_mov_b64 s[42:43], 0
	s_orn2_b64 s[10:11], vcc, exec
	s_branch .LBB73_109
.LBB73_114:                             ;   in Loop: Header=BB73_11 Depth=1
	s_or_b64 exec, exec, s[30:31]
	s_andn2_b64 s[10:11], s[74:75], exec
	s_and_b64 s[20:21], s[34:35], exec
	v_lshrrev_b32_sdwa v40, v38, v5 dst_sel:DWORD dst_unused:UNUSED_PAD src0_sel:DWORD src1_sel:WORD_0
	s_or_b64 s[74:75], s[10:11], s[20:21]
.LBB73_115:                             ;   in Loop: Header=BB73_11 Depth=1
	s_or_b64 exec, exec, s[28:29]
	s_mov_b64 s[28:29], 0
	s_mov_b64 s[72:73], -1
.LBB73_116:                             ;   in Loop: Header=BB73_11 Depth=1
	s_orn2_b64 s[30:31], s[74:75], exec
.LBB73_117:                             ;   in Loop: Header=BB73_11 Depth=1
	s_or_b64 exec, exec, s[6:7]
	s_andn2_b64 s[6:7], s[70:71], exec
	s_and_b64 s[10:11], s[72:73], exec
	s_or_b64 s[70:71], s[6:7], s[10:11]
	s_andn2_b64 s[6:7], s[68:69], exec
	s_and_b64 s[10:11], s[28:29], exec
	v_readfirstlane_b32 s42, v0
	s_andn2_b64 s[66:67], s[66:67], exec
	s_or_b64 s[68:69], s[6:7], s[10:11]
                                        ; implicit-def: $vgpr4
	s_and_saveexec_b64 s[6:7], s[30:31]
	s_cbranch_execz .LBB73_10
; %bb.118:                              ;   in Loop: Header=BB73_11 Depth=1
	s_xor_b64 s[10:11], s[26:27], -1
	s_mov_b64 s[26:27], 0
	v_mov_b32_e32 v4, 1
	v_mov_b32_e32 v2, 1
	s_and_saveexec_b64 s[24:25], s[10:11]
	s_cbranch_execz .LBB73_127
; %bb.119:                              ;   in Loop: Header=BB73_11 Depth=1
	v_cmp_ge_u32_e32 vcc, s78, v41
	s_and_saveexec_b64 s[10:11], vcc
	s_xor_b64 s[26:27], exec, s[10:11]
	s_cbranch_execz .LBB73_124
; %bb.120:                              ;   in Loop: Header=BB73_11 Depth=1
	ds_read_b32 v2, v20 offset:4104
	v_and_b32_e32 v32, v32, v3
	v_or_b32_e32 v39, v39, v1
	s_waitcnt lgkmcnt(0)
	v_cmp_ne_u32_e32 vcc, 0, v2
	s_cbranch_vccnz .LBB73_124
; %bb.121:                              ;   in Loop: Header=BB73_11 Depth=1
	s_and_saveexec_b64 s[10:11], s[0:1]
; %bb.122:                              ;   in Loop: Header=BB73_11 Depth=1
	v_mov_b32_e32 v2, s78
	ds_write_b32 v20, v2 offset:4108
; %bb.123:                              ;   in Loop: Header=BB73_11 Depth=1
	s_or_b64 exec, exec, s[10:11]
	s_waitcnt lgkmcnt(0)
	s_barrier
.LBB73_124:                             ;   in Loop: Header=BB73_11 Depth=1
	s_or_saveexec_b64 s[26:27], s[26:27]
	s_mov_b64 s[28:29], 0
	v_mov_b32_e32 v2, 8
	s_xor_b64 exec, exec, s[26:27]
; %bb.125:                              ;   in Loop: Header=BB73_11 Depth=1
	s_mov_b64 s[28:29], exec
	v_subrev_u32_e32 v41, s78, v41
	v_mov_b32_e32 v2, 0
; %bb.126:                              ;   in Loop: Header=BB73_11 Depth=1
	s_or_b64 exec, exec, s[26:27]
	s_and_b64 s[26:27], s[28:29], exec
	v_mov_b32_e32 v4, v41
.LBB73_127:                             ;   in Loop: Header=BB73_11 Depth=1
	s_or_b64 exec, exec, s[24:25]
	s_mov_b64 s[24:25], -1
	s_mov_b64 s[30:31], -1
                                        ; implicit-def: $sgpr28_sgpr29
                                        ; implicit-def: $sgpr72_sgpr73
	s_and_saveexec_b64 s[10:11], s[26:27]
	s_xor_b64 s[26:27], exec, s[10:11]
	s_cbranch_execz .LBB73_244
; %bb.128:                              ;   in Loop: Header=BB73_11 Depth=1
	s_cmp_eq_u32 s13, 1
	s_cselect_b64 s[10:11], -1, 0
	v_cmp_eq_u32_e32 vcc, 1, v4
	s_and_b64 s[76:77], s[10:11], vcc
                                        ; implicit-def: $sgpr72_sgpr73
                                        ; implicit-def: $sgpr28_sgpr29
	s_and_saveexec_b64 s[74:75], s[76:77]
	s_cbranch_execz .LBB73_154
; %bb.129:                              ;   in Loop: Header=BB73_11 Depth=1
	ds_read_b32 v5, v20 offset:4104
	s_waitcnt lgkmcnt(0)
	s_barrier
	v_readfirstlane_b32 s82, v5
	s_and_saveexec_b64 s[10:11], s[22:23]
; %bb.130:                              ;   in Loop: Header=BB73_11 Depth=1
	ds_write_b8 v0, v20 offset:3072
; %bb.131:                              ;   in Loop: Header=BB73_11 Depth=1
	s_or_b64 exec, exec, s[10:11]
	v_and_b32_e32 v5, v32, v3
	v_lshl_or_b32 v32, 1, v37, v5
	v_or_b32_e32 v39, v39, v1
	s_mov_b64 s[28:29], -1
	s_mov_b64 s[72:73], 0
	s_cmp_eq_u32 s82, 0
	s_mov_b64 s[78:79], 0
	s_mov_b64 s[80:81], -1
	s_waitcnt lgkmcnt(0)
	s_barrier
                                        ; implicit-def: $vgpr40
	s_cbranch_scc1 .LBB73_142
; %bb.132:                              ;   in Loop: Header=BB73_11 Depth=1
	s_add_i32 s10, s82, s15
	s_mul_hi_u32 s11, s10, s54
	s_mul_i32 s11, s11, s45
	s_sub_i32 s11, s10, s11
	s_sub_i32 s20, s11, s45
	s_cmp_ge_u32 s11, s45
	s_cselect_b32 s11, s20, s11
	s_sub_i32 s20, s11, s45
	s_cmp_ge_u32 s11, s45
	s_cselect_b32 s11, s20, s11
	s_sub_i32 s20, s10, s11
	v_cmp_gt_u32_e32 vcc, s20, v0
	s_mov_b64 s[80:81], 0
                                        ; implicit-def: $vgpr40
	s_and_saveexec_b64 s[30:31], vcc
	s_cbranch_execz .LBB73_141
; %bb.133:                              ;   in Loop: Header=BB73_11 Depth=1
	s_mov_b64 s[34:35], 0
	v_mov_b32_e32 v5, v0
                                        ; implicit-def: $sgpr78_sgpr79
	s_branch .LBB73_136
.LBB73_134:                             ;   in Loop: Header=BB73_136 Depth=2
	s_or_b64 exec, exec, s[42:43]
	s_waitcnt lgkmcnt(0)
	s_barrier
	ds_read_u16 v6, v20 offset:3072
	s_mov_b64 s[10:11], -1
	s_waitcnt lgkmcnt(0)
	s_barrier
	v_cmp_ne_u32_sdwa s[42:43], v6, v20 src0_sel:BYTE_0 src1_sel:DWORD
	s_and_b64 vcc, exec, s[42:43]
	s_mov_b64 s[42:43], -1
	s_cbranch_vccz .LBB73_139
.LBB73_135:                             ;   in Loop: Header=BB73_136 Depth=2
	s_and_b64 s[10:11], exec, s[10:11]
	s_or_b64 s[34:35], s[10:11], s[34:35]
	s_andn2_b64 s[10:11], s[78:79], exec
	s_and_b64 s[42:43], s[42:43], exec
	s_or_b64 s[78:79], s[10:11], s[42:43]
	s_andn2_b64 exec, exec, s[34:35]
	s_cbranch_execz .LBB73_140
.LBB73_136:                             ;   Parent Loop BB73_11 Depth=1
                                        ; =>  This Inner Loop Header: Depth=2
	v_cmp_gt_u32_e32 vcc, s82, v5
	s_and_saveexec_b64 s[42:43], vcc
	s_cbranch_execz .LBB73_134
; %bb.137:                              ;   in Loop: Header=BB73_136 Depth=2
	ds_read_u8 v6, v5
	s_waitcnt lgkmcnt(0)
	v_and_b32_e32 v7, v6, v39
	v_cmp_eq_u32_sdwa s[10:11], v7, v32 src0_sel:BYTE_0 src1_sel:DWORD
	s_and_b64 exec, exec, s[10:11]
	s_cbranch_execz .LBB73_134
; %bb.138:                              ;   in Loop: Header=BB73_136 Depth=2
	v_lshlrev_b16_e32 v6, 8, v6
	v_or_b32_e32 v6, 1, v6
	ds_write_b16 v20, v6 offset:3072
	s_branch .LBB73_134
.LBB73_139:                             ;   in Loop: Header=BB73_136 Depth=2
	v_add_u32_e32 v5, s45, v5
	v_cmp_le_u32_e32 vcc, s20, v5
	s_mov_b64 s[42:43], 0
	s_orn2_b64 s[10:11], vcc, exec
	s_branch .LBB73_135
.LBB73_140:                             ;   in Loop: Header=BB73_11 Depth=1
	s_or_b64 exec, exec, s[34:35]
	v_lshrrev_b32_sdwa v40, v38, v6 dst_sel:DWORD dst_unused:UNUSED_PAD src0_sel:DWORD src1_sel:WORD_0
	s_and_b64 s[78:79], s[78:79], exec
.LBB73_141:                             ;   in Loop: Header=BB73_11 Depth=1
	s_or_b64 exec, exec, s[30:31]
.LBB73_142:                             ;   in Loop: Header=BB73_11 Depth=1
	s_and_b64 vcc, exec, s[80:81]
	s_cbranch_vccz .LBB73_153
; %bb.143:                              ;   in Loop: Header=BB73_11 Depth=1
                                        ; implicit-def: $vgpr40
	s_mov_b64 s[28:29], exec
	v_readlane_b32 s10, v52, 30
	v_readlane_b32 s11, v52, 31
	s_and_b64 s[10:11], s[28:29], s[10:11]
	s_mov_b64 exec, s[10:11]
	s_cbranch_execz .LBB73_152
; %bb.144:                              ;   in Loop: Header=BB73_11 Depth=1
	s_mov_b64 s[30:31], 0
	v_mov_b32_e32 v5, v17
	v_mov_b32_e32 v6, v0
                                        ; implicit-def: $sgpr34_sgpr35
	s_branch .LBB73_147
.LBB73_145:                             ;   in Loop: Header=BB73_147 Depth=2
	s_or_b64 exec, exec, s[42:43]
	s_waitcnt lgkmcnt(0)
	s_barrier
	ds_read_u16 v7, v20 offset:3072
	s_mov_b64 s[10:11], -1
	s_mov_b64 s[42:43], -1
	s_waitcnt lgkmcnt(0)
	s_barrier
	v_cmp_eq_u32_sdwa s[20:21], v7, v20 src0_sel:BYTE_0 src1_sel:DWORD
	s_and_b64 vcc, exec, s[20:21]
	s_cbranch_vccnz .LBB73_150
.LBB73_146:                             ;   in Loop: Header=BB73_147 Depth=2
	s_and_b64 s[10:11], exec, s[10:11]
	s_or_b64 s[30:31], s[10:11], s[30:31]
	s_andn2_b64 s[10:11], s[34:35], exec
	s_and_b64 s[20:21], s[42:43], exec
	s_or_b64 s[34:35], s[10:11], s[20:21]
	s_andn2_b64 exec, exec, s[30:31]
	s_cbranch_execz .LBB73_151
.LBB73_147:                             ;   Parent Loop BB73_11 Depth=1
                                        ; =>  This Inner Loop Header: Depth=2
	v_cmp_gt_u32_e32 vcc, s36, v6
	s_and_saveexec_b64 s[42:43], vcc
	s_cbranch_execz .LBB73_145
; %bb.148:                              ;   in Loop: Header=BB73_147 Depth=2
	global_load_ubyte v7, v5, s[40:41]
	s_waitcnt vmcnt(0)
	v_and_b32_e32 v8, v7, v39
	v_cmp_eq_u32_sdwa s[10:11], v8, v32 src0_sel:BYTE_0 src1_sel:DWORD
	s_and_b64 exec, exec, s[10:11]
	s_cbranch_execz .LBB73_145
; %bb.149:                              ;   in Loop: Header=BB73_147 Depth=2
	v_lshlrev_b16_e32 v7, 8, v7
	v_or_b32_e32 v7, 1, v7
	ds_write_b16 v20, v7 offset:3072
	s_branch .LBB73_145
.LBB73_150:                             ;   in Loop: Header=BB73_147 Depth=2
	v_add_u32_e32 v6, s45, v6
	v_cmp_le_u32_e32 vcc, s55, v6
	v_add_u32_e32 v5, s39, v5
	s_mov_b64 s[42:43], 0
	s_orn2_b64 s[10:11], vcc, exec
	s_branch .LBB73_146
.LBB73_151:                             ;   in Loop: Header=BB73_11 Depth=1
	s_or_b64 exec, exec, s[30:31]
	s_andn2_b64 s[10:11], s[78:79], exec
	s_and_b64 s[20:21], s[34:35], exec
	v_lshrrev_b32_sdwa v40, v38, v7 dst_sel:DWORD dst_unused:UNUSED_PAD src0_sel:DWORD src1_sel:WORD_0
	s_or_b64 s[78:79], s[10:11], s[20:21]
.LBB73_152:                             ;   in Loop: Header=BB73_11 Depth=1
	s_or_b64 exec, exec, s[28:29]
	s_mov_b64 s[28:29], 0
	s_mov_b64 s[72:73], -1
.LBB73_153:                             ;   in Loop: Header=BB73_11 Depth=1
	s_orn2_b64 s[30:31], s[78:79], exec
.LBB73_154:                             ;   in Loop: Header=BB73_11 Depth=1
	s_or_b64 exec, exec, s[74:75]
	s_mov_b64 s[34:35], 0
	s_and_saveexec_b64 s[74:75], s[30:31]
	s_cbranch_execz .LBB73_243
; %bb.155:                              ;   in Loop: Header=BB73_11 Depth=1
	s_xor_b64 s[10:11], s[76:77], -1
	v_mov_b32_e32 v5, 1
	v_mov_b32_e32 v2, 1
	s_and_saveexec_b64 s[76:77], s[10:11]
	s_cbranch_execz .LBB73_161
; %bb.156:                              ;   in Loop: Header=BB73_11 Depth=1
	v_cmp_ge_u32_e32 vcc, s13, v4
	s_and_saveexec_b64 s[10:11], vcc
	s_xor_b64 s[30:31], exec, s[10:11]
	s_cbranch_execz .LBB73_158
; %bb.157:                              ;   in Loop: Header=BB73_11 Depth=1
	v_and_b32_e32 v2, v32, v3
	v_lshl_or_b32 v32, 1, v37, v2
	ds_read_b32 v2, v20 offset:4104
	v_or_b32_e32 v39, v39, v1
	s_waitcnt lgkmcnt(0)
	v_cmp_ne_u32_e32 vcc, 0, v2
	s_cbranch_vccz .LBB73_174
.LBB73_158:                             ;   in Loop: Header=BB73_11 Depth=1
	s_or_saveexec_b64 s[30:31], s[30:31]
	v_mov_b32_e32 v2, 8
	s_xor_b64 exec, exec, s[30:31]
.LBB73_159:                             ;   in Loop: Header=BB73_11 Depth=1
	v_subrev_u32_e32 v4, s13, v4
	v_mov_b32_e32 v2, 0
	s_mov_b64 s[34:35], exec
.LBB73_160:                             ;   in Loop: Header=BB73_11 Depth=1
	s_or_b64 exec, exec, s[30:31]
	s_and_b64 s[34:35], s[34:35], exec
	v_mov_b32_e32 v5, v4
.LBB73_161:                             ;   in Loop: Header=BB73_11 Depth=1
	s_or_b64 exec, exec, s[76:77]
	s_mov_b64 s[30:31], -1
                                        ; implicit-def: $sgpr78_sgpr79
                                        ; implicit-def: $sgpr80_sgpr81
	s_and_saveexec_b64 s[76:77], s[34:35]
	s_cbranch_execz .LBB73_242
; %bb.162:                              ;   in Loop: Header=BB73_11 Depth=1
	s_cmp_eq_u32 s12, 1
	s_cselect_b64 s[10:11], -1, 0
	v_cmp_eq_u32_e32 vcc, 1, v5
	s_and_b64 s[84:85], s[10:11], vcc
                                        ; implicit-def: $sgpr80_sgpr81
                                        ; implicit-def: $sgpr78_sgpr79
	s_and_saveexec_b64 s[82:83], s[84:85]
	s_cbranch_execz .LBB73_191
; %bb.163:                              ;   in Loop: Header=BB73_11 Depth=1
	ds_read_b32 v4, v20 offset:4104
	s_waitcnt lgkmcnt(0)
	s_barrier
	v_readfirstlane_b32 s13, v4
	s_and_saveexec_b64 s[10:11], s[22:23]
; %bb.164:                              ;   in Loop: Header=BB73_11 Depth=1
	ds_write_b8 v0, v20 offset:3072
; %bb.165:                              ;   in Loop: Header=BB73_11 Depth=1
	s_or_b64 exec, exec, s[10:11]
	v_and_b32_e32 v4, v32, v3
	v_lshl_or_b32 v32, 2, v37, v4
	v_or_b32_e32 v39, v39, v1
	s_mov_b64 s[78:79], -1
	s_mov_b64 s[80:81], 0
	s_cmp_eq_u32 s13, 0
	s_mov_b64 s[86:87], 0
	s_mov_b64 s[88:89], -1
	s_waitcnt lgkmcnt(0)
	s_barrier
                                        ; implicit-def: $vgpr40
	s_cbranch_scc1 .LBB73_179
; %bb.166:                              ;   in Loop: Header=BB73_11 Depth=1
	s_add_i32 s10, s13, s15
	s_mul_hi_u32 s11, s10, s54
	s_mul_i32 s11, s11, s45
	s_sub_i32 s11, s10, s11
	s_sub_i32 s20, s11, s45
	s_cmp_ge_u32 s11, s45
	s_cselect_b32 s11, s20, s11
	s_sub_i32 s20, s11, s45
	s_cmp_ge_u32 s11, s45
	s_cselect_b32 s11, s20, s11
	s_sub_i32 s20, s10, s11
	v_cmp_gt_u32_e32 vcc, s20, v0
	s_mov_b64 s[88:89], 0
                                        ; implicit-def: $vgpr40
	s_and_saveexec_b64 s[30:31], vcc
	s_cbranch_execz .LBB73_178
; %bb.167:                              ;   in Loop: Header=BB73_11 Depth=1
	s_mov_b64 s[34:35], 0
	v_mov_b32_e32 v4, v0
                                        ; implicit-def: $sgpr86_sgpr87
	s_branch .LBB73_170
.LBB73_168:                             ;   in Loop: Header=BB73_170 Depth=2
	s_or_b64 exec, exec, s[42:43]
	s_waitcnt lgkmcnt(0)
	s_barrier
	ds_read_u16 v6, v20 offset:3072
	s_mov_b64 s[10:11], -1
	s_waitcnt lgkmcnt(0)
	s_barrier
	v_cmp_ne_u32_sdwa s[42:43], v6, v20 src0_sel:BYTE_0 src1_sel:DWORD
	s_and_b64 vcc, exec, s[42:43]
	s_mov_b64 s[42:43], -1
	s_cbranch_vccz .LBB73_173
.LBB73_169:                             ;   in Loop: Header=BB73_170 Depth=2
	s_and_b64 s[10:11], exec, s[10:11]
	s_or_b64 s[34:35], s[10:11], s[34:35]
	s_andn2_b64 s[10:11], s[86:87], exec
	s_and_b64 s[42:43], s[42:43], exec
	s_or_b64 s[86:87], s[10:11], s[42:43]
	s_andn2_b64 exec, exec, s[34:35]
	s_cbranch_execz .LBB73_177
.LBB73_170:                             ;   Parent Loop BB73_11 Depth=1
                                        ; =>  This Inner Loop Header: Depth=2
	v_cmp_gt_u32_e32 vcc, s13, v4
	s_and_saveexec_b64 s[42:43], vcc
	s_cbranch_execz .LBB73_168
; %bb.171:                              ;   in Loop: Header=BB73_170 Depth=2
	ds_read_u8 v6, v4
	s_waitcnt lgkmcnt(0)
	v_and_b32_e32 v7, v6, v39
	v_cmp_eq_u32_sdwa s[10:11], v7, v32 src0_sel:BYTE_0 src1_sel:DWORD
	s_and_b64 exec, exec, s[10:11]
	s_cbranch_execz .LBB73_168
; %bb.172:                              ;   in Loop: Header=BB73_170 Depth=2
	v_lshlrev_b16_e32 v6, 8, v6
	v_or_b32_e32 v6, 1, v6
	ds_write_b16 v20, v6 offset:3072
	s_branch .LBB73_168
.LBB73_173:                             ;   in Loop: Header=BB73_170 Depth=2
	v_add_u32_e32 v4, s45, v4
	v_cmp_le_u32_e32 vcc, s20, v4
	s_mov_b64 s[42:43], 0
	s_orn2_b64 s[10:11], vcc, exec
	s_branch .LBB73_169
.LBB73_174:                             ;   in Loop: Header=BB73_11 Depth=1
	s_and_saveexec_b64 s[10:11], s[0:1]
; %bb.175:                              ;   in Loop: Header=BB73_11 Depth=1
	v_mov_b32_e32 v2, s13
	ds_write_b32 v20, v2 offset:4108
; %bb.176:                              ;   in Loop: Header=BB73_11 Depth=1
	s_or_b64 exec, exec, s[10:11]
	s_waitcnt lgkmcnt(0)
	s_barrier
	s_or_saveexec_b64 s[30:31], s[30:31]
	v_mov_b32_e32 v2, 8
	s_xor_b64 exec, exec, s[30:31]
	s_cbranch_execnz .LBB73_159
	s_branch .LBB73_160
.LBB73_177:                             ;   in Loop: Header=BB73_11 Depth=1
	s_or_b64 exec, exec, s[34:35]
	v_lshrrev_b32_sdwa v40, v38, v6 dst_sel:DWORD dst_unused:UNUSED_PAD src0_sel:DWORD src1_sel:WORD_0
	s_and_b64 s[86:87], s[86:87], exec
.LBB73_178:                             ;   in Loop: Header=BB73_11 Depth=1
	s_or_b64 exec, exec, s[30:31]
.LBB73_179:                             ;   in Loop: Header=BB73_11 Depth=1
	s_and_b64 vcc, exec, s[88:89]
	s_cbranch_vccz .LBB73_190
; %bb.180:                              ;   in Loop: Header=BB73_11 Depth=1
                                        ; implicit-def: $vgpr40
	s_mov_b64 s[30:31], exec
	v_readlane_b32 s10, v52, 30
	v_readlane_b32 s11, v52, 31
	s_and_b64 s[10:11], s[30:31], s[10:11]
	s_mov_b64 exec, s[10:11]
	s_cbranch_execz .LBB73_189
; %bb.181:                              ;   in Loop: Header=BB73_11 Depth=1
	s_mov_b64 s[34:35], 0
	v_mov_b32_e32 v4, v17
	v_mov_b32_e32 v6, v0
                                        ; implicit-def: $sgpr78_sgpr79
	s_branch .LBB73_184
.LBB73_182:                             ;   in Loop: Header=BB73_184 Depth=2
	s_or_b64 exec, exec, s[42:43]
	s_waitcnt lgkmcnt(0)
	s_barrier
	ds_read_u16 v7, v20 offset:3072
	s_mov_b64 s[10:11], -1
	s_mov_b64 s[42:43], -1
	s_waitcnt lgkmcnt(0)
	s_barrier
	v_cmp_eq_u32_sdwa s[20:21], v7, v20 src0_sel:BYTE_0 src1_sel:DWORD
	s_and_b64 vcc, exec, s[20:21]
	s_cbranch_vccnz .LBB73_187
.LBB73_183:                             ;   in Loop: Header=BB73_184 Depth=2
	s_and_b64 s[10:11], exec, s[10:11]
	s_or_b64 s[34:35], s[10:11], s[34:35]
	s_andn2_b64 s[10:11], s[78:79], exec
	s_and_b64 s[20:21], s[42:43], exec
	s_or_b64 s[78:79], s[10:11], s[20:21]
	s_andn2_b64 exec, exec, s[34:35]
	s_cbranch_execz .LBB73_188
.LBB73_184:                             ;   Parent Loop BB73_11 Depth=1
                                        ; =>  This Inner Loop Header: Depth=2
	v_cmp_gt_u32_e32 vcc, s36, v6
	s_and_saveexec_b64 s[42:43], vcc
	s_cbranch_execz .LBB73_182
; %bb.185:                              ;   in Loop: Header=BB73_184 Depth=2
	global_load_ubyte v7, v4, s[40:41]
	s_waitcnt vmcnt(0)
	v_and_b32_e32 v8, v7, v39
	v_cmp_eq_u32_sdwa s[10:11], v8, v32 src0_sel:BYTE_0 src1_sel:DWORD
	s_and_b64 exec, exec, s[10:11]
	s_cbranch_execz .LBB73_182
; %bb.186:                              ;   in Loop: Header=BB73_184 Depth=2
	v_lshlrev_b16_e32 v7, 8, v7
	v_or_b32_e32 v7, 1, v7
	ds_write_b16 v20, v7 offset:3072
	s_branch .LBB73_182
.LBB73_187:                             ;   in Loop: Header=BB73_184 Depth=2
	v_add_u32_e32 v6, s45, v6
	v_cmp_le_u32_e32 vcc, s55, v6
	v_add_u32_e32 v4, s39, v4
	s_mov_b64 s[42:43], 0
	s_orn2_b64 s[10:11], vcc, exec
	s_branch .LBB73_183
.LBB73_188:                             ;   in Loop: Header=BB73_11 Depth=1
	s_or_b64 exec, exec, s[34:35]
	s_andn2_b64 s[10:11], s[86:87], exec
	s_and_b64 s[20:21], s[78:79], exec
	v_lshrrev_b32_sdwa v40, v38, v7 dst_sel:DWORD dst_unused:UNUSED_PAD src0_sel:DWORD src1_sel:WORD_0
	s_or_b64 s[86:87], s[10:11], s[20:21]
.LBB73_189:                             ;   in Loop: Header=BB73_11 Depth=1
	s_or_b64 exec, exec, s[30:31]
	s_mov_b64 s[78:79], 0
	s_mov_b64 s[80:81], -1
.LBB73_190:                             ;   in Loop: Header=BB73_11 Depth=1
	s_orn2_b64 s[30:31], s[86:87], exec
.LBB73_191:                             ;   in Loop: Header=BB73_11 Depth=1
	s_or_b64 exec, exec, s[82:83]
	s_mov_b64 s[34:35], 0
	s_and_saveexec_b64 s[82:83], s[30:31]
	s_cbranch_execz .LBB73_241
; %bb.192:                              ;   in Loop: Header=BB73_11 Depth=1
	s_xor_b64 s[10:11], s[84:85], -1
	v_mov_b32_e32 v4, 1
	v_mov_b32_e32 v2, 1
	s_and_saveexec_b64 s[84:85], s[10:11]
	s_cbranch_execz .LBB73_201
; %bb.193:                              ;   in Loop: Header=BB73_11 Depth=1
	v_cmp_ge_u32_e32 vcc, s12, v5
	s_and_saveexec_b64 s[10:11], vcc
	s_xor_b64 s[30:31], exec, s[10:11]
	s_cbranch_execz .LBB73_198
; %bb.194:                              ;   in Loop: Header=BB73_11 Depth=1
	v_and_b32_e32 v2, v32, v3
	v_lshl_or_b32 v32, 2, v37, v2
	ds_read_b32 v2, v20 offset:4104
	v_or_b32_e32 v39, v39, v1
	s_waitcnt lgkmcnt(0)
	v_cmp_ne_u32_e32 vcc, 0, v2
	s_cbranch_vccnz .LBB73_198
; %bb.195:                              ;   in Loop: Header=BB73_11 Depth=1
	s_and_saveexec_b64 s[10:11], s[0:1]
; %bb.196:                              ;   in Loop: Header=BB73_11 Depth=1
	v_mov_b32_e32 v2, s12
	ds_write_b32 v20, v2 offset:4108
; %bb.197:                              ;   in Loop: Header=BB73_11 Depth=1
	s_or_b64 exec, exec, s[10:11]
	s_waitcnt lgkmcnt(0)
	s_barrier
.LBB73_198:                             ;   in Loop: Header=BB73_11 Depth=1
	s_or_saveexec_b64 s[30:31], s[30:31]
	v_mov_b32_e32 v2, 8
	s_xor_b64 exec, exec, s[30:31]
; %bb.199:                              ;   in Loop: Header=BB73_11 Depth=1
	v_subrev_u32_e32 v5, s12, v5
	v_mov_b32_e32 v2, 0
	s_mov_b64 s[34:35], exec
; %bb.200:                              ;   in Loop: Header=BB73_11 Depth=1
	s_or_b64 exec, exec, s[30:31]
	s_and_b64 s[34:35], s[34:35], exec
	v_mov_b32_e32 v4, v5
.LBB73_201:                             ;   in Loop: Header=BB73_11 Depth=1
	s_or_b64 exec, exec, s[84:85]
	s_mov_b64 s[30:31], -1
                                        ; implicit-def: $sgpr88_sgpr89
                                        ; implicit-def: $sgpr86_sgpr87
	s_and_saveexec_b64 s[84:85], s[34:35]
	s_cbranch_execz .LBB73_240
; %bb.202:                              ;   in Loop: Header=BB73_11 Depth=1
	s_cmp_eq_u32 s33, 1
	s_cselect_b64 s[10:11], -1, 0
	v_cmp_eq_u32_e32 vcc, 1, v4
	s_and_b64 s[90:91], s[10:11], vcc
                                        ; implicit-def: $sgpr88_sgpr89
                                        ; implicit-def: $sgpr86_sgpr87
	s_and_saveexec_b64 s[92:93], s[90:91]
	s_cbranch_execz .LBB73_228
; %bb.203:                              ;   in Loop: Header=BB73_11 Depth=1
	ds_read_b32 v3, v20 offset:4104
	s_waitcnt lgkmcnt(0)
	s_barrier
	v_readfirstlane_b32 s20, v3
	s_and_saveexec_b64 s[10:11], s[22:23]
; %bb.204:                              ;   in Loop: Header=BB73_11 Depth=1
	ds_write_b8 v0, v20 offset:3072
; %bb.205:                              ;   in Loop: Header=BB73_11 Depth=1
	s_or_b64 exec, exec, s[10:11]
	v_or_b32_e32 v32, v32, v1
	v_or_b32_e32 v39, v39, v1
	s_mov_b64 s[86:87], -1
	s_mov_b64 s[88:89], 0
	s_cmp_eq_u32 s20, 0
	s_mov_b64 s[94:95], 0
	s_waitcnt lgkmcnt(0)
	s_barrier
                                        ; implicit-def: $vgpr40
	s_cbranch_scc1 .LBB73_216
; %bb.206:                              ;   in Loop: Header=BB73_11 Depth=1
	s_add_i32 s10, s20, s15
	s_mul_hi_u32 s11, s10, s54
	s_mul_i32 s11, s11, s45
	s_sub_i32 s11, s10, s11
	s_sub_i32 s12, s11, s45
	s_cmp_ge_u32 s11, s45
	s_cselect_b32 s11, s12, s11
	s_sub_i32 s12, s11, s45
	s_cmp_ge_u32 s11, s45
	s_cselect_b32 s11, s12, s11
	s_sub_i32 s21, s10, s11
	v_cmp_gt_u32_e32 vcc, s21, v0
	s_mov_b64 s[30:31], 0
                                        ; implicit-def: $vgpr40
	s_and_saveexec_b64 s[34:35], vcc
	s_cbranch_execz .LBB73_215
; %bb.207:                              ;   in Loop: Header=BB73_11 Depth=1
	v_mov_b32_e32 v3, v0
                                        ; implicit-def: $sgpr42_sgpr43
	s_branch .LBB73_210
.LBB73_208:                             ;   in Loop: Header=BB73_210 Depth=2
	s_or_b64 exec, exec, s[10:11]
	s_waitcnt lgkmcnt(0)
	s_barrier
	ds_read_u16 v5, v20 offset:3072
	s_mov_b64 s[10:11], -1
	s_waitcnt lgkmcnt(0)
	s_barrier
	v_cmp_ne_u32_sdwa s[12:13], v5, v20 src0_sel:BYTE_0 src1_sel:DWORD
	s_and_b64 vcc, exec, s[12:13]
	s_mov_b64 s[12:13], -1
	s_cbranch_vccz .LBB73_213
.LBB73_209:                             ;   in Loop: Header=BB73_210 Depth=2
	s_and_b64 s[10:11], exec, s[10:11]
	s_or_b64 s[94:95], s[10:11], s[94:95]
	s_andn2_b64 s[10:11], s[42:43], exec
	s_and_b64 s[12:13], s[12:13], exec
	s_or_b64 s[42:43], s[10:11], s[12:13]
	s_andn2_b64 exec, exec, s[94:95]
	s_cbranch_execz .LBB73_214
.LBB73_210:                             ;   Parent Loop BB73_11 Depth=1
                                        ; =>  This Inner Loop Header: Depth=2
	v_cmp_gt_u32_e32 vcc, s20, v3
	s_and_saveexec_b64 s[10:11], vcc
	s_cbranch_execz .LBB73_208
; %bb.211:                              ;   in Loop: Header=BB73_210 Depth=2
	ds_read_u8 v5, v3
	s_waitcnt lgkmcnt(0)
	v_and_b32_e32 v6, v5, v39
	v_cmp_eq_u32_sdwa s[12:13], v6, v32 src0_sel:BYTE_0 src1_sel:DWORD
	s_and_b64 exec, exec, s[12:13]
	s_cbranch_execz .LBB73_208
; %bb.212:                              ;   in Loop: Header=BB73_210 Depth=2
	v_lshlrev_b16_e32 v5, 8, v5
	v_or_b32_e32 v5, 1, v5
	ds_write_b16 v20, v5 offset:3072
	s_branch .LBB73_208
.LBB73_213:                             ;   in Loop: Header=BB73_210 Depth=2
	v_add_u32_e32 v3, s45, v3
	v_cmp_le_u32_e32 vcc, s21, v3
	s_mov_b64 s[12:13], 0
	s_orn2_b64 s[10:11], vcc, exec
	s_branch .LBB73_209
.LBB73_214:                             ;   in Loop: Header=BB73_11 Depth=1
	s_or_b64 exec, exec, s[94:95]
	v_lshrrev_b32_sdwa v40, v38, v5 dst_sel:DWORD dst_unused:UNUSED_PAD src0_sel:DWORD src1_sel:WORD_0
	s_and_b64 s[94:95], s[42:43], exec
.LBB73_215:                             ;   in Loop: Header=BB73_11 Depth=1
	s_or_b64 exec, exec, s[34:35]
.LBB73_216:                             ;   in Loop: Header=BB73_11 Depth=1
	s_and_b64 vcc, exec, s[30:31]
	s_cbranch_vccz .LBB73_227
; %bb.217:                              ;   in Loop: Header=BB73_11 Depth=1
                                        ; implicit-def: $vgpr40
	s_mov_b64 s[30:31], exec
	v_readlane_b32 s10, v52, 30
	v_readlane_b32 s11, v52, 31
	s_and_b64 s[10:11], s[30:31], s[10:11]
	s_mov_b64 exec, s[10:11]
	s_cbranch_execz .LBB73_226
; %bb.218:                              ;   in Loop: Header=BB73_11 Depth=1
	s_mov_b64 s[34:35], 0
	v_mov_b32_e32 v3, v17
	v_mov_b32_e32 v5, v0
                                        ; implicit-def: $sgpr86_sgpr87
	s_branch .LBB73_221
.LBB73_219:                             ;   in Loop: Header=BB73_221 Depth=2
	s_or_b64 exec, exec, s[10:11]
	s_waitcnt lgkmcnt(0)
	s_barrier
	ds_read_u16 v6, v20 offset:3072
	s_mov_b64 s[10:11], -1
	s_mov_b64 s[42:43], -1
	s_waitcnt lgkmcnt(0)
	s_barrier
	v_cmp_eq_u32_sdwa s[12:13], v6, v20 src0_sel:BYTE_0 src1_sel:DWORD
	s_and_b64 vcc, exec, s[12:13]
	s_cbranch_vccnz .LBB73_224
.LBB73_220:                             ;   in Loop: Header=BB73_221 Depth=2
	s_and_b64 s[10:11], exec, s[10:11]
	s_or_b64 s[34:35], s[10:11], s[34:35]
	s_andn2_b64 s[10:11], s[86:87], exec
	s_and_b64 s[12:13], s[42:43], exec
	s_or_b64 s[86:87], s[10:11], s[12:13]
	s_andn2_b64 exec, exec, s[34:35]
	s_cbranch_execz .LBB73_225
.LBB73_221:                             ;   Parent Loop BB73_11 Depth=1
                                        ; =>  This Inner Loop Header: Depth=2
	v_cmp_gt_u32_e32 vcc, s36, v5
	s_and_saveexec_b64 s[10:11], vcc
	s_cbranch_execz .LBB73_219
; %bb.222:                              ;   in Loop: Header=BB73_221 Depth=2
	global_load_ubyte v6, v3, s[40:41]
	s_waitcnt vmcnt(0)
	v_and_b32_e32 v7, v6, v39
	v_cmp_eq_u32_sdwa s[12:13], v7, v32 src0_sel:BYTE_0 src1_sel:DWORD
	s_and_b64 exec, exec, s[12:13]
	s_cbranch_execz .LBB73_219
; %bb.223:                              ;   in Loop: Header=BB73_221 Depth=2
	v_lshlrev_b16_e32 v6, 8, v6
	v_or_b32_e32 v6, 1, v6
	ds_write_b16 v20, v6 offset:3072
	s_branch .LBB73_219
.LBB73_224:                             ;   in Loop: Header=BB73_221 Depth=2
	v_add_u32_e32 v5, s45, v5
	v_cmp_le_u32_e32 vcc, s55, v5
	v_add_u32_e32 v3, s39, v3
	s_mov_b64 s[42:43], 0
	s_orn2_b64 s[10:11], vcc, exec
	s_branch .LBB73_220
.LBB73_225:                             ;   in Loop: Header=BB73_11 Depth=1
	s_or_b64 exec, exec, s[34:35]
	s_andn2_b64 s[10:11], s[94:95], exec
	s_and_b64 s[12:13], s[86:87], exec
	v_lshrrev_b32_sdwa v40, v38, v6 dst_sel:DWORD dst_unused:UNUSED_PAD src0_sel:DWORD src1_sel:WORD_0
	s_or_b64 s[94:95], s[10:11], s[12:13]
.LBB73_226:                             ;   in Loop: Header=BB73_11 Depth=1
	s_or_b64 exec, exec, s[30:31]
	s_mov_b64 s[86:87], 0
	s_mov_b64 s[88:89], -1
.LBB73_227:                             ;   in Loop: Header=BB73_11 Depth=1
	s_orn2_b64 s[30:31], s[94:95], exec
.LBB73_228:                             ;   in Loop: Header=BB73_11 Depth=1
	s_or_b64 exec, exec, s[92:93]
	s_mov_b64 s[34:35], 0
	s_and_saveexec_b64 s[92:93], s[30:31]
	s_cbranch_execz .LBB73_239
; %bb.229:                              ;   in Loop: Header=BB73_11 Depth=1
	s_xor_b64 s[10:11], s[90:91], -1
	v_mov_b32_e32 v2, 1
	v_mov_b32_e32 v3, 1
	s_and_saveexec_b64 s[30:31], s[10:11]
	s_cbranch_execz .LBB73_238
; %bb.230:                              ;   in Loop: Header=BB73_11 Depth=1
	v_cmp_ge_u32_e32 vcc, s33, v4
	s_and_saveexec_b64 s[10:11], vcc
	s_xor_b64 s[34:35], exec, s[10:11]
	s_cbranch_execz .LBB73_235
; %bb.231:                              ;   in Loop: Header=BB73_11 Depth=1
	v_or_b32_e32 v32, v32, v1
	v_or_b32_e32 v39, v39, v1
	ds_read_b32 v1, v20 offset:4104
	s_waitcnt lgkmcnt(0)
	v_cmp_ne_u32_e32 vcc, 0, v1
	s_cbranch_vccnz .LBB73_235
; %bb.232:                              ;   in Loop: Header=BB73_11 Depth=1
	s_and_saveexec_b64 s[10:11], s[0:1]
; %bb.233:                              ;   in Loop: Header=BB73_11 Depth=1
	v_mov_b32_e32 v1, s33
	ds_write_b32 v20, v1 offset:4108
; %bb.234:                              ;   in Loop: Header=BB73_11 Depth=1
	s_or_b64 exec, exec, s[10:11]
	s_waitcnt lgkmcnt(0)
	s_barrier
.LBB73_235:                             ;   in Loop: Header=BB73_11 Depth=1
	s_andn2_saveexec_b64 s[10:11], s[34:35]
; %bb.236:                              ;   in Loop: Header=BB73_11 Depth=1
	v_subrev_u32_e32 v4, s33, v4
; %bb.237:                              ;   in Loop: Header=BB73_11 Depth=1
	s_or_b64 exec, exec, s[10:11]
	v_mov_b32_e32 v2, 8
	v_mov_b32_e32 v3, v4
.LBB73_238:                             ;   in Loop: Header=BB73_11 Depth=1
	s_or_b64 exec, exec, s[30:31]
	s_mov_b64 s[34:35], exec
	v_mov_b32_e32 v4, v3
.LBB73_239:                             ;   in Loop: Header=BB73_11 Depth=1
	s_or_b64 exec, exec, s[92:93]
	s_orn2_b64 s[30:31], s[34:35], exec
.LBB73_240:                             ;   in Loop: Header=BB73_11 Depth=1
	s_or_b64 exec, exec, s[84:85]
	s_andn2_b64 s[10:11], s[80:81], exec
	s_and_b64 s[12:13], s[88:89], exec
	s_or_b64 s[80:81], s[10:11], s[12:13]
	s_andn2_b64 s[10:11], s[78:79], exec
	s_and_b64 s[12:13], s[86:87], exec
	s_or_b64 s[78:79], s[10:11], s[12:13]
	s_and_b64 s[34:35], s[30:31], exec
	v_mov_b32_e32 v5, v4
.LBB73_241:                             ;   in Loop: Header=BB73_11 Depth=1
	s_or_b64 exec, exec, s[82:83]
	s_orn2_b64 s[30:31], s[34:35], exec
.LBB73_242:                             ;   in Loop: Header=BB73_11 Depth=1
	s_or_b64 exec, exec, s[76:77]
	s_andn2_b64 s[10:11], s[72:73], exec
	s_and_b64 s[12:13], s[80:81], exec
	s_or_b64 s[72:73], s[10:11], s[12:13]
	s_andn2_b64 s[10:11], s[28:29], exec
	s_and_b64 s[12:13], s[78:79], exec
	s_or_b64 s[28:29], s[10:11], s[12:13]
	s_and_b64 s[34:35], s[30:31], exec
	v_mov_b32_e32 v4, v5
.LBB73_243:                             ;   in Loop: Header=BB73_11 Depth=1
	s_or_b64 exec, exec, s[74:75]
	s_orn2_b64 s[30:31], s[34:35], exec
.LBB73_244:                             ;   in Loop: Header=BB73_11 Depth=1
	s_or_b64 exec, exec, s[26:27]
	s_mov_b64 s[34:35], 0
                                        ; implicit-def: $sgpr42
	s_and_saveexec_b64 s[10:11], s[30:31]
	s_xor_b64 s[26:27], exec, s[10:11]
	s_cbranch_execz .LBB73_9
; %bb.245:                              ;   in Loop: Header=BB73_11 Depth=1
	v_and_b32_e32 v1, 7, v2
	v_cmp_eq_u32_e32 vcc, 0, v1
	s_mov_b64 s[24:25], -1
	s_mov_b64 s[30:31], -1
                                        ; implicit-def: $sgpr42
	s_and_saveexec_b64 s[10:11], vcc
	s_cbranch_execz .LBB73_8
; %bb.246:                              ;   in Loop: Header=BB73_11 Depth=1
	v_add_u32_e32 v1, -2, v37
	v_cmp_eq_u32_e32 vcc, 0, v37
	s_xor_b32 s42, s52, 1
	s_xor_b64 s[30:31], exec, -1
	s_orn2_b64 s[24:25], vcc, exec
	v_mov_b32_e32 v37, v1
	s_branch .LBB73_8
.LBB73_247:
	s_or_b64 exec, exec, s[58:59]
	s_xor_b64 s[8:9], s[64:65], -1
	s_xor_b64 s[0:1], s[60:61], -1
	;; [unrolled: 1-line block ×3, first 2 shown]
	s_mov_b64 s[4:5], 0
	s_and_saveexec_b64 s[2:3], s[0:1]
	s_xor_b64 s[0:1], exec, s[2:3]
	s_cbranch_execnz .LBB73_252
; %bb.248:
	s_andn2_saveexec_b64 s[0:1], s[0:1]
	s_cbranch_execnz .LBB73_265
.LBB73_249:
	s_or_b64 exec, exec, s[0:1]
	s_and_saveexec_b64 s[0:1], s[4:5]
.LBB73_250:
	; divergent unreachable
.LBB73_251:
	s_endpgm
.LBB73_252:
	s_and_saveexec_b64 s[2:3], s[8:9]
	s_xor_b64 s[4:5], exec, s[2:3]
	s_cbranch_execz .LBB73_263
; %bb.253:
	s_and_saveexec_b64 s[2:3], s[6:7]
	s_xor_b64 s[6:7], exec, s[2:3]
; %bb.254:
	v_mov_b32_e32 v40, v32
; %bb.255:
	s_or_b64 exec, exec, s[6:7]
	v_readlane_b32 s7, v52, 0
	v_readlane_b32 s8, v52, 10
	s_mul_i32 s2, s8, s7
	v_readlane_b32 s18, v52, 12
	s_sub_i32 s2, s18, s2
	s_add_i32 s3, s8, 1
	s_sub_i32 s6, s2, s7
	s_cmp_ge_u32 s2, s7
	s_cselect_b32 s3, s3, s8
	s_cselect_b32 s2, s6, s2
	s_add_i32 s6, s3, 1
	s_cmp_ge_u32 s2, s7
	s_cselect_b32 s2, s6, s3
	s_mul_i32 s3, s2, s7
	v_readlane_b32 s6, v52, 6
	s_sub_i32 s3, s18, s3
	v_readlane_b32 s7, v52, 7
	s_mul_i32 s3, s3, s7
	s_mul_i32 s2, s2, s6
	s_add_i32 s2, s2, s3
	v_mov_b32_e32 v1, s2
	v_readlane_b32 s2, v52, 8
	v_readlane_b32 s3, v52, 9
	s_nop 4
	global_store_byte v1, v40, s[2:3]
	s_mov_b64 s[6:7], exec
	v_readlane_b32 s2, v52, 13
	v_readlane_b32 s3, v52, 14
	s_and_b64 s[2:3], s[6:7], s[2:3]
	s_mov_b64 exec, s[2:3]
	s_cbranch_execz .LBB73_262
; %bb.256:
	s_mov_b64 s[2:3], 0
                                        ; implicit-def: $sgpr8_sgpr9
                                        ; implicit-def: $sgpr12_sgpr13
                                        ; implicit-def: $sgpr10_sgpr11
	s_branch .LBB73_258
.LBB73_257:                             ;   in Loop: Header=BB73_258 Depth=1
	s_or_b64 exec, exec, s[14:15]
	s_and_b64 s[14:15], exec, s[12:13]
	s_or_b64 s[2:3], s[14:15], s[2:3]
	s_andn2_b64 s[8:9], s[8:9], exec
	s_and_b64 s[14:15], s[10:11], exec
	s_or_b64 s[8:9], s[8:9], s[14:15]
	s_andn2_b64 exec, exec, s[2:3]
	s_cbranch_execz .LBB73_260
.LBB73_258:                             ; =>This Inner Loop Header: Depth=1
	global_load_ubyte v2, v17, s[40:41]
	v_mov_b32_e32 v1, v0
	s_or_b64 s[10:11], s[10:11], exec
	s_or_b64 s[12:13], s[12:13], exec
                                        ; implicit-def: $vgpr0
	s_waitcnt vmcnt(0)
	v_cmp_ne_u16_sdwa s[16:17], v2, v40 src0_sel:DWORD src1_sel:BYTE_0
	s_and_saveexec_b64 s[14:15], s[16:17]
	s_cbranch_execz .LBB73_257
; %bb.259:                              ;   in Loop: Header=BB73_258 Depth=1
	v_add_u32_e32 v0, s45, v1
	v_cmp_le_u32_e32 vcc, s36, v0
	s_andn2_b64 s[12:13], s[12:13], exec
	s_and_b64 s[16:17], vcc, exec
	v_add_u32_e32 v17, s39, v17
	s_andn2_b64 s[10:11], s[10:11], exec
	s_or_b64 s[12:13], s[12:13], s[16:17]
	s_branch .LBB73_257
.LBB73_260:
	s_or_b64 exec, exec, s[2:3]
	s_and_saveexec_b64 s[2:3], s[8:9]
	s_xor_b64 s[2:3], exec, s[2:3]
	s_cbranch_execz .LBB73_262
; %bb.261:
	v_readlane_b32 s9, v52, 1
	v_readlane_b32 s10, v52, 11
	s_mul_i32 s2, s10, s9
	s_sub_i32 s2, s18, s2
	s_add_i32 s3, s10, 1
	s_sub_i32 s8, s2, s9
	s_cmp_ge_u32 s2, s9
	s_cselect_b32 s3, s3, s10
	s_cselect_b32 s2, s8, s2
	s_add_i32 s8, s3, 1
	s_cmp_ge_u32 s2, s9
	s_cselect_b32 s2, s8, s3
	s_mul_i32 s3, s2, s9
	v_readlane_b32 s8, v52, 2
	s_sub_i32 s3, s18, s3
	v_readlane_b32 s9, v52, 3
	s_mul_i32 s3, s3, s9
	s_mul_i32 s2, s2, s8
	s_add_i32 s2, s2, s3
	s_mov_b32 s3, 0
	s_lshl_b64 s[2:3], s[2:3], 3
	v_readlane_b32 s8, v52, 4
	v_readlane_b32 s9, v52, 5
	s_add_u32 s2, s8, s2
	s_addc_u32 s3, s9, s3
	v_mov_b32_e32 v2, 0
	global_store_dwordx2 v2, v[1:2], s[2:3]
.LBB73_262:
	s_or_b64 exec, exec, s[6:7]
.LBB73_263:
	s_or_saveexec_b64 s[2:3], s[4:5]
	s_mov_b64 s[4:5], 0
	s_xor_b64 exec, exec, s[2:3]
	s_cbranch_execnz .LBB73_266
.LBB73_264:
	s_or_b64 exec, exec, s[2:3]
	s_and_b64 s[4:5], s[4:5], exec
	s_andn2_saveexec_b64 s[0:1], s[0:1]
	s_cbranch_execz .LBB73_249
.LBB73_265:
	s_or_b64 s[4:5], s[4:5], exec
	s_trap 2
	s_or_b64 exec, exec, s[0:1]
	s_and_saveexec_b64 s[0:1], s[4:5]
	s_cbranch_execnz .LBB73_250
	s_branch .LBB73_251
.LBB73_266:
	s_mov_b64 s[4:5], exec
	s_trap 2
	s_branch .LBB73_264
	.section	.rodata,"a",@progbits
	.p2align	6, 0x0
	.amdhsa_kernel _ZN2at6native12_GLOBAL__N_112gatherMedianIhjLi2EEEvNS_4cuda6detail10TensorInfoIT_T0_EENS5_IlS7_EENS5_IKS6_S7_EES7_S7_S7_b
		.amdhsa_group_segment_fixed_size 4120
		.amdhsa_private_segment_fixed_size 0
		.amdhsa_kernarg_size 920
		.amdhsa_user_sgpr_count 6
		.amdhsa_user_sgpr_private_segment_buffer 1
		.amdhsa_user_sgpr_dispatch_ptr 0
		.amdhsa_user_sgpr_queue_ptr 0
		.amdhsa_user_sgpr_kernarg_segment_ptr 1
		.amdhsa_user_sgpr_dispatch_id 0
		.amdhsa_user_sgpr_flat_scratch_init 0
		.amdhsa_user_sgpr_private_segment_size 0
		.amdhsa_uses_dynamic_stack 0
		.amdhsa_system_sgpr_private_segment_wavefront_offset 0
		.amdhsa_system_sgpr_workgroup_id_x 1
		.amdhsa_system_sgpr_workgroup_id_y 1
		.amdhsa_system_sgpr_workgroup_id_z 1
		.amdhsa_system_sgpr_workgroup_info 0
		.amdhsa_system_vgpr_workitem_id 0
		.amdhsa_next_free_vgpr 53
		.amdhsa_next_free_sgpr 96
		.amdhsa_reserve_vcc 1
		.amdhsa_reserve_flat_scratch 0
		.amdhsa_float_round_mode_32 0
		.amdhsa_float_round_mode_16_64 0
		.amdhsa_float_denorm_mode_32 3
		.amdhsa_float_denorm_mode_16_64 3
		.amdhsa_dx10_clamp 1
		.amdhsa_ieee_mode 1
		.amdhsa_fp16_overflow 0
		.amdhsa_exception_fp_ieee_invalid_op 0
		.amdhsa_exception_fp_denorm_src 0
		.amdhsa_exception_fp_ieee_div_zero 0
		.amdhsa_exception_fp_ieee_overflow 0
		.amdhsa_exception_fp_ieee_underflow 0
		.amdhsa_exception_fp_ieee_inexact 0
		.amdhsa_exception_int_div_zero 0
	.end_amdhsa_kernel
	.section	.text._ZN2at6native12_GLOBAL__N_112gatherMedianIhjLi2EEEvNS_4cuda6detail10TensorInfoIT_T0_EENS5_IlS7_EENS5_IKS6_S7_EES7_S7_S7_b,"axG",@progbits,_ZN2at6native12_GLOBAL__N_112gatherMedianIhjLi2EEEvNS_4cuda6detail10TensorInfoIT_T0_EENS5_IlS7_EENS5_IKS6_S7_EES7_S7_S7_b,comdat
.Lfunc_end73:
	.size	_ZN2at6native12_GLOBAL__N_112gatherMedianIhjLi2EEEvNS_4cuda6detail10TensorInfoIT_T0_EENS5_IlS7_EENS5_IKS6_S7_EES7_S7_S7_b, .Lfunc_end73-_ZN2at6native12_GLOBAL__N_112gatherMedianIhjLi2EEEvNS_4cuda6detail10TensorInfoIT_T0_EENS5_IlS7_EENS5_IKS6_S7_EES7_S7_S7_b
                                        ; -- End function
	.set _ZN2at6native12_GLOBAL__N_112gatherMedianIhjLi2EEEvNS_4cuda6detail10TensorInfoIT_T0_EENS5_IlS7_EENS5_IKS6_S7_EES7_S7_S7_b.num_vgpr, 53
	.set _ZN2at6native12_GLOBAL__N_112gatherMedianIhjLi2EEEvNS_4cuda6detail10TensorInfoIT_T0_EENS5_IlS7_EENS5_IKS6_S7_EES7_S7_S7_b.num_agpr, 0
	.set _ZN2at6native12_GLOBAL__N_112gatherMedianIhjLi2EEEvNS_4cuda6detail10TensorInfoIT_T0_EENS5_IlS7_EENS5_IKS6_S7_EES7_S7_S7_b.numbered_sgpr, 96
	.set _ZN2at6native12_GLOBAL__N_112gatherMedianIhjLi2EEEvNS_4cuda6detail10TensorInfoIT_T0_EENS5_IlS7_EENS5_IKS6_S7_EES7_S7_S7_b.num_named_barrier, 0
	.set _ZN2at6native12_GLOBAL__N_112gatherMedianIhjLi2EEEvNS_4cuda6detail10TensorInfoIT_T0_EENS5_IlS7_EENS5_IKS6_S7_EES7_S7_S7_b.private_seg_size, 0
	.set _ZN2at6native12_GLOBAL__N_112gatherMedianIhjLi2EEEvNS_4cuda6detail10TensorInfoIT_T0_EENS5_IlS7_EENS5_IKS6_S7_EES7_S7_S7_b.uses_vcc, 1
	.set _ZN2at6native12_GLOBAL__N_112gatherMedianIhjLi2EEEvNS_4cuda6detail10TensorInfoIT_T0_EENS5_IlS7_EENS5_IKS6_S7_EES7_S7_S7_b.uses_flat_scratch, 0
	.set _ZN2at6native12_GLOBAL__N_112gatherMedianIhjLi2EEEvNS_4cuda6detail10TensorInfoIT_T0_EENS5_IlS7_EENS5_IKS6_S7_EES7_S7_S7_b.has_dyn_sized_stack, 0
	.set _ZN2at6native12_GLOBAL__N_112gatherMedianIhjLi2EEEvNS_4cuda6detail10TensorInfoIT_T0_EENS5_IlS7_EENS5_IKS6_S7_EES7_S7_S7_b.has_recursion, 0
	.set _ZN2at6native12_GLOBAL__N_112gatherMedianIhjLi2EEEvNS_4cuda6detail10TensorInfoIT_T0_EENS5_IlS7_EENS5_IKS6_S7_EES7_S7_S7_b.has_indirect_call, 0
	.section	.AMDGPU.csdata,"",@progbits
; Kernel info:
; codeLenInByte = 10212
; TotalNumSgprs: 100
; NumVgprs: 53
; ScratchSize: 0
; MemoryBound: 0
; FloatMode: 240
; IeeeMode: 1
; LDSByteSize: 4120 bytes/workgroup (compile time only)
; SGPRBlocks: 12
; VGPRBlocks: 13
; NumSGPRsForWavesPerEU: 100
; NumVGPRsForWavesPerEU: 53
; Occupancy: 4
; WaveLimiterHint : 1
; COMPUTE_PGM_RSRC2:SCRATCH_EN: 0
; COMPUTE_PGM_RSRC2:USER_SGPR: 6
; COMPUTE_PGM_RSRC2:TRAP_HANDLER: 0
; COMPUTE_PGM_RSRC2:TGID_X_EN: 1
; COMPUTE_PGM_RSRC2:TGID_Y_EN: 1
; COMPUTE_PGM_RSRC2:TGID_Z_EN: 1
; COMPUTE_PGM_RSRC2:TIDIG_COMP_CNT: 0
	.section	.text._ZN2at6native12_GLOBAL__N_112gatherMedianIhjLi3EEEvNS_4cuda6detail10TensorInfoIT_T0_EENS5_IlS7_EENS5_IKS6_S7_EES7_S7_S7_b,"axG",@progbits,_ZN2at6native12_GLOBAL__N_112gatherMedianIhjLi3EEEvNS_4cuda6detail10TensorInfoIT_T0_EENS5_IlS7_EENS5_IKS6_S7_EES7_S7_S7_b,comdat
	.globl	_ZN2at6native12_GLOBAL__N_112gatherMedianIhjLi3EEEvNS_4cuda6detail10TensorInfoIT_T0_EENS5_IlS7_EENS5_IKS6_S7_EES7_S7_S7_b ; -- Begin function _ZN2at6native12_GLOBAL__N_112gatherMedianIhjLi3EEEvNS_4cuda6detail10TensorInfoIT_T0_EENS5_IlS7_EENS5_IKS6_S7_EES7_S7_S7_b
	.p2align	8
	.type	_ZN2at6native12_GLOBAL__N_112gatherMedianIhjLi3EEEvNS_4cuda6detail10TensorInfoIT_T0_EENS5_IlS7_EENS5_IKS6_S7_EES7_S7_S7_b,@function
_ZN2at6native12_GLOBAL__N_112gatherMedianIhjLi3EEEvNS_4cuda6detail10TensorInfoIT_T0_EENS5_IlS7_EENS5_IKS6_S7_EES7_S7_S7_b: ; @_ZN2at6native12_GLOBAL__N_112gatherMedianIhjLi3EEEvNS_4cuda6detail10TensorInfoIT_T0_EENS5_IlS7_EENS5_IKS6_S7_EES7_S7_S7_b
; %bb.0:
	s_load_dwordx2 s[14:15], s[4:5], 0x298
	s_load_dwordx4 s[36:39], s[4:5], 0x288
	s_add_u32 s12, s4, 0x298
	s_addc_u32 s13, s5, 0
	s_waitcnt lgkmcnt(0)
	s_mul_i32 s0, s15, s8
	s_add_i32 s0, s0, s7
	s_mul_i32 s0, s0, s14
	s_add_i32 s26, s0, s6
	s_cmp_ge_u32 s26, s37
	s_cbranch_scc1 .LBB74_251
; %bb.1:
	s_load_dwordx2 s[16:17], s[4:5], 0xc
	s_load_dwordx2 s[2:3], s[4:5], 0x1bc
	;; [unrolled: 1-line block ×3, first 2 shown]
	s_load_dwordx4 s[8:11], s[4:5], 0x21c
                                        ; implicit-def: $vgpr52 : SGPR spill to VGPR lane
	s_waitcnt lgkmcnt(0)
	v_cvt_f32_u32_e32 v3, s19
	v_cvt_f32_u32_e32 v1, s17
	s_sub_i32 s0, 0, s17
	v_cvt_f32_u32_e32 v2, s16
	v_rcp_iflag_f32_e32 v3, v3
	v_rcp_iflag_f32_e32 v1, v1
	;; [unrolled: 1-line block ×3, first 2 shown]
	v_mul_f32_e32 v1, 0x4f7ffffe, v1
	v_cvt_u32_f32_e32 v1, v1
	v_mul_f32_e32 v2, 0x4f7ffffe, v2
	v_cvt_u32_f32_e32 v2, v2
	v_readfirstlane_b32 s1, v1
	s_mul_i32 s0, s0, s1
	s_mul_hi_u32 s0, s1, s0
	s_add_i32 s1, s1, s0
	s_mul_hi_u32 s0, s26, s1
	s_mul_i32 s1, s0, s17
	s_sub_i32 s1, s26, s1
	s_add_i32 s7, s0, 1
	s_sub_i32 s11, s1, s17
	s_cmp_ge_u32 s1, s17
	s_cselect_b32 s0, s7, s0
	s_cselect_b32 s1, s11, s1
	s_add_i32 s7, s0, 1
	s_cmp_ge_u32 s1, s17
	v_mul_f32_e32 v1, 0x4f7ffffe, v3
	s_cselect_b32 s0, s7, s0
	v_cvt_u32_f32_e32 v1, v1
	v_writelane_b32 v52, s0, 0
	v_writelane_b32 v52, s16, 1
	s_sub_i32 s0, 0, s16
	v_readfirstlane_b32 s7, v2
	s_mul_i32 s0, s0, s7
	s_mul_hi_u32 s15, s7, s0
	s_sub_i32 s0, 0, s19
	v_readfirstlane_b32 s1, v1
	s_mul_i32 s0, s0, s1
	s_mul_hi_u32 s0, s1, s0
	v_cvt_f32_u32_e32 v1, s18
	s_add_i32 s1, s1, s0
	s_mul_hi_u32 s0, s26, s1
	s_mul_i32 s1, s0, s19
	s_sub_i32 s1, s26, s1
	v_rcp_iflag_f32_e32 v1, v1
	v_writelane_b32 v52, s17, 2
	s_add_i32 s11, s0, 1
	s_sub_i32 s16, s1, s19
	v_cvt_f32_u32_e32 v2, s3
	s_cmp_ge_u32 s1, s19
	s_cselect_b32 s0, s11, s0
	s_cselect_b32 s1, s16, s1
	s_add_i32 s11, s0, 1
	v_mul_f32_e32 v1, 0x4f7ffffe, v1
	s_cmp_ge_u32 s1, s19
	v_cvt_u32_f32_e32 v1, v1
	v_rcp_iflag_f32_e32 v2, v2
	s_cselect_b32 s0, s11, s0
	v_writelane_b32 v52, s0, 3
	v_writelane_b32 v52, s18, 4
	;; [unrolled: 1-line block ×3, first 2 shown]
	s_sub_i32 s0, 0, s18
	v_readfirstlane_b32 s18, v1
	v_mul_f32_e32 v1, 0x4f7ffffe, v2
	v_cvt_u32_f32_e32 v1, v1
	s_mul_i32 s0, s0, s18
	s_mul_hi_u32 s19, s18, s0
	s_sub_i32 s0, 0, s3
	v_readfirstlane_b32 s1, v1
	v_cvt_f32_u32_e32 v1, s2
	s_mul_i32 s0, s0, s1
	s_mul_hi_u32 s0, s1, s0
	s_add_i32 s1, s1, s0
	v_rcp_iflag_f32_e32 v1, v1
	s_mul_hi_u32 s0, s26, s1
	s_mul_i32 s1, s0, s3
	s_sub_i32 s1, s26, s1
	s_add_i32 s11, s0, 1
	s_sub_i32 s16, s1, s3
	v_mul_f32_e32 v1, 0x4f7ffffe, v1
	s_cmp_ge_u32 s1, s3
	v_cvt_u32_f32_e32 v1, v1
	s_cselect_b32 s0, s11, s0
	s_cselect_b32 s1, s16, s1
	s_add_i32 s11, s0, 1
	s_cmp_ge_u32 s1, s3
	s_cselect_b32 s11, s11, s0
	s_sub_i32 s0, 0, s2
	v_readfirstlane_b32 s22, v1
	s_mul_i32 s0, s0, s22
	s_mul_hi_u32 s0, s22, s0
	s_add_i32 s22, s22, s0
	v_cmp_eq_u32_e64 s[0:1], 0, v0
	s_and_saveexec_b64 s[16:17], s[0:1]
; %bb.2:
	v_mov_b32_e32 v1, 0
	v_mov_b32_e32 v2, v1
	ds_write_b64 v1, v[1:2] offset:4096
; %bb.3:
	s_or_b64 exec, exec, s[16:17]
	s_load_dwordx4 s[28:31], s[4:5], 0x144
	v_mov_b32_e32 v1, 0
	s_waitcnt lgkmcnt(0)
	s_barrier
	v_writelane_b32 v52, s28, 6
	v_writelane_b32 v52, s29, 7
	s_barrier
	ds_read_b64 v[1:2], v1 offset:4096
	v_writelane_b32 v52, s30, 8
	v_writelane_b32 v52, s31, 9
	s_load_dwordx4 s[28:31], s[4:5], 0x6c
	s_load_dwordx2 s[16:17], s[4:5], 0x1b0
	s_add_i32 s20, s7, s15
	s_add_i32 s21, s18, s19
	s_waitcnt lgkmcnt(0)
	v_readfirstlane_b32 s18, v1
	v_readfirstlane_b32 s19, v2
	s_mul_hi_u32 s15, s11, s22
	s_bitcmp1_b32 s39, 0
	v_cmp_lt_i64_e64 s[22:23], s[18:19], 1
	v_writelane_b32 v52, s28, 10
	s_cselect_b64 s[24:25], -1, 0
	v_writelane_b32 v52, s29, 11
	s_or_b64 s[22:23], s[24:25], s[22:23]
	v_writelane_b32 v52, s30, 12
	s_andn2_b64 vcc, exec, s[22:23]
	s_mov_b32 s7, s36
	v_writelane_b32 v52, s31, 13
	s_cbranch_vccnz .LBB74_5
; %bb.4:
	s_not_b64 s[18:19], s[18:19]
	s_add_u32 s7, s18, s36
	s_addc_u32 s19, s19, 0
	s_lshr_b32 s18, s19, 31
	s_add_u32 s18, s7, s18
	s_addc_u32 s19, s19, 0
	s_lshr_b64 s[18:19], s[18:19], 1
	s_add_i32 s7, s18, 1
.LBB74_5:
	s_load_dwordx2 s[18:19], s[4:5], 0xd8
                                        ; kill: killed $sgpr4 killed $sgpr5
	s_waitcnt lgkmcnt(0)
	v_writelane_b32 v52, s18, 14
	v_writelane_b32 v52, s19, 15
	s_load_dwordx2 s[18:19], s[4:5], 0x0
	s_waitcnt lgkmcnt(0)
	v_writelane_b32 v52, s18, 16
	v_writelane_b32 v52, s19, 17
	v_readlane_b32 s4, v52, 0
	s_mul_hi_u32 s4, s4, s20
	v_writelane_b32 v52, s4, 18
	v_readlane_b32 s4, v52, 3
	s_mul_hi_u32 s4, s4, s21
	v_writelane_b32 v52, s4, 19
	s_and_saveexec_b64 s[4:5], s[0:1]
	s_cbranch_execz .LBB74_7
; %bb.6:
	v_mov_b32_e32 v1, 0
	v_mov_b32_e32 v2, s36
	ds_write_b32 v1, v1 offset:4112
	ds_write_b64 v1, v[1:2] offset:4104
.LBB74_7:
	s_or_b64 exec, exec, s[4:5]
	s_mul_i32 s3, s11, s3
	s_mul_i32 s4, s15, s2
	s_sub_i32 s3, s26, s3
	s_sub_i32 s4, s11, s4
	s_mul_i32 s3, s3, s10
	s_add_i32 s5, s15, 1
	s_sub_i32 s10, s4, s2
	s_cmp_ge_u32 s4, s2
	s_cselect_b32 s5, s5, s15
	s_cselect_b32 s4, s10, s4
	s_add_i32 s10, s5, 1
	s_cmp_ge_u32 s4, s2
	s_cselect_b32 s4, s10, s5
	s_mul_i32 s2, s4, s2
	s_sub_i32 s2, s11, s2
	s_mul_i32 s2, s2, s9
	s_add_i32 s2, s2, s3
	s_waitcnt lgkmcnt(0)
	s_barrier
	s_load_dword s3, s[12:13], 0xc
	s_mul_i32 s4, s4, s8
	s_add_i32 s2, s2, s4
	v_mbcnt_lo_u32_b32 v1, -1, 0
	s_add_u32 s50, s16, s2
	v_mbcnt_hi_u32_b32 v19, -1, v1
	s_addc_u32 s51, s17, 0
	s_waitcnt lgkmcnt(0)
	s_and_b32 s39, s3, 0xffff
	v_cmp_gt_u32_e32 vcc, 64, v0
	v_cmp_gt_i32_e64 s[8:9], 4, v19
	s_and_b64 s[54:55], vcc, s[8:9]
	s_add_i32 s8, s39, -1
	s_lshl_b32 s37, s39, 2
	s_bfe_u32 s10, s3, 0xa0006
	s_add_i32 s11, s8, s36
	s_cmpk_gt_u32 s36, 0xc00
	v_lshlrev_b64 v[2:3], v19, -1
	s_cselect_b64 s[56:57], -1, 0
	s_cmp_gt_u32 s39, 63
	s_cselect_b64 s[58:59], -1, 0
	v_not_b32_e32 v23, v2
	v_lshrrev_b32_e32 v2, 2, v0
	s_cmp_lt_u32 s6, s14
	v_writelane_b32 v52, s26, 20
	v_cmp_gt_u32_e64 s[4:5], s36, v0
	v_and_b32_e32 v2, 0xf0, v2
	s_cselect_b32 s2, 12, 18
	v_writelane_b32 v52, s4, 21
	v_or_b32_e32 v24, 0xc00, v2
	s_add_u32 s2, s12, s2
	v_add_u32_e32 v2, 2, v0
	v_writelane_b32 v52, s5, 22
	s_addc_u32 s3, s13, 0
	v_max_u32_e32 v2, s36, v2
	v_writelane_b32 v52, s2, 23
	v_xad_u32 v2, v0, -1, v2
	v_not_b32_e32 v22, v3
	v_writelane_b32 v52, s3, 24
	v_add_u32_e32 v3, -4, v2
	v_cmp_lt_u32_e64 s[2:3], 31, v2
	v_lshrrev_b32_e32 v4, 2, v3
	v_writelane_b32 v52, s2, 25
	v_add_u32_e32 v4, 1, v4
	v_writelane_b32 v52, s3, 26
	v_cmp_lt_u32_e64 s[12:13], 11, v3
	v_and_b32_e32 v5, 3, v4
	v_writelane_b32 v52, s12, 27
	v_writelane_b32 v52, s13, 28
	v_cmp_ne_u32_e64 s[12:13], 0, v5
	v_and_b32_e32 v25, -4, v2
	v_writelane_b32 v52, s12, 29
	v_writelane_b32 v52, s13, 30
	v_cmp_ne_u32_e64 s[12:13], v2, v25
	v_cvt_f32_u32_e32 v2, s37
	v_writelane_b32 v52, s12, 31
	s_add_i32 s6, s10, -1
	v_writelane_b32 v52, s13, 32
	v_rcp_iflag_f32_e32 v2, v2
	s_bfe_u32 s12, s39, 0x30006
	s_and_b32 s6, s6, 0xffff
	s_cmp_gt_u32 s6, 6
	v_mul_f32_e32 v2, 0x4f7ffffe, v2
	v_cvt_u32_f32_e32 v2, v2
	s_cselect_b64 s[14:15], -1, 0
	v_writelane_b32 v52, s14, 33
	s_and_b32 s60, s10, 0x3f8
	v_writelane_b32 v52, s15, 34
	s_cmp_lg_u32 s12, 0
	v_readfirstlane_b32 s10, v2
	v_cvt_f32_u32_e32 v2, s39
	v_writelane_b32 v52, s12, 35
	s_cselect_b64 s[12:13], -1, 0
	s_sub_i32 s6, 0, s37
	s_mul_i32 s6, s6, s10
	s_mul_hi_u32 s6, s10, s6
	s_add_i32 s61, s10, s6
	v_rcp_iflag_f32_e32 v2, v2
	s_mul_hi_u32 s6, s36, s61
	s_mul_i32 s6, s6, s37
	s_sub_i32 s6, s36, s6
	s_sub_i32 s10, s6, s37
	v_mul_f32_e32 v2, 0x4f7ffffe, v2
	s_cmp_ge_u32 s6, s37
	v_cvt_u32_f32_e32 v2, v2
	s_cselect_b32 s6, s10, s6
	s_sub_i32 s10, s6, s37
	v_writelane_b32 v52, s12, 36
	s_cmp_ge_u32 s6, s37
	v_writelane_b32 v52, s13, 37
	s_cselect_b32 s6, s10, s6
	s_sub_i32 s10, 0, s39
	v_readfirstlane_b32 s12, v2
	s_mul_i32 s10, s10, s12
	s_mul_hi_u32 s10, s12, s10
	s_add_i32 s64, s12, s10
	s_mul_hi_u32 s10, s11, s64
	s_mul_i32 s10, s10, s39
	s_sub_i32 s10, s11, s10
	s_sub_i32 s63, s36, s6
	;; [unrolled: 1-line block ×3, first 2 shown]
	s_cmp_ge_u32 s10, s39
	s_cselect_b32 s10, s12, s10
	v_lshlrev_b32_e32 v18, 2, v0
	s_sub_i32 s12, s10, s39
	s_cmp_ge_u32 s10, s39
	v_mul_lo_u32 v2, s38, v18
	s_cselect_b32 s10, s12, s10
	s_sub_i32 s65, s11, s10
	v_cmp_gt_u32_e64 s[10:11], s65, v0
	v_mul_lo_u32 v17, s38, v0
	v_writelane_b32 v52, s10, 38
	v_add_u32_e32 v30, s38, v2
	v_or_b32_e32 v2, 2, v18
	v_add_u32_e32 v28, s63, v0
	v_writelane_b32 v52, s11, 39
	v_mul_lo_u32 v31, s38, v2
	v_or_b32_e32 v2, 3, v18
	s_add_i32 s10, s39, s36
	v_mul_lo_u32 v3, v28, s38
	v_mul_lo_u32 v33, s38, v2
	v_add_u32_e32 v2, s10, v0
	v_subrev_u32_e32 v2, s6, v2
	v_mov_b32_e32 v1, s51
	v_add_co_u32_e32 v13, vcc, s50, v17
	v_mul_lo_u32 v35, s38, v2
	v_addc_co_u32_e32 v14, vcc, 0, v1, vcc
	v_lshlrev_b32_e32 v1, 2, v19
	v_and_b32_e32 v27, 0x7ffffffc, v4
	v_mov_b32_e32 v4, s51
	v_add_co_u32_e32 v15, vcc, s50, v3
	s_mul_i32 s30, s38, s39
	s_mov_b32 s62, 0
	v_cmp_eq_u32_e64 s[4:5], 0, v19
	v_cmp_gt_u32_e64 s[22:23], 2, v0
	v_mov_b32_e32 v20, 0
	v_and_b32_e32 v21, 0x100, v1
	v_add_u32_e32 v26, v0, v25
	s_mov_b32 s9, s38
	s_mov_b32 s31, s38
	;; [unrolled: 1-line block ×4, first 2 shown]
	v_cmp_gt_u32_e64 s[16:17], s63, v18
	v_cmp_gt_u32_e64 s[18:19], s36, v28
	v_addc_co_u32_e32 v16, vcc, 0, v4, vcc
	v_lshlrev_b32_e32 v29, 2, v5
	s_lshl_b32 s34, s30, 2
	v_lshlrev_b32_e32 v34, 2, v17
	v_or_b32_e32 v36, 0xc00, v1
	s_mov_b64 s[66:67], 0
	v_mov_b32_e32 v37, 6
	v_mov_b32_e32 v41, s7
	s_mov_b32 s35, 0xc0c0004
	v_mov_b32_e32 v38, 8
	v_mov_b32_e32 v40, 0
	;; [unrolled: 1-line block ×4, first 2 shown]
                                        ; implicit-def: $sgpr68_sgpr69
                                        ; implicit-def: $sgpr72_sgpr73
                                        ; implicit-def: $sgpr70_sgpr71
                                        ; implicit-def: $sgpr76_sgpr77
                                        ; implicit-def: $sgpr78_sgpr79
                                        ; implicit-def: $sgpr74_sgpr75
	s_branch .LBB74_11
.LBB74_8:                               ;   in Loop: Header=BB74_11 Depth=1
	s_or_b64 exec, exec, s[24:25]
	s_and_b64 s[12:13], s[12:13], exec
	s_andn2_b64 s[80:81], s[80:81], exec
	s_andn2_b64 s[28:29], s[28:29], exec
	s_orn2_b64 s[24:25], s[14:15], exec
.LBB74_9:                               ;   in Loop: Header=BB74_11 Depth=1
	s_or_b64 exec, exec, s[10:11]
	s_andn2_b64 s[10:11], s[74:75], exec
	s_and_b64 s[12:13], s[12:13], exec
	s_or_b64 s[74:75], s[10:11], s[12:13]
	s_andn2_b64 s[10:11], s[78:79], exec
	s_and_b64 s[12:13], s[80:81], exec
	s_or_b64 s[78:79], s[10:11], s[12:13]
	;; [unrolled: 3-line block ×3, first 2 shown]
	s_orn2_b64 s[24:25], s[24:25], exec
.LBB74_10:                              ;   in Loop: Header=BB74_11 Depth=1
	s_or_b64 exec, exec, s[6:7]
	s_and_b64 s[6:7], exec, s[24:25]
	s_or_b64 s[66:67], s[6:7], s[66:67]
	s_andn2_b64 s[6:7], s[70:71], exec
	s_and_b64 s[10:11], s[74:75], exec
	s_or_b64 s[70:71], s[6:7], s[10:11]
	s_andn2_b64 s[6:7], s[72:73], exec
	s_and_b64 s[10:11], s[78:79], exec
	;; [unrolled: 3-line block ×3, first 2 shown]
	s_or_b64 s[68:69], s[6:7], s[10:11]
	s_mov_b32 s62, s42
	v_mov_b32_e32 v41, v4
	s_andn2_b64 exec, exec, s[66:67]
	s_cbranch_execz .LBB74_247
.LBB74_11:                              ; =>This Loop Header: Depth=1
                                        ;     Child Loop BB74_16 Depth 2
                                        ;     Child Loop BB74_37 Depth 2
	;; [unrolled: 1-line block ×18, first 2 shown]
	ds_read_b64 v[1:2], v20 offset:4104
	s_waitcnt lgkmcnt(0)
	v_readfirstlane_b32 s40, v1
	s_cmp_lg_u32 s40, 0
	s_cbranch_scc1 .LBB74_56
; %bb.12:                               ;   in Loop: Header=BB74_11 Depth=1
	s_and_b64 vcc, exec, s[56:57]
	s_cbranch_vccz .LBB74_24
; %bb.13:                               ;   in Loop: Header=BB74_11 Depth=1
	s_movk_i32 s6, 0xc01
	v_cmp_gt_u32_e32 vcc, s6, v2
	s_mov_b64 s[24:25], 0
	s_mov_b64 s[6:7], 0
	s_cbranch_vccz .LBB74_25
; %bb.14:                               ;   in Loop: Header=BB74_11 Depth=1
	v_readlane_b32 s6, v52, 23
	v_readlane_b32 s7, v52, 24
	s_nop 4
	global_load_ushort v1, v20, s[6:7]
	global_load_ubyte v4, v[13:14], off
	s_mov_b64 s[10:11], 0
	v_mov_b32_e32 v5, v0
	s_waitcnt vmcnt(1)
	v_add_u32_e32 v2, v0, v1
	v_mul_lo_u32 v2, s38, v2
	v_mul_lo_u32 v3, s38, v1
	s_branch .LBB74_16
.LBB74_15:                              ;   in Loop: Header=BB74_16 Depth=2
	s_or_b64 exec, exec, s[6:7]
	v_add_u32_e32 v2, v2, v3
	v_mov_b32_e32 v4, v6
	s_andn2_b64 exec, exec, s[10:11]
	s_cbranch_execz .LBB74_31
.LBB74_16:                              ;   Parent Loop BB74_11 Depth=1
                                        ; =>  This Inner Loop Header: Depth=2
	v_add_u32_e32 v5, v5, v1
	v_cmp_gt_u32_e64 s[6:7], s36, v5
	v_cmp_le_u32_e32 vcc, s36, v5
	s_waitcnt lgkmcnt(0)
	v_mov_b32_e32 v7, 0
	v_mov_b32_e32 v6, 0
	s_and_saveexec_b64 s[12:13], s[6:7]
	s_cbranch_execz .LBB74_18
; %bb.17:                               ;   in Loop: Header=BB74_16 Depth=2
	global_load_ubyte v6, v2, s[50:51]
.LBB74_18:                              ;   in Loop: Header=BB74_16 Depth=2
	s_or_b64 exec, exec, s[12:13]
	s_waitcnt vmcnt(0)
	v_and_b32_e32 v8, v4, v39
	v_cmp_eq_u32_sdwa s[12:13], v8, v32 src0_sel:BYTE_0 src1_sel:DWORD
	s_cmp_lg_u64 s[12:13], 0
	s_cselect_b64 s[6:7], -1, 0
	s_and_b64 s[6:7], s[4:5], s[6:7]
	s_and_saveexec_b64 s[14:15], s[6:7]
	s_cbranch_execz .LBB74_22
; %bb.19:                               ;   in Loop: Header=BB74_16 Depth=2
	s_mov_b64 s[28:29], exec
	v_mbcnt_lo_u32_b32 v7, s28, 0
	v_mbcnt_hi_u32_b32 v7, s29, v7
	s_bcnt1_i32_b64 s20, s[12:13]
	v_cmp_eq_u32_e64 s[6:7], 0, v7
                                        ; implicit-def: $vgpr8
	s_and_saveexec_b64 s[26:27], s[6:7]
; %bb.20:                               ;   in Loop: Header=BB74_16 Depth=2
	s_bcnt1_i32_b64 s6, s[28:29]
	s_mul_i32 s6, s20, s6
	v_mov_b32_e32 v8, s6
	ds_add_rtn_u32 v8, v20, v8 offset:4112
; %bb.21:                               ;   in Loop: Header=BB74_16 Depth=2
	s_or_b64 exec, exec, s[26:27]
	s_waitcnt lgkmcnt(0)
	v_readfirstlane_b32 s6, v8
	v_mov_b32_e32 v8, s6
	v_mad_u32_u24 v7, s20, v7, v8
.LBB74_22:                              ;   in Loop: Header=BB74_16 Depth=2
	s_or_b64 exec, exec, s[14:15]
	ds_bpermute_b32 v7, v21, v7
	s_and_b64 s[6:7], exec, vcc
	s_or_b64 s[10:11], s[6:7], s[10:11]
	s_and_saveexec_b64 s[6:7], s[12:13]
	s_cbranch_execz .LBB74_15
; %bb.23:                               ;   in Loop: Header=BB74_16 Depth=2
	v_and_b32_e32 v9, s12, v23
	v_and_b32_e32 v8, s13, v22
	v_bcnt_u32_b32 v9, v9, 0
	v_bcnt_u32_b32 v8, v8, v9
	s_waitcnt lgkmcnt(0)
	v_add_u32_e32 v7, v7, v8
	ds_write_b8 v7, v4
	s_branch .LBB74_15
.LBB74_24:                              ;   in Loop: Header=BB74_11 Depth=1
	s_mov_b64 s[24:25], -1
	s_mov_b64 s[6:7], 0
.LBB74_25:                              ;   in Loop: Header=BB74_11 Depth=1
	s_and_b64 vcc, exec, s[24:25]
	s_cbranch_vccz .LBB74_54
.LBB74_26:                              ;   in Loop: Header=BB74_11 Depth=1
	s_mov_b64 s[24:25], exec
	v_readlane_b32 s6, v52, 21
	v_readlane_b32 s7, v52, 22
	s_and_b64 s[6:7], s[24:25], s[6:7]
	s_mov_b64 exec, s[6:7]
	s_cbranch_execz .LBB74_51
; %bb.27:                               ;   in Loop: Header=BB74_11 Depth=1
	v_readlane_b32 s6, v52, 23
	v_readlane_b32 s7, v52, 24
	s_nop 4
	global_load_ushort v1, v20, s[6:7]
	global_load_ubyte v43, v[13:14], off
	v_mov_b32_e32 v2, v0
	s_waitcnt vmcnt(1)
	v_readfirstlane_b32 s12, v1
	v_add_u32_e32 v1, v0, v1
	v_cmp_gt_u32_e32 vcc, s36, v1
	s_and_saveexec_b64 s[26:27], vcc
	s_cbranch_execz .LBB74_50
; %bb.28:                               ;   in Loop: Header=BB74_11 Depth=1
	s_mov_b64 s[6:7], 0
	s_mul_i32 s13, s38, s12
                                        ; implicit-def: $vgpr2
                                        ; implicit-def: $vgpr5
                                        ; implicit-def: $vgpr3
                                        ; implicit-def: $vgpr4
	s_mov_b64 s[10:11], exec
	v_readlane_b32 s14, v52, 25
	v_readlane_b32 s15, v52, 26
	s_and_b64 s[14:15], s[10:11], s[14:15]
	s_xor_b64 s[28:29], s[14:15], s[10:11]
	s_mov_b64 exec, s[14:15]
	s_cbranch_execnz .LBB74_34
; %bb.29:                               ;   in Loop: Header=BB74_11 Depth=1
	s_andn2_saveexec_b64 s[10:11], s[28:29]
	s_cbranch_execnz .LBB74_45
.LBB74_30:                              ;   in Loop: Header=BB74_11 Depth=1
	s_or_b64 exec, exec, s[10:11]
	s_and_saveexec_b64 s[10:11], s[6:7]
	s_cbranch_execnz .LBB74_46
	s_branch .LBB74_49
.LBB74_31:                              ;   in Loop: Header=BB74_11 Depth=1
	s_or_b64 exec, exec, s[10:11]
	s_waitcnt lgkmcnt(0)
	s_barrier
	s_and_saveexec_b64 s[6:7], s[0:1]
	s_cbranch_execz .LBB74_33
; %bb.32:                               ;   in Loop: Header=BB74_11 Depth=1
	ds_read_b32 v1, v20 offset:4112
	s_waitcnt lgkmcnt(0)
	ds_write_b32 v20, v1 offset:4104
.LBB74_33:                              ;   in Loop: Header=BB74_11 Depth=1
	s_or_b64 exec, exec, s[6:7]
	s_waitcnt lgkmcnt(0)
	s_barrier
	s_mov_b64 s[6:7], -1
	s_and_b64 vcc, exec, s[24:25]
	s_cbranch_vccnz .LBB74_26
	s_branch .LBB74_54
.LBB74_34:                              ;   in Loop: Header=BB74_11 Depth=1
	v_cvt_f32_u32_e32 v2, s12
	s_sub_i32 s7, 0, s12
	v_add_u32_e32 v3, s12, v1
	v_max_u32_e32 v3, s36, v3
	v_rcp_iflag_f32_e32 v2, v2
	s_lshl_b32 s6, s12, 1
	v_sub_u32_e32 v3, v3, v0
	v_cmp_ne_u32_e32 vcc, s6, v3
	v_mul_f32_e32 v2, 0x4f7ffffe, v2
	v_cvt_u32_f32_e32 v2, v2
	v_cndmask_b32_e64 v6, 0, 1, vcc
	v_or_b32_e32 v6, s6, v6
	v_sub_u32_e32 v3, v3, v6
	v_mul_lo_u32 v4, s7, v2
	s_not_b32 s6, s13
	s_ashr_i32 s20, s6, 31
	s_abs_i32 s14, s13
	v_mul_hi_u32 v4, v2, v4
	v_mul_lo_u32 v5, s38, v1
	s_cmp_eq_u32 s12, 1
	s_mov_b64 s[10:11], -1
	v_add_u32_e32 v2, v2, v4
	v_mul_hi_u32 v4, v3, v2
	v_xor_b32_e32 v5, s20, v5
                                        ; implicit-def: $vgpr2
	v_mul_lo_u32 v6, v4, s12
	v_add_u32_e32 v7, 1, v4
	v_sub_u32_e32 v3, v3, v6
	v_subrev_u32_e32 v6, s12, v3
	v_cmp_le_u32_e64 s[6:7], s12, v3
	v_cndmask_b32_e64 v4, v4, v7, s[6:7]
	v_cndmask_b32_e64 v3, v3, v6, s[6:7]
	v_add_u32_e32 v6, 1, v4
	v_cmp_le_u32_e64 s[6:7], s12, v3
	v_cndmask_b32_e64 v3, v4, v6, s[6:7]
	v_addc_co_u32_e32 v3, vcc, 0, v3, vcc
	v_mul_hi_u32 v4, s14, v3
	v_mul_lo_u32 v3, s14, v3
	s_cselect_b64 s[14:15], -1, 0
	v_cmp_eq_u32_e32 vcc, 0, v4
	v_cmp_le_u32_e64 s[6:7], v3, v5
	s_and_b64 s[14:15], vcc, s[14:15]
	s_and_b64 s[14:15], s[14:15], s[6:7]
	v_mov_b32_e32 v3, v0
	s_and_saveexec_b64 s[6:7], s[14:15]
	s_cbranch_execz .LBB74_44
; %bb.35:                               ;   in Loop: Header=BB74_11 Depth=1
	v_add_u32_e32 v4, 3, v1
	v_add_u32_e32 v3, 2, v1
	;; [unrolled: 1-line block ×3, first 2 shown]
	v_mov_b32_e32 v8, v4
	s_waitcnt vmcnt(0)
	v_lshlrev_b32_e32 v44, 24, v43
	v_mov_b32_e32 v9, 0
	v_mov_b32_e32 v7, v3
	;; [unrolled: 1-line block ×4, first 2 shown]
                                        ; implicit-def: $vgpr43
	s_mov_b64 s[80:81], exec
	v_readlane_b32 s10, v52, 27
	v_readlane_b32 s11, v52, 28
	s_and_b64 s[10:11], s[80:81], s[10:11]
	s_mov_b64 exec, s[10:11]
	s_cbranch_execz .LBB74_39
; %bb.36:                               ;   in Loop: Header=BB74_11 Depth=1
	v_mov_b32_e32 v8, v4
	s_mov_b32 s10, 0
	s_mov_b64 s[82:83], 0
	v_mov_b32_e32 v42, v27
	v_mov_b32_e32 v7, v3
	;; [unrolled: 1-line block ×4, first 2 shown]
	s_mov_b32 s11, 0xc0c0007
.LBB74_37:                              ;   Parent Loop BB74_11 Depth=1
                                        ; =>  This Inner Loop Header: Depth=2
	v_mul_lo_u32 v2, v5, s9
	v_mul_lo_u32 v9, v6, s31
	;; [unrolled: 1-line block ×3, first 2 shown]
	v_mov_b32_e32 v12, s51
	v_add_co_u32_e32 v2, vcc, s50, v2
	v_addc_co_u32_e32 v3, vcc, 0, v12, vcc
	v_mul_lo_u32 v4, v8, s3
	v_add_co_u32_e32 v9, vcc, s50, v9
	v_addc_co_u32_e32 v10, vcc, 0, v12, vcc
	v_add_co_u32_e32 v45, vcc, s50, v11
	v_addc_co_u32_e32 v46, vcc, 0, v12, vcc
	v_add_co_u32_e32 v47, vcc, s50, v4
	global_load_ubyte v4, v[45:46], off
	s_nop 0
	global_load_ubyte v9, v[9:10], off
	v_add_u32_e32 v10, 4, v7
	global_load_ubyte v2, v[2:3], off
	v_add_u32_e32 v3, 4, v6
	v_mul_lo_u32 v43, v10, s2
	v_mul_lo_u32 v10, v3, s31
	v_addc_co_u32_e32 v48, vcc, 0, v12, vcc
	v_add_u32_e32 v11, 4, v8
	v_mul_lo_u32 v45, v11, s3
	v_add_u32_e32 v42, -4, v42
	s_waitcnt vmcnt(1)
	v_perm_b32 v4, v9, v4, s35
	s_waitcnt vmcnt(0)
	v_perm_b32 v2, v44, v2, s11
	v_lshl_or_b32 v9, v4, 16, v2
	v_add_u32_e32 v2, 4, v5
	v_mul_lo_u32 v2, v2, s9
	v_add_u32_e32 v4, s10, v0
	s_add_i32 s10, s10, 16
	v_add_co_u32_e32 v2, vcc, s50, v2
	v_addc_co_u32_e32 v3, vcc, 0, v12, vcc
	v_add_co_u32_e32 v10, vcc, s50, v10
	v_addc_co_u32_e32 v11, vcc, 0, v12, vcc
	;; [unrolled: 2-line block ×3, first 2 shown]
	global_load_ubyte v47, v[47:48], off
	s_nop 0
	global_load_ubyte v2, v[2:3], off
	s_nop 0
	;; [unrolled: 2-line block ×3, first 2 shown]
	global_load_ubyte v10, v[10:11], off
	v_add_co_u32_e32 v45, vcc, s50, v45
	v_addc_co_u32_e32 v46, vcc, 0, v12, vcc
	v_add_u32_e32 v11, 8, v7
	v_add_u32_e32 v43, 8, v8
	v_mul_lo_u32 v51, v43, s3
	v_mul_lo_u32 v11, v11, s2
	s_waitcnt vmcnt(2)
	v_perm_b32 v2, v47, v2, s35
	s_waitcnt vmcnt(0)
	v_perm_b32 v3, v10, v3, s35
	v_lshl_or_b32 v10, v3, 16, v2
	v_add_u32_e32 v2, 8, v5
	v_mul_lo_u32 v2, v2, s9
	v_add_u32_e32 v3, 8, v6
	v_mul_lo_u32 v3, v3, s31
	v_add_co_u32_e32 v43, vcc, s50, v2
	v_addc_co_u32_e32 v44, vcc, 0, v12, vcc
	v_add_co_u32_e32 v47, vcc, s50, v3
	v_addc_co_u32_e32 v48, vcc, 0, v12, vcc
	v_add_co_u32_e32 v49, vcc, s50, v11
	global_load_ubyte v11, v[43:44], off
	s_nop 0
	global_load_ubyte v43, v[45:46], off
	v_addc_co_u32_e32 v50, vcc, 0, v12, vcc
	v_add_u32_e32 v46, 12, v8
	v_add_co_u32_e32 v2, vcc, s50, v51
	v_addc_co_u32_e32 v3, vcc, 0, v12, vcc
	v_add_u32_e32 v45, 12, v7
	v_add_u32_e32 v8, 16, v8
	;; [unrolled: 1-line block ×3, first 2 shown]
	s_waitcnt vmcnt(0)
	v_perm_b32 v11, v43, v11, s35
	global_load_ubyte v43, v[49:50], off
	global_load_ubyte v44, v[47:48], off
	v_mul_lo_u32 v50, v46, s3
	v_mul_lo_u32 v48, v45, s2
	s_waitcnt vmcnt(0)
	v_perm_b32 v43, v44, v43, s35
	v_lshl_or_b32 v11, v43, 16, v11
	v_add_u32_e32 v43, 12, v5
	v_mul_lo_u32 v43, v43, s9
	v_add_u32_e32 v44, 12, v6
	v_mul_lo_u32 v46, v44, s31
	v_add_u32_e32 v6, 16, v6
	v_add_co_u32_e32 v44, vcc, s50, v43
	v_addc_co_u32_e32 v45, vcc, 0, v12, vcc
	v_add_co_u32_e32 v46, vcc, s50, v46
	v_addc_co_u32_e32 v47, vcc, 0, v12, vcc
	;; [unrolled: 2-line block ×4, first 2 shown]
	global_load_ubyte v43, v[50:51], off
	global_load_ubyte v12, v[46:47], off
	s_nop 0
	global_load_ubyte v45, v[44:45], off
	v_cmp_eq_u32_e32 vcc, 0, v42
	global_load_ubyte v46, v[48:49], off
	v_add_u32_e32 v5, 16, v5
	global_load_ubyte v2, v[2:3], off
	s_or_b64 s[82:83], vcc, s[82:83]
	s_waitcnt vmcnt(2)
	v_perm_b32 v44, v45, v12, s35
	s_waitcnt vmcnt(1)
	v_perm_b32 v3, v12, v46, s35
	v_perm_b32 v47, v46, v43, s35
	s_waitcnt vmcnt(0)
	v_perm_b32 v2, v2, v45, s35
	v_lshl_or_b32 v12, v3, 16, v2
	v_lshl_or_b32 v44, v47, 16, v44
	ds_write_b128 v4, v[9:12]
	v_mov_b32_e32 v9, s10
	s_andn2_b64 exec, exec, s[82:83]
	s_cbranch_execnz .LBB74_37
; %bb.38:                               ;   in Loop: Header=BB74_11 Depth=1
	s_or_b64 exec, exec, s[82:83]
.LBB74_39:                              ;   in Loop: Header=BB74_11 Depth=1
	s_or_b64 exec, exec, s[80:81]
	s_mov_b64 s[10:11], exec
	v_readlane_b32 s14, v52, 29
	v_readlane_b32 s15, v52, 30
	s_and_b64 s[14:15], s[10:11], s[14:15]
	s_mov_b64 exec, s[14:15]
	s_cbranch_execz .LBB74_43
; %bb.40:                               ;   in Loop: Header=BB74_11 Depth=1
	v_add_u32_e32 v2, v0, v9
	s_mov_b64 s[40:41], 0
	v_mov_b32_e32 v3, v29
	s_mov_b32 s14, 0xc0c0007
.LBB74_41:                              ;   Parent Loop BB74_11 Depth=1
                                        ; =>  This Inner Loop Header: Depth=2
	v_mul_lo_u32 v9, v5, s9
	v_mul_lo_u32 v11, v6, s31
	;; [unrolled: 1-line block ×3, first 2 shown]
	v_mov_b32_e32 v46, s51
	v_add_co_u32_e32 v9, vcc, s50, v9
	v_addc_co_u32_e32 v10, vcc, 0, v46, vcc
	v_mul_lo_u32 v4, v8, s3
	v_add_co_u32_e32 v11, vcc, s50, v11
	v_addc_co_u32_e32 v12, vcc, 0, v46, vcc
	v_add_co_u32_e32 v42, vcc, s50, v42
	v_addc_co_u32_e32 v43, vcc, 0, v46, vcc
	;; [unrolled: 2-line block ×3, first 2 shown]
	global_load_ubyte v4, v[11:12], off
	s_nop 0
	global_load_ubyte v11, v[42:43], off
	s_nop 0
	;; [unrolled: 2-line block ×3, first 2 shown]
	global_load_ubyte v9, v[9:10], off
	v_add_u32_e32 v3, -4, v3
	v_cmp_eq_u32_e32 vcc, 0, v3
	v_add_u32_e32 v8, 4, v8
	v_add_u32_e32 v7, 4, v7
	;; [unrolled: 1-line block ×4, first 2 shown]
	s_or_b64 s[40:41], vcc, s[40:41]
	s_waitcnt vmcnt(1)
	v_perm_b32 v12, v11, v43, s35
	s_waitcnt vmcnt(0)
	v_perm_b32 v10, v9, v4, s35
	v_perm_b32 v4, v4, v11, s35
	;; [unrolled: 1-line block ×3, first 2 shown]
	v_lshl_or_b32 v4, v4, 16, v9
	v_lshl_or_b32 v44, v12, 16, v10
	ds_write_b32 v2, v4
	v_add_u32_e32 v2, 4, v2
	s_andn2_b64 exec, exec, s[40:41]
	s_cbranch_execnz .LBB74_41
; %bb.42:                               ;   in Loop: Header=BB74_11 Depth=1
	s_or_b64 exec, exec, s[40:41]
.LBB74_43:                              ;   in Loop: Header=BB74_11 Depth=1
	s_or_b64 exec, exec, s[10:11]
	v_readlane_b32 s10, v52, 31
	v_add_u32_e32 v1, v1, v25
	v_readlane_b32 s11, v52, 32
	v_add_u32_e32 v2, -1, v1
	s_orn2_b64 s[10:11], s[10:11], exec
	v_mov_b32_e32 v3, v26
.LBB74_44:                              ;   in Loop: Header=BB74_11 Depth=1
	s_or_b64 exec, exec, s[6:7]
	v_mov_b32_e32 v4, s13
	s_and_b64 s[6:7], s[10:11], exec
	s_waitcnt vmcnt(0)
	v_mov_b32_e32 v5, v43
	s_andn2_saveexec_b64 s[10:11], s[28:29]
	s_cbranch_execz .LBB74_30
.LBB74_45:                              ;   in Loop: Header=BB74_11 Depth=1
	v_mov_b32_e32 v4, s13
	s_or_b64 s[6:7], s[6:7], exec
	s_waitcnt vmcnt(0)
	v_mov_b32_e32 v5, v43
	v_mov_b32_e32 v3, v0
	s_or_b64 exec, exec, s[10:11]
	s_and_saveexec_b64 s[10:11], s[6:7]
	s_cbranch_execz .LBB74_49
.LBB74_46:                              ;   in Loop: Header=BB74_11 Depth=1
	v_mul_lo_u32 v2, s38, v1
	s_sub_i32 s13, 0, s12
	s_mov_b64 s[6:7], 0
.LBB74_47:                              ;   Parent Loop BB74_11 Depth=1
                                        ; =>  This Inner Loop Header: Depth=2
	global_load_ubyte v43, v2, s[50:51]
	v_mov_b32_e32 v6, v1
	v_add_u32_e32 v1, s12, v6
	v_cmp_le_u32_e32 vcc, s36, v1
	ds_write_b8 v3, v5
	v_add_u32_e32 v2, v2, v4
	v_mov_b32_e32 v3, v6
	s_or_b64 s[6:7], vcc, s[6:7]
	s_waitcnt vmcnt(0)
	v_mov_b32_e32 v5, v43
	s_andn2_b64 exec, exec, s[6:7]
	s_cbranch_execnz .LBB74_47
; %bb.48:                               ;   in Loop: Header=BB74_11 Depth=1
	s_or_b64 exec, exec, s[6:7]
	v_add_u32_e32 v2, s13, v1
.LBB74_49:                              ;   in Loop: Header=BB74_11 Depth=1
	s_or_b64 exec, exec, s[10:11]
.LBB74_50:                              ;   in Loop: Header=BB74_11 Depth=1
	s_or_b64 exec, exec, s[26:27]
	s_waitcnt vmcnt(0)
	ds_write_b8 v2, v43
.LBB74_51:                              ;   in Loop: Header=BB74_11 Depth=1
	s_or_b64 exec, exec, s[24:25]
	s_waitcnt lgkmcnt(0)
	s_barrier
	s_and_saveexec_b64 s[6:7], s[0:1]
; %bb.52:                               ;   in Loop: Header=BB74_11 Depth=1
	v_mov_b32_e32 v1, s36
	ds_write_b32 v20, v1 offset:4104
; %bb.53:                               ;   in Loop: Header=BB74_11 Depth=1
	s_or_b64 exec, exec, s[6:7]
	s_mov_b64 s[6:7], -1
	s_waitcnt lgkmcnt(0)
	s_barrier
.LBB74_54:                              ;   in Loop: Header=BB74_11 Depth=1
	s_mov_b32 s40, 0
	s_and_b64 vcc, exec, s[6:7]
	s_cbranch_vccz .LBB74_56
; %bb.55:                               ;   in Loop: Header=BB74_11 Depth=1
	ds_read_b32 v1, v20 offset:4104
	s_waitcnt lgkmcnt(0)
	v_readfirstlane_b32 s40, v1
.LBB74_56:                              ;   in Loop: Header=BB74_11 Depth=1
	s_cmp_lt_i32 s40, 1
	s_mov_b64 s[6:7], -1
                                        ; implicit-def: $vgpr4
	s_cbranch_scc1 .LBB74_66
; %bb.57:                               ;   in Loop: Header=BB74_11 Depth=1
	s_and_b64 vcc, exec, s[6:7]
	s_cbranch_vccnz .LBB74_77
.LBB74_58:                              ;   in Loop: Header=BB74_11 Depth=1
	s_lshl_b32 s10, s62, 6
	s_and_saveexec_b64 s[6:7], s[4:5]
.LBB74_59:                              ;   in Loop: Header=BB74_11 Depth=1
	v_lshl_add_u32 v5, s10, 2, v24
	ds_write_b128 v5, v[1:4]
.LBB74_60:                              ;   in Loop: Header=BB74_11 Depth=1
	s_or_b64 exec, exec, s[6:7]
	s_waitcnt lgkmcnt(0)
	s_barrier
	s_and_saveexec_b64 s[6:7], s[54:55]
	s_cbranch_execz .LBB74_91
; %bb.61:                               ;   in Loop: Header=BB74_11 Depth=1
	s_andn2_b64 vcc, exec, s[58:59]
	v_mov_b32_e32 v1, 0
	s_cbranch_vccnz .LBB74_90
; %bb.62:                               ;   in Loop: Header=BB74_11 Depth=1
	v_readlane_b32 s12, v52, 33
	v_readlane_b32 s13, v52, 34
	s_andn2_b64 vcc, exec, s[12:13]
	s_cbranch_vccnz .LBB74_86
; %bb.63:                               ;   in Loop: Header=BB74_11 Depth=1
	v_lshl_add_u32 v2, s62, 8, v36
	s_mov_b32 s11, 0
	v_mov_b32_e32 v1, 0
.LBB74_64:                              ;   Parent Loop BB74_11 Depth=1
                                        ; =>  This Inner Loop Header: Depth=2
	ds_read2_b32 v[3:4], v2 offset1:4
	ds_read2_b32 v[5:6], v2 offset0:8 offset1:12
	ds_read2_b32 v[7:8], v2 offset0:16 offset1:20
	;; [unrolled: 1-line block ×3, first 2 shown]
	s_add_i32 s11, s11, 8
	s_waitcnt lgkmcnt(3)
	v_add3_u32 v1, v3, v1, v4
	s_waitcnt lgkmcnt(2)
	v_add3_u32 v1, v5, v1, v6
	;; [unrolled: 2-line block ×3, first 2 shown]
	v_add_u32_e32 v2, 0x80, v2
	s_cmp_eq_u32 s60, s11
	s_waitcnt lgkmcnt(0)
	v_add3_u32 v1, v9, v1, v10
	s_cbranch_scc0 .LBB74_64
; %bb.65:                               ;   in Loop: Header=BB74_11 Depth=1
	s_mov_b32 s11, s60
	s_branch .LBB74_87
.LBB74_66:                              ;   in Loop: Header=BB74_11 Depth=1
	v_mov_b32_e32 v1, 0
	v_mov_b32_e32 v2, 0
	;; [unrolled: 1-line block ×4, first 2 shown]
	s_and_saveexec_b64 s[80:81], s[16:17]
	s_cbranch_execz .LBB74_70
; %bb.67:                               ;   in Loop: Header=BB74_11 Depth=1
	s_mov_b32 s10, 0
	s_mov_b64 s[82:83], 0
	s_mov_b32 s11, 0
	s_mov_b32 s12, 0
	;; [unrolled: 1-line block ×4, first 2 shown]
	v_mov_b32_e32 v5, v18
.LBB74_68:                              ;   Parent Loop BB74_11 Depth=1
                                        ; =>  This Inner Loop Header: Depth=2
	v_add_u32_e32 v1, s10, v34
	global_load_ubyte v1, v1, s[50:51]
	v_add_u32_e32 v2, s10, v30
	global_load_ubyte v2, v2, s[50:51]
	;; [unrolled: 2-line block ×4, first 2 shown]
	v_add_u32_e32 v5, s37, v5
	s_add_i32 s10, s10, s34
	s_waitcnt vmcnt(3)
	v_and_b32_e32 v6, v39, v1
	v_bfe_u32 v1, v1, v37, 2
	v_cmp_eq_u32_e32 vcc, v6, v32
	s_waitcnt vmcnt(2)
	v_and_b32_e32 v6, v39, v2
	v_bfe_u32 v2, v2, v37, 2
	v_cmp_eq_u32_e64 s[28:29], 0, v1
	v_cmp_eq_u32_e64 s[6:7], v6, v32
	s_waitcnt vmcnt(1)
	v_and_b32_e32 v6, v39, v3
	v_bfe_u32 v3, v3, v37, 2
	s_and_b64 s[20:21], vcc, s[28:29]
	v_cmp_eq_u32_e64 s[28:29], 0, v2
	v_cmp_eq_u32_e64 s[24:25], v6, v32
	s_waitcnt vmcnt(0)
	v_and_b32_e32 v6, v39, v4
	v_bfe_u32 v4, v4, v37, 2
	s_and_b64 s[42:43], s[6:7], s[28:29]
	v_cmp_eq_u32_e64 s[28:29], 0, v3
	v_cmp_eq_u32_e64 s[26:27], v6, v32
	s_and_b64 s[44:45], s[24:25], s[28:29]
	v_cmp_eq_u32_e64 s[28:29], 0, v4
	v_cndmask_b32_e64 v6, 0, 1, s[20:21]
	s_and_b64 s[46:47], s[26:27], s[28:29]
	v_cmp_ne_u32_e64 s[28:29], 0, v6
	v_cndmask_b32_e64 v6, 0, 1, s[42:43]
	s_bcnt1_i32_b64 s15, s[28:29]
	v_cmp_ne_u32_e64 s[28:29], 0, v6
	v_cndmask_b32_e64 v6, 0, 1, s[44:45]
	s_bcnt1_i32_b64 s20, s[28:29]
	v_cmp_ne_u32_e64 s[28:29], 0, v6
	v_cndmask_b32_e64 v6, 0, 1, s[46:47]
	s_add_i32 s14, s14, s15
	s_bcnt1_i32_b64 s21, s[28:29]
	v_cmp_ne_u32_e64 s[28:29], 0, v6
	s_add_i32 s14, s14, s20
	s_bcnt1_i32_b64 s28, s[28:29]
	s_add_i32 s14, s14, s21
	s_add_i32 s14, s14, s28
	v_cmp_eq_u32_e64 s[28:29], 1, v1
	s_and_b64 s[20:21], vcc, s[28:29]
	v_cmp_eq_u32_e64 s[28:29], 1, v2
	s_and_b64 s[42:43], s[6:7], s[28:29]
	v_cmp_eq_u32_e64 s[28:29], 1, v3
	s_and_b64 s[44:45], s[24:25], s[28:29]
	v_cmp_eq_u32_e64 s[28:29], 1, v4
	v_cndmask_b32_e64 v6, 0, 1, s[20:21]
	s_and_b64 s[46:47], s[26:27], s[28:29]
	v_cmp_ne_u32_e64 s[28:29], 0, v6
	v_cndmask_b32_e64 v6, 0, 1, s[42:43]
	s_bcnt1_i32_b64 s15, s[28:29]
	v_cmp_ne_u32_e64 s[28:29], 0, v6
	v_cndmask_b32_e64 v6, 0, 1, s[44:45]
	s_bcnt1_i32_b64 s20, s[28:29]
	v_cmp_ne_u32_e64 s[28:29], 0, v6
	v_cndmask_b32_e64 v6, 0, 1, s[46:47]
	s_add_i32 s13, s13, s15
	s_bcnt1_i32_b64 s21, s[28:29]
	v_cmp_ne_u32_e64 s[28:29], 0, v6
	s_add_i32 s13, s13, s20
	s_bcnt1_i32_b64 s28, s[28:29]
	s_add_i32 s13, s13, s21
	s_add_i32 s13, s13, s28
	v_cmp_eq_u32_e64 s[28:29], 2, v1
	s_and_b64 s[20:21], vcc, s[28:29]
	v_cmp_eq_u32_e64 s[28:29], 2, v2
	s_and_b64 s[42:43], s[6:7], s[28:29]
	v_cmp_eq_u32_e64 s[28:29], 2, v3
	s_and_b64 s[44:45], s[24:25], s[28:29]
	v_cmp_eq_u32_e64 s[28:29], 2, v4
	v_cndmask_b32_e64 v6, 0, 1, s[20:21]
	s_and_b64 s[46:47], s[26:27], s[28:29]
	v_cmp_ne_u32_e64 s[28:29], 0, v6
	v_cndmask_b32_e64 v6, 0, 1, s[42:43]
	s_bcnt1_i32_b64 s15, s[28:29]
	v_cmp_ne_u32_e64 s[28:29], 0, v6
	v_cndmask_b32_e64 v6, 0, 1, s[44:45]
	s_bcnt1_i32_b64 s20, s[28:29]
	v_cmp_ne_u32_e64 s[28:29], 0, v6
	v_cndmask_b32_e64 v6, 0, 1, s[46:47]
	s_add_i32 s12, s12, s15
	s_bcnt1_i32_b64 s21, s[28:29]
	v_cmp_ne_u32_e64 s[28:29], 0, v6
	s_add_i32 s12, s12, s20
	s_bcnt1_i32_b64 s28, s[28:29]
	s_add_i32 s12, s12, s21
	s_add_i32 s12, s12, s28
	v_cmp_eq_u32_e64 s[28:29], 3, v1
	s_and_b64 s[20:21], vcc, s[28:29]
	v_cmp_eq_u32_e32 vcc, 3, v2
	s_and_b64 s[6:7], s[6:7], vcc
	v_cmp_eq_u32_e32 vcc, 3, v3
	s_and_b64 s[24:25], s[24:25], vcc
	v_cmp_eq_u32_e32 vcc, 3, v4
	v_cndmask_b32_e64 v1, 0, 1, s[20:21]
	s_and_b64 s[26:27], s[26:27], vcc
	v_cmp_ne_u32_e32 vcc, 0, v1
	v_cndmask_b32_e64 v1, 0, 1, s[6:7]
	s_bcnt1_i32_b64 s15, vcc
	v_cmp_ne_u32_e32 vcc, 0, v1
	v_cndmask_b32_e64 v1, 0, 1, s[24:25]
	s_bcnt1_i32_b64 s6, vcc
	v_cmp_ne_u32_e32 vcc, 0, v1
	v_cndmask_b32_e64 v1, 0, 1, s[26:27]
	s_add_i32 s11, s11, s15
	s_bcnt1_i32_b64 s7, vcc
	v_cmp_ne_u32_e32 vcc, 0, v1
	s_add_i32 s6, s11, s6
	s_bcnt1_i32_b64 s20, vcc
	s_add_i32 s6, s6, s7
	s_add_i32 s11, s6, s20
	v_cmp_le_u32_e32 vcc, s63, v5
	s_or_b64 s[82:83], vcc, s[82:83]
	v_mov_b32_e32 v1, s14
	v_mov_b32_e32 v2, s13
	;; [unrolled: 1-line block ×4, first 2 shown]
	s_andn2_b64 exec, exec, s[82:83]
	s_cbranch_execnz .LBB74_68
; %bb.69:                               ;   in Loop: Header=BB74_11 Depth=1
	s_or_b64 exec, exec, s[82:83]
.LBB74_70:                              ;   in Loop: Header=BB74_11 Depth=1
	s_or_b64 exec, exec, s[80:81]
	s_and_saveexec_b64 s[10:11], s[18:19]
	s_cbranch_execz .LBB74_76
; %bb.71:                               ;   in Loop: Header=BB74_11 Depth=1
	global_load_ubyte v8, v[15:16], off
	s_mov_b64 s[12:13], 0
	v_mov_b32_e32 v5, v35
	v_mov_b32_e32 v6, v28
	s_branch .LBB74_73
.LBB74_72:                              ;   in Loop: Header=BB74_73 Depth=2
	s_or_b64 exec, exec, s[14:15]
	s_waitcnt vmcnt(0)
	v_and_b32_e32 v8, 0xff, v8
	s_and_b64 s[6:7], exec, vcc
	v_and_b32_e32 v9, v39, v8
	v_bfe_u32 v8, v8, v37, 2
	s_or_b64 s[12:13], s[6:7], s[12:13]
	v_cmp_eq_u32_e32 vcc, v9, v32
	v_cmp_eq_u32_e64 s[6:7], 0, v8
	s_and_b64 s[6:7], vcc, s[6:7]
	v_cndmask_b32_e64 v9, 0, 1, s[6:7]
	v_cmp_ne_u32_e64 s[6:7], 0, v9
	s_bcnt1_i32_b64 s6, s[6:7]
	v_add_u32_e32 v1, s6, v1
	v_cmp_eq_u32_e64 s[6:7], 1, v8
	s_and_b64 s[6:7], vcc, s[6:7]
	v_cndmask_b32_e64 v9, 0, 1, s[6:7]
	v_cmp_ne_u32_e64 s[6:7], 0, v9
	s_bcnt1_i32_b64 s6, s[6:7]
	v_add_u32_e32 v2, s6, v2
	v_cmp_eq_u32_e64 s[6:7], 2, v8
	s_and_b64 s[6:7], vcc, s[6:7]
	v_cndmask_b32_e64 v9, 0, 1, s[6:7]
	v_cmp_ne_u32_e64 s[6:7], 0, v9
	s_bcnt1_i32_b64 s6, s[6:7]
	v_add_u32_e32 v3, s6, v3
	v_cmp_eq_u32_e64 s[6:7], 3, v8
	s_and_b64 s[6:7], vcc, s[6:7]
	v_cndmask_b32_e64 v8, 0, 1, s[6:7]
	v_cmp_ne_u32_e32 vcc, 0, v8
	s_bcnt1_i32_b64 s6, vcc
	v_add_u32_e32 v4, s6, v4
	v_add_u32_e32 v5, s30, v5
	v_mov_b32_e32 v8, v7
	s_andn2_b64 exec, exec, s[12:13]
	s_cbranch_execz .LBB74_75
.LBB74_73:                              ;   Parent Loop BB74_11 Depth=1
                                        ; =>  This Inner Loop Header: Depth=2
	v_add_u32_e32 v6, s39, v6
	v_cmp_gt_u32_e64 s[6:7], s36, v6
	v_cmp_le_u32_e32 vcc, s36, v6
	v_mov_b32_e32 v7, 0
	s_and_saveexec_b64 s[14:15], s[6:7]
	s_cbranch_execz .LBB74_72
; %bb.74:                               ;   in Loop: Header=BB74_73 Depth=2
	global_load_ubyte v7, v5, s[50:51]
	s_branch .LBB74_72
.LBB74_75:                              ;   in Loop: Header=BB74_11 Depth=1
	s_or_b64 exec, exec, s[12:13]
.LBB74_76:                              ;   in Loop: Header=BB74_11 Depth=1
	s_or_b64 exec, exec, s[10:11]
	s_branch .LBB74_58
.LBB74_77:                              ;   in Loop: Header=BB74_11 Depth=1
	s_mul_hi_u32 s6, s40, s61
	s_mul_i32 s6, s6, s37
	s_sub_i32 s6, s40, s6
	s_sub_i32 s7, s6, s37
	s_cmp_ge_u32 s6, s37
	s_cselect_b32 s6, s7, s6
	s_sub_i32 s7, s6, s37
	s_cmp_ge_u32 s6, s37
	s_cselect_b32 s6, s7, s6
	s_sub_i32 s10, s40, s6
	v_cmp_gt_u32_e32 vcc, s10, v18
	v_mov_b32_e32 v1, 0
	v_mov_b32_e32 v2, 0
	;; [unrolled: 1-line block ×4, first 2 shown]
	s_and_saveexec_b64 s[80:81], vcc
	s_cbranch_execz .LBB74_81
; %bb.78:                               ;   in Loop: Header=BB74_11 Depth=1
	s_mov_b32 s11, 0
	s_mov_b64 s[82:83], 0
	s_mov_b32 s12, 0
	s_mov_b32 s13, 0
	;; [unrolled: 1-line block ×3, first 2 shown]
	v_mov_b32_e32 v5, v18
.LBB74_79:                              ;   Parent Loop BB74_11 Depth=1
                                        ; =>  This Inner Loop Header: Depth=2
	ds_read_b32 v1, v5
	v_add_u32_e32 v5, s37, v5
	s_waitcnt lgkmcnt(0)
	v_and_b32_e32 v3, 0xff, v1
	v_bfe_u32 v4, v1, 8, 8
	v_and_b32_e32 v6, v39, v3
	v_bfe_u32 v3, v3, v37, 2
	v_lshrrev_b32_e32 v2, 24, v1
	v_bfe_u32 v1, v1, 16, 8
	v_cmp_eq_u32_e32 vcc, v6, v32
	v_and_b32_e32 v6, v39, v4
	v_bfe_u32 v4, v4, v37, 2
	v_cmp_eq_u32_e64 s[28:29], 0, v3
	v_cmp_eq_u32_e64 s[6:7], v6, v32
	v_and_b32_e32 v6, v39, v1
	v_bfe_u32 v1, v1, v37, 2
	s_and_b64 s[20:21], vcc, s[28:29]
	v_cmp_eq_u32_e64 s[28:29], 0, v4
	v_cmp_eq_u32_e64 s[24:25], v6, v32
	v_and_b32_e32 v6, v39, v2
	v_bfe_u32 v2, v2, v37, 2
	s_and_b64 s[42:43], s[6:7], s[28:29]
	v_cmp_eq_u32_e64 s[28:29], 0, v1
	v_cmp_eq_u32_e64 s[26:27], v6, v32
	s_and_b64 s[44:45], s[24:25], s[28:29]
	v_cmp_eq_u32_e64 s[28:29], 0, v2
	v_cndmask_b32_e64 v6, 0, 1, s[20:21]
	s_and_b64 s[46:47], s[26:27], s[28:29]
	v_cmp_ne_u32_e64 s[28:29], 0, v6
	v_cndmask_b32_e64 v6, 0, 1, s[42:43]
	s_bcnt1_i32_b64 s15, s[28:29]
	v_cmp_ne_u32_e64 s[28:29], 0, v6
	v_cndmask_b32_e64 v6, 0, 1, s[44:45]
	s_bcnt1_i32_b64 s20, s[28:29]
	v_cmp_ne_u32_e64 s[28:29], 0, v6
	v_cndmask_b32_e64 v6, 0, 1, s[46:47]
	s_add_i32 s14, s14, s15
	s_bcnt1_i32_b64 s21, s[28:29]
	v_cmp_ne_u32_e64 s[28:29], 0, v6
	s_add_i32 s14, s14, s20
	s_bcnt1_i32_b64 s28, s[28:29]
	s_add_i32 s14, s14, s21
	s_add_i32 s14, s14, s28
	v_cmp_eq_u32_e64 s[28:29], 1, v3
	s_and_b64 s[20:21], vcc, s[28:29]
	v_cmp_eq_u32_e64 s[28:29], 1, v4
	s_and_b64 s[42:43], s[6:7], s[28:29]
	v_cmp_eq_u32_e64 s[28:29], 1, v1
	s_and_b64 s[44:45], s[24:25], s[28:29]
	v_cmp_eq_u32_e64 s[28:29], 1, v2
	v_cndmask_b32_e64 v6, 0, 1, s[20:21]
	s_and_b64 s[46:47], s[26:27], s[28:29]
	v_cmp_ne_u32_e64 s[28:29], 0, v6
	v_cndmask_b32_e64 v6, 0, 1, s[42:43]
	s_bcnt1_i32_b64 s15, s[28:29]
	v_cmp_ne_u32_e64 s[28:29], 0, v6
	v_cndmask_b32_e64 v6, 0, 1, s[44:45]
	s_bcnt1_i32_b64 s20, s[28:29]
	v_cmp_ne_u32_e64 s[28:29], 0, v6
	v_cndmask_b32_e64 v6, 0, 1, s[46:47]
	s_add_i32 s13, s13, s15
	s_bcnt1_i32_b64 s21, s[28:29]
	v_cmp_ne_u32_e64 s[28:29], 0, v6
	s_add_i32 s13, s13, s20
	s_bcnt1_i32_b64 s28, s[28:29]
	s_add_i32 s13, s13, s21
	s_add_i32 s13, s13, s28
	v_cmp_eq_u32_e64 s[28:29], 2, v3
	s_and_b64 s[20:21], vcc, s[28:29]
	v_cmp_eq_u32_e64 s[28:29], 2, v4
	s_and_b64 s[42:43], s[6:7], s[28:29]
	v_cmp_eq_u32_e64 s[28:29], 2, v1
	s_and_b64 s[44:45], s[24:25], s[28:29]
	v_cmp_eq_u32_e64 s[28:29], 2, v2
	v_cndmask_b32_e64 v6, 0, 1, s[20:21]
	s_and_b64 s[46:47], s[26:27], s[28:29]
	v_cmp_ne_u32_e64 s[28:29], 0, v6
	v_cndmask_b32_e64 v6, 0, 1, s[42:43]
	s_bcnt1_i32_b64 s15, s[28:29]
	v_cmp_ne_u32_e64 s[28:29], 0, v6
	v_cndmask_b32_e64 v6, 0, 1, s[44:45]
	s_bcnt1_i32_b64 s20, s[28:29]
	v_cmp_ne_u32_e64 s[28:29], 0, v6
	v_cndmask_b32_e64 v6, 0, 1, s[46:47]
	s_add_i32 s12, s12, s15
	s_bcnt1_i32_b64 s21, s[28:29]
	v_cmp_ne_u32_e64 s[28:29], 0, v6
	s_add_i32 s12, s12, s20
	s_bcnt1_i32_b64 s28, s[28:29]
	s_add_i32 s12, s12, s21
	s_add_i32 s12, s12, s28
	v_cmp_eq_u32_e64 s[28:29], 3, v3
	s_and_b64 s[20:21], vcc, s[28:29]
	v_cmp_eq_u32_e32 vcc, 3, v4
	s_and_b64 s[6:7], s[6:7], vcc
	v_cmp_eq_u32_e32 vcc, 3, v1
	s_and_b64 s[24:25], s[24:25], vcc
	v_cmp_eq_u32_e32 vcc, 3, v2
	v_cndmask_b32_e64 v1, 0, 1, s[20:21]
	s_and_b64 s[26:27], s[26:27], vcc
	v_cmp_ne_u32_e32 vcc, 0, v1
	v_cndmask_b32_e64 v1, 0, 1, s[6:7]
	s_bcnt1_i32_b64 s15, vcc
	v_cmp_ne_u32_e32 vcc, 0, v1
	v_cndmask_b32_e64 v1, 0, 1, s[24:25]
	s_bcnt1_i32_b64 s6, vcc
	v_cmp_ne_u32_e32 vcc, 0, v1
	v_cndmask_b32_e64 v1, 0, 1, s[26:27]
	s_add_i32 s11, s11, s15
	s_bcnt1_i32_b64 s7, vcc
	v_cmp_ne_u32_e32 vcc, 0, v1
	s_add_i32 s6, s11, s6
	s_bcnt1_i32_b64 s20, vcc
	s_add_i32 s6, s6, s7
	s_add_i32 s11, s6, s20
	v_cmp_le_u32_e32 vcc, s10, v5
	s_or_b64 s[82:83], vcc, s[82:83]
	v_mov_b32_e32 v1, s14
	v_mov_b32_e32 v2, s13
	;; [unrolled: 1-line block ×4, first 2 shown]
	s_andn2_b64 exec, exec, s[82:83]
	s_cbranch_execnz .LBB74_79
; %bb.80:                               ;   in Loop: Header=BB74_11 Depth=1
	s_or_b64 exec, exec, s[82:83]
.LBB74_81:                              ;   in Loop: Header=BB74_11 Depth=1
	s_or_b64 exec, exec, s[80:81]
	v_add_u32_e32 v5, s10, v0
	v_cmp_gt_u32_e32 vcc, s40, v5
	s_and_saveexec_b64 s[24:25], vcc
	s_cbranch_execz .LBB74_85
; %bb.82:                               ;   in Loop: Header=BB74_11 Depth=1
	s_mov_b64 s[26:27], 0
.LBB74_83:                              ;   Parent Loop BB74_11 Depth=1
                                        ; =>  This Inner Loop Header: Depth=2
	ds_read_u8 v6, v5
	v_add_u32_e32 v5, s39, v5
	s_waitcnt lgkmcnt(0)
	v_and_b32_e32 v7, v39, v6
	v_bfe_u32 v6, v6, v37, 2
	v_cmp_eq_u32_e32 vcc, v7, v32
	v_cmp_eq_u32_e64 s[6:7], 0, v6
	s_and_b64 s[6:7], vcc, s[6:7]
	v_cndmask_b32_e64 v7, 0, 1, s[6:7]
	v_cmp_ne_u32_e64 s[6:7], 0, v7
	s_bcnt1_i32_b64 s6, s[6:7]
	v_add_u32_e32 v1, s6, v1
	v_cmp_eq_u32_e64 s[6:7], 1, v6
	s_and_b64 s[6:7], vcc, s[6:7]
	v_cndmask_b32_e64 v7, 0, 1, s[6:7]
	v_cmp_ne_u32_e64 s[6:7], 0, v7
	s_bcnt1_i32_b64 s6, s[6:7]
	v_add_u32_e32 v2, s6, v2
	;; [unrolled: 6-line block ×3, first 2 shown]
	v_cmp_eq_u32_e64 s[6:7], 3, v6
	s_and_b64 s[6:7], vcc, s[6:7]
	v_cndmask_b32_e64 v6, 0, 1, s[6:7]
	v_cmp_ne_u32_e32 vcc, 0, v6
	s_bcnt1_i32_b64 s6, vcc
	v_cmp_le_u32_e32 vcc, s40, v5
	v_add_u32_e32 v4, s6, v4
	s_or_b64 s[26:27], vcc, s[26:27]
	s_andn2_b64 exec, exec, s[26:27]
	s_cbranch_execnz .LBB74_83
; %bb.84:                               ;   in Loop: Header=BB74_11 Depth=1
	s_or_b64 exec, exec, s[26:27]
.LBB74_85:                              ;   in Loop: Header=BB74_11 Depth=1
	s_or_b64 exec, exec, s[24:25]
	s_lshl_b32 s10, s62, 6
	s_and_saveexec_b64 s[6:7], s[4:5]
	s_cbranch_execnz .LBB74_59
	s_branch .LBB74_60
.LBB74_86:                              ;   in Loop: Header=BB74_11 Depth=1
	v_mov_b32_e32 v1, 0
	s_mov_b32 s11, 0
.LBB74_87:                              ;   in Loop: Header=BB74_11 Depth=1
	v_readlane_b32 s12, v52, 36
	v_readlane_b32 s13, v52, 37
	s_andn2_b64 vcc, exec, s[12:13]
	s_cbranch_vccnz .LBB74_90
; %bb.88:                               ;   in Loop: Header=BB74_11 Depth=1
	s_lshl_b32 s12, s62, 8
	s_lshl_b32 s11, s11, 4
	s_add_i32 s12, s12, s11
	v_add_u32_e32 v2, s12, v36
	v_readlane_b32 s11, v52, 35
.LBB74_89:                              ;   Parent Loop BB74_11 Depth=1
                                        ; =>  This Inner Loop Header: Depth=2
	ds_read_b32 v3, v2
	s_add_i32 s11, s11, -1
	v_add_u32_e32 v2, 16, v2
	s_cmp_lg_u32 s11, 0
	s_waitcnt lgkmcnt(0)
	v_add_u32_e32 v1, v3, v1
	s_cbranch_scc1 .LBB74_89
.LBB74_90:                              ;   in Loop: Header=BB74_11 Depth=1
	v_add_lshl_u32 v2, s10, v19, 2
	ds_write_b32 v2, v1 offset:3072
.LBB74_91:                              ;   in Loop: Header=BB74_11 Depth=1
	s_or_b64 exec, exec, s[6:7]
	s_lshl_b32 s6, s10, 2
	v_mov_b32_e32 v1, s6
	s_waitcnt lgkmcnt(0)
	s_barrier
	ds_read_b128 v[1:4], v1 offset:3072
	v_cmp_eq_u32_e32 vcc, 1, v41
	s_mov_b64 s[24:25], -1
	s_mov_b64 s[10:11], -1
                                        ; implicit-def: $sgpr40_sgpr41
                                        ; implicit-def: $sgpr28_sgpr29
	s_waitcnt lgkmcnt(0)
	v_readfirstlane_b32 s52, v1
	s_cmp_eq_u32 s52, 1
	v_lshlrev_b32_e64 v1, v37, 3
	s_cselect_b64 s[6:7], -1, 0
	v_readfirstlane_b32 s47, v2
	v_readfirstlane_b32 s46, v3
	;; [unrolled: 1-line block ×3, first 2 shown]
	v_not_b32_e32 v3, v1
	s_and_b64 s[26:27], s[6:7], vcc
	s_and_saveexec_b64 s[6:7], s[26:27]
	s_cbranch_execz .LBB74_117
; %bb.92:                               ;   in Loop: Header=BB74_11 Depth=1
	ds_read_b32 v2, v20 offset:4104
	s_waitcnt lgkmcnt(0)
	s_barrier
	v_readfirstlane_b32 s20, v2
	s_and_saveexec_b64 s[10:11], s[22:23]
; %bb.93:                               ;   in Loop: Header=BB74_11 Depth=1
	ds_write_b8 v0, v20 offset:3072
; %bb.94:                               ;   in Loop: Header=BB74_11 Depth=1
	s_or_b64 exec, exec, s[10:11]
	v_and_b32_e32 v32, v32, v3
	v_or_b32_e32 v39, v39, v1
	s_mov_b64 s[28:29], -1
	s_mov_b64 s[40:41], 0
	s_cmp_eq_u32 s20, 0
	s_mov_b64 s[42:43], 0
	s_mov_b64 s[48:49], -1
	s_waitcnt lgkmcnt(0)
	s_barrier
                                        ; implicit-def: $vgpr40
	s_cbranch_scc1 .LBB74_105
; %bb.95:                               ;   in Loop: Header=BB74_11 Depth=1
	s_add_i32 s10, s20, s8
	s_mul_hi_u32 s11, s10, s64
	s_mul_i32 s11, s11, s39
	s_sub_i32 s11, s10, s11
	s_sub_i32 s12, s11, s39
	s_cmp_ge_u32 s11, s39
	s_cselect_b32 s11, s12, s11
	s_sub_i32 s12, s11, s39
	s_cmp_ge_u32 s11, s39
	s_cselect_b32 s11, s12, s11
	s_sub_i32 s21, s10, s11
	v_cmp_gt_u32_e32 vcc, s21, v0
	s_mov_b64 s[48:49], 0
                                        ; implicit-def: $vgpr40
	s_and_saveexec_b64 s[10:11], vcc
	s_cbranch_execz .LBB74_104
; %bb.96:                               ;   in Loop: Header=BB74_11 Depth=1
	s_mov_b64 s[12:13], 0
	v_mov_b32_e32 v2, v0
                                        ; implicit-def: $sgpr14_sgpr15
	s_branch .LBB74_99
.LBB74_97:                              ;   in Loop: Header=BB74_99 Depth=2
	s_or_b64 exec, exec, s[42:43]
	s_waitcnt lgkmcnt(0)
	s_barrier
	ds_read_u16 v4, v20 offset:3072
	s_mov_b64 s[42:43], -1
	s_waitcnt lgkmcnt(0)
	s_barrier
	v_cmp_ne_u32_sdwa s[44:45], v4, v20 src0_sel:BYTE_0 src1_sel:DWORD
	s_and_b64 vcc, exec, s[44:45]
	s_mov_b64 s[44:45], -1
	s_cbranch_vccz .LBB74_102
.LBB74_98:                              ;   in Loop: Header=BB74_99 Depth=2
	s_and_b64 s[42:43], exec, s[42:43]
	s_or_b64 s[12:13], s[42:43], s[12:13]
	s_andn2_b64 s[14:15], s[14:15], exec
	s_and_b64 s[42:43], s[44:45], exec
	s_or_b64 s[14:15], s[14:15], s[42:43]
	s_andn2_b64 exec, exec, s[12:13]
	s_cbranch_execz .LBB74_103
.LBB74_99:                              ;   Parent Loop BB74_11 Depth=1
                                        ; =>  This Inner Loop Header: Depth=2
	v_cmp_gt_u32_e32 vcc, s20, v2
	s_and_saveexec_b64 s[42:43], vcc
	s_cbranch_execz .LBB74_97
; %bb.100:                              ;   in Loop: Header=BB74_99 Depth=2
	ds_read_u8 v4, v2
	s_waitcnt lgkmcnt(0)
	v_and_b32_e32 v5, v4, v39
	v_cmp_eq_u32_sdwa s[44:45], v5, v32 src0_sel:BYTE_0 src1_sel:DWORD
	s_and_b64 exec, exec, s[44:45]
	s_cbranch_execz .LBB74_97
; %bb.101:                              ;   in Loop: Header=BB74_99 Depth=2
	v_lshlrev_b16_e32 v4, 8, v4
	v_or_b32_e32 v4, 1, v4
	ds_write_b16 v20, v4 offset:3072
	s_branch .LBB74_97
.LBB74_102:                             ;   in Loop: Header=BB74_99 Depth=2
	v_add_u32_e32 v2, s39, v2
	v_cmp_le_u32_e32 vcc, s21, v2
	s_mov_b64 s[44:45], 0
	s_orn2_b64 s[42:43], vcc, exec
	s_branch .LBB74_98
.LBB74_103:                             ;   in Loop: Header=BB74_11 Depth=1
	s_or_b64 exec, exec, s[12:13]
	v_lshrrev_b32_sdwa v40, v38, v4 dst_sel:DWORD dst_unused:UNUSED_PAD src0_sel:DWORD src1_sel:WORD_0
	s_and_b64 s[42:43], s[14:15], exec
.LBB74_104:                             ;   in Loop: Header=BB74_11 Depth=1
	s_or_b64 exec, exec, s[10:11]
.LBB74_105:                             ;   in Loop: Header=BB74_11 Depth=1
	s_and_b64 vcc, exec, s[48:49]
	s_cbranch_vccz .LBB74_116
; %bb.106:                              ;   in Loop: Header=BB74_11 Depth=1
                                        ; implicit-def: $vgpr40
	s_mov_b64 s[10:11], exec
	v_readlane_b32 s12, v52, 38
	v_readlane_b32 s13, v52, 39
	s_and_b64 s[12:13], s[10:11], s[12:13]
	s_mov_b64 exec, s[12:13]
	s_cbranch_execz .LBB74_115
; %bb.107:                              ;   in Loop: Header=BB74_11 Depth=1
	s_mov_b64 s[12:13], 0
	v_mov_b32_e32 v2, v17
	v_mov_b32_e32 v4, v0
                                        ; implicit-def: $sgpr28_sgpr29
	s_branch .LBB74_110
.LBB74_108:                             ;   in Loop: Header=BB74_110 Depth=2
	s_or_b64 exec, exec, s[14:15]
	s_waitcnt lgkmcnt(0)
	s_barrier
	ds_read_u16 v5, v20 offset:3072
	s_mov_b64 s[14:15], -1
	s_mov_b64 s[40:41], -1
	s_waitcnt lgkmcnt(0)
	s_barrier
	v_cmp_ne_u32_sdwa s[20:21], v5, v20 src0_sel:BYTE_0 src1_sel:DWORD
	s_and_b64 vcc, exec, s[20:21]
	s_cbranch_vccz .LBB74_113
.LBB74_109:                             ;   in Loop: Header=BB74_110 Depth=2
	s_and_b64 s[14:15], exec, s[14:15]
	s_or_b64 s[12:13], s[14:15], s[12:13]
	s_andn2_b64 s[14:15], s[28:29], exec
	s_and_b64 s[20:21], s[40:41], exec
	s_or_b64 s[28:29], s[14:15], s[20:21]
	s_andn2_b64 exec, exec, s[12:13]
	s_cbranch_execz .LBB74_114
.LBB74_110:                             ;   Parent Loop BB74_11 Depth=1
                                        ; =>  This Inner Loop Header: Depth=2
	v_cmp_gt_u32_e32 vcc, s36, v4
	s_and_saveexec_b64 s[14:15], vcc
	s_cbranch_execz .LBB74_108
; %bb.111:                              ;   in Loop: Header=BB74_110 Depth=2
	global_load_ubyte v5, v2, s[50:51]
	s_waitcnt vmcnt(0)
	v_and_b32_e32 v6, v5, v39
	v_cmp_eq_u32_sdwa s[20:21], v6, v32 src0_sel:BYTE_0 src1_sel:DWORD
	s_and_b64 exec, exec, s[20:21]
	s_cbranch_execz .LBB74_108
; %bb.112:                              ;   in Loop: Header=BB74_110 Depth=2
	v_lshlrev_b16_e32 v5, 8, v5
	v_or_b32_e32 v5, 1, v5
	ds_write_b16 v20, v5 offset:3072
	s_branch .LBB74_108
.LBB74_113:                             ;   in Loop: Header=BB74_110 Depth=2
	v_add_u32_e32 v4, s39, v4
	v_cmp_le_u32_e32 vcc, s65, v4
	v_add_u32_e32 v2, s30, v2
	s_mov_b64 s[40:41], 0
	s_orn2_b64 s[14:15], vcc, exec
	s_branch .LBB74_109
.LBB74_114:                             ;   in Loop: Header=BB74_11 Depth=1
	s_or_b64 exec, exec, s[12:13]
	s_andn2_b64 s[12:13], s[42:43], exec
	s_and_b64 s[14:15], s[28:29], exec
	v_lshrrev_b32_sdwa v40, v38, v5 dst_sel:DWORD dst_unused:UNUSED_PAD src0_sel:DWORD src1_sel:WORD_0
	s_or_b64 s[42:43], s[12:13], s[14:15]
.LBB74_115:                             ;   in Loop: Header=BB74_11 Depth=1
	s_or_b64 exec, exec, s[10:11]
	s_mov_b64 s[28:29], 0
	s_mov_b64 s[40:41], -1
.LBB74_116:                             ;   in Loop: Header=BB74_11 Depth=1
	s_orn2_b64 s[10:11], s[42:43], exec
.LBB74_117:                             ;   in Loop: Header=BB74_11 Depth=1
	s_or_b64 exec, exec, s[6:7]
	s_andn2_b64 s[6:7], s[78:79], exec
	s_and_b64 s[12:13], s[40:41], exec
	s_or_b64 s[78:79], s[6:7], s[12:13]
	s_andn2_b64 s[6:7], s[76:77], exec
	s_and_b64 s[12:13], s[28:29], exec
	v_readfirstlane_b32 s42, v0
	s_andn2_b64 s[74:75], s[74:75], exec
	s_or_b64 s[76:77], s[6:7], s[12:13]
                                        ; implicit-def: $vgpr4
	s_and_saveexec_b64 s[6:7], s[10:11]
	s_cbranch_execz .LBB74_10
; %bb.118:                              ;   in Loop: Header=BB74_11 Depth=1
	s_xor_b64 s[14:15], s[26:27], -1
	s_mov_b64 s[12:13], 0
	v_mov_b32_e32 v4, 1
	v_mov_b32_e32 v2, 1
	s_and_saveexec_b64 s[10:11], s[14:15]
	s_cbranch_execz .LBB74_127
; %bb.119:                              ;   in Loop: Header=BB74_11 Depth=1
	v_cmp_ge_u32_e32 vcc, s52, v41
	s_and_saveexec_b64 s[12:13], vcc
	s_xor_b64 s[12:13], exec, s[12:13]
	s_cbranch_execz .LBB74_124
; %bb.120:                              ;   in Loop: Header=BB74_11 Depth=1
	ds_read_b32 v2, v20 offset:4104
	v_and_b32_e32 v32, v32, v3
	v_or_b32_e32 v39, v39, v1
	s_waitcnt lgkmcnt(0)
	v_cmp_ne_u32_e32 vcc, 0, v2
	s_cbranch_vccnz .LBB74_124
; %bb.121:                              ;   in Loop: Header=BB74_11 Depth=1
	s_and_saveexec_b64 s[14:15], s[0:1]
; %bb.122:                              ;   in Loop: Header=BB74_11 Depth=1
	v_mov_b32_e32 v2, s52
	ds_write_b32 v20, v2 offset:4108
; %bb.123:                              ;   in Loop: Header=BB74_11 Depth=1
	s_or_b64 exec, exec, s[14:15]
	s_waitcnt lgkmcnt(0)
	s_barrier
.LBB74_124:                             ;   in Loop: Header=BB74_11 Depth=1
	s_or_saveexec_b64 s[12:13], s[12:13]
	s_mov_b64 s[14:15], 0
	v_mov_b32_e32 v2, 8
	s_xor_b64 exec, exec, s[12:13]
; %bb.125:                              ;   in Loop: Header=BB74_11 Depth=1
	s_mov_b64 s[14:15], exec
	v_subrev_u32_e32 v41, s52, v41
	v_mov_b32_e32 v2, 0
; %bb.126:                              ;   in Loop: Header=BB74_11 Depth=1
	s_or_b64 exec, exec, s[12:13]
	s_and_b64 s[12:13], s[14:15], exec
	v_mov_b32_e32 v4, v41
.LBB74_127:                             ;   in Loop: Header=BB74_11 Depth=1
	s_or_b64 exec, exec, s[10:11]
	s_mov_b64 s[24:25], -1
	s_mov_b64 s[10:11], -1
                                        ; implicit-def: $sgpr28_sgpr29
                                        ; implicit-def: $sgpr80_sgpr81
	s_and_saveexec_b64 s[14:15], s[12:13]
	s_xor_b64 s[26:27], exec, s[14:15]
	s_cbranch_execz .LBB74_244
; %bb.128:                              ;   in Loop: Header=BB74_11 Depth=1
	s_cmp_eq_u32 s47, 1
	s_cselect_b64 s[10:11], -1, 0
	v_cmp_eq_u32_e32 vcc, 1, v4
	s_and_b64 s[48:49], s[10:11], vcc
	s_mov_b64 s[10:11], -1
                                        ; implicit-def: $sgpr80_sgpr81
                                        ; implicit-def: $sgpr28_sgpr29
	s_and_saveexec_b64 s[40:41], s[48:49]
	s_cbranch_execz .LBB74_154
; %bb.129:                              ;   in Loop: Header=BB74_11 Depth=1
	ds_read_b32 v5, v20 offset:4104
	s_waitcnt lgkmcnt(0)
	s_barrier
	v_readfirstlane_b32 s82, v5
	s_and_saveexec_b64 s[10:11], s[22:23]
; %bb.130:                              ;   in Loop: Header=BB74_11 Depth=1
	ds_write_b8 v0, v20 offset:3072
; %bb.131:                              ;   in Loop: Header=BB74_11 Depth=1
	s_or_b64 exec, exec, s[10:11]
	v_and_b32_e32 v5, v32, v3
	v_lshl_or_b32 v32, 1, v37, v5
	v_or_b32_e32 v39, v39, v1
	s_mov_b64 s[28:29], -1
	s_mov_b64 s[80:81], 0
	s_cmp_eq_u32 s82, 0
	s_mov_b64 s[42:43], 0
	s_mov_b64 s[52:53], -1
	s_waitcnt lgkmcnt(0)
	s_barrier
                                        ; implicit-def: $vgpr40
	s_cbranch_scc1 .LBB74_142
; %bb.132:                              ;   in Loop: Header=BB74_11 Depth=1
	s_add_i32 s10, s82, s8
	s_mul_hi_u32 s11, s10, s64
	s_mul_i32 s11, s11, s39
	s_sub_i32 s11, s10, s11
	s_sub_i32 s12, s11, s39
	s_cmp_ge_u32 s11, s39
	s_cselect_b32 s11, s12, s11
	s_sub_i32 s12, s11, s39
	s_cmp_ge_u32 s11, s39
	s_cselect_b32 s11, s12, s11
	s_sub_i32 s20, s10, s11
	v_cmp_gt_u32_e32 vcc, s20, v0
	s_mov_b64 s[52:53], 0
                                        ; implicit-def: $vgpr40
	s_and_saveexec_b64 s[10:11], vcc
	s_cbranch_execz .LBB74_141
; %bb.133:                              ;   in Loop: Header=BB74_11 Depth=1
	s_mov_b64 s[12:13], 0
	v_mov_b32_e32 v5, v0
                                        ; implicit-def: $sgpr42_sgpr43
	s_branch .LBB74_136
.LBB74_134:                             ;   in Loop: Header=BB74_136 Depth=2
	s_or_b64 exec, exec, s[14:15]
	s_waitcnt lgkmcnt(0)
	s_barrier
	ds_read_u16 v6, v20 offset:3072
	s_mov_b64 s[14:15], -1
	s_waitcnt lgkmcnt(0)
	s_barrier
	v_cmp_ne_u32_sdwa s[44:45], v6, v20 src0_sel:BYTE_0 src1_sel:DWORD
	s_and_b64 vcc, exec, s[44:45]
	s_mov_b64 s[44:45], -1
	s_cbranch_vccz .LBB74_139
.LBB74_135:                             ;   in Loop: Header=BB74_136 Depth=2
	s_and_b64 s[14:15], exec, s[14:15]
	s_or_b64 s[12:13], s[14:15], s[12:13]
	s_andn2_b64 s[14:15], s[42:43], exec
	s_and_b64 s[42:43], s[44:45], exec
	s_or_b64 s[42:43], s[14:15], s[42:43]
	s_andn2_b64 exec, exec, s[12:13]
	s_cbranch_execz .LBB74_140
.LBB74_136:                             ;   Parent Loop BB74_11 Depth=1
                                        ; =>  This Inner Loop Header: Depth=2
	v_cmp_gt_u32_e32 vcc, s82, v5
	s_and_saveexec_b64 s[14:15], vcc
	s_cbranch_execz .LBB74_134
; %bb.137:                              ;   in Loop: Header=BB74_136 Depth=2
	ds_read_u8 v6, v5
	s_waitcnt lgkmcnt(0)
	v_and_b32_e32 v7, v6, v39
	v_cmp_eq_u32_sdwa s[44:45], v7, v32 src0_sel:BYTE_0 src1_sel:DWORD
	s_and_b64 exec, exec, s[44:45]
	s_cbranch_execz .LBB74_134
; %bb.138:                              ;   in Loop: Header=BB74_136 Depth=2
	v_lshlrev_b16_e32 v6, 8, v6
	v_or_b32_e32 v6, 1, v6
	ds_write_b16 v20, v6 offset:3072
	s_branch .LBB74_134
.LBB74_139:                             ;   in Loop: Header=BB74_136 Depth=2
	v_add_u32_e32 v5, s39, v5
	v_cmp_le_u32_e32 vcc, s20, v5
	s_mov_b64 s[44:45], 0
	s_orn2_b64 s[14:15], vcc, exec
	s_branch .LBB74_135
.LBB74_140:                             ;   in Loop: Header=BB74_11 Depth=1
	s_or_b64 exec, exec, s[12:13]
	v_lshrrev_b32_sdwa v40, v38, v6 dst_sel:DWORD dst_unused:UNUSED_PAD src0_sel:DWORD src1_sel:WORD_0
	s_and_b64 s[42:43], s[42:43], exec
.LBB74_141:                             ;   in Loop: Header=BB74_11 Depth=1
	s_or_b64 exec, exec, s[10:11]
.LBB74_142:                             ;   in Loop: Header=BB74_11 Depth=1
	s_and_b64 vcc, exec, s[52:53]
	s_cbranch_vccz .LBB74_153
; %bb.143:                              ;   in Loop: Header=BB74_11 Depth=1
                                        ; implicit-def: $vgpr40
	s_mov_b64 s[10:11], exec
	v_readlane_b32 s12, v52, 38
	v_readlane_b32 s13, v52, 39
	s_and_b64 s[12:13], s[10:11], s[12:13]
	s_mov_b64 exec, s[12:13]
	s_cbranch_execz .LBB74_152
; %bb.144:                              ;   in Loop: Header=BB74_11 Depth=1
	s_mov_b64 s[12:13], 0
	v_mov_b32_e32 v5, v17
	v_mov_b32_e32 v6, v0
                                        ; implicit-def: $sgpr28_sgpr29
	s_branch .LBB74_147
.LBB74_145:                             ;   in Loop: Header=BB74_147 Depth=2
	s_or_b64 exec, exec, s[14:15]
	s_waitcnt lgkmcnt(0)
	s_barrier
	ds_read_u16 v7, v20 offset:3072
	s_mov_b64 s[14:15], -1
	s_mov_b64 s[44:45], -1
	s_waitcnt lgkmcnt(0)
	s_barrier
	v_cmp_eq_u32_sdwa s[20:21], v7, v20 src0_sel:BYTE_0 src1_sel:DWORD
	s_and_b64 vcc, exec, s[20:21]
	s_cbranch_vccnz .LBB74_150
.LBB74_146:                             ;   in Loop: Header=BB74_147 Depth=2
	s_and_b64 s[14:15], exec, s[14:15]
	s_or_b64 s[12:13], s[14:15], s[12:13]
	s_andn2_b64 s[14:15], s[28:29], exec
	s_and_b64 s[20:21], s[44:45], exec
	s_or_b64 s[28:29], s[14:15], s[20:21]
	s_andn2_b64 exec, exec, s[12:13]
	s_cbranch_execz .LBB74_151
.LBB74_147:                             ;   Parent Loop BB74_11 Depth=1
                                        ; =>  This Inner Loop Header: Depth=2
	v_cmp_gt_u32_e32 vcc, s36, v6
	s_and_saveexec_b64 s[14:15], vcc
	s_cbranch_execz .LBB74_145
; %bb.148:                              ;   in Loop: Header=BB74_147 Depth=2
	global_load_ubyte v7, v5, s[50:51]
	s_waitcnt vmcnt(0)
	v_and_b32_e32 v8, v7, v39
	v_cmp_eq_u32_sdwa s[20:21], v8, v32 src0_sel:BYTE_0 src1_sel:DWORD
	s_and_b64 exec, exec, s[20:21]
	s_cbranch_execz .LBB74_145
; %bb.149:                              ;   in Loop: Header=BB74_147 Depth=2
	v_lshlrev_b16_e32 v7, 8, v7
	v_or_b32_e32 v7, 1, v7
	ds_write_b16 v20, v7 offset:3072
	s_branch .LBB74_145
.LBB74_150:                             ;   in Loop: Header=BB74_147 Depth=2
	v_add_u32_e32 v6, s39, v6
	v_cmp_le_u32_e32 vcc, s65, v6
	v_add_u32_e32 v5, s30, v5
	s_mov_b64 s[44:45], 0
	s_orn2_b64 s[14:15], vcc, exec
	s_branch .LBB74_146
.LBB74_151:                             ;   in Loop: Header=BB74_11 Depth=1
	s_or_b64 exec, exec, s[12:13]
	s_andn2_b64 s[12:13], s[42:43], exec
	s_and_b64 s[14:15], s[28:29], exec
	v_lshrrev_b32_sdwa v40, v38, v7 dst_sel:DWORD dst_unused:UNUSED_PAD src0_sel:DWORD src1_sel:WORD_0
	s_or_b64 s[42:43], s[12:13], s[14:15]
.LBB74_152:                             ;   in Loop: Header=BB74_11 Depth=1
	s_or_b64 exec, exec, s[10:11]
	s_mov_b64 s[28:29], 0
	s_mov_b64 s[80:81], -1
.LBB74_153:                             ;   in Loop: Header=BB74_11 Depth=1
	s_orn2_b64 s[10:11], s[42:43], exec
.LBB74_154:                             ;   in Loop: Header=BB74_11 Depth=1
	s_or_b64 exec, exec, s[40:41]
	s_mov_b64 s[12:13], 0
	s_and_saveexec_b64 s[82:83], s[10:11]
	s_cbranch_execz .LBB74_243
; %bb.155:                              ;   in Loop: Header=BB74_11 Depth=1
	s_xor_b64 s[10:11], s[48:49], -1
	v_mov_b32_e32 v5, 1
	v_mov_b32_e32 v2, 1
	s_and_saveexec_b64 s[40:41], s[10:11]
	s_cbranch_execz .LBB74_164
; %bb.156:                              ;   in Loop: Header=BB74_11 Depth=1
	v_cmp_ge_u32_e32 vcc, s47, v4
	s_and_saveexec_b64 s[10:11], vcc
	s_xor_b64 s[10:11], exec, s[10:11]
	s_cbranch_execz .LBB74_161
; %bb.157:                              ;   in Loop: Header=BB74_11 Depth=1
	v_and_b32_e32 v2, v32, v3
	v_lshl_or_b32 v32, 1, v37, v2
	ds_read_b32 v2, v20 offset:4104
	v_or_b32_e32 v39, v39, v1
	s_waitcnt lgkmcnt(0)
	v_cmp_ne_u32_e32 vcc, 0, v2
	s_cbranch_vccnz .LBB74_161
; %bb.158:                              ;   in Loop: Header=BB74_11 Depth=1
	s_and_saveexec_b64 s[12:13], s[0:1]
; %bb.159:                              ;   in Loop: Header=BB74_11 Depth=1
	v_mov_b32_e32 v2, s47
	ds_write_b32 v20, v2 offset:4108
; %bb.160:                              ;   in Loop: Header=BB74_11 Depth=1
	s_or_b64 exec, exec, s[12:13]
	s_waitcnt lgkmcnt(0)
	s_barrier
.LBB74_161:                             ;   in Loop: Header=BB74_11 Depth=1
	s_or_saveexec_b64 s[10:11], s[10:11]
	s_mov_b64 s[12:13], 0
	v_mov_b32_e32 v2, 8
	s_xor_b64 exec, exec, s[10:11]
; %bb.162:                              ;   in Loop: Header=BB74_11 Depth=1
	v_subrev_u32_e32 v4, s47, v4
	v_mov_b32_e32 v2, 0
	s_mov_b64 s[12:13], exec
; %bb.163:                              ;   in Loop: Header=BB74_11 Depth=1
	s_or_b64 exec, exec, s[10:11]
	s_and_b64 s[12:13], s[12:13], exec
	v_mov_b32_e32 v5, v4
.LBB74_164:                             ;   in Loop: Header=BB74_11 Depth=1
	s_or_b64 exec, exec, s[40:41]
	s_mov_b64 s[10:11], -1
                                        ; implicit-def: $sgpr86_sgpr87
                                        ; implicit-def: $sgpr88_sgpr89
	s_and_saveexec_b64 s[84:85], s[12:13]
	s_cbranch_execz .LBB74_242
; %bb.165:                              ;   in Loop: Header=BB74_11 Depth=1
	s_cmp_eq_u32 s46, 1
	s_cselect_b64 s[10:11], -1, 0
	v_cmp_eq_u32_e32 vcc, 1, v5
	s_and_b64 s[48:49], s[10:11], vcc
	s_mov_b64 s[10:11], -1
                                        ; implicit-def: $sgpr88_sgpr89
                                        ; implicit-def: $sgpr86_sgpr87
	s_and_saveexec_b64 s[40:41], s[48:49]
	s_cbranch_execz .LBB74_191
; %bb.166:                              ;   in Loop: Header=BB74_11 Depth=1
	ds_read_b32 v4, v20 offset:4104
	s_waitcnt lgkmcnt(0)
	s_barrier
	v_readfirstlane_b32 s47, v4
	s_and_saveexec_b64 s[10:11], s[22:23]
; %bb.167:                              ;   in Loop: Header=BB74_11 Depth=1
	ds_write_b8 v0, v20 offset:3072
; %bb.168:                              ;   in Loop: Header=BB74_11 Depth=1
	s_or_b64 exec, exec, s[10:11]
	v_and_b32_e32 v4, v32, v3
	v_lshl_or_b32 v32, 2, v37, v4
	v_or_b32_e32 v39, v39, v1
	s_mov_b64 s[86:87], -1
	s_mov_b64 s[88:89], 0
	s_cmp_eq_u32 s47, 0
	s_mov_b64 s[42:43], 0
	s_mov_b64 s[52:53], -1
	s_waitcnt lgkmcnt(0)
	s_barrier
                                        ; implicit-def: $vgpr40
	s_cbranch_scc1 .LBB74_179
; %bb.169:                              ;   in Loop: Header=BB74_11 Depth=1
	s_add_i32 s10, s47, s8
	s_mul_hi_u32 s11, s10, s64
	s_mul_i32 s11, s11, s39
	s_sub_i32 s11, s10, s11
	s_sub_i32 s12, s11, s39
	s_cmp_ge_u32 s11, s39
	s_cselect_b32 s11, s12, s11
	s_sub_i32 s12, s11, s39
	s_cmp_ge_u32 s11, s39
	s_cselect_b32 s11, s12, s11
	s_sub_i32 s20, s10, s11
	v_cmp_gt_u32_e32 vcc, s20, v0
	s_mov_b64 s[52:53], 0
                                        ; implicit-def: $vgpr40
	s_and_saveexec_b64 s[10:11], vcc
	s_cbranch_execz .LBB74_178
; %bb.170:                              ;   in Loop: Header=BB74_11 Depth=1
	s_mov_b64 s[12:13], 0
	v_mov_b32_e32 v4, v0
                                        ; implicit-def: $sgpr42_sgpr43
	s_branch .LBB74_173
.LBB74_171:                             ;   in Loop: Header=BB74_173 Depth=2
	s_or_b64 exec, exec, s[14:15]
	s_waitcnt lgkmcnt(0)
	s_barrier
	ds_read_u16 v6, v20 offset:3072
	s_mov_b64 s[14:15], -1
	s_waitcnt lgkmcnt(0)
	s_barrier
	v_cmp_ne_u32_sdwa s[44:45], v6, v20 src0_sel:BYTE_0 src1_sel:DWORD
	s_and_b64 vcc, exec, s[44:45]
	s_mov_b64 s[44:45], -1
	s_cbranch_vccz .LBB74_176
.LBB74_172:                             ;   in Loop: Header=BB74_173 Depth=2
	s_and_b64 s[14:15], exec, s[14:15]
	s_or_b64 s[12:13], s[14:15], s[12:13]
	s_andn2_b64 s[14:15], s[42:43], exec
	s_and_b64 s[42:43], s[44:45], exec
	s_or_b64 s[42:43], s[14:15], s[42:43]
	s_andn2_b64 exec, exec, s[12:13]
	s_cbranch_execz .LBB74_177
.LBB74_173:                             ;   Parent Loop BB74_11 Depth=1
                                        ; =>  This Inner Loop Header: Depth=2
	v_cmp_gt_u32_e32 vcc, s47, v4
	s_and_saveexec_b64 s[14:15], vcc
	s_cbranch_execz .LBB74_171
; %bb.174:                              ;   in Loop: Header=BB74_173 Depth=2
	ds_read_u8 v6, v4
	s_waitcnt lgkmcnt(0)
	v_and_b32_e32 v7, v6, v39
	v_cmp_eq_u32_sdwa s[44:45], v7, v32 src0_sel:BYTE_0 src1_sel:DWORD
	s_and_b64 exec, exec, s[44:45]
	s_cbranch_execz .LBB74_171
; %bb.175:                              ;   in Loop: Header=BB74_173 Depth=2
	v_lshlrev_b16_e32 v6, 8, v6
	v_or_b32_e32 v6, 1, v6
	ds_write_b16 v20, v6 offset:3072
	s_branch .LBB74_171
.LBB74_176:                             ;   in Loop: Header=BB74_173 Depth=2
	v_add_u32_e32 v4, s39, v4
	v_cmp_le_u32_e32 vcc, s20, v4
	s_mov_b64 s[44:45], 0
	s_orn2_b64 s[14:15], vcc, exec
	s_branch .LBB74_172
.LBB74_177:                             ;   in Loop: Header=BB74_11 Depth=1
	s_or_b64 exec, exec, s[12:13]
	v_lshrrev_b32_sdwa v40, v38, v6 dst_sel:DWORD dst_unused:UNUSED_PAD src0_sel:DWORD src1_sel:WORD_0
	s_and_b64 s[42:43], s[42:43], exec
.LBB74_178:                             ;   in Loop: Header=BB74_11 Depth=1
	s_or_b64 exec, exec, s[10:11]
.LBB74_179:                             ;   in Loop: Header=BB74_11 Depth=1
	s_and_b64 vcc, exec, s[52:53]
	s_cbranch_vccz .LBB74_190
; %bb.180:                              ;   in Loop: Header=BB74_11 Depth=1
                                        ; implicit-def: $vgpr40
	s_mov_b64 s[10:11], exec
	v_readlane_b32 s12, v52, 38
	v_readlane_b32 s13, v52, 39
	s_and_b64 s[12:13], s[10:11], s[12:13]
	s_mov_b64 exec, s[12:13]
	s_cbranch_execz .LBB74_189
; %bb.181:                              ;   in Loop: Header=BB74_11 Depth=1
	s_mov_b64 s[12:13], 0
	v_mov_b32_e32 v4, v17
	v_mov_b32_e32 v6, v0
                                        ; implicit-def: $sgpr52_sgpr53
	s_branch .LBB74_184
.LBB74_182:                             ;   in Loop: Header=BB74_184 Depth=2
	s_or_b64 exec, exec, s[14:15]
	s_waitcnt lgkmcnt(0)
	s_barrier
	ds_read_u16 v7, v20 offset:3072
	s_mov_b64 s[14:15], -1
	s_mov_b64 s[44:45], -1
	s_waitcnt lgkmcnt(0)
	s_barrier
	v_cmp_eq_u32_sdwa s[20:21], v7, v20 src0_sel:BYTE_0 src1_sel:DWORD
	s_and_b64 vcc, exec, s[20:21]
	s_cbranch_vccnz .LBB74_187
.LBB74_183:                             ;   in Loop: Header=BB74_184 Depth=2
	s_and_b64 s[14:15], exec, s[14:15]
	s_or_b64 s[12:13], s[14:15], s[12:13]
	s_andn2_b64 s[14:15], s[52:53], exec
	s_and_b64 s[20:21], s[44:45], exec
	s_or_b64 s[52:53], s[14:15], s[20:21]
	s_andn2_b64 exec, exec, s[12:13]
	s_cbranch_execz .LBB74_188
.LBB74_184:                             ;   Parent Loop BB74_11 Depth=1
                                        ; =>  This Inner Loop Header: Depth=2
	v_cmp_gt_u32_e32 vcc, s36, v6
	s_and_saveexec_b64 s[14:15], vcc
	s_cbranch_execz .LBB74_182
; %bb.185:                              ;   in Loop: Header=BB74_184 Depth=2
	global_load_ubyte v7, v4, s[50:51]
	s_waitcnt vmcnt(0)
	v_and_b32_e32 v8, v7, v39
	v_cmp_eq_u32_sdwa s[20:21], v8, v32 src0_sel:BYTE_0 src1_sel:DWORD
	s_and_b64 exec, exec, s[20:21]
	s_cbranch_execz .LBB74_182
; %bb.186:                              ;   in Loop: Header=BB74_184 Depth=2
	v_lshlrev_b16_e32 v7, 8, v7
	v_or_b32_e32 v7, 1, v7
	ds_write_b16 v20, v7 offset:3072
	s_branch .LBB74_182
.LBB74_187:                             ;   in Loop: Header=BB74_184 Depth=2
	v_add_u32_e32 v6, s39, v6
	v_cmp_le_u32_e32 vcc, s65, v6
	v_add_u32_e32 v4, s30, v4
	s_mov_b64 s[44:45], 0
	s_orn2_b64 s[14:15], vcc, exec
	s_branch .LBB74_183
.LBB74_188:                             ;   in Loop: Header=BB74_11 Depth=1
	s_or_b64 exec, exec, s[12:13]
	s_andn2_b64 s[12:13], s[42:43], exec
	s_and_b64 s[14:15], s[52:53], exec
	v_lshrrev_b32_sdwa v40, v38, v7 dst_sel:DWORD dst_unused:UNUSED_PAD src0_sel:DWORD src1_sel:WORD_0
	s_or_b64 s[42:43], s[12:13], s[14:15]
.LBB74_189:                             ;   in Loop: Header=BB74_11 Depth=1
	s_or_b64 exec, exec, s[10:11]
	s_mov_b64 s[86:87], 0
	s_mov_b64 s[88:89], -1
.LBB74_190:                             ;   in Loop: Header=BB74_11 Depth=1
	s_orn2_b64 s[10:11], s[42:43], exec
.LBB74_191:                             ;   in Loop: Header=BB74_11 Depth=1
	s_or_b64 exec, exec, s[40:41]
	s_mov_b64 s[12:13], 0
	s_and_saveexec_b64 s[90:91], s[10:11]
	s_cbranch_execz .LBB74_241
; %bb.192:                              ;   in Loop: Header=BB74_11 Depth=1
	s_xor_b64 s[10:11], s[48:49], -1
	v_mov_b32_e32 v4, 1
	v_mov_b32_e32 v2, 1
	s_and_saveexec_b64 s[40:41], s[10:11]
	s_cbranch_execz .LBB74_201
; %bb.193:                              ;   in Loop: Header=BB74_11 Depth=1
	v_cmp_ge_u32_e32 vcc, s46, v5
	s_and_saveexec_b64 s[10:11], vcc
	s_xor_b64 s[10:11], exec, s[10:11]
	s_cbranch_execz .LBB74_198
; %bb.194:                              ;   in Loop: Header=BB74_11 Depth=1
	v_and_b32_e32 v2, v32, v3
	v_lshl_or_b32 v32, 2, v37, v2
	ds_read_b32 v2, v20 offset:4104
	v_or_b32_e32 v39, v39, v1
	s_waitcnt lgkmcnt(0)
	v_cmp_ne_u32_e32 vcc, 0, v2
	s_cbranch_vccnz .LBB74_198
; %bb.195:                              ;   in Loop: Header=BB74_11 Depth=1
	s_and_saveexec_b64 s[12:13], s[0:1]
; %bb.196:                              ;   in Loop: Header=BB74_11 Depth=1
	v_mov_b32_e32 v2, s46
	ds_write_b32 v20, v2 offset:4108
; %bb.197:                              ;   in Loop: Header=BB74_11 Depth=1
	s_or_b64 exec, exec, s[12:13]
	s_waitcnt lgkmcnt(0)
	s_barrier
.LBB74_198:                             ;   in Loop: Header=BB74_11 Depth=1
	s_or_saveexec_b64 s[10:11], s[10:11]
	s_mov_b64 s[12:13], 0
	v_mov_b32_e32 v2, 8
	s_xor_b64 exec, exec, s[10:11]
; %bb.199:                              ;   in Loop: Header=BB74_11 Depth=1
	v_subrev_u32_e32 v5, s46, v5
	v_mov_b32_e32 v2, 0
	s_mov_b64 s[12:13], exec
; %bb.200:                              ;   in Loop: Header=BB74_11 Depth=1
	s_or_b64 exec, exec, s[10:11]
	s_and_b64 s[12:13], s[12:13], exec
	v_mov_b32_e32 v4, v5
.LBB74_201:                             ;   in Loop: Header=BB74_11 Depth=1
	s_or_b64 exec, exec, s[40:41]
	s_mov_b64 s[10:11], -1
                                        ; implicit-def: $sgpr48_sgpr49
                                        ; implicit-def: $sgpr94_sgpr95
	s_and_saveexec_b64 s[92:93], s[12:13]
	s_cbranch_execz .LBB74_240
; %bb.202:                              ;   in Loop: Header=BB74_11 Depth=1
	s_cmp_eq_u32 s33, 1
	s_cselect_b64 s[10:11], -1, 0
	v_cmp_eq_u32_e32 vcc, 1, v4
	s_and_b64 s[40:41], s[10:11], vcc
	s_mov_b64 s[10:11], -1
                                        ; implicit-def: $sgpr48_sgpr49
                                        ; implicit-def: $sgpr94_sgpr95
	s_and_saveexec_b64 s[42:43], s[40:41]
	s_cbranch_execz .LBB74_228
; %bb.203:                              ;   in Loop: Header=BB74_11 Depth=1
	ds_read_b32 v3, v20 offset:4104
	s_waitcnt lgkmcnt(0)
	s_barrier
	v_readfirstlane_b32 s20, v3
	s_and_saveexec_b64 s[10:11], s[22:23]
; %bb.204:                              ;   in Loop: Header=BB74_11 Depth=1
	ds_write_b8 v0, v20 offset:3072
; %bb.205:                              ;   in Loop: Header=BB74_11 Depth=1
	s_or_b64 exec, exec, s[10:11]
	v_or_b32_e32 v32, v32, v1
	v_or_b32_e32 v39, v39, v1
	s_mov_b64 s[94:95], -1
	s_mov_b64 s[48:49], 0
	s_cmp_eq_u32 s20, 0
	s_mov_b64 s[52:53], 0
	s_mov_b64 s[10:11], -1
	s_waitcnt lgkmcnt(0)
	s_barrier
                                        ; implicit-def: $vgpr40
	s_cbranch_scc1 .LBB74_216
; %bb.206:                              ;   in Loop: Header=BB74_11 Depth=1
	s_add_i32 s10, s20, s8
	s_mul_hi_u32 s11, s10, s64
	s_mul_i32 s11, s11, s39
	s_sub_i32 s11, s10, s11
	s_sub_i32 s12, s11, s39
	s_cmp_ge_u32 s11, s39
	s_cselect_b32 s11, s12, s11
	s_sub_i32 s12, s11, s39
	s_cmp_ge_u32 s11, s39
	s_cselect_b32 s11, s12, s11
	s_sub_i32 s21, s10, s11
	v_cmp_gt_u32_e32 vcc, s21, v0
	s_mov_b64 s[10:11], 0
                                        ; implicit-def: $vgpr40
	s_and_saveexec_b64 s[12:13], vcc
	s_cbranch_execz .LBB74_215
; %bb.207:                              ;   in Loop: Header=BB74_11 Depth=1
	v_mov_b32_e32 v3, v0
                                        ; implicit-def: $sgpr14_sgpr15
	s_branch .LBB74_210
.LBB74_208:                             ;   in Loop: Header=BB74_210 Depth=2
	s_or_b64 exec, exec, s[44:45]
	s_waitcnt lgkmcnt(0)
	s_barrier
	ds_read_u16 v5, v20 offset:3072
	s_mov_b64 s[44:45], -1
	s_waitcnt lgkmcnt(0)
	s_barrier
	v_cmp_ne_u32_sdwa s[46:47], v5, v20 src0_sel:BYTE_0 src1_sel:DWORD
	s_and_b64 vcc, exec, s[46:47]
	s_mov_b64 s[46:47], -1
	s_cbranch_vccz .LBB74_213
.LBB74_209:                             ;   in Loop: Header=BB74_210 Depth=2
	s_and_b64 s[44:45], exec, s[44:45]
	s_or_b64 s[52:53], s[44:45], s[52:53]
	s_andn2_b64 s[14:15], s[14:15], exec
	s_and_b64 s[44:45], s[46:47], exec
	s_or_b64 s[14:15], s[14:15], s[44:45]
	s_andn2_b64 exec, exec, s[52:53]
	s_cbranch_execz .LBB74_214
.LBB74_210:                             ;   Parent Loop BB74_11 Depth=1
                                        ; =>  This Inner Loop Header: Depth=2
	v_cmp_gt_u32_e32 vcc, s20, v3
	s_and_saveexec_b64 s[44:45], vcc
	s_cbranch_execz .LBB74_208
; %bb.211:                              ;   in Loop: Header=BB74_210 Depth=2
	ds_read_u8 v5, v3
	s_waitcnt lgkmcnt(0)
	v_and_b32_e32 v6, v5, v39
	v_cmp_eq_u32_sdwa s[46:47], v6, v32 src0_sel:BYTE_0 src1_sel:DWORD
	s_and_b64 exec, exec, s[46:47]
	s_cbranch_execz .LBB74_208
; %bb.212:                              ;   in Loop: Header=BB74_210 Depth=2
	v_lshlrev_b16_e32 v5, 8, v5
	v_or_b32_e32 v5, 1, v5
	ds_write_b16 v20, v5 offset:3072
	s_branch .LBB74_208
.LBB74_213:                             ;   in Loop: Header=BB74_210 Depth=2
	v_add_u32_e32 v3, s39, v3
	v_cmp_le_u32_e32 vcc, s21, v3
	s_mov_b64 s[46:47], 0
	s_orn2_b64 s[44:45], vcc, exec
	s_branch .LBB74_209
.LBB74_214:                             ;   in Loop: Header=BB74_11 Depth=1
	s_or_b64 exec, exec, s[52:53]
	v_lshrrev_b32_sdwa v40, v38, v5 dst_sel:DWORD dst_unused:UNUSED_PAD src0_sel:DWORD src1_sel:WORD_0
	s_and_b64 s[52:53], s[14:15], exec
.LBB74_215:                             ;   in Loop: Header=BB74_11 Depth=1
	s_or_b64 exec, exec, s[12:13]
.LBB74_216:                             ;   in Loop: Header=BB74_11 Depth=1
	s_and_b64 vcc, exec, s[10:11]
	s_cbranch_vccz .LBB74_227
; %bb.217:                              ;   in Loop: Header=BB74_11 Depth=1
                                        ; implicit-def: $vgpr40
	s_mov_b64 s[10:11], exec
	v_readlane_b32 s12, v52, 38
	v_readlane_b32 s13, v52, 39
	s_and_b64 s[12:13], s[10:11], s[12:13]
	s_mov_b64 exec, s[12:13]
	s_cbranch_execz .LBB74_226
; %bb.218:                              ;   in Loop: Header=BB74_11 Depth=1
	s_mov_b64 s[12:13], 0
	v_mov_b32_e32 v3, v17
	v_mov_b32_e32 v5, v0
                                        ; implicit-def: $sgpr48_sgpr49
	s_branch .LBB74_221
.LBB74_219:                             ;   in Loop: Header=BB74_221 Depth=2
	s_or_b64 exec, exec, s[14:15]
	s_waitcnt lgkmcnt(0)
	s_barrier
	ds_read_u16 v6, v20 offset:3072
	s_mov_b64 s[14:15], -1
	s_mov_b64 s[44:45], -1
	s_waitcnt lgkmcnt(0)
	s_barrier
	v_cmp_eq_u32_sdwa s[20:21], v6, v20 src0_sel:BYTE_0 src1_sel:DWORD
	s_and_b64 vcc, exec, s[20:21]
	s_cbranch_vccnz .LBB74_224
.LBB74_220:                             ;   in Loop: Header=BB74_221 Depth=2
	s_and_b64 s[14:15], exec, s[14:15]
	s_or_b64 s[12:13], s[14:15], s[12:13]
	s_andn2_b64 s[14:15], s[48:49], exec
	s_and_b64 s[20:21], s[44:45], exec
	s_or_b64 s[48:49], s[14:15], s[20:21]
	s_andn2_b64 exec, exec, s[12:13]
	s_cbranch_execz .LBB74_225
.LBB74_221:                             ;   Parent Loop BB74_11 Depth=1
                                        ; =>  This Inner Loop Header: Depth=2
	v_cmp_gt_u32_e32 vcc, s36, v5
	s_and_saveexec_b64 s[14:15], vcc
	s_cbranch_execz .LBB74_219
; %bb.222:                              ;   in Loop: Header=BB74_221 Depth=2
	global_load_ubyte v6, v3, s[50:51]
	s_waitcnt vmcnt(0)
	v_and_b32_e32 v7, v6, v39
	v_cmp_eq_u32_sdwa s[20:21], v7, v32 src0_sel:BYTE_0 src1_sel:DWORD
	s_and_b64 exec, exec, s[20:21]
	s_cbranch_execz .LBB74_219
; %bb.223:                              ;   in Loop: Header=BB74_221 Depth=2
	v_lshlrev_b16_e32 v6, 8, v6
	v_or_b32_e32 v6, 1, v6
	ds_write_b16 v20, v6 offset:3072
	s_branch .LBB74_219
.LBB74_224:                             ;   in Loop: Header=BB74_221 Depth=2
	v_add_u32_e32 v5, s39, v5
	v_cmp_le_u32_e32 vcc, s65, v5
	v_add_u32_e32 v3, s30, v3
	s_mov_b64 s[44:45], 0
	s_orn2_b64 s[14:15], vcc, exec
	s_branch .LBB74_220
.LBB74_225:                             ;   in Loop: Header=BB74_11 Depth=1
	s_or_b64 exec, exec, s[12:13]
	s_andn2_b64 s[12:13], s[52:53], exec
	s_and_b64 s[14:15], s[48:49], exec
	v_lshrrev_b32_sdwa v40, v38, v6 dst_sel:DWORD dst_unused:UNUSED_PAD src0_sel:DWORD src1_sel:WORD_0
	s_or_b64 s[52:53], s[12:13], s[14:15]
.LBB74_226:                             ;   in Loop: Header=BB74_11 Depth=1
	s_or_b64 exec, exec, s[10:11]
	s_mov_b64 s[94:95], 0
	s_mov_b64 s[48:49], -1
.LBB74_227:                             ;   in Loop: Header=BB74_11 Depth=1
	s_orn2_b64 s[10:11], s[52:53], exec
.LBB74_228:                             ;   in Loop: Header=BB74_11 Depth=1
	s_or_b64 exec, exec, s[42:43]
	s_mov_b64 s[12:13], 0
	s_and_saveexec_b64 s[42:43], s[10:11]
	s_cbranch_execz .LBB74_239
; %bb.229:                              ;   in Loop: Header=BB74_11 Depth=1
	s_xor_b64 s[12:13], s[40:41], -1
	v_mov_b32_e32 v2, 1
	v_mov_b32_e32 v3, 1
	s_and_saveexec_b64 s[10:11], s[12:13]
	s_cbranch_execz .LBB74_238
; %bb.230:                              ;   in Loop: Header=BB74_11 Depth=1
	v_cmp_ge_u32_e32 vcc, s33, v4
	s_and_saveexec_b64 s[12:13], vcc
	s_xor_b64 s[12:13], exec, s[12:13]
	s_cbranch_execz .LBB74_235
; %bb.231:                              ;   in Loop: Header=BB74_11 Depth=1
	v_or_b32_e32 v32, v32, v1
	v_or_b32_e32 v39, v39, v1
	ds_read_b32 v1, v20 offset:4104
	s_waitcnt lgkmcnt(0)
	v_cmp_ne_u32_e32 vcc, 0, v1
	s_cbranch_vccnz .LBB74_235
; %bb.232:                              ;   in Loop: Header=BB74_11 Depth=1
	s_and_saveexec_b64 s[14:15], s[0:1]
; %bb.233:                              ;   in Loop: Header=BB74_11 Depth=1
	v_mov_b32_e32 v1, s33
	ds_write_b32 v20, v1 offset:4108
; %bb.234:                              ;   in Loop: Header=BB74_11 Depth=1
	s_or_b64 exec, exec, s[14:15]
	s_waitcnt lgkmcnt(0)
	s_barrier
.LBB74_235:                             ;   in Loop: Header=BB74_11 Depth=1
	s_andn2_saveexec_b64 s[12:13], s[12:13]
; %bb.236:                              ;   in Loop: Header=BB74_11 Depth=1
	v_subrev_u32_e32 v4, s33, v4
; %bb.237:                              ;   in Loop: Header=BB74_11 Depth=1
	s_or_b64 exec, exec, s[12:13]
	v_mov_b32_e32 v2, 8
	v_mov_b32_e32 v3, v4
.LBB74_238:                             ;   in Loop: Header=BB74_11 Depth=1
	s_or_b64 exec, exec, s[10:11]
	s_mov_b64 s[12:13], exec
	v_mov_b32_e32 v4, v3
.LBB74_239:                             ;   in Loop: Header=BB74_11 Depth=1
	s_or_b64 exec, exec, s[42:43]
	s_orn2_b64 s[10:11], s[12:13], exec
.LBB74_240:                             ;   in Loop: Header=BB74_11 Depth=1
	s_or_b64 exec, exec, s[92:93]
	s_andn2_b64 s[12:13], s[88:89], exec
	s_and_b64 s[14:15], s[48:49], exec
	s_or_b64 s[88:89], s[12:13], s[14:15]
	s_andn2_b64 s[12:13], s[86:87], exec
	s_and_b64 s[14:15], s[94:95], exec
	s_or_b64 s[86:87], s[12:13], s[14:15]
	s_and_b64 s[12:13], s[10:11], exec
	v_mov_b32_e32 v5, v4
.LBB74_241:                             ;   in Loop: Header=BB74_11 Depth=1
	s_or_b64 exec, exec, s[90:91]
	s_orn2_b64 s[10:11], s[12:13], exec
.LBB74_242:                             ;   in Loop: Header=BB74_11 Depth=1
	s_or_b64 exec, exec, s[84:85]
	s_andn2_b64 s[12:13], s[80:81], exec
	s_and_b64 s[14:15], s[88:89], exec
	s_or_b64 s[80:81], s[12:13], s[14:15]
	s_andn2_b64 s[12:13], s[28:29], exec
	s_and_b64 s[14:15], s[86:87], exec
	s_or_b64 s[28:29], s[12:13], s[14:15]
	s_and_b64 s[12:13], s[10:11], exec
	v_mov_b32_e32 v4, v5
.LBB74_243:                             ;   in Loop: Header=BB74_11 Depth=1
	s_or_b64 exec, exec, s[82:83]
	s_orn2_b64 s[10:11], s[12:13], exec
.LBB74_244:                             ;   in Loop: Header=BB74_11 Depth=1
	s_or_b64 exec, exec, s[26:27]
	s_mov_b64 s[12:13], 0
                                        ; implicit-def: $sgpr42
	s_and_saveexec_b64 s[14:15], s[10:11]
	s_xor_b64 s[10:11], exec, s[14:15]
	s_cbranch_execz .LBB74_9
; %bb.245:                              ;   in Loop: Header=BB74_11 Depth=1
	v_and_b32_e32 v1, 7, v2
	v_cmp_eq_u32_e32 vcc, 0, v1
	s_mov_b64 s[14:15], -1
	s_mov_b64 s[12:13], -1
                                        ; implicit-def: $sgpr42
	s_and_saveexec_b64 s[24:25], vcc
	s_cbranch_execz .LBB74_8
; %bb.246:                              ;   in Loop: Header=BB74_11 Depth=1
	v_add_u32_e32 v1, -2, v37
	v_cmp_eq_u32_e32 vcc, 0, v37
	s_xor_b32 s42, s62, 1
	s_xor_b64 s[12:13], exec, -1
	s_orn2_b64 s[14:15], vcc, exec
	v_mov_b32_e32 v37, v1
	s_branch .LBB74_8
.LBB74_247:
	s_or_b64 exec, exec, s[66:67]
	s_xor_b64 s[8:9], s[72:73], -1
	s_xor_b64 s[0:1], s[68:69], -1
	;; [unrolled: 1-line block ×3, first 2 shown]
	s_mov_b64 s[4:5], 0
	s_and_saveexec_b64 s[2:3], s[0:1]
	s_xor_b64 s[0:1], exec, s[2:3]
	s_cbranch_execnz .LBB74_252
; %bb.248:
	s_andn2_saveexec_b64 s[0:1], s[0:1]
	s_cbranch_execnz .LBB74_265
.LBB74_249:
	s_or_b64 exec, exec, s[0:1]
	s_and_saveexec_b64 s[0:1], s[4:5]
.LBB74_250:
	; divergent unreachable
.LBB74_251:
	s_endpgm
.LBB74_252:
	s_and_saveexec_b64 s[2:3], s[8:9]
	s_xor_b64 s[4:5], exec, s[2:3]
	s_cbranch_execz .LBB74_263
; %bb.253:
	s_and_saveexec_b64 s[2:3], s[6:7]
	s_xor_b64 s[6:7], exec, s[2:3]
; %bb.254:
	v_mov_b32_e32 v40, v32
; %bb.255:
	s_or_b64 exec, exec, s[6:7]
	v_readlane_b32 s8, v52, 1
	v_readlane_b32 s9, v52, 2
	;; [unrolled: 1-line block ×3, first 2 shown]
	s_mul_i32 s2, s10, s9
	v_readlane_b32 s9, v52, 18
	s_mul_i32 s3, s9, s8
	v_readlane_b32 s18, v52, 20
	s_sub_i32 s3, s10, s3
	s_sub_i32 s2, s18, s2
	s_add_i32 s6, s9, 1
	s_sub_i32 s7, s3, s8
	s_cmp_ge_u32 s3, s8
	s_cselect_b32 s6, s6, s9
	s_cselect_b32 s3, s7, s3
	s_add_i32 s7, s6, 1
	s_cmp_ge_u32 s3, s8
	s_cselect_b32 s3, s7, s6
	v_readlane_b32 s12, v52, 10
	s_mul_i32 s6, s3, s8
	v_readlane_b32 s13, v52, 11
	v_readlane_b32 s14, v52, 12
	s_sub_i32 s6, s10, s6
	s_mul_i32 s2, s2, s14
	s_mul_i32 s6, s6, s13
	s_add_i32 s2, s6, s2
	s_mul_i32 s3, s3, s12
	s_add_i32 s2, s2, s3
	v_mov_b32_e32 v1, s2
	v_readlane_b32 s2, v52, 16
	v_readlane_b32 s3, v52, 17
	;; [unrolled: 1-line block ×3, first 2 shown]
	s_nop 3
	global_store_byte v1, v40, s[2:3]
	s_mov_b64 s[6:7], exec
	v_readlane_b32 s2, v52, 21
	v_readlane_b32 s3, v52, 22
	s_and_b64 s[2:3], s[6:7], s[2:3]
	s_mov_b64 exec, s[2:3]
	s_cbranch_execz .LBB74_262
; %bb.256:
	s_mov_b64 s[2:3], 0
                                        ; implicit-def: $sgpr8_sgpr9
                                        ; implicit-def: $sgpr12_sgpr13
                                        ; implicit-def: $sgpr10_sgpr11
	s_branch .LBB74_258
.LBB74_257:                             ;   in Loop: Header=BB74_258 Depth=1
	s_or_b64 exec, exec, s[14:15]
	s_and_b64 s[14:15], exec, s[12:13]
	s_or_b64 s[2:3], s[14:15], s[2:3]
	s_andn2_b64 s[8:9], s[8:9], exec
	s_and_b64 s[14:15], s[10:11], exec
	s_or_b64 s[8:9], s[8:9], s[14:15]
	s_andn2_b64 exec, exec, s[2:3]
	s_cbranch_execz .LBB74_260
.LBB74_258:                             ; =>This Inner Loop Header: Depth=1
	global_load_ubyte v2, v17, s[50:51]
	v_mov_b32_e32 v1, v0
	s_or_b64 s[10:11], s[10:11], exec
	s_or_b64 s[12:13], s[12:13], exec
                                        ; implicit-def: $vgpr0
	s_waitcnt vmcnt(0)
	v_cmp_ne_u16_sdwa s[16:17], v2, v40 src0_sel:DWORD src1_sel:BYTE_0
	s_and_saveexec_b64 s[14:15], s[16:17]
	s_cbranch_execz .LBB74_257
; %bb.259:                              ;   in Loop: Header=BB74_258 Depth=1
	v_add_u32_e32 v0, s39, v1
	v_cmp_le_u32_e32 vcc, s36, v0
	s_andn2_b64 s[12:13], s[12:13], exec
	s_and_b64 s[16:17], vcc, exec
	v_add_u32_e32 v17, s30, v17
	s_andn2_b64 s[10:11], s[10:11], exec
	s_or_b64 s[12:13], s[12:13], s[16:17]
	s_branch .LBB74_257
.LBB74_260:
	s_or_b64 exec, exec, s[2:3]
	s_and_saveexec_b64 s[2:3], s[8:9]
	s_xor_b64 s[2:3], exec, s[2:3]
	s_cbranch_execz .LBB74_262
; %bb.261:
	v_readlane_b32 s10, v52, 4
	v_readlane_b32 s11, v52, 5
	;; [unrolled: 1-line block ×3, first 2 shown]
	s_mul_i32 s2, s12, s11
	v_readlane_b32 s11, v52, 19
	s_mul_i32 s3, s11, s10
	s_sub_i32 s3, s12, s3
	s_sub_i32 s2, s18, s2
	s_add_i32 s8, s11, 1
	s_sub_i32 s9, s3, s10
	s_cmp_ge_u32 s3, s10
	s_cselect_b32 s8, s8, s11
	s_cselect_b32 s3, s9, s3
	s_add_i32 s9, s8, 1
	s_cmp_ge_u32 s3, s10
	s_cselect_b32 s3, s9, s8
	v_readlane_b32 s16, v52, 6
	s_mul_i32 s8, s3, s10
	v_readlane_b32 s17, v52, 7
	v_readlane_b32 s18, v52, 8
	s_sub_i32 s8, s12, s8
	s_mul_i32 s2, s2, s18
	s_mul_i32 s8, s8, s17
	s_add_i32 s2, s8, s2
	s_mul_i32 s3, s3, s16
	s_add_i32 s2, s2, s3
	s_mov_b32 s3, 0
	s_lshl_b64 s[2:3], s[2:3], 3
	v_readlane_b32 s8, v52, 14
	v_readlane_b32 s9, v52, 15
	s_add_u32 s2, s8, s2
	s_addc_u32 s3, s9, s3
	v_mov_b32_e32 v2, 0
	v_readlane_b32 s19, v52, 9
	global_store_dwordx2 v2, v[1:2], s[2:3]
.LBB74_262:
	s_or_b64 exec, exec, s[6:7]
.LBB74_263:
	s_or_saveexec_b64 s[2:3], s[4:5]
	s_mov_b64 s[4:5], 0
	s_xor_b64 exec, exec, s[2:3]
	s_cbranch_execnz .LBB74_266
.LBB74_264:
	s_or_b64 exec, exec, s[2:3]
	s_and_b64 s[4:5], s[4:5], exec
	s_andn2_saveexec_b64 s[0:1], s[0:1]
	s_cbranch_execz .LBB74_249
.LBB74_265:
	s_or_b64 s[4:5], s[4:5], exec
	s_trap 2
	s_or_b64 exec, exec, s[0:1]
	s_and_saveexec_b64 s[0:1], s[4:5]
	s_cbranch_execnz .LBB74_250
	s_branch .LBB74_251
.LBB74_266:
	s_mov_b64 s[4:5], exec
	s_trap 2
	s_branch .LBB74_264
	.section	.rodata,"a",@progbits
	.p2align	6, 0x0
	.amdhsa_kernel _ZN2at6native12_GLOBAL__N_112gatherMedianIhjLi3EEEvNS_4cuda6detail10TensorInfoIT_T0_EENS5_IlS7_EENS5_IKS6_S7_EES7_S7_S7_b
		.amdhsa_group_segment_fixed_size 4120
		.amdhsa_private_segment_fixed_size 0
		.amdhsa_kernarg_size 920
		.amdhsa_user_sgpr_count 6
		.amdhsa_user_sgpr_private_segment_buffer 1
		.amdhsa_user_sgpr_dispatch_ptr 0
		.amdhsa_user_sgpr_queue_ptr 0
		.amdhsa_user_sgpr_kernarg_segment_ptr 1
		.amdhsa_user_sgpr_dispatch_id 0
		.amdhsa_user_sgpr_flat_scratch_init 0
		.amdhsa_user_sgpr_private_segment_size 0
		.amdhsa_uses_dynamic_stack 0
		.amdhsa_system_sgpr_private_segment_wavefront_offset 0
		.amdhsa_system_sgpr_workgroup_id_x 1
		.amdhsa_system_sgpr_workgroup_id_y 1
		.amdhsa_system_sgpr_workgroup_id_z 1
		.amdhsa_system_sgpr_workgroup_info 0
		.amdhsa_system_vgpr_workitem_id 0
		.amdhsa_next_free_vgpr 53
		.amdhsa_next_free_sgpr 96
		.amdhsa_reserve_vcc 1
		.amdhsa_reserve_flat_scratch 0
		.amdhsa_float_round_mode_32 0
		.amdhsa_float_round_mode_16_64 0
		.amdhsa_float_denorm_mode_32 3
		.amdhsa_float_denorm_mode_16_64 3
		.amdhsa_dx10_clamp 1
		.amdhsa_ieee_mode 1
		.amdhsa_fp16_overflow 0
		.amdhsa_exception_fp_ieee_invalid_op 0
		.amdhsa_exception_fp_denorm_src 0
		.amdhsa_exception_fp_ieee_div_zero 0
		.amdhsa_exception_fp_ieee_overflow 0
		.amdhsa_exception_fp_ieee_underflow 0
		.amdhsa_exception_fp_ieee_inexact 0
		.amdhsa_exception_int_div_zero 0
	.end_amdhsa_kernel
	.section	.text._ZN2at6native12_GLOBAL__N_112gatherMedianIhjLi3EEEvNS_4cuda6detail10TensorInfoIT_T0_EENS5_IlS7_EENS5_IKS6_S7_EES7_S7_S7_b,"axG",@progbits,_ZN2at6native12_GLOBAL__N_112gatherMedianIhjLi3EEEvNS_4cuda6detail10TensorInfoIT_T0_EENS5_IlS7_EENS5_IKS6_S7_EES7_S7_S7_b,comdat
.Lfunc_end74:
	.size	_ZN2at6native12_GLOBAL__N_112gatherMedianIhjLi3EEEvNS_4cuda6detail10TensorInfoIT_T0_EENS5_IlS7_EENS5_IKS6_S7_EES7_S7_S7_b, .Lfunc_end74-_ZN2at6native12_GLOBAL__N_112gatherMedianIhjLi3EEEvNS_4cuda6detail10TensorInfoIT_T0_EENS5_IlS7_EENS5_IKS6_S7_EES7_S7_S7_b
                                        ; -- End function
	.set _ZN2at6native12_GLOBAL__N_112gatherMedianIhjLi3EEEvNS_4cuda6detail10TensorInfoIT_T0_EENS5_IlS7_EENS5_IKS6_S7_EES7_S7_S7_b.num_vgpr, 53
	.set _ZN2at6native12_GLOBAL__N_112gatherMedianIhjLi3EEEvNS_4cuda6detail10TensorInfoIT_T0_EENS5_IlS7_EENS5_IKS6_S7_EES7_S7_S7_b.num_agpr, 0
	.set _ZN2at6native12_GLOBAL__N_112gatherMedianIhjLi3EEEvNS_4cuda6detail10TensorInfoIT_T0_EENS5_IlS7_EENS5_IKS6_S7_EES7_S7_S7_b.numbered_sgpr, 96
	.set _ZN2at6native12_GLOBAL__N_112gatherMedianIhjLi3EEEvNS_4cuda6detail10TensorInfoIT_T0_EENS5_IlS7_EENS5_IKS6_S7_EES7_S7_S7_b.num_named_barrier, 0
	.set _ZN2at6native12_GLOBAL__N_112gatherMedianIhjLi3EEEvNS_4cuda6detail10TensorInfoIT_T0_EENS5_IlS7_EENS5_IKS6_S7_EES7_S7_S7_b.private_seg_size, 0
	.set _ZN2at6native12_GLOBAL__N_112gatherMedianIhjLi3EEEvNS_4cuda6detail10TensorInfoIT_T0_EENS5_IlS7_EENS5_IKS6_S7_EES7_S7_S7_b.uses_vcc, 1
	.set _ZN2at6native12_GLOBAL__N_112gatherMedianIhjLi3EEEvNS_4cuda6detail10TensorInfoIT_T0_EENS5_IlS7_EENS5_IKS6_S7_EES7_S7_S7_b.uses_flat_scratch, 0
	.set _ZN2at6native12_GLOBAL__N_112gatherMedianIhjLi3EEEvNS_4cuda6detail10TensorInfoIT_T0_EENS5_IlS7_EENS5_IKS6_S7_EES7_S7_S7_b.has_dyn_sized_stack, 0
	.set _ZN2at6native12_GLOBAL__N_112gatherMedianIhjLi3EEEvNS_4cuda6detail10TensorInfoIT_T0_EENS5_IlS7_EENS5_IKS6_S7_EES7_S7_S7_b.has_recursion, 0
	.set _ZN2at6native12_GLOBAL__N_112gatherMedianIhjLi3EEEvNS_4cuda6detail10TensorInfoIT_T0_EENS5_IlS7_EENS5_IKS6_S7_EES7_S7_S7_b.has_indirect_call, 0
	.section	.AMDGPU.csdata,"",@progbits
; Kernel info:
; codeLenInByte = 10652
; TotalNumSgprs: 100
; NumVgprs: 53
; ScratchSize: 0
; MemoryBound: 0
; FloatMode: 240
; IeeeMode: 1
; LDSByteSize: 4120 bytes/workgroup (compile time only)
; SGPRBlocks: 12
; VGPRBlocks: 13
; NumSGPRsForWavesPerEU: 100
; NumVGPRsForWavesPerEU: 53
; Occupancy: 4
; WaveLimiterHint : 1
; COMPUTE_PGM_RSRC2:SCRATCH_EN: 0
; COMPUTE_PGM_RSRC2:USER_SGPR: 6
; COMPUTE_PGM_RSRC2:TRAP_HANDLER: 0
; COMPUTE_PGM_RSRC2:TGID_X_EN: 1
; COMPUTE_PGM_RSRC2:TGID_Y_EN: 1
; COMPUTE_PGM_RSRC2:TGID_Z_EN: 1
; COMPUTE_PGM_RSRC2:TIDIG_COMP_CNT: 0
	.section	.text._ZN2at6native12_GLOBAL__N_112gatherMedianIhjLin1EEEvNS_4cuda6detail10TensorInfoIT_T0_EENS5_IlS7_EENS5_IKS6_S7_EES7_S7_S7_b,"axG",@progbits,_ZN2at6native12_GLOBAL__N_112gatherMedianIhjLin1EEEvNS_4cuda6detail10TensorInfoIT_T0_EENS5_IlS7_EENS5_IKS6_S7_EES7_S7_S7_b,comdat
	.globl	_ZN2at6native12_GLOBAL__N_112gatherMedianIhjLin1EEEvNS_4cuda6detail10TensorInfoIT_T0_EENS5_IlS7_EENS5_IKS6_S7_EES7_S7_S7_b ; -- Begin function _ZN2at6native12_GLOBAL__N_112gatherMedianIhjLin1EEEvNS_4cuda6detail10TensorInfoIT_T0_EENS5_IlS7_EENS5_IKS6_S7_EES7_S7_S7_b
	.p2align	8
	.type	_ZN2at6native12_GLOBAL__N_112gatherMedianIhjLin1EEEvNS_4cuda6detail10TensorInfoIT_T0_EENS5_IlS7_EENS5_IKS6_S7_EES7_S7_S7_b,@function
_ZN2at6native12_GLOBAL__N_112gatherMedianIhjLin1EEEvNS_4cuda6detail10TensorInfoIT_T0_EENS5_IlS7_EENS5_IKS6_S7_EES7_S7_S7_b: ; @_ZN2at6native12_GLOBAL__N_112gatherMedianIhjLin1EEEvNS_4cuda6detail10TensorInfoIT_T0_EENS5_IlS7_EENS5_IKS6_S7_EES7_S7_S7_b
; %bb.0:
	s_load_dwordx2 s[12:13], s[4:5], 0x298
	s_load_dwordx4 s[36:39], s[4:5], 0x288
	s_add_u32 s10, s4, 0x298
	s_addc_u32 s11, s5, 0
	s_waitcnt lgkmcnt(0)
	s_mul_i32 s0, s13, s8
	s_add_i32 s0, s0, s7
	s_mul_i32 s0, s0, s12
	s_add_i32 s7, s0, s6
	s_cmp_ge_u32 s7, s37
	s_cbranch_scc1 .LBB75_260
; %bb.1:
	s_load_dword s0, s[4:5], 0xd0
	s_mov_b32 s35, 0
	s_mov_b32 s33, s7
	s_waitcnt lgkmcnt(0)
	s_cmp_lt_i32 s0, 2
	s_cbranch_scc1 .LBB75_4
; %bb.2:
	s_add_i32 s34, s0, -1
	s_add_i32 s2, s0, 1
	s_lshl_b64 s[0:1], s[34:35], 2
	s_add_u32 s0, s4, s0
	s_addc_u32 s1, s5, s1
	s_add_u32 s0, s0, 8
	s_addc_u32 s1, s1, 0
	s_mov_b32 s33, s7
.LBB75_3:                               ; =>This Inner Loop Header: Depth=1
	s_load_dword s3, s[0:1], 0x0
	s_load_dword s9, s[0:1], 0x64
	s_mov_b32 s8, s33
	s_waitcnt lgkmcnt(0)
	v_cvt_f32_u32_e32 v1, s3
	s_sub_i32 s13, 0, s3
	v_rcp_iflag_f32_e32 v1, v1
	v_mul_f32_e32 v1, 0x4f7ffffe, v1
	v_cvt_u32_f32_e32 v1, v1
	v_readfirstlane_b32 s14, v1
	s_mul_i32 s13, s13, s14
	s_mul_hi_u32 s13, s14, s13
	s_add_i32 s14, s14, s13
	s_mul_hi_u32 s13, s33, s14
	s_mul_i32 s14, s13, s3
	s_sub_i32 s14, s33, s14
	s_add_i32 s15, s13, 1
	s_sub_i32 s16, s14, s3
	s_cmp_ge_u32 s14, s3
	s_cselect_b32 s13, s15, s13
	s_cselect_b32 s14, s16, s14
	s_add_i32 s15, s13, 1
	s_cmp_ge_u32 s14, s3
	s_cselect_b32 s33, s15, s13
	s_mul_i32 s3, s33, s3
	s_sub_i32 s3, s8, s3
	s_mul_i32 s3, s9, s3
	s_add_i32 s2, s2, -1
	s_add_i32 s35, s3, s35
	s_add_u32 s0, s0, -4
	s_addc_u32 s1, s1, -1
	s_cmp_gt_u32 s2, 2
	s_cbranch_scc1 .LBB75_3
.LBB75_4:
	s_load_dword s2, s[4:5], 0x1a8
	s_add_u32 s0, s4, 0xd8
	s_addc_u32 s1, s5, 0
	s_mov_b32 s41, 0
	s_mov_b32 s34, s7
	s_waitcnt lgkmcnt(0)
	s_cmp_lt_i32 s2, 2
	s_cbranch_scc1 .LBB75_7
; %bb.5:
	s_add_i32 s40, s2, -1
	s_add_i32 s8, s2, 1
	s_lshl_b64 s[2:3], s[40:41], 2
	s_add_u32 s2, s0, s2
	s_addc_u32 s3, s1, s3
	s_add_u32 s2, s2, 8
	s_addc_u32 s3, s3, 0
	s_mov_b32 s34, s7
.LBB75_6:                               ; =>This Inner Loop Header: Depth=1
	s_load_dword s9, s[2:3], 0x0
	s_load_dword s14, s[2:3], 0x64
	s_mov_b32 s13, s34
	s_waitcnt lgkmcnt(0)
	v_cvt_f32_u32_e32 v1, s9
	s_sub_i32 s15, 0, s9
	v_rcp_iflag_f32_e32 v1, v1
	v_mul_f32_e32 v1, 0x4f7ffffe, v1
	v_cvt_u32_f32_e32 v1, v1
	v_readfirstlane_b32 s16, v1
	s_mul_i32 s15, s15, s16
	s_mul_hi_u32 s15, s16, s15
	s_add_i32 s16, s16, s15
	s_mul_hi_u32 s15, s34, s16
	s_mul_i32 s16, s15, s9
	s_sub_i32 s16, s34, s16
	s_add_i32 s17, s15, 1
	s_sub_i32 s18, s16, s9
	s_cmp_ge_u32 s16, s9
	s_cselect_b32 s15, s17, s15
	s_cselect_b32 s16, s18, s16
	s_add_i32 s17, s15, 1
	s_cmp_ge_u32 s16, s9
	s_cselect_b32 s34, s17, s15
	s_mul_i32 s9, s34, s9
	s_sub_i32 s9, s13, s9
	s_mul_i32 s9, s14, s9
	s_add_i32 s8, s8, -1
	s_add_i32 s41, s9, s41
	s_add_u32 s2, s2, -4
	s_addc_u32 s3, s3, -1
	s_cmp_gt_u32 s8, 2
	s_cbranch_scc1 .LBB75_6
.LBB75_7:
	s_load_dword s2, s[4:5], 0x6c
                                        ; implicit-def: $vgpr52 : SGPR spill to VGPR lane
	s_add_u32 s8, s4, 0x1b0
	s_addc_u32 s9, s5, 0
	s_mov_b32 s3, 0
	s_waitcnt lgkmcnt(0)
	v_writelane_b32 v52, s2, 0
	s_load_dword s2, s[4:5], 0x280
	s_waitcnt lgkmcnt(0)
	s_cmp_lt_i32 s2, 2
	s_cbranch_scc1 .LBB75_10
; %bb.8:
	s_add_i32 s13, s2, 1
	s_add_i32 s2, s2, -1
	s_lshl_b64 s[14:15], s[2:3], 2
	s_add_u32 s2, s8, s14
	s_addc_u32 s9, s9, s15
	s_add_u32 s8, s2, 8
	s_addc_u32 s9, s9, 0
.LBB75_9:                               ; =>This Inner Loop Header: Depth=1
	s_load_dword s2, s[8:9], 0x0
	s_load_dword s15, s[8:9], 0x64
	s_mov_b32 s14, s7
	s_waitcnt lgkmcnt(0)
	v_cvt_f32_u32_e32 v1, s2
	s_sub_i32 s7, 0, s2
	v_rcp_iflag_f32_e32 v1, v1
	v_mul_f32_e32 v1, 0x4f7ffffe, v1
	v_cvt_u32_f32_e32 v1, v1
	v_readfirstlane_b32 s16, v1
	s_mul_i32 s7, s7, s16
	s_mul_hi_u32 s7, s16, s7
	s_add_i32 s16, s16, s7
	s_mul_hi_u32 s7, s14, s16
	s_mul_i32 s16, s7, s2
	s_sub_i32 s16, s14, s16
	s_add_i32 s17, s7, 1
	s_sub_i32 s18, s16, s2
	s_cmp_ge_u32 s16, s2
	s_cselect_b32 s7, s17, s7
	s_cselect_b32 s16, s18, s16
	s_add_i32 s17, s7, 1
	s_cmp_ge_u32 s16, s2
	s_cselect_b32 s7, s17, s7
	s_mul_i32 s2, s7, s2
	s_sub_i32 s2, s14, s2
	s_mul_i32 s2, s15, s2
	s_add_i32 s13, s13, -1
	s_add_i32 s3, s2, s3
	s_add_u32 s8, s8, -4
	s_addc_u32 s9, s9, -1
	s_cmp_gt_u32 s13, 2
	s_cbranch_scc1 .LBB75_9
.LBB75_10:
	s_load_dword s0, s[0:1], 0x6c
	v_cmp_eq_u32_e64 s[90:91], 0, v0
	s_waitcnt lgkmcnt(0)
	v_writelane_b32 v52, s0, 1
	s_and_saveexec_b64 s[8:9], s[90:91]
; %bb.11:
	v_mov_b32_e32 v1, 0
	v_mov_b32_e32 v2, v1
	ds_write_b64 v1, v[1:2] offset:4096
; %bb.12:
	s_or_b64 exec, exec, s[8:9]
	v_mov_b32_e32 v1, 0
	s_waitcnt lgkmcnt(0)
	s_barrier
	s_barrier
	ds_read_b64 v[1:2], v1 offset:4096
	s_load_dwordx2 s[8:9], s[4:5], 0x1b0
	s_bitcmp1_b32 s39, 0
	s_cselect_b64 s[16:17], -1, 0
	s_mov_b32 s13, s36
	s_waitcnt lgkmcnt(0)
	v_readfirstlane_b32 s14, v1
	v_readfirstlane_b32 s15, v2
	v_cmp_lt_i64_e64 s[0:1], s[14:15], 1
	s_or_b64 s[0:1], s[16:17], s[0:1]
	s_andn2_b64 vcc, exec, s[0:1]
	s_cbranch_vccnz .LBB75_14
; %bb.13:
	s_not_b64 s[0:1], s[14:15]
	s_add_u32 s0, s0, s36
	s_addc_u32 s1, s1, 0
	s_lshr_b32 s2, s1, 31
	s_add_u32 s0, s0, s2
	s_addc_u32 s1, s1, 0
	s_lshr_b64 s[0:1], s[0:1], 1
	s_add_i32 s13, s0, 1
.LBB75_14:
	s_load_dwordx2 s[0:1], s[4:5], 0x0
                                        ; kill: killed $sgpr4 killed $sgpr5
	s_waitcnt lgkmcnt(0)
	v_writelane_b32 v52, s0, 2
	v_writelane_b32 v52, s1, 3
	s_load_dwordx2 s[0:1], s[4:5], 0xd8
	s_waitcnt lgkmcnt(0)
	v_writelane_b32 v52, s0, 4
	v_writelane_b32 v52, s1, 5
	s_load_dword s0, s[4:5], 0x21c
	s_and_saveexec_b64 s[4:5], s[90:91]
	s_cbranch_execz .LBB75_16
; %bb.15:
	v_mov_b32_e32 v1, 0
	v_mov_b32_e32 v2, s36
	ds_write_b32 v1, v1 offset:4112
	ds_write_b64 v1, v[1:2] offset:4104
.LBB75_16:
	s_or_b64 exec, exec, s[4:5]
	s_waitcnt lgkmcnt(0)
	s_barrier
	s_load_dword s1, s[10:11], 0xc
	s_mul_i32 s0, s0, s7
	s_add_i32 s0, s0, s3
	s_add_u32 s44, s8, s0
	v_mbcnt_lo_u32_b32 v1, -1, 0
	s_addc_u32 s45, s9, 0
	s_waitcnt lgkmcnt(0)
	s_and_b32 s39, s1, 0xffff
	v_mbcnt_hi_u32_b32 v19, -1, v1
	v_cmp_gt_u32_e32 vcc, 64, v0
	v_cmp_gt_i32_e64 s[8:9], 4, v19
	s_add_i32 s37, s39, -1
	v_cmp_gt_u32_e64 s[2:3], s36, v0
	s_lshl_b32 s40, s39, 2
	s_bfe_u32 s0, s1, 0xa0006
	s_and_b64 s[48:49], vcc, s[8:9]
	s_add_i32 s1, s37, s36
	v_writelane_b32 v52, s2, 6
	s_cmpk_gt_u32 s36, 0xc00
	v_lshlrev_b64 v[2:3], v19, -1
	v_writelane_b32 v52, s3, 7
	s_cselect_b64 s[2:3], -1, 0
	s_cmp_gt_u32 s39, 63
	v_writelane_b32 v52, s2, 8
	s_cselect_b64 s[52:53], -1, 0
	v_not_b32_e32 v23, v2
	v_lshrrev_b32_e32 v2, 2, v0
	s_cmp_lt_u32 s6, s12
	v_writelane_b32 v52, s3, 9
	v_and_b32_e32 v2, 0xf0, v2
	s_cselect_b32 s2, 12, 18
	v_or_b32_e32 v24, 0xc00, v2
	s_add_u32 s2, s10, s2
	v_add_u32_e32 v2, 2, v0
	s_addc_u32 s3, s11, 0
	v_max_u32_e32 v2, s36, v2
	v_writelane_b32 v52, s2, 10
	v_xad_u32 v2, v0, -1, v2
	v_not_b32_e32 v22, v3
	v_writelane_b32 v52, s3, 11
	v_add_u32_e32 v3, -4, v2
	v_cmp_lt_u32_e64 s[2:3], 31, v2
	v_lshrrev_b32_e32 v4, 2, v3
	v_writelane_b32 v52, s2, 12
	v_add_u32_e32 v4, 1, v4
	v_writelane_b32 v52, s3, 13
	v_cmp_lt_u32_e64 s[6:7], 11, v3
	v_and_b32_e32 v5, 3, v4
	v_writelane_b32 v52, s6, 14
	v_writelane_b32 v52, s7, 15
	v_cmp_ne_u32_e64 s[6:7], 0, v5
	v_and_b32_e32 v25, -4, v2
	v_writelane_b32 v52, s6, 16
	v_writelane_b32 v52, s7, 17
	v_cmp_ne_u32_e64 s[6:7], v2, v25
	v_cvt_f32_u32_e32 v2, s40
	v_writelane_b32 v52, s6, 18
	v_writelane_b32 v52, s7, 19
	s_add_i32 s6, s0, -1
	v_rcp_iflag_f32_e32 v2, v2
	s_bfe_u32 s7, s39, 0x30006
	s_and_b32 s6, s6, 0xffff
	s_cmp_gt_u32 s6, 6
	s_cselect_b64 s[10:11], -1, 0
	v_mul_f32_e32 v2, 0x4f7ffffe, v2
	v_writelane_b32 v52, s10, 20
	s_and_b32 s9, s0, 0x3f8
	v_cvt_u32_f32_e32 v2, v2
	v_writelane_b32 v52, s11, 21
	s_cmp_lg_u32 s7, 0
	v_writelane_b32 v52, s7, 22
	s_cselect_b64 s[6:7], -1, 0
	v_writelane_b32 v52, s6, 23
	v_writelane_b32 v52, s7, 24
	v_readfirstlane_b32 s6, v2
	v_cvt_f32_u32_e32 v2, s39
	s_sub_i32 s0, 0, s40
	s_mul_i32 s0, s0, s6
	s_mul_hi_u32 s0, s6, s0
	s_add_i32 s56, s6, s0
	v_rcp_iflag_f32_e32 v2, v2
	s_mul_hi_u32 s0, s36, s56
	s_mul_i32 s0, s0, s40
	s_sub_i32 s0, s36, s0
	s_sub_i32 s6, s0, s40
	v_mul_f32_e32 v2, 0x4f7ffffe, v2
	s_cmp_ge_u32 s0, s40
	v_cvt_u32_f32_e32 v2, v2
	s_cselect_b32 s0, s6, s0
	s_sub_i32 s6, s0, s40
	s_cmp_ge_u32 s0, s40
	s_cselect_b32 s0, s6, s0
	s_sub_i32 s6, 0, s39
	v_readfirstlane_b32 s7, v2
	s_mul_i32 s6, s6, s7
	s_mul_hi_u32 s6, s7, s6
	s_add_i32 s59, s7, s6
	s_mul_hi_u32 s6, s1, s59
	s_mul_i32 s6, s6, s39
	s_sub_i32 s6, s1, s6
	v_lshlrev_b32_e32 v18, 2, v0
	s_sub_i32 s58, s36, s0
	s_sub_i32 s7, s6, s39
	s_cmp_ge_u32 s6, s39
	v_mul_lo_u32 v2, s38, v18
	s_cselect_b32 s6, s7, s6
	s_sub_i32 s7, s6, s39
	s_cmp_ge_u32 s6, s39
	v_mul_lo_u32 v17, s38, v0
	s_cselect_b32 s6, s7, s6
	v_add_u32_e32 v30, s38, v2
	v_or_b32_e32 v2, 2, v18
	v_add_u32_e32 v28, s58, v0
	s_sub_i32 s20, s1, s6
	v_mul_lo_u32 v31, s38, v2
	v_or_b32_e32 v2, 3, v18
	s_add_i32 s1, s39, s36
	v_mul_lo_u32 v3, v28, s38
	v_mul_lo_u32 v33, s38, v2
	v_add_u32_e32 v2, s1, v0
	v_subrev_u32_e32 v2, s0, v2
	v_mov_b32_e32 v1, s45
	v_add_co_u32_e32 v13, vcc, s44, v17
	v_mul_lo_u32 v35, s38, v2
	v_addc_co_u32_e32 v14, vcc, 0, v1, vcc
	v_lshlrev_b32_e32 v1, 2, v19
	v_and_b32_e32 v27, 0x7ffffffc, v4
	v_mov_b32_e32 v4, s45
	v_add_co_u32_e32 v15, vcc, s44, v3
	v_cmp_gt_u32_e64 s[6:7], s20, v0
	s_mul_i32 s54, s38, s39
	s_mov_b32 s57, 0
	v_cmp_eq_u32_e64 s[4:5], 0, v19
	v_cmp_gt_u32_e64 s[22:23], 2, v0
	v_mov_b32_e32 v20, 0
	v_and_b32_e32 v21, 0x100, v1
	v_add_u32_e32 v26, v0, v25
	s_mov_b32 s55, s38
	s_mov_b32 s2, s38
	;; [unrolled: 1-line block ×4, first 2 shown]
	v_cmp_gt_u32_e64 s[16:17], s58, v18
	v_cmp_gt_u32_e64 s[18:19], s36, v28
	v_addc_co_u32_e32 v16, vcc, 0, v4, vcc
	v_writelane_b32 v52, s6, 25
	v_lshlrev_b32_e32 v29, 2, v5
	s_lshl_b32 s21, s54, 2
	v_lshlrev_b32_e32 v34, 2, v17
	v_or_b32_e32 v36, 0xc00, v1
	s_mov_b64 s[60:61], 0
	v_mov_b32_e32 v37, 6
	v_mov_b32_e32 v41, s13
	s_mov_b32 s50, 0xc0c0004
	v_mov_b32_e32 v38, 8
	v_mov_b32_e32 v40, 0
	v_mov_b32_e32 v32, 0
	v_mov_b32_e32 v39, 0
	v_writelane_b32 v52, s7, 26
                                        ; implicit-def: $sgpr62_sgpr63
                                        ; implicit-def: $sgpr66_sgpr67
                                        ; implicit-def: $sgpr64_sgpr65
                                        ; implicit-def: $sgpr70_sgpr71
                                        ; implicit-def: $sgpr72_sgpr73
                                        ; implicit-def: $sgpr68_sgpr69
	s_branch .LBB75_20
.LBB75_17:                              ;   in Loop: Header=BB75_20 Depth=1
	s_or_b64 exec, exec, s[12:13]
	s_and_b64 s[26:27], s[26:27], exec
	s_andn2_b64 s[30:31], s[30:31], exec
	s_andn2_b64 s[28:29], s[28:29], exec
	s_orn2_b64 s[24:25], s[24:25], exec
.LBB75_18:                              ;   in Loop: Header=BB75_20 Depth=1
	s_or_b64 exec, exec, s[10:11]
	s_andn2_b64 s[0:1], s[68:69], exec
	s_and_b64 s[10:11], s[26:27], exec
	s_or_b64 s[68:69], s[0:1], s[10:11]
	s_andn2_b64 s[0:1], s[72:73], exec
	s_and_b64 s[10:11], s[30:31], exec
	s_or_b64 s[72:73], s[0:1], s[10:11]
	;; [unrolled: 3-line block ×3, first 2 shown]
	s_orn2_b64 s[24:25], s[24:25], exec
.LBB75_19:                              ;   in Loop: Header=BB75_20 Depth=1
	s_or_b64 exec, exec, s[6:7]
	s_and_b64 s[0:1], exec, s[24:25]
	s_or_b64 s[60:61], s[0:1], s[60:61]
	s_andn2_b64 s[0:1], s[64:65], exec
	s_and_b64 s[6:7], s[68:69], exec
	s_or_b64 s[64:65], s[0:1], s[6:7]
	s_andn2_b64 s[0:1], s[66:67], exec
	s_and_b64 s[6:7], s[72:73], exec
	;; [unrolled: 3-line block ×3, first 2 shown]
	s_or_b64 s[62:63], s[0:1], s[6:7]
	s_mov_b32 s57, s42
	v_mov_b32_e32 v41, v4
	s_andn2_b64 exec, exec, s[60:61]
	s_cbranch_execz .LBB75_256
.LBB75_20:                              ; =>This Loop Header: Depth=1
                                        ;     Child Loop BB75_25 Depth 2
                                        ;     Child Loop BB75_46 Depth 2
	;; [unrolled: 1-line block ×18, first 2 shown]
	ds_read_b64 v[1:2], v20 offset:4104
	s_waitcnt lgkmcnt(0)
	v_readfirstlane_b32 s12, v1
	s_cmp_lg_u32 s12, 0
	s_cbranch_scc1 .LBB75_65
; %bb.21:                               ;   in Loop: Header=BB75_20 Depth=1
	v_readlane_b32 s0, v52, 8
	v_readlane_b32 s1, v52, 9
	s_and_b64 vcc, exec, s[0:1]
	s_cbranch_vccz .LBB75_33
; %bb.22:                               ;   in Loop: Header=BB75_20 Depth=1
	s_movk_i32 s0, 0xc01
	v_cmp_gt_u32_e32 vcc, s0, v2
	s_mov_b64 s[24:25], 0
	s_mov_b64 s[6:7], 0
	s_cbranch_vccz .LBB75_34
; %bb.23:                               ;   in Loop: Header=BB75_20 Depth=1
	v_readlane_b32 s0, v52, 10
	v_readlane_b32 s1, v52, 11
	s_nop 4
	global_load_ushort v1, v20, s[0:1]
	global_load_ubyte v4, v[13:14], off
	s_mov_b64 s[26:27], 0
	v_mov_b32_e32 v5, v0
	s_waitcnt vmcnt(1)
	v_add_u32_e32 v2, v0, v1
	v_mul_lo_u32 v2, s38, v2
	v_mul_lo_u32 v3, s38, v1
	s_branch .LBB75_25
.LBB75_24:                              ;   in Loop: Header=BB75_25 Depth=2
	s_or_b64 exec, exec, s[6:7]
	v_add_u32_e32 v2, v2, v3
	v_mov_b32_e32 v4, v6
	s_andn2_b64 exec, exec, s[26:27]
	s_cbranch_execz .LBB75_40
.LBB75_25:                              ;   Parent Loop BB75_20 Depth=1
                                        ; =>  This Inner Loop Header: Depth=2
	v_add_u32_e32 v5, v5, v1
	v_cmp_gt_u32_e64 s[6:7], s36, v5
	v_cmp_le_u32_e32 vcc, s36, v5
	s_waitcnt lgkmcnt(0)
	v_mov_b32_e32 v7, 0
	v_mov_b32_e32 v6, 0
	s_and_saveexec_b64 s[10:11], s[6:7]
	s_cbranch_execz .LBB75_27
; %bb.26:                               ;   in Loop: Header=BB75_25 Depth=2
	global_load_ubyte v6, v2, s[44:45]
.LBB75_27:                              ;   in Loop: Header=BB75_25 Depth=2
	s_or_b64 exec, exec, s[10:11]
	s_waitcnt vmcnt(0)
	v_and_b32_e32 v8, v4, v39
	v_cmp_eq_u32_sdwa s[10:11], v8, v32 src0_sel:BYTE_0 src1_sel:DWORD
	s_cmp_lg_u64 s[10:11], 0
	s_cselect_b64 s[0:1], -1, 0
	s_and_b64 s[0:1], s[4:5], s[0:1]
	s_and_saveexec_b64 s[28:29], s[0:1]
	s_cbranch_execz .LBB75_31
; %bb.28:                               ;   in Loop: Header=BB75_25 Depth=2
	s_mov_b64 s[14:15], exec
	v_mbcnt_lo_u32_b32 v7, s14, 0
	v_mbcnt_hi_u32_b32 v7, s15, v7
	s_bcnt1_i32_b64 s0, s[10:11]
	v_cmp_eq_u32_e64 s[6:7], 0, v7
                                        ; implicit-def: $vgpr8
	s_and_saveexec_b64 s[12:13], s[6:7]
; %bb.29:                               ;   in Loop: Header=BB75_25 Depth=2
	s_bcnt1_i32_b64 s1, s[14:15]
	s_mul_i32 s1, s0, s1
	v_mov_b32_e32 v8, s1
	ds_add_rtn_u32 v8, v20, v8 offset:4112
; %bb.30:                               ;   in Loop: Header=BB75_25 Depth=2
	s_or_b64 exec, exec, s[12:13]
	s_waitcnt lgkmcnt(0)
	v_readfirstlane_b32 s1, v8
	v_mov_b32_e32 v8, s1
	v_mad_u32_u24 v7, s0, v7, v8
.LBB75_31:                              ;   in Loop: Header=BB75_25 Depth=2
	s_or_b64 exec, exec, s[28:29]
	ds_bpermute_b32 v7, v21, v7
	s_and_b64 s[0:1], exec, vcc
	s_or_b64 s[26:27], s[0:1], s[26:27]
	s_and_saveexec_b64 s[6:7], s[10:11]
	s_cbranch_execz .LBB75_24
; %bb.32:                               ;   in Loop: Header=BB75_25 Depth=2
	v_and_b32_e32 v9, s10, v23
	v_and_b32_e32 v8, s11, v22
	v_bcnt_u32_b32 v9, v9, 0
	v_bcnt_u32_b32 v8, v8, v9
	s_waitcnt lgkmcnt(0)
	v_add_u32_e32 v7, v7, v8
	ds_write_b8 v7, v4
	s_branch .LBB75_24
.LBB75_33:                              ;   in Loop: Header=BB75_20 Depth=1
	s_mov_b64 s[24:25], -1
	s_mov_b64 s[6:7], 0
.LBB75_34:                              ;   in Loop: Header=BB75_20 Depth=1
	s_and_b64 vcc, exec, s[24:25]
	s_cbranch_vccz .LBB75_63
.LBB75_35:                              ;   in Loop: Header=BB75_20 Depth=1
	s_mov_b64 s[24:25], exec
	v_readlane_b32 s0, v52, 6
	v_readlane_b32 s1, v52, 7
	s_and_b64 s[0:1], s[24:25], s[0:1]
	s_mov_b64 exec, s[0:1]
	s_cbranch_execz .LBB75_60
; %bb.36:                               ;   in Loop: Header=BB75_20 Depth=1
	v_readlane_b32 s0, v52, 10
	v_readlane_b32 s1, v52, 11
	s_nop 4
	global_load_ushort v1, v20, s[0:1]
	global_load_ubyte v43, v[13:14], off
	v_mov_b32_e32 v2, v0
	s_waitcnt vmcnt(1)
	v_readfirstlane_b32 s12, v1
	v_add_u32_e32 v1, v0, v1
	v_cmp_gt_u32_e32 vcc, s36, v1
	s_and_saveexec_b64 s[26:27], vcc
	s_cbranch_execz .LBB75_59
; %bb.37:                               ;   in Loop: Header=BB75_20 Depth=1
	s_mov_b64 s[6:7], 0
	s_mul_i32 s13, s38, s12
                                        ; implicit-def: $vgpr2
                                        ; implicit-def: $vgpr5
                                        ; implicit-def: $vgpr3
                                        ; implicit-def: $vgpr4
	s_mov_b64 s[0:1], exec
	v_readlane_b32 s10, v52, 12
	v_readlane_b32 s11, v52, 13
	s_and_b64 s[10:11], s[0:1], s[10:11]
	s_xor_b64 s[28:29], s[10:11], s[0:1]
	s_mov_b64 exec, s[10:11]
	s_cbranch_execnz .LBB75_43
; %bb.38:                               ;   in Loop: Header=BB75_20 Depth=1
	s_andn2_saveexec_b64 s[10:11], s[28:29]
	s_cbranch_execnz .LBB75_54
.LBB75_39:                              ;   in Loop: Header=BB75_20 Depth=1
	s_or_b64 exec, exec, s[10:11]
	s_and_saveexec_b64 s[10:11], s[6:7]
	s_cbranch_execnz .LBB75_55
	s_branch .LBB75_58
.LBB75_40:                              ;   in Loop: Header=BB75_20 Depth=1
	s_or_b64 exec, exec, s[26:27]
	s_waitcnt lgkmcnt(0)
	s_barrier
	s_and_saveexec_b64 s[6:7], s[90:91]
	s_cbranch_execz .LBB75_42
; %bb.41:                               ;   in Loop: Header=BB75_20 Depth=1
	ds_read_b32 v1, v20 offset:4112
	s_waitcnt lgkmcnt(0)
	ds_write_b32 v20, v1 offset:4104
.LBB75_42:                              ;   in Loop: Header=BB75_20 Depth=1
	s_or_b64 exec, exec, s[6:7]
	s_waitcnt lgkmcnt(0)
	s_barrier
	s_mov_b64 s[6:7], -1
	s_and_b64 vcc, exec, s[24:25]
	s_cbranch_vccnz .LBB75_35
	s_branch .LBB75_63
.LBB75_43:                              ;   in Loop: Header=BB75_20 Depth=1
	v_cvt_f32_u32_e32 v2, s12
	s_sub_i32 s1, 0, s12
	v_add_u32_e32 v4, s12, v1
	v_max_u32_e32 v4, s36, v4
	v_rcp_iflag_f32_e32 v2, v2
	s_lshl_b32 s0, s12, 1
	v_sub_u32_e32 v4, v4, v0
	v_cmp_ne_u32_e32 vcc, s0, v4
	v_mul_f32_e32 v2, 0x4f7ffffe, v2
	v_cvt_u32_f32_e32 v2, v2
	v_cndmask_b32_e64 v5, 0, 1, vcc
	v_or_b32_e32 v5, s0, v5
	v_sub_u32_e32 v4, v4, v5
	v_mul_lo_u32 v3, s1, v2
	s_abs_i32 s0, s13
	s_not_b32 s1, s13
	s_ashr_i32 s10, s1, 31
	v_mul_hi_u32 v3, v2, v3
	s_cmp_eq_u32 s12, 1
	v_add_u32_e32 v2, v2, v3
	v_mul_hi_u32 v2, v4, v2
	v_mul_lo_u32 v3, s38, v1
	v_mul_lo_u32 v5, v2, s12
	v_add_u32_e32 v6, 1, v2
	v_xor_b32_e32 v3, s10, v3
	s_mov_b64 s[10:11], -1
	v_sub_u32_e32 v4, v4, v5
	v_cmp_le_u32_e64 s[6:7], s12, v4
	v_subrev_u32_e32 v5, s12, v4
	v_cndmask_b32_e64 v2, v2, v6, s[6:7]
	v_cndmask_b32_e64 v4, v4, v5, s[6:7]
	v_add_u32_e32 v5, 1, v2
	v_cmp_le_u32_e64 s[6:7], s12, v4
	v_cndmask_b32_e64 v2, v2, v5, s[6:7]
	v_addc_co_u32_e32 v2, vcc, 0, v2, vcc
	v_mul_hi_u32 v4, s0, v2
	v_mul_lo_u32 v2, s0, v2
	s_cselect_b64 s[0:1], -1, 0
	v_cmp_eq_u32_e32 vcc, 0, v4
	v_cmp_le_u32_e64 s[6:7], v2, v3
	s_and_b64 s[0:1], vcc, s[0:1]
	s_and_b64 s[0:1], s[0:1], s[6:7]
	v_mov_b32_e32 v3, v0
                                        ; implicit-def: $vgpr2
	s_and_saveexec_b64 s[6:7], s[0:1]
	s_cbranch_execz .LBB75_53
; %bb.44:                               ;   in Loop: Header=BB75_20 Depth=1
	v_add_u32_e32 v4, 3, v1
	v_add_u32_e32 v3, 2, v1
	;; [unrolled: 1-line block ×3, first 2 shown]
	v_mov_b32_e32 v8, v4
	s_waitcnt vmcnt(0)
	v_lshlrev_b32_e32 v44, 24, v43
	v_mov_b32_e32 v9, 0
	v_mov_b32_e32 v7, v3
	;; [unrolled: 1-line block ×4, first 2 shown]
                                        ; implicit-def: $vgpr43
	s_mov_b64 s[30:31], exec
	v_readlane_b32 s0, v52, 14
	v_readlane_b32 s1, v52, 15
	s_and_b64 s[0:1], s[30:31], s[0:1]
	s_mov_b64 exec, s[0:1]
	s_cbranch_execz .LBB75_48
; %bb.45:                               ;   in Loop: Header=BB75_20 Depth=1
	v_mov_b32_e32 v8, v4
	s_mov_b32 s10, 0
	s_mov_b64 s[74:75], 0
	v_mov_b32_e32 v42, v27
	v_mov_b32_e32 v7, v3
	;; [unrolled: 1-line block ×4, first 2 shown]
	s_mov_b32 s0, 0xc0c0007
.LBB75_46:                              ;   Parent Loop BB75_20 Depth=1
                                        ; =>  This Inner Loop Header: Depth=2
	v_mul_lo_u32 v2, v5, s55
	v_mul_lo_u32 v9, v6, s2
	;; [unrolled: 1-line block ×3, first 2 shown]
	v_mov_b32_e32 v12, s45
	v_add_co_u32_e32 v2, vcc, s44, v2
	v_addc_co_u32_e32 v3, vcc, 0, v12, vcc
	v_mul_lo_u32 v4, v8, s8
	v_add_co_u32_e32 v9, vcc, s44, v9
	v_addc_co_u32_e32 v10, vcc, 0, v12, vcc
	v_add_co_u32_e32 v45, vcc, s44, v11
	v_addc_co_u32_e32 v46, vcc, 0, v12, vcc
	v_add_co_u32_e32 v47, vcc, s44, v4
	global_load_ubyte v4, v[45:46], off
	s_nop 0
	global_load_ubyte v9, v[9:10], off
	v_add_u32_e32 v10, 4, v7
	global_load_ubyte v2, v[2:3], off
	v_add_u32_e32 v3, 4, v6
	v_mul_lo_u32 v43, v10, s3
	v_mul_lo_u32 v10, v3, s2
	v_addc_co_u32_e32 v48, vcc, 0, v12, vcc
	v_add_u32_e32 v11, 4, v8
	v_mul_lo_u32 v45, v11, s8
	v_add_u32_e32 v42, -4, v42
	s_waitcnt vmcnt(1)
	v_perm_b32 v4, v9, v4, s50
	s_waitcnt vmcnt(0)
	v_perm_b32 v2, v44, v2, s0
	v_lshl_or_b32 v9, v4, 16, v2
	v_add_u32_e32 v2, 4, v5
	v_mul_lo_u32 v2, v2, s55
	v_add_u32_e32 v4, s10, v0
	s_add_i32 s10, s10, 16
	v_add_co_u32_e32 v2, vcc, s44, v2
	v_addc_co_u32_e32 v3, vcc, 0, v12, vcc
	v_add_co_u32_e32 v10, vcc, s44, v10
	v_addc_co_u32_e32 v11, vcc, 0, v12, vcc
	;; [unrolled: 2-line block ×3, first 2 shown]
	global_load_ubyte v47, v[47:48], off
	s_nop 0
	global_load_ubyte v2, v[2:3], off
	s_nop 0
	;; [unrolled: 2-line block ×3, first 2 shown]
	global_load_ubyte v10, v[10:11], off
	v_add_co_u32_e32 v45, vcc, s44, v45
	v_addc_co_u32_e32 v46, vcc, 0, v12, vcc
	v_add_u32_e32 v11, 8, v7
	v_add_u32_e32 v43, 8, v8
	v_mul_lo_u32 v51, v43, s8
	v_mul_lo_u32 v11, v11, s3
	s_waitcnt vmcnt(2)
	v_perm_b32 v2, v47, v2, s50
	s_waitcnt vmcnt(0)
	v_perm_b32 v3, v10, v3, s50
	v_lshl_or_b32 v10, v3, 16, v2
	v_add_u32_e32 v2, 8, v5
	v_mul_lo_u32 v2, v2, s55
	v_add_u32_e32 v3, 8, v6
	v_mul_lo_u32 v3, v3, s2
	v_add_co_u32_e32 v43, vcc, s44, v2
	v_addc_co_u32_e32 v44, vcc, 0, v12, vcc
	v_add_co_u32_e32 v47, vcc, s44, v3
	v_addc_co_u32_e32 v48, vcc, 0, v12, vcc
	v_add_co_u32_e32 v49, vcc, s44, v11
	global_load_ubyte v11, v[43:44], off
	s_nop 0
	global_load_ubyte v43, v[45:46], off
	v_addc_co_u32_e32 v50, vcc, 0, v12, vcc
	v_add_u32_e32 v46, 12, v8
	v_add_co_u32_e32 v2, vcc, s44, v51
	v_addc_co_u32_e32 v3, vcc, 0, v12, vcc
	v_add_u32_e32 v45, 12, v7
	v_add_u32_e32 v8, 16, v8
	;; [unrolled: 1-line block ×3, first 2 shown]
	s_waitcnt vmcnt(0)
	v_perm_b32 v11, v43, v11, s50
	global_load_ubyte v43, v[49:50], off
	global_load_ubyte v44, v[47:48], off
	v_mul_lo_u32 v50, v46, s8
	v_mul_lo_u32 v48, v45, s3
	s_waitcnt vmcnt(0)
	v_perm_b32 v43, v44, v43, s50
	v_lshl_or_b32 v11, v43, 16, v11
	v_add_u32_e32 v43, 12, v5
	v_mul_lo_u32 v43, v43, s55
	v_add_u32_e32 v44, 12, v6
	v_mul_lo_u32 v46, v44, s2
	v_add_u32_e32 v6, 16, v6
	v_add_co_u32_e32 v44, vcc, s44, v43
	v_addc_co_u32_e32 v45, vcc, 0, v12, vcc
	v_add_co_u32_e32 v46, vcc, s44, v46
	v_addc_co_u32_e32 v47, vcc, 0, v12, vcc
	;; [unrolled: 2-line block ×4, first 2 shown]
	global_load_ubyte v43, v[50:51], off
	global_load_ubyte v12, v[46:47], off
	s_nop 0
	global_load_ubyte v45, v[44:45], off
	v_cmp_eq_u32_e32 vcc, 0, v42
	global_load_ubyte v46, v[48:49], off
	v_add_u32_e32 v5, 16, v5
	global_load_ubyte v2, v[2:3], off
	s_or_b64 s[74:75], vcc, s[74:75]
	s_waitcnt vmcnt(2)
	v_perm_b32 v44, v45, v12, s50
	s_waitcnt vmcnt(1)
	v_perm_b32 v3, v12, v46, s50
	v_perm_b32 v47, v46, v43, s50
	s_waitcnt vmcnt(0)
	v_perm_b32 v2, v2, v45, s50
	v_lshl_or_b32 v12, v3, 16, v2
	v_lshl_or_b32 v44, v47, 16, v44
	ds_write_b128 v4, v[9:12]
	v_mov_b32_e32 v9, s10
	s_andn2_b64 exec, exec, s[74:75]
	s_cbranch_execnz .LBB75_46
; %bb.47:                               ;   in Loop: Header=BB75_20 Depth=1
	s_or_b64 exec, exec, s[74:75]
.LBB75_48:                              ;   in Loop: Header=BB75_20 Depth=1
	s_or_b64 exec, exec, s[30:31]
	s_mov_b64 s[30:31], exec
	v_readlane_b32 s0, v52, 16
	v_readlane_b32 s1, v52, 17
	s_and_b64 s[0:1], s[30:31], s[0:1]
	s_mov_b64 exec, s[0:1]
	s_cbranch_execz .LBB75_52
; %bb.49:                               ;   in Loop: Header=BB75_20 Depth=1
	v_add_u32_e32 v2, v0, v9
	s_mov_b64 s[42:43], 0
	v_mov_b32_e32 v3, v29
	s_mov_b32 s0, 0xc0c0007
.LBB75_50:                              ;   Parent Loop BB75_20 Depth=1
                                        ; =>  This Inner Loop Header: Depth=2
	v_mul_lo_u32 v9, v5, s55
	v_mul_lo_u32 v11, v6, s2
	v_mul_lo_u32 v42, v7, s3
	v_mov_b32_e32 v46, s45
	v_add_co_u32_e32 v9, vcc, s44, v9
	v_addc_co_u32_e32 v10, vcc, 0, v46, vcc
	v_mul_lo_u32 v4, v8, s8
	v_add_co_u32_e32 v11, vcc, s44, v11
	v_addc_co_u32_e32 v12, vcc, 0, v46, vcc
	v_add_co_u32_e32 v42, vcc, s44, v42
	v_addc_co_u32_e32 v43, vcc, 0, v46, vcc
	;; [unrolled: 2-line block ×3, first 2 shown]
	global_load_ubyte v4, v[11:12], off
	s_nop 0
	global_load_ubyte v11, v[42:43], off
	s_nop 0
	;; [unrolled: 2-line block ×3, first 2 shown]
	global_load_ubyte v9, v[9:10], off
	v_add_u32_e32 v3, -4, v3
	v_cmp_eq_u32_e32 vcc, 0, v3
	v_add_u32_e32 v8, 4, v8
	v_add_u32_e32 v7, 4, v7
	;; [unrolled: 1-line block ×4, first 2 shown]
	s_or_b64 s[42:43], vcc, s[42:43]
	s_waitcnt vmcnt(1)
	v_perm_b32 v12, v11, v43, s50
	s_waitcnt vmcnt(0)
	v_perm_b32 v10, v9, v4, s50
	v_perm_b32 v4, v4, v11, s50
	;; [unrolled: 1-line block ×3, first 2 shown]
	v_lshl_or_b32 v4, v4, 16, v9
	v_lshl_or_b32 v44, v12, 16, v10
	ds_write_b32 v2, v4
	v_add_u32_e32 v2, 4, v2
	s_andn2_b64 exec, exec, s[42:43]
	s_cbranch_execnz .LBB75_50
; %bb.51:                               ;   in Loop: Header=BB75_20 Depth=1
	s_or_b64 exec, exec, s[42:43]
.LBB75_52:                              ;   in Loop: Header=BB75_20 Depth=1
	s_or_b64 exec, exec, s[30:31]
	v_readlane_b32 s0, v52, 18
	v_add_u32_e32 v1, v1, v25
	v_readlane_b32 s1, v52, 19
	v_add_u32_e32 v2, -1, v1
	s_orn2_b64 s[10:11], s[0:1], exec
	v_mov_b32_e32 v3, v26
.LBB75_53:                              ;   in Loop: Header=BB75_20 Depth=1
	s_or_b64 exec, exec, s[6:7]
	v_mov_b32_e32 v4, s13
	s_and_b64 s[6:7], s[10:11], exec
	s_waitcnt vmcnt(0)
	v_mov_b32_e32 v5, v43
	s_andn2_saveexec_b64 s[10:11], s[28:29]
	s_cbranch_execz .LBB75_39
.LBB75_54:                              ;   in Loop: Header=BB75_20 Depth=1
	v_mov_b32_e32 v4, s13
	s_or_b64 s[6:7], s[6:7], exec
	s_waitcnt vmcnt(0)
	v_mov_b32_e32 v5, v43
	v_mov_b32_e32 v3, v0
	s_or_b64 exec, exec, s[10:11]
	s_and_saveexec_b64 s[10:11], s[6:7]
	s_cbranch_execz .LBB75_58
.LBB75_55:                              ;   in Loop: Header=BB75_20 Depth=1
	v_mul_lo_u32 v2, s38, v1
	s_sub_i32 s0, 0, s12
	s_mov_b64 s[6:7], 0
.LBB75_56:                              ;   Parent Loop BB75_20 Depth=1
                                        ; =>  This Inner Loop Header: Depth=2
	global_load_ubyte v43, v2, s[44:45]
	v_mov_b32_e32 v6, v1
	v_add_u32_e32 v1, s12, v6
	v_cmp_le_u32_e32 vcc, s36, v1
	ds_write_b8 v3, v5
	v_add_u32_e32 v2, v2, v4
	v_mov_b32_e32 v3, v6
	s_or_b64 s[6:7], vcc, s[6:7]
	s_waitcnt vmcnt(0)
	v_mov_b32_e32 v5, v43
	s_andn2_b64 exec, exec, s[6:7]
	s_cbranch_execnz .LBB75_56
; %bb.57:                               ;   in Loop: Header=BB75_20 Depth=1
	s_or_b64 exec, exec, s[6:7]
	v_add_u32_e32 v2, s0, v1
.LBB75_58:                              ;   in Loop: Header=BB75_20 Depth=1
	s_or_b64 exec, exec, s[10:11]
.LBB75_59:                              ;   in Loop: Header=BB75_20 Depth=1
	s_or_b64 exec, exec, s[26:27]
	s_waitcnt vmcnt(0)
	ds_write_b8 v2, v43
.LBB75_60:                              ;   in Loop: Header=BB75_20 Depth=1
	s_or_b64 exec, exec, s[24:25]
	s_waitcnt lgkmcnt(0)
	s_barrier
	s_and_saveexec_b64 s[6:7], s[90:91]
; %bb.61:                               ;   in Loop: Header=BB75_20 Depth=1
	v_mov_b32_e32 v1, s36
	ds_write_b32 v20, v1 offset:4104
; %bb.62:                               ;   in Loop: Header=BB75_20 Depth=1
	s_or_b64 exec, exec, s[6:7]
	s_mov_b64 s[6:7], -1
	s_waitcnt lgkmcnt(0)
	s_barrier
.LBB75_63:                              ;   in Loop: Header=BB75_20 Depth=1
	s_mov_b32 s12, 0
	s_and_b64 vcc, exec, s[6:7]
	s_cbranch_vccz .LBB75_65
; %bb.64:                               ;   in Loop: Header=BB75_20 Depth=1
	ds_read_b32 v1, v20 offset:4104
	s_waitcnt lgkmcnt(0)
	v_readfirstlane_b32 s12, v1
.LBB75_65:                              ;   in Loop: Header=BB75_20 Depth=1
	s_cmp_lt_i32 s12, 1
	s_mov_b64 s[6:7], -1
                                        ; implicit-def: $vgpr4
	s_cbranch_scc1 .LBB75_75
; %bb.66:                               ;   in Loop: Header=BB75_20 Depth=1
	s_and_b64 vcc, exec, s[6:7]
	s_cbranch_vccnz .LBB75_86
.LBB75_67:                              ;   in Loop: Header=BB75_20 Depth=1
	s_lshl_b32 s10, s57, 6
	s_and_saveexec_b64 s[6:7], s[4:5]
.LBB75_68:                              ;   in Loop: Header=BB75_20 Depth=1
	v_lshl_add_u32 v5, s10, 2, v24
	ds_write_b128 v5, v[1:4]
.LBB75_69:                              ;   in Loop: Header=BB75_20 Depth=1
	s_or_b64 exec, exec, s[6:7]
	s_waitcnt lgkmcnt(0)
	s_barrier
	s_and_saveexec_b64 s[6:7], s[48:49]
	s_cbranch_execz .LBB75_100
; %bb.70:                               ;   in Loop: Header=BB75_20 Depth=1
	s_andn2_b64 vcc, exec, s[52:53]
	v_mov_b32_e32 v1, 0
	s_cbranch_vccnz .LBB75_99
; %bb.71:                               ;   in Loop: Header=BB75_20 Depth=1
	v_readlane_b32 s0, v52, 20
	v_readlane_b32 s1, v52, 21
	s_andn2_b64 vcc, exec, s[0:1]
	s_cbranch_vccnz .LBB75_95
; %bb.72:                               ;   in Loop: Header=BB75_20 Depth=1
	v_lshl_add_u32 v2, s57, 8, v36
	s_mov_b32 s0, 0
	v_mov_b32_e32 v1, 0
.LBB75_73:                              ;   Parent Loop BB75_20 Depth=1
                                        ; =>  This Inner Loop Header: Depth=2
	ds_read2_b32 v[3:4], v2 offset1:4
	ds_read2_b32 v[5:6], v2 offset0:8 offset1:12
	ds_read2_b32 v[7:8], v2 offset0:16 offset1:20
	;; [unrolled: 1-line block ×3, first 2 shown]
	s_add_i32 s0, s0, 8
	s_waitcnt lgkmcnt(3)
	v_add3_u32 v1, v3, v1, v4
	s_waitcnt lgkmcnt(2)
	v_add3_u32 v1, v5, v1, v6
	;; [unrolled: 2-line block ×3, first 2 shown]
	v_add_u32_e32 v2, 0x80, v2
	s_cmp_eq_u32 s9, s0
	s_waitcnt lgkmcnt(0)
	v_add3_u32 v1, v9, v1, v10
	s_cbranch_scc0 .LBB75_73
; %bb.74:                               ;   in Loop: Header=BB75_20 Depth=1
	s_mov_b32 s0, s9
	s_branch .LBB75_96
.LBB75_75:                              ;   in Loop: Header=BB75_20 Depth=1
	v_mov_b32_e32 v1, 0
	v_mov_b32_e32 v2, 0
	;; [unrolled: 1-line block ×4, first 2 shown]
	s_and_saveexec_b64 s[30:31], s[16:17]
	s_cbranch_execz .LBB75_79
; %bb.76:                               ;   in Loop: Header=BB75_20 Depth=1
	s_mov_b32 s10, 0
	s_mov_b64 s[74:75], 0
	s_mov_b32 s11, 0
	s_mov_b32 s13, 0
	;; [unrolled: 1-line block ×4, first 2 shown]
	v_mov_b32_e32 v5, v18
.LBB75_77:                              ;   Parent Loop BB75_20 Depth=1
                                        ; =>  This Inner Loop Header: Depth=2
	v_add_u32_e32 v1, s10, v34
	global_load_ubyte v1, v1, s[44:45]
	v_add_u32_e32 v2, s10, v30
	global_load_ubyte v2, v2, s[44:45]
	;; [unrolled: 2-line block ×4, first 2 shown]
	v_add_u32_e32 v5, s40, v5
	s_add_i32 s10, s10, s21
	s_waitcnt vmcnt(3)
	v_and_b32_e32 v6, v39, v1
	v_bfe_u32 v1, v1, v37, 2
	v_cmp_eq_u32_e32 vcc, v6, v32
	s_waitcnt vmcnt(2)
	v_and_b32_e32 v6, v39, v2
	v_bfe_u32 v2, v2, v37, 2
	v_cmp_eq_u32_e64 s[28:29], 0, v1
	v_cmp_eq_u32_e64 s[6:7], v6, v32
	s_waitcnt vmcnt(1)
	v_and_b32_e32 v6, v39, v3
	v_bfe_u32 v3, v3, v37, 2
	s_and_b64 s[0:1], vcc, s[28:29]
	v_cmp_eq_u32_e64 s[28:29], 0, v2
	v_cmp_eq_u32_e64 s[24:25], v6, v32
	s_waitcnt vmcnt(0)
	v_and_b32_e32 v6, v39, v4
	v_bfe_u32 v4, v4, v37, 2
	s_and_b64 s[42:43], s[6:7], s[28:29]
	v_cmp_eq_u32_e64 s[28:29], 0, v3
	v_cmp_eq_u32_e64 s[26:27], v6, v32
	s_and_b64 s[46:47], s[24:25], s[28:29]
	v_cmp_eq_u32_e64 s[28:29], 0, v4
	v_cndmask_b32_e64 v6, 0, 1, s[0:1]
	s_and_b64 s[76:77], s[26:27], s[28:29]
	v_cmp_ne_u32_e64 s[28:29], 0, v6
	v_cndmask_b32_e64 v6, 0, 1, s[42:43]
	s_bcnt1_i32_b64 s0, s[28:29]
	v_cmp_ne_u32_e64 s[28:29], 0, v6
	v_cndmask_b32_e64 v6, 0, 1, s[46:47]
	s_bcnt1_i32_b64 s1, s[28:29]
	v_cmp_ne_u32_e64 s[28:29], 0, v6
	v_cndmask_b32_e64 v6, 0, 1, s[76:77]
	s_add_i32 s0, s15, s0
	s_bcnt1_i32_b64 s42, s[28:29]
	v_cmp_ne_u32_e64 s[28:29], 0, v6
	s_add_i32 s0, s0, s1
	s_bcnt1_i32_b64 s28, s[28:29]
	s_add_i32 s0, s0, s42
	s_add_i32 s15, s0, s28
	v_cmp_eq_u32_e64 s[28:29], 1, v1
	s_and_b64 s[0:1], vcc, s[28:29]
	v_cmp_eq_u32_e64 s[28:29], 1, v2
	s_and_b64 s[42:43], s[6:7], s[28:29]
	v_cmp_eq_u32_e64 s[28:29], 1, v3
	s_and_b64 s[46:47], s[24:25], s[28:29]
	v_cmp_eq_u32_e64 s[28:29], 1, v4
	v_cndmask_b32_e64 v6, 0, 1, s[0:1]
	s_and_b64 s[76:77], s[26:27], s[28:29]
	v_cmp_ne_u32_e64 s[28:29], 0, v6
	v_cndmask_b32_e64 v6, 0, 1, s[42:43]
	s_bcnt1_i32_b64 s0, s[28:29]
	v_cmp_ne_u32_e64 s[28:29], 0, v6
	v_cndmask_b32_e64 v6, 0, 1, s[46:47]
	s_bcnt1_i32_b64 s1, s[28:29]
	v_cmp_ne_u32_e64 s[28:29], 0, v6
	v_cndmask_b32_e64 v6, 0, 1, s[76:77]
	s_add_i32 s0, s14, s0
	s_bcnt1_i32_b64 s42, s[28:29]
	v_cmp_ne_u32_e64 s[28:29], 0, v6
	s_add_i32 s0, s0, s1
	s_bcnt1_i32_b64 s28, s[28:29]
	s_add_i32 s0, s0, s42
	s_add_i32 s14, s0, s28
	v_cmp_eq_u32_e64 s[28:29], 2, v1
	s_and_b64 s[0:1], vcc, s[28:29]
	v_cmp_eq_u32_e64 s[28:29], 2, v2
	s_and_b64 s[42:43], s[6:7], s[28:29]
	v_cmp_eq_u32_e64 s[28:29], 2, v3
	s_and_b64 s[46:47], s[24:25], s[28:29]
	v_cmp_eq_u32_e64 s[28:29], 2, v4
	v_cndmask_b32_e64 v6, 0, 1, s[0:1]
	s_and_b64 s[76:77], s[26:27], s[28:29]
	v_cmp_ne_u32_e64 s[28:29], 0, v6
	v_cndmask_b32_e64 v6, 0, 1, s[42:43]
	s_bcnt1_i32_b64 s0, s[28:29]
	v_cmp_ne_u32_e64 s[28:29], 0, v6
	v_cndmask_b32_e64 v6, 0, 1, s[46:47]
	s_bcnt1_i32_b64 s1, s[28:29]
	v_cmp_ne_u32_e64 s[28:29], 0, v6
	v_cndmask_b32_e64 v6, 0, 1, s[76:77]
	s_add_i32 s0, s13, s0
	s_bcnt1_i32_b64 s42, s[28:29]
	v_cmp_ne_u32_e64 s[28:29], 0, v6
	s_add_i32 s0, s0, s1
	s_bcnt1_i32_b64 s28, s[28:29]
	s_add_i32 s0, s0, s42
	s_add_i32 s13, s0, s28
	v_cmp_eq_u32_e64 s[28:29], 3, v1
	s_and_b64 s[0:1], vcc, s[28:29]
	v_cmp_eq_u32_e32 vcc, 3, v2
	s_and_b64 s[6:7], s[6:7], vcc
	v_cmp_eq_u32_e32 vcc, 3, v3
	s_and_b64 s[24:25], s[24:25], vcc
	v_cmp_eq_u32_e32 vcc, 3, v4
	v_cndmask_b32_e64 v1, 0, 1, s[0:1]
	s_and_b64 s[26:27], s[26:27], vcc
	v_cmp_ne_u32_e32 vcc, 0, v1
	v_cndmask_b32_e64 v1, 0, 1, s[6:7]
	s_bcnt1_i32_b64 s0, vcc
	v_cmp_ne_u32_e32 vcc, 0, v1
	v_cndmask_b32_e64 v1, 0, 1, s[24:25]
	s_bcnt1_i32_b64 s1, vcc
	v_cmp_ne_u32_e32 vcc, 0, v1
	v_cndmask_b32_e64 v1, 0, 1, s[26:27]
	s_add_i32 s0, s11, s0
	s_bcnt1_i32_b64 s6, vcc
	v_cmp_ne_u32_e32 vcc, 0, v1
	s_add_i32 s0, s0, s1
	s_bcnt1_i32_b64 s7, vcc
	s_add_i32 s0, s0, s6
	s_add_i32 s11, s0, s7
	v_cmp_le_u32_e32 vcc, s58, v5
	s_or_b64 s[74:75], vcc, s[74:75]
	v_mov_b32_e32 v1, s15
	v_mov_b32_e32 v2, s14
	;; [unrolled: 1-line block ×4, first 2 shown]
	s_andn2_b64 exec, exec, s[74:75]
	s_cbranch_execnz .LBB75_77
; %bb.78:                               ;   in Loop: Header=BB75_20 Depth=1
	s_or_b64 exec, exec, s[74:75]
.LBB75_79:                              ;   in Loop: Header=BB75_20 Depth=1
	s_or_b64 exec, exec, s[30:31]
	s_and_saveexec_b64 s[24:25], s[18:19]
	s_cbranch_execz .LBB75_85
; %bb.80:                               ;   in Loop: Header=BB75_20 Depth=1
	global_load_ubyte v8, v[15:16], off
	s_mov_b64 s[26:27], 0
	v_mov_b32_e32 v5, v35
	v_mov_b32_e32 v6, v28
	s_branch .LBB75_82
.LBB75_81:                              ;   in Loop: Header=BB75_82 Depth=2
	s_or_b64 exec, exec, s[10:11]
	s_waitcnt vmcnt(0)
	v_and_b32_e32 v8, 0xff, v8
	s_and_b64 s[0:1], exec, vcc
	v_and_b32_e32 v9, v39, v8
	v_bfe_u32 v8, v8, v37, 2
	s_or_b64 s[26:27], s[0:1], s[26:27]
	v_cmp_eq_u32_e32 vcc, v9, v32
	v_cmp_eq_u32_e64 s[6:7], 0, v8
	s_and_b64 s[0:1], vcc, s[6:7]
	v_cndmask_b32_e64 v9, 0, 1, s[0:1]
	v_cmp_ne_u32_e64 s[6:7], 0, v9
	s_bcnt1_i32_b64 s0, s[6:7]
	v_cmp_eq_u32_e64 s[6:7], 1, v8
	v_add_u32_e32 v1, s0, v1
	s_and_b64 s[0:1], vcc, s[6:7]
	v_cndmask_b32_e64 v9, 0, 1, s[0:1]
	v_cmp_ne_u32_e64 s[6:7], 0, v9
	s_bcnt1_i32_b64 s0, s[6:7]
	v_cmp_eq_u32_e64 s[6:7], 2, v8
	v_add_u32_e32 v2, s0, v2
	;; [unrolled: 6-line block ×3, first 2 shown]
	s_and_b64 s[0:1], vcc, s[6:7]
	v_cndmask_b32_e64 v8, 0, 1, s[0:1]
	v_cmp_ne_u32_e32 vcc, 0, v8
	s_bcnt1_i32_b64 s0, vcc
	v_add_u32_e32 v4, s0, v4
	v_add_u32_e32 v5, s54, v5
	v_mov_b32_e32 v8, v7
	s_andn2_b64 exec, exec, s[26:27]
	s_cbranch_execz .LBB75_84
.LBB75_82:                              ;   Parent Loop BB75_20 Depth=1
                                        ; =>  This Inner Loop Header: Depth=2
	v_add_u32_e32 v6, s39, v6
	v_cmp_gt_u32_e64 s[6:7], s36, v6
	v_cmp_le_u32_e32 vcc, s36, v6
	v_mov_b32_e32 v7, 0
	s_and_saveexec_b64 s[10:11], s[6:7]
	s_cbranch_execz .LBB75_81
; %bb.83:                               ;   in Loop: Header=BB75_82 Depth=2
	global_load_ubyte v7, v5, s[44:45]
	s_branch .LBB75_81
.LBB75_84:                              ;   in Loop: Header=BB75_20 Depth=1
	s_or_b64 exec, exec, s[26:27]
.LBB75_85:                              ;   in Loop: Header=BB75_20 Depth=1
	s_or_b64 exec, exec, s[24:25]
	s_branch .LBB75_67
.LBB75_86:                              ;   in Loop: Header=BB75_20 Depth=1
	s_mul_hi_u32 s0, s12, s56
	s_mul_i32 s0, s0, s40
	s_sub_i32 s0, s12, s0
	s_sub_i32 s1, s0, s40
	s_cmp_ge_u32 s0, s40
	s_cselect_b32 s0, s1, s0
	s_sub_i32 s1, s0, s40
	s_cmp_ge_u32 s0, s40
	s_cselect_b32 s0, s1, s0
	s_sub_i32 s10, s12, s0
	v_cmp_gt_u32_e32 vcc, s10, v18
	v_mov_b32_e32 v1, 0
	v_mov_b32_e32 v2, 0
	;; [unrolled: 1-line block ×4, first 2 shown]
	s_and_saveexec_b64 s[30:31], vcc
	s_cbranch_execz .LBB75_90
; %bb.87:                               ;   in Loop: Header=BB75_20 Depth=1
	s_mov_b32 s11, 0
	s_mov_b64 s[74:75], 0
	s_mov_b32 s13, 0
	s_mov_b32 s14, 0
	;; [unrolled: 1-line block ×3, first 2 shown]
	v_mov_b32_e32 v5, v18
.LBB75_88:                              ;   Parent Loop BB75_20 Depth=1
                                        ; =>  This Inner Loop Header: Depth=2
	ds_read_b32 v1, v5
	v_add_u32_e32 v5, s40, v5
	s_waitcnt lgkmcnt(0)
	v_and_b32_e32 v3, 0xff, v1
	v_bfe_u32 v4, v1, 8, 8
	v_and_b32_e32 v6, v39, v3
	v_bfe_u32 v3, v3, v37, 2
	v_lshrrev_b32_e32 v2, 24, v1
	v_bfe_u32 v1, v1, 16, 8
	v_cmp_eq_u32_e32 vcc, v6, v32
	v_and_b32_e32 v6, v39, v4
	v_bfe_u32 v4, v4, v37, 2
	v_cmp_eq_u32_e64 s[28:29], 0, v3
	v_cmp_eq_u32_e64 s[6:7], v6, v32
	v_and_b32_e32 v6, v39, v1
	v_bfe_u32 v1, v1, v37, 2
	s_and_b64 s[0:1], vcc, s[28:29]
	v_cmp_eq_u32_e64 s[28:29], 0, v4
	v_cmp_eq_u32_e64 s[24:25], v6, v32
	v_and_b32_e32 v6, v39, v2
	v_bfe_u32 v2, v2, v37, 2
	s_and_b64 s[42:43], s[6:7], s[28:29]
	v_cmp_eq_u32_e64 s[28:29], 0, v1
	v_cmp_eq_u32_e64 s[26:27], v6, v32
	s_and_b64 s[46:47], s[24:25], s[28:29]
	v_cmp_eq_u32_e64 s[28:29], 0, v2
	v_cndmask_b32_e64 v6, 0, 1, s[0:1]
	s_and_b64 s[76:77], s[26:27], s[28:29]
	v_cmp_ne_u32_e64 s[28:29], 0, v6
	v_cndmask_b32_e64 v6, 0, 1, s[42:43]
	s_bcnt1_i32_b64 s0, s[28:29]
	v_cmp_ne_u32_e64 s[28:29], 0, v6
	v_cndmask_b32_e64 v6, 0, 1, s[46:47]
	s_bcnt1_i32_b64 s1, s[28:29]
	v_cmp_ne_u32_e64 s[28:29], 0, v6
	v_cndmask_b32_e64 v6, 0, 1, s[76:77]
	s_add_i32 s0, s15, s0
	s_bcnt1_i32_b64 s42, s[28:29]
	v_cmp_ne_u32_e64 s[28:29], 0, v6
	s_add_i32 s0, s0, s1
	s_bcnt1_i32_b64 s28, s[28:29]
	s_add_i32 s0, s0, s42
	s_add_i32 s15, s0, s28
	v_cmp_eq_u32_e64 s[28:29], 1, v3
	s_and_b64 s[0:1], vcc, s[28:29]
	v_cmp_eq_u32_e64 s[28:29], 1, v4
	s_and_b64 s[42:43], s[6:7], s[28:29]
	v_cmp_eq_u32_e64 s[28:29], 1, v1
	s_and_b64 s[46:47], s[24:25], s[28:29]
	v_cmp_eq_u32_e64 s[28:29], 1, v2
	v_cndmask_b32_e64 v6, 0, 1, s[0:1]
	s_and_b64 s[76:77], s[26:27], s[28:29]
	v_cmp_ne_u32_e64 s[28:29], 0, v6
	v_cndmask_b32_e64 v6, 0, 1, s[42:43]
	s_bcnt1_i32_b64 s0, s[28:29]
	v_cmp_ne_u32_e64 s[28:29], 0, v6
	v_cndmask_b32_e64 v6, 0, 1, s[46:47]
	s_bcnt1_i32_b64 s1, s[28:29]
	v_cmp_ne_u32_e64 s[28:29], 0, v6
	v_cndmask_b32_e64 v6, 0, 1, s[76:77]
	s_add_i32 s0, s14, s0
	s_bcnt1_i32_b64 s42, s[28:29]
	v_cmp_ne_u32_e64 s[28:29], 0, v6
	s_add_i32 s0, s0, s1
	s_bcnt1_i32_b64 s28, s[28:29]
	s_add_i32 s0, s0, s42
	s_add_i32 s14, s0, s28
	v_cmp_eq_u32_e64 s[28:29], 2, v3
	s_and_b64 s[0:1], vcc, s[28:29]
	v_cmp_eq_u32_e64 s[28:29], 2, v4
	s_and_b64 s[42:43], s[6:7], s[28:29]
	v_cmp_eq_u32_e64 s[28:29], 2, v1
	s_and_b64 s[46:47], s[24:25], s[28:29]
	v_cmp_eq_u32_e64 s[28:29], 2, v2
	v_cndmask_b32_e64 v6, 0, 1, s[0:1]
	s_and_b64 s[76:77], s[26:27], s[28:29]
	v_cmp_ne_u32_e64 s[28:29], 0, v6
	v_cndmask_b32_e64 v6, 0, 1, s[42:43]
	s_bcnt1_i32_b64 s0, s[28:29]
	v_cmp_ne_u32_e64 s[28:29], 0, v6
	v_cndmask_b32_e64 v6, 0, 1, s[46:47]
	s_bcnt1_i32_b64 s1, s[28:29]
	v_cmp_ne_u32_e64 s[28:29], 0, v6
	v_cndmask_b32_e64 v6, 0, 1, s[76:77]
	s_add_i32 s0, s13, s0
	s_bcnt1_i32_b64 s42, s[28:29]
	v_cmp_ne_u32_e64 s[28:29], 0, v6
	s_add_i32 s0, s0, s1
	s_bcnt1_i32_b64 s28, s[28:29]
	s_add_i32 s0, s0, s42
	s_add_i32 s13, s0, s28
	v_cmp_eq_u32_e64 s[28:29], 3, v3
	s_and_b64 s[0:1], vcc, s[28:29]
	v_cmp_eq_u32_e32 vcc, 3, v4
	s_and_b64 s[6:7], s[6:7], vcc
	v_cmp_eq_u32_e32 vcc, 3, v1
	s_and_b64 s[24:25], s[24:25], vcc
	v_cmp_eq_u32_e32 vcc, 3, v2
	v_cndmask_b32_e64 v1, 0, 1, s[0:1]
	s_and_b64 s[26:27], s[26:27], vcc
	v_cmp_ne_u32_e32 vcc, 0, v1
	v_cndmask_b32_e64 v1, 0, 1, s[6:7]
	s_bcnt1_i32_b64 s0, vcc
	v_cmp_ne_u32_e32 vcc, 0, v1
	v_cndmask_b32_e64 v1, 0, 1, s[24:25]
	s_bcnt1_i32_b64 s1, vcc
	v_cmp_ne_u32_e32 vcc, 0, v1
	v_cndmask_b32_e64 v1, 0, 1, s[26:27]
	s_add_i32 s0, s11, s0
	s_bcnt1_i32_b64 s6, vcc
	v_cmp_ne_u32_e32 vcc, 0, v1
	s_add_i32 s0, s0, s1
	s_bcnt1_i32_b64 s7, vcc
	s_add_i32 s0, s0, s6
	s_add_i32 s11, s0, s7
	v_cmp_le_u32_e32 vcc, s10, v5
	s_or_b64 s[74:75], vcc, s[74:75]
	v_mov_b32_e32 v1, s15
	v_mov_b32_e32 v2, s14
	;; [unrolled: 1-line block ×4, first 2 shown]
	s_andn2_b64 exec, exec, s[74:75]
	s_cbranch_execnz .LBB75_88
; %bb.89:                               ;   in Loop: Header=BB75_20 Depth=1
	s_or_b64 exec, exec, s[74:75]
.LBB75_90:                              ;   in Loop: Header=BB75_20 Depth=1
	s_or_b64 exec, exec, s[30:31]
	v_add_u32_e32 v5, s10, v0
	v_cmp_gt_u32_e32 vcc, s12, v5
	s_and_saveexec_b64 s[42:43], vcc
	s_cbranch_execz .LBB75_94
; %bb.91:                               ;   in Loop: Header=BB75_20 Depth=1
	s_mov_b64 s[46:47], 0
.LBB75_92:                              ;   Parent Loop BB75_20 Depth=1
                                        ; =>  This Inner Loop Header: Depth=2
	ds_read_u8 v6, v5
	v_add_u32_e32 v5, s39, v5
	v_cmp_le_u32_e32 vcc, s12, v5
	s_waitcnt lgkmcnt(0)
	v_and_b32_e32 v7, v39, v6
	v_bfe_u32 v6, v6, v37, 2
	v_cmp_eq_u32_e64 s[6:7], v7, v32
	v_cmp_eq_u32_e64 s[24:25], 0, v6
	;; [unrolled: 1-line block ×3, first 2 shown]
	s_and_b64 s[0:1], s[6:7], s[24:25]
	v_cmp_eq_u32_e64 s[28:29], 2, v6
	v_cmp_eq_u32_e64 s[30:31], 3, v6
	v_cndmask_b32_e64 v6, 0, 1, s[0:1]
	s_and_b64 s[0:1], s[6:7], s[26:27]
	v_cndmask_b32_e64 v7, 0, 1, s[0:1]
	s_and_b64 s[0:1], s[6:7], s[28:29]
	;; [unrolled: 2-line block ×3, first 2 shown]
	v_cndmask_b32_e64 v9, 0, 1, s[0:1]
	v_cmp_ne_u32_e64 s[6:7], 0, v6
	v_cmp_ne_u32_e64 s[24:25], 0, v7
	;; [unrolled: 1-line block ×4, first 2 shown]
	s_bcnt1_i32_b64 s0, s[6:7]
	s_bcnt1_i32_b64 s1, s[24:25]
	;; [unrolled: 1-line block ×4, first 2 shown]
	v_add_u32_e32 v1, s0, v1
	v_add_u32_e32 v2, s1, v2
	;; [unrolled: 1-line block ×3, first 2 shown]
	s_or_b64 s[46:47], vcc, s[46:47]
	v_add_u32_e32 v4, s7, v4
	s_andn2_b64 exec, exec, s[46:47]
	s_cbranch_execnz .LBB75_92
; %bb.93:                               ;   in Loop: Header=BB75_20 Depth=1
	s_or_b64 exec, exec, s[46:47]
.LBB75_94:                              ;   in Loop: Header=BB75_20 Depth=1
	s_or_b64 exec, exec, s[42:43]
	s_lshl_b32 s10, s57, 6
	s_and_saveexec_b64 s[6:7], s[4:5]
	s_cbranch_execnz .LBB75_68
	s_branch .LBB75_69
.LBB75_95:                              ;   in Loop: Header=BB75_20 Depth=1
	v_mov_b32_e32 v1, 0
	s_mov_b32 s0, 0
.LBB75_96:                              ;   in Loop: Header=BB75_20 Depth=1
	v_readlane_b32 s12, v52, 23
	v_readlane_b32 s13, v52, 24
	s_andn2_b64 vcc, exec, s[12:13]
	s_cbranch_vccnz .LBB75_99
; %bb.97:                               ;   in Loop: Header=BB75_20 Depth=1
	s_lshl_b32 s1, s57, 8
	s_lshl_b32 s0, s0, 4
	s_add_i32 s1, s1, s0
	v_add_u32_e32 v2, s1, v36
	v_readlane_b32 s0, v52, 22
.LBB75_98:                              ;   Parent Loop BB75_20 Depth=1
                                        ; =>  This Inner Loop Header: Depth=2
	ds_read_b32 v3, v2
	s_add_i32 s0, s0, -1
	v_add_u32_e32 v2, 16, v2
	s_cmp_lg_u32 s0, 0
	s_waitcnt lgkmcnt(0)
	v_add_u32_e32 v1, v3, v1
	s_cbranch_scc1 .LBB75_98
.LBB75_99:                              ;   in Loop: Header=BB75_20 Depth=1
	v_add_lshl_u32 v2, s10, v19, 2
	ds_write_b32 v2, v1 offset:3072
.LBB75_100:                             ;   in Loop: Header=BB75_20 Depth=1
	s_or_b64 exec, exec, s[6:7]
	s_lshl_b32 s0, s10, 2
	v_mov_b32_e32 v1, s0
	s_waitcnt lgkmcnt(0)
	s_barrier
	ds_read_b128 v[1:4], v1 offset:3072
	v_cmp_eq_u32_e32 vcc, 1, v41
	s_mov_b64 s[24:25], -1
	s_mov_b64 s[10:11], -1
                                        ; implicit-def: $sgpr30_sgpr31
                                        ; implicit-def: $sgpr28_sgpr29
	s_waitcnt lgkmcnt(0)
	v_readfirstlane_b32 s78, v1
	s_cmp_eq_u32 s78, 1
	v_lshlrev_b32_e64 v1, v37, 3
	s_cselect_b64 s[0:1], -1, 0
	v_readfirstlane_b32 s15, v2
	v_readfirstlane_b32 s14, v3
	;; [unrolled: 1-line block ×3, first 2 shown]
	v_not_b32_e32 v3, v1
	s_and_b64 s[26:27], s[0:1], vcc
	s_and_saveexec_b64 s[6:7], s[26:27]
	s_cbranch_execz .LBB75_126
; %bb.101:                              ;   in Loop: Header=BB75_20 Depth=1
	ds_read_b32 v2, v20 offset:4104
	s_waitcnt lgkmcnt(0)
	s_barrier
	v_readfirstlane_b32 s0, v2
	s_and_saveexec_b64 s[10:11], s[22:23]
; %bb.102:                              ;   in Loop: Header=BB75_20 Depth=1
	ds_write_b8 v0, v20 offset:3072
; %bb.103:                              ;   in Loop: Header=BB75_20 Depth=1
	s_or_b64 exec, exec, s[10:11]
	v_and_b32_e32 v32, v32, v3
	v_or_b32_e32 v39, v39, v1
	s_mov_b64 s[28:29], -1
	s_mov_b64 s[30:31], 0
	s_cmp_eq_u32 s0, 0
	s_mov_b64 s[74:75], 0
	s_mov_b64 s[76:77], -1
	s_waitcnt lgkmcnt(0)
	s_barrier
                                        ; implicit-def: $vgpr40
	s_cbranch_scc1 .LBB75_114
; %bb.104:                              ;   in Loop: Header=BB75_20 Depth=1
	s_add_i32 s1, s0, s37
	s_mul_hi_u32 s10, s1, s59
	s_mul_i32 s10, s10, s39
	s_sub_i32 s10, s1, s10
	s_sub_i32 s11, s10, s39
	s_cmp_ge_u32 s10, s39
	s_cselect_b32 s10, s11, s10
	s_sub_i32 s11, s10, s39
	s_cmp_ge_u32 s10, s39
	s_cselect_b32 s10, s11, s10
	s_sub_i32 s1, s1, s10
	v_cmp_gt_u32_e32 vcc, s1, v0
	s_mov_b64 s[76:77], 0
                                        ; implicit-def: $vgpr40
	s_and_saveexec_b64 s[42:43], vcc
	s_cbranch_execz .LBB75_113
; %bb.105:                              ;   in Loop: Header=BB75_20 Depth=1
	s_mov_b64 s[46:47], 0
	v_mov_b32_e32 v2, v0
                                        ; implicit-def: $sgpr10_sgpr11
	s_branch .LBB75_108
.LBB75_106:                             ;   in Loop: Header=BB75_108 Depth=2
	s_or_b64 exec, exec, s[12:13]
	s_waitcnt lgkmcnt(0)
	s_barrier
	ds_read_u16 v4, v20 offset:3072
	s_mov_b64 s[12:13], -1
	s_waitcnt lgkmcnt(0)
	s_barrier
	v_cmp_ne_u32_sdwa s[74:75], v4, v20 src0_sel:BYTE_0 src1_sel:DWORD
	s_and_b64 vcc, exec, s[74:75]
	s_mov_b64 s[74:75], -1
	s_cbranch_vccz .LBB75_111
.LBB75_107:                             ;   in Loop: Header=BB75_108 Depth=2
	s_and_b64 s[12:13], exec, s[12:13]
	s_or_b64 s[46:47], s[12:13], s[46:47]
	s_andn2_b64 s[10:11], s[10:11], exec
	s_and_b64 s[12:13], s[74:75], exec
	s_or_b64 s[10:11], s[10:11], s[12:13]
	s_andn2_b64 exec, exec, s[46:47]
	s_cbranch_execz .LBB75_112
.LBB75_108:                             ;   Parent Loop BB75_20 Depth=1
                                        ; =>  This Inner Loop Header: Depth=2
	v_cmp_gt_u32_e32 vcc, s0, v2
	s_and_saveexec_b64 s[12:13], vcc
	s_cbranch_execz .LBB75_106
; %bb.109:                              ;   in Loop: Header=BB75_108 Depth=2
	ds_read_u8 v4, v2
	s_waitcnt lgkmcnt(0)
	v_and_b32_e32 v5, v4, v39
	v_cmp_eq_u32_sdwa s[74:75], v5, v32 src0_sel:BYTE_0 src1_sel:DWORD
	s_and_b64 exec, exec, s[74:75]
	s_cbranch_execz .LBB75_106
; %bb.110:                              ;   in Loop: Header=BB75_108 Depth=2
	v_lshlrev_b16_e32 v4, 8, v4
	v_or_b32_e32 v4, 1, v4
	ds_write_b16 v20, v4 offset:3072
	s_branch .LBB75_106
.LBB75_111:                             ;   in Loop: Header=BB75_108 Depth=2
	v_add_u32_e32 v2, s39, v2
	v_cmp_le_u32_e32 vcc, s1, v2
	s_mov_b64 s[74:75], 0
	s_orn2_b64 s[12:13], vcc, exec
	s_branch .LBB75_107
.LBB75_112:                             ;   in Loop: Header=BB75_20 Depth=1
	s_or_b64 exec, exec, s[46:47]
	v_lshrrev_b32_sdwa v40, v38, v4 dst_sel:DWORD dst_unused:UNUSED_PAD src0_sel:DWORD src1_sel:WORD_0
	s_and_b64 s[74:75], s[10:11], exec
.LBB75_113:                             ;   in Loop: Header=BB75_20 Depth=1
	s_or_b64 exec, exec, s[42:43]
.LBB75_114:                             ;   in Loop: Header=BB75_20 Depth=1
	s_and_b64 vcc, exec, s[76:77]
	s_cbranch_vccz .LBB75_125
; %bb.115:                              ;   in Loop: Header=BB75_20 Depth=1
                                        ; implicit-def: $vgpr40
	s_mov_b64 s[28:29], exec
	v_readlane_b32 s0, v52, 25
	v_readlane_b32 s1, v52, 26
	s_and_b64 s[0:1], s[28:29], s[0:1]
	s_mov_b64 exec, s[0:1]
	s_cbranch_execz .LBB75_124
; %bb.116:                              ;   in Loop: Header=BB75_20 Depth=1
	s_mov_b64 s[30:31], 0
	v_mov_b32_e32 v2, v17
	v_mov_b32_e32 v4, v0
                                        ; implicit-def: $sgpr42_sgpr43
	s_branch .LBB75_119
.LBB75_117:                             ;   in Loop: Header=BB75_119 Depth=2
	s_or_b64 exec, exec, s[10:11]
	s_waitcnt lgkmcnt(0)
	s_barrier
	ds_read_u16 v5, v20 offset:3072
	s_mov_b64 s[10:11], -1
	s_mov_b64 s[12:13], -1
	s_waitcnt lgkmcnt(0)
	s_barrier
	v_cmp_ne_u32_sdwa s[0:1], v5, v20 src0_sel:BYTE_0 src1_sel:DWORD
	s_and_b64 vcc, exec, s[0:1]
	s_cbranch_vccz .LBB75_122
.LBB75_118:                             ;   in Loop: Header=BB75_119 Depth=2
	s_and_b64 s[0:1], exec, s[10:11]
	s_or_b64 s[30:31], s[0:1], s[30:31]
	s_andn2_b64 s[0:1], s[42:43], exec
	s_and_b64 s[10:11], s[12:13], exec
	s_or_b64 s[42:43], s[0:1], s[10:11]
	s_andn2_b64 exec, exec, s[30:31]
	s_cbranch_execz .LBB75_123
.LBB75_119:                             ;   Parent Loop BB75_20 Depth=1
                                        ; =>  This Inner Loop Header: Depth=2
	v_cmp_gt_u32_e32 vcc, s36, v4
	s_and_saveexec_b64 s[10:11], vcc
	s_cbranch_execz .LBB75_117
; %bb.120:                              ;   in Loop: Header=BB75_119 Depth=2
	global_load_ubyte v5, v2, s[44:45]
	s_waitcnt vmcnt(0)
	v_and_b32_e32 v6, v5, v39
	v_cmp_eq_u32_sdwa s[0:1], v6, v32 src0_sel:BYTE_0 src1_sel:DWORD
	s_and_b64 exec, exec, s[0:1]
	s_cbranch_execz .LBB75_117
; %bb.121:                              ;   in Loop: Header=BB75_119 Depth=2
	v_lshlrev_b16_e32 v5, 8, v5
	v_or_b32_e32 v5, 1, v5
	ds_write_b16 v20, v5 offset:3072
	s_branch .LBB75_117
.LBB75_122:                             ;   in Loop: Header=BB75_119 Depth=2
	v_add_u32_e32 v4, s39, v4
	v_cmp_le_u32_e32 vcc, s20, v4
	v_add_u32_e32 v2, s54, v2
	s_mov_b64 s[12:13], 0
	s_orn2_b64 s[10:11], vcc, exec
	s_branch .LBB75_118
.LBB75_123:                             ;   in Loop: Header=BB75_20 Depth=1
	s_or_b64 exec, exec, s[30:31]
	s_andn2_b64 s[0:1], s[74:75], exec
	s_and_b64 s[10:11], s[42:43], exec
	v_lshrrev_b32_sdwa v40, v38, v5 dst_sel:DWORD dst_unused:UNUSED_PAD src0_sel:DWORD src1_sel:WORD_0
	s_or_b64 s[74:75], s[0:1], s[10:11]
.LBB75_124:                             ;   in Loop: Header=BB75_20 Depth=1
	s_or_b64 exec, exec, s[28:29]
	s_mov_b64 s[28:29], 0
	s_mov_b64 s[30:31], -1
.LBB75_125:                             ;   in Loop: Header=BB75_20 Depth=1
	s_orn2_b64 s[10:11], s[74:75], exec
.LBB75_126:                             ;   in Loop: Header=BB75_20 Depth=1
	s_or_b64 exec, exec, s[6:7]
	s_andn2_b64 s[0:1], s[72:73], exec
	s_and_b64 s[6:7], s[30:31], exec
	s_or_b64 s[72:73], s[0:1], s[6:7]
	s_andn2_b64 s[0:1], s[70:71], exec
	s_and_b64 s[6:7], s[28:29], exec
	v_readfirstlane_b32 s42, v0
	s_andn2_b64 s[68:69], s[68:69], exec
	s_or_b64 s[70:71], s[0:1], s[6:7]
                                        ; implicit-def: $vgpr4
	s_and_saveexec_b64 s[6:7], s[10:11]
	s_cbranch_execz .LBB75_19
; %bb.127:                              ;   in Loop: Header=BB75_20 Depth=1
	s_xor_b64 s[0:1], s[26:27], -1
	s_mov_b64 s[26:27], 0
	v_mov_b32_e32 v4, 1
	v_mov_b32_e32 v2, 1
	s_and_saveexec_b64 s[24:25], s[0:1]
	s_cbranch_execz .LBB75_133
; %bb.128:                              ;   in Loop: Header=BB75_20 Depth=1
	v_cmp_ge_u32_e32 vcc, s78, v41
	s_and_saveexec_b64 s[0:1], vcc
	s_xor_b64 s[10:11], exec, s[0:1]
	s_cbranch_execz .LBB75_130
; %bb.129:                              ;   in Loop: Header=BB75_20 Depth=1
	ds_read_b32 v2, v20 offset:4104
	v_and_b32_e32 v32, v32, v3
	v_or_b32_e32 v39, v39, v1
	s_waitcnt lgkmcnt(0)
	v_cmp_ne_u32_e32 vcc, 0, v2
	s_cbranch_vccz .LBB75_146
.LBB75_130:                             ;   in Loop: Header=BB75_20 Depth=1
	s_or_saveexec_b64 s[10:11], s[10:11]
	v_mov_b32_e32 v2, 8
	s_xor_b64 exec, exec, s[10:11]
.LBB75_131:                             ;   in Loop: Header=BB75_20 Depth=1
	s_mov_b64 s[26:27], exec
	v_subrev_u32_e32 v41, s78, v41
	v_mov_b32_e32 v2, 0
.LBB75_132:                             ;   in Loop: Header=BB75_20 Depth=1
	s_or_b64 exec, exec, s[10:11]
	s_and_b64 s[26:27], s[26:27], exec
	v_mov_b32_e32 v4, v41
.LBB75_133:                             ;   in Loop: Header=BB75_20 Depth=1
	s_or_b64 exec, exec, s[24:25]
	s_mov_b64 s[24:25], -1
	s_mov_b64 s[10:11], -1
                                        ; implicit-def: $sgpr28_sgpr29
                                        ; implicit-def: $sgpr30_sgpr31
	s_and_saveexec_b64 s[0:1], s[26:27]
	s_xor_b64 s[26:27], exec, s[0:1]
	s_cbranch_execz .LBB75_253
; %bb.134:                              ;   in Loop: Header=BB75_20 Depth=1
	s_cmp_eq_u32 s15, 1
	s_cselect_b64 s[0:1], -1, 0
	v_cmp_eq_u32_e32 vcc, 1, v4
	s_and_b64 s[76:77], s[0:1], vcc
                                        ; implicit-def: $sgpr30_sgpr31
                                        ; implicit-def: $sgpr28_sgpr29
	s_and_saveexec_b64 s[74:75], s[76:77]
	s_cbranch_execz .LBB75_163
; %bb.135:                              ;   in Loop: Header=BB75_20 Depth=1
	ds_read_b32 v5, v20 offset:4104
	s_waitcnt lgkmcnt(0)
	s_barrier
	v_readfirstlane_b32 s82, v5
	s_and_saveexec_b64 s[10:11], s[22:23]
; %bb.136:                              ;   in Loop: Header=BB75_20 Depth=1
	ds_write_b8 v0, v20 offset:3072
; %bb.137:                              ;   in Loop: Header=BB75_20 Depth=1
	s_or_b64 exec, exec, s[10:11]
	v_and_b32_e32 v5, v32, v3
	v_lshl_or_b32 v32, 1, v37, v5
	v_or_b32_e32 v39, v39, v1
	s_mov_b64 s[28:29], -1
	s_mov_b64 s[30:31], 0
	s_cmp_eq_u32 s82, 0
	s_mov_b64 s[78:79], 0
	s_mov_b64 s[80:81], -1
	s_waitcnt lgkmcnt(0)
	s_barrier
                                        ; implicit-def: $vgpr40
	s_cbranch_scc1 .LBB75_151
; %bb.138:                              ;   in Loop: Header=BB75_20 Depth=1
	s_add_i32 s0, s82, s37
	s_mul_hi_u32 s1, s0, s59
	s_mul_i32 s1, s1, s39
	s_sub_i32 s1, s0, s1
	s_sub_i32 s10, s1, s39
	s_cmp_ge_u32 s1, s39
	s_cselect_b32 s1, s10, s1
	s_sub_i32 s10, s1, s39
	s_cmp_ge_u32 s1, s39
	s_cselect_b32 s1, s10, s1
	s_sub_i32 s0, s0, s1
	v_cmp_gt_u32_e32 vcc, s0, v0
	s_mov_b64 s[80:81], 0
                                        ; implicit-def: $vgpr40
	s_and_saveexec_b64 s[42:43], vcc
	s_cbranch_execz .LBB75_150
; %bb.139:                              ;   in Loop: Header=BB75_20 Depth=1
	s_mov_b64 s[46:47], 0
	v_mov_b32_e32 v5, v0
                                        ; implicit-def: $sgpr78_sgpr79
	s_branch .LBB75_142
.LBB75_140:                             ;   in Loop: Header=BB75_142 Depth=2
	s_or_b64 exec, exec, s[10:11]
	s_waitcnt lgkmcnt(0)
	s_barrier
	ds_read_u16 v6, v20 offset:3072
	s_mov_b64 s[10:11], -1
	s_waitcnt lgkmcnt(0)
	s_barrier
	v_cmp_ne_u32_sdwa s[12:13], v6, v20 src0_sel:BYTE_0 src1_sel:DWORD
	s_and_b64 vcc, exec, s[12:13]
	s_mov_b64 s[12:13], -1
	s_cbranch_vccz .LBB75_145
.LBB75_141:                             ;   in Loop: Header=BB75_142 Depth=2
	s_and_b64 s[10:11], exec, s[10:11]
	s_or_b64 s[46:47], s[10:11], s[46:47]
	s_andn2_b64 s[10:11], s[78:79], exec
	s_and_b64 s[12:13], s[12:13], exec
	s_or_b64 s[78:79], s[10:11], s[12:13]
	s_andn2_b64 exec, exec, s[46:47]
	s_cbranch_execz .LBB75_149
.LBB75_142:                             ;   Parent Loop BB75_20 Depth=1
                                        ; =>  This Inner Loop Header: Depth=2
	v_cmp_gt_u32_e32 vcc, s82, v5
	s_and_saveexec_b64 s[10:11], vcc
	s_cbranch_execz .LBB75_140
; %bb.143:                              ;   in Loop: Header=BB75_142 Depth=2
	ds_read_u8 v6, v5
	s_waitcnt lgkmcnt(0)
	v_and_b32_e32 v7, v6, v39
	v_cmp_eq_u32_sdwa s[12:13], v7, v32 src0_sel:BYTE_0 src1_sel:DWORD
	s_and_b64 exec, exec, s[12:13]
	s_cbranch_execz .LBB75_140
; %bb.144:                              ;   in Loop: Header=BB75_142 Depth=2
	v_lshlrev_b16_e32 v6, 8, v6
	v_or_b32_e32 v6, 1, v6
	ds_write_b16 v20, v6 offset:3072
	s_branch .LBB75_140
.LBB75_145:                             ;   in Loop: Header=BB75_142 Depth=2
	v_add_u32_e32 v5, s39, v5
	v_cmp_le_u32_e32 vcc, s0, v5
	s_mov_b64 s[12:13], 0
	s_orn2_b64 s[10:11], vcc, exec
	s_branch .LBB75_141
.LBB75_146:                             ;   in Loop: Header=BB75_20 Depth=1
	s_and_saveexec_b64 s[12:13], s[90:91]
; %bb.147:                              ;   in Loop: Header=BB75_20 Depth=1
	v_mov_b32_e32 v2, s78
	ds_write_b32 v20, v2 offset:4108
; %bb.148:                              ;   in Loop: Header=BB75_20 Depth=1
	s_or_b64 exec, exec, s[12:13]
	s_waitcnt lgkmcnt(0)
	s_barrier
	s_or_saveexec_b64 s[10:11], s[10:11]
	v_mov_b32_e32 v2, 8
	s_xor_b64 exec, exec, s[10:11]
	s_cbranch_execnz .LBB75_131
	s_branch .LBB75_132
.LBB75_149:                             ;   in Loop: Header=BB75_20 Depth=1
	s_or_b64 exec, exec, s[46:47]
	v_lshrrev_b32_sdwa v40, v38, v6 dst_sel:DWORD dst_unused:UNUSED_PAD src0_sel:DWORD src1_sel:WORD_0
	s_and_b64 s[78:79], s[78:79], exec
.LBB75_150:                             ;   in Loop: Header=BB75_20 Depth=1
	s_or_b64 exec, exec, s[42:43]
.LBB75_151:                             ;   in Loop: Header=BB75_20 Depth=1
	s_and_b64 vcc, exec, s[80:81]
	s_cbranch_vccz .LBB75_162
; %bb.152:                              ;   in Loop: Header=BB75_20 Depth=1
                                        ; implicit-def: $vgpr40
	s_mov_b64 s[28:29], exec
	v_readlane_b32 s0, v52, 25
	v_readlane_b32 s1, v52, 26
	s_and_b64 s[0:1], s[28:29], s[0:1]
	s_mov_b64 exec, s[0:1]
	s_cbranch_execz .LBB75_161
; %bb.153:                              ;   in Loop: Header=BB75_20 Depth=1
	s_mov_b64 s[30:31], 0
	v_mov_b32_e32 v5, v17
	v_mov_b32_e32 v6, v0
                                        ; implicit-def: $sgpr42_sgpr43
	s_branch .LBB75_156
.LBB75_154:                             ;   in Loop: Header=BB75_156 Depth=2
	s_or_b64 exec, exec, s[10:11]
	s_waitcnt lgkmcnt(0)
	s_barrier
	ds_read_u16 v7, v20 offset:3072
	s_mov_b64 s[10:11], -1
	s_mov_b64 s[12:13], -1
	s_waitcnt lgkmcnt(0)
	s_barrier
	v_cmp_eq_u32_sdwa s[0:1], v7, v20 src0_sel:BYTE_0 src1_sel:DWORD
	s_and_b64 vcc, exec, s[0:1]
	s_cbranch_vccnz .LBB75_159
.LBB75_155:                             ;   in Loop: Header=BB75_156 Depth=2
	s_and_b64 s[0:1], exec, s[10:11]
	s_or_b64 s[30:31], s[0:1], s[30:31]
	s_andn2_b64 s[0:1], s[42:43], exec
	s_and_b64 s[10:11], s[12:13], exec
	s_or_b64 s[42:43], s[0:1], s[10:11]
	s_andn2_b64 exec, exec, s[30:31]
	s_cbranch_execz .LBB75_160
.LBB75_156:                             ;   Parent Loop BB75_20 Depth=1
                                        ; =>  This Inner Loop Header: Depth=2
	v_cmp_gt_u32_e32 vcc, s36, v6
	s_and_saveexec_b64 s[10:11], vcc
	s_cbranch_execz .LBB75_154
; %bb.157:                              ;   in Loop: Header=BB75_156 Depth=2
	global_load_ubyte v7, v5, s[44:45]
	s_waitcnt vmcnt(0)
	v_and_b32_e32 v8, v7, v39
	v_cmp_eq_u32_sdwa s[0:1], v8, v32 src0_sel:BYTE_0 src1_sel:DWORD
	s_and_b64 exec, exec, s[0:1]
	s_cbranch_execz .LBB75_154
; %bb.158:                              ;   in Loop: Header=BB75_156 Depth=2
	v_lshlrev_b16_e32 v7, 8, v7
	v_or_b32_e32 v7, 1, v7
	ds_write_b16 v20, v7 offset:3072
	s_branch .LBB75_154
.LBB75_159:                             ;   in Loop: Header=BB75_156 Depth=2
	v_add_u32_e32 v6, s39, v6
	v_cmp_le_u32_e32 vcc, s20, v6
	v_add_u32_e32 v5, s54, v5
	s_mov_b64 s[12:13], 0
	s_orn2_b64 s[10:11], vcc, exec
	s_branch .LBB75_155
.LBB75_160:                             ;   in Loop: Header=BB75_20 Depth=1
	s_or_b64 exec, exec, s[30:31]
	s_andn2_b64 s[0:1], s[78:79], exec
	s_and_b64 s[10:11], s[42:43], exec
	v_lshrrev_b32_sdwa v40, v38, v7 dst_sel:DWORD dst_unused:UNUSED_PAD src0_sel:DWORD src1_sel:WORD_0
	s_or_b64 s[78:79], s[0:1], s[10:11]
.LBB75_161:                             ;   in Loop: Header=BB75_20 Depth=1
	s_or_b64 exec, exec, s[28:29]
	s_mov_b64 s[28:29], 0
	s_mov_b64 s[30:31], -1
.LBB75_162:                             ;   in Loop: Header=BB75_20 Depth=1
	s_orn2_b64 s[10:11], s[78:79], exec
.LBB75_163:                             ;   in Loop: Header=BB75_20 Depth=1
	s_or_b64 exec, exec, s[74:75]
	s_mov_b64 s[42:43], 0
	s_and_saveexec_b64 s[74:75], s[10:11]
	s_cbranch_execz .LBB75_252
; %bb.164:                              ;   in Loop: Header=BB75_20 Depth=1
	s_xor_b64 s[0:1], s[76:77], -1
	s_mov_b64 s[46:47], 0
	v_mov_b32_e32 v5, 1
	v_mov_b32_e32 v2, 1
	s_and_saveexec_b64 s[42:43], s[0:1]
	s_cbranch_execz .LBB75_170
; %bb.165:                              ;   in Loop: Header=BB75_20 Depth=1
	v_cmp_ge_u32_e32 vcc, s15, v4
	s_and_saveexec_b64 s[0:1], vcc
	s_xor_b64 s[10:11], exec, s[0:1]
	s_cbranch_execz .LBB75_167
; %bb.166:                              ;   in Loop: Header=BB75_20 Depth=1
	ds_read_b32 v2, v20 offset:4104
	v_and_b32_e32 v5, v32, v3
	v_lshl_or_b32 v32, 1, v37, v5
	v_or_b32_e32 v39, v39, v1
	s_waitcnt lgkmcnt(0)
	v_cmp_ne_u32_e32 vcc, 0, v2
	s_cbranch_vccz .LBB75_183
.LBB75_167:                             ;   in Loop: Header=BB75_20 Depth=1
	s_or_saveexec_b64 s[10:11], s[10:11]
	v_mov_b32_e32 v2, 8
	s_xor_b64 exec, exec, s[10:11]
.LBB75_168:                             ;   in Loop: Header=BB75_20 Depth=1
	s_mov_b64 s[46:47], exec
	v_subrev_u32_e32 v4, s15, v4
	v_mov_b32_e32 v2, 0
.LBB75_169:                             ;   in Loop: Header=BB75_20 Depth=1
	s_or_b64 exec, exec, s[10:11]
	s_and_b64 s[46:47], s[46:47], exec
	v_mov_b32_e32 v5, v4
.LBB75_170:                             ;   in Loop: Header=BB75_20 Depth=1
	s_or_b64 exec, exec, s[42:43]
	s_mov_b64 s[10:11], -1
                                        ; implicit-def: $sgpr78_sgpr79
                                        ; implicit-def: $sgpr80_sgpr81
	s_and_saveexec_b64 s[76:77], s[46:47]
	s_cbranch_execz .LBB75_251
; %bb.171:                              ;   in Loop: Header=BB75_20 Depth=1
	s_cmp_eq_u32 s14, 1
	s_cselect_b64 s[0:1], -1, 0
	v_cmp_eq_u32_e32 vcc, 1, v5
	s_and_b64 s[84:85], s[0:1], vcc
                                        ; implicit-def: $sgpr80_sgpr81
                                        ; implicit-def: $sgpr78_sgpr79
	s_and_saveexec_b64 s[82:83], s[84:85]
	s_cbranch_execz .LBB75_200
; %bb.172:                              ;   in Loop: Header=BB75_20 Depth=1
	ds_read_b32 v4, v20 offset:4104
	s_waitcnt lgkmcnt(0)
	s_barrier
	v_readfirstlane_b32 s15, v4
	s_and_saveexec_b64 s[10:11], s[22:23]
; %bb.173:                              ;   in Loop: Header=BB75_20 Depth=1
	ds_write_b8 v0, v20 offset:3072
; %bb.174:                              ;   in Loop: Header=BB75_20 Depth=1
	s_or_b64 exec, exec, s[10:11]
	v_and_b32_e32 v4, v32, v3
	v_lshl_or_b32 v32, 2, v37, v4
	v_or_b32_e32 v39, v39, v1
	s_mov_b64 s[78:79], -1
	s_mov_b64 s[80:81], 0
	s_cmp_eq_u32 s15, 0
	s_mov_b64 s[86:87], 0
	s_mov_b64 s[88:89], -1
	s_waitcnt lgkmcnt(0)
	s_barrier
                                        ; implicit-def: $vgpr40
	s_cbranch_scc1 .LBB75_188
; %bb.175:                              ;   in Loop: Header=BB75_20 Depth=1
	s_add_i32 s0, s15, s37
	s_mul_hi_u32 s1, s0, s59
	s_mul_i32 s1, s1, s39
	s_sub_i32 s1, s0, s1
	s_sub_i32 s10, s1, s39
	s_cmp_ge_u32 s1, s39
	s_cselect_b32 s1, s10, s1
	s_sub_i32 s10, s1, s39
	s_cmp_ge_u32 s1, s39
	s_cselect_b32 s1, s10, s1
	s_sub_i32 s0, s0, s1
	v_cmp_gt_u32_e32 vcc, s0, v0
	s_mov_b64 s[88:89], 0
                                        ; implicit-def: $vgpr40
	s_and_saveexec_b64 s[42:43], vcc
	s_cbranch_execz .LBB75_187
; %bb.176:                              ;   in Loop: Header=BB75_20 Depth=1
	s_mov_b64 s[46:47], 0
	v_mov_b32_e32 v4, v0
                                        ; implicit-def: $sgpr86_sgpr87
	s_branch .LBB75_179
.LBB75_177:                             ;   in Loop: Header=BB75_179 Depth=2
	s_or_b64 exec, exec, s[10:11]
	s_waitcnt lgkmcnt(0)
	s_barrier
	ds_read_u16 v6, v20 offset:3072
	s_mov_b64 s[10:11], -1
	s_waitcnt lgkmcnt(0)
	s_barrier
	v_cmp_ne_u32_sdwa s[12:13], v6, v20 src0_sel:BYTE_0 src1_sel:DWORD
	s_and_b64 vcc, exec, s[12:13]
	s_mov_b64 s[12:13], -1
	s_cbranch_vccz .LBB75_182
.LBB75_178:                             ;   in Loop: Header=BB75_179 Depth=2
	s_and_b64 s[10:11], exec, s[10:11]
	s_or_b64 s[46:47], s[10:11], s[46:47]
	s_andn2_b64 s[10:11], s[86:87], exec
	s_and_b64 s[12:13], s[12:13], exec
	s_or_b64 s[86:87], s[10:11], s[12:13]
	s_andn2_b64 exec, exec, s[46:47]
	s_cbranch_execz .LBB75_186
.LBB75_179:                             ;   Parent Loop BB75_20 Depth=1
                                        ; =>  This Inner Loop Header: Depth=2
	v_cmp_gt_u32_e32 vcc, s15, v4
	s_and_saveexec_b64 s[10:11], vcc
	s_cbranch_execz .LBB75_177
; %bb.180:                              ;   in Loop: Header=BB75_179 Depth=2
	ds_read_u8 v6, v4
	s_waitcnt lgkmcnt(0)
	v_and_b32_e32 v7, v6, v39
	v_cmp_eq_u32_sdwa s[12:13], v7, v32 src0_sel:BYTE_0 src1_sel:DWORD
	s_and_b64 exec, exec, s[12:13]
	s_cbranch_execz .LBB75_177
; %bb.181:                              ;   in Loop: Header=BB75_179 Depth=2
	v_lshlrev_b16_e32 v6, 8, v6
	v_or_b32_e32 v6, 1, v6
	ds_write_b16 v20, v6 offset:3072
	s_branch .LBB75_177
.LBB75_182:                             ;   in Loop: Header=BB75_179 Depth=2
	v_add_u32_e32 v4, s39, v4
	v_cmp_le_u32_e32 vcc, s0, v4
	s_mov_b64 s[12:13], 0
	s_orn2_b64 s[10:11], vcc, exec
	s_branch .LBB75_178
.LBB75_183:                             ;   in Loop: Header=BB75_20 Depth=1
	s_and_saveexec_b64 s[12:13], s[90:91]
; %bb.184:                              ;   in Loop: Header=BB75_20 Depth=1
	v_mov_b32_e32 v2, s15
	ds_write_b32 v20, v2 offset:4108
; %bb.185:                              ;   in Loop: Header=BB75_20 Depth=1
	s_or_b64 exec, exec, s[12:13]
	s_waitcnt lgkmcnt(0)
	s_barrier
	s_or_saveexec_b64 s[10:11], s[10:11]
	v_mov_b32_e32 v2, 8
	s_xor_b64 exec, exec, s[10:11]
	s_cbranch_execnz .LBB75_168
	s_branch .LBB75_169
.LBB75_186:                             ;   in Loop: Header=BB75_20 Depth=1
	s_or_b64 exec, exec, s[46:47]
	v_lshrrev_b32_sdwa v40, v38, v6 dst_sel:DWORD dst_unused:UNUSED_PAD src0_sel:DWORD src1_sel:WORD_0
	s_and_b64 s[86:87], s[86:87], exec
.LBB75_187:                             ;   in Loop: Header=BB75_20 Depth=1
	s_or_b64 exec, exec, s[42:43]
.LBB75_188:                             ;   in Loop: Header=BB75_20 Depth=1
	s_and_b64 vcc, exec, s[88:89]
	s_cbranch_vccz .LBB75_199
; %bb.189:                              ;   in Loop: Header=BB75_20 Depth=1
                                        ; implicit-def: $vgpr40
	s_mov_b64 s[42:43], exec
	v_readlane_b32 s0, v52, 25
	v_readlane_b32 s1, v52, 26
	s_and_b64 s[0:1], s[42:43], s[0:1]
	s_mov_b64 exec, s[0:1]
	s_cbranch_execz .LBB75_198
; %bb.190:                              ;   in Loop: Header=BB75_20 Depth=1
	s_mov_b64 s[46:47], 0
	v_mov_b32_e32 v4, v17
	v_mov_b32_e32 v6, v0
                                        ; implicit-def: $sgpr78_sgpr79
	s_branch .LBB75_193
.LBB75_191:                             ;   in Loop: Header=BB75_193 Depth=2
	s_or_b64 exec, exec, s[10:11]
	s_waitcnt lgkmcnt(0)
	s_barrier
	ds_read_u16 v7, v20 offset:3072
	s_mov_b64 s[10:11], -1
	s_mov_b64 s[12:13], -1
	s_waitcnt lgkmcnt(0)
	s_barrier
	v_cmp_eq_u32_sdwa s[0:1], v7, v20 src0_sel:BYTE_0 src1_sel:DWORD
	s_and_b64 vcc, exec, s[0:1]
	s_cbranch_vccnz .LBB75_196
.LBB75_192:                             ;   in Loop: Header=BB75_193 Depth=2
	s_and_b64 s[0:1], exec, s[10:11]
	s_or_b64 s[46:47], s[0:1], s[46:47]
	s_andn2_b64 s[0:1], s[78:79], exec
	s_and_b64 s[10:11], s[12:13], exec
	s_or_b64 s[78:79], s[0:1], s[10:11]
	s_andn2_b64 exec, exec, s[46:47]
	s_cbranch_execz .LBB75_197
.LBB75_193:                             ;   Parent Loop BB75_20 Depth=1
                                        ; =>  This Inner Loop Header: Depth=2
	v_cmp_gt_u32_e32 vcc, s36, v6
	s_and_saveexec_b64 s[10:11], vcc
	s_cbranch_execz .LBB75_191
; %bb.194:                              ;   in Loop: Header=BB75_193 Depth=2
	global_load_ubyte v7, v4, s[44:45]
	s_waitcnt vmcnt(0)
	v_and_b32_e32 v8, v7, v39
	v_cmp_eq_u32_sdwa s[0:1], v8, v32 src0_sel:BYTE_0 src1_sel:DWORD
	s_and_b64 exec, exec, s[0:1]
	s_cbranch_execz .LBB75_191
; %bb.195:                              ;   in Loop: Header=BB75_193 Depth=2
	v_lshlrev_b16_e32 v7, 8, v7
	v_or_b32_e32 v7, 1, v7
	ds_write_b16 v20, v7 offset:3072
	s_branch .LBB75_191
.LBB75_196:                             ;   in Loop: Header=BB75_193 Depth=2
	v_add_u32_e32 v6, s39, v6
	v_cmp_le_u32_e32 vcc, s20, v6
	v_add_u32_e32 v4, s54, v4
	s_mov_b64 s[12:13], 0
	s_orn2_b64 s[10:11], vcc, exec
	s_branch .LBB75_192
.LBB75_197:                             ;   in Loop: Header=BB75_20 Depth=1
	s_or_b64 exec, exec, s[46:47]
	s_andn2_b64 s[0:1], s[86:87], exec
	s_and_b64 s[10:11], s[78:79], exec
	v_lshrrev_b32_sdwa v40, v38, v7 dst_sel:DWORD dst_unused:UNUSED_PAD src0_sel:DWORD src1_sel:WORD_0
	s_or_b64 s[86:87], s[0:1], s[10:11]
.LBB75_198:                             ;   in Loop: Header=BB75_20 Depth=1
	s_or_b64 exec, exec, s[42:43]
	s_mov_b64 s[78:79], 0
	s_mov_b64 s[80:81], -1
.LBB75_199:                             ;   in Loop: Header=BB75_20 Depth=1
	s_orn2_b64 s[10:11], s[86:87], exec
.LBB75_200:                             ;   in Loop: Header=BB75_20 Depth=1
	s_or_b64 exec, exec, s[82:83]
	s_mov_b64 s[42:43], 0
	s_and_saveexec_b64 s[82:83], s[10:11]
	s_cbranch_execz .LBB75_250
; %bb.201:                              ;   in Loop: Header=BB75_20 Depth=1
	s_xor_b64 s[0:1], s[84:85], -1
	v_mov_b32_e32 v4, 1
	v_mov_b32_e32 v2, 1
	s_and_saveexec_b64 s[84:85], s[0:1]
	s_cbranch_execz .LBB75_210
; %bb.202:                              ;   in Loop: Header=BB75_20 Depth=1
	v_cmp_ge_u32_e32 vcc, s14, v5
	s_and_saveexec_b64 s[0:1], vcc
	s_xor_b64 s[10:11], exec, s[0:1]
	s_cbranch_execz .LBB75_207
; %bb.203:                              ;   in Loop: Header=BB75_20 Depth=1
	v_and_b32_e32 v2, v32, v3
	v_lshl_or_b32 v32, 2, v37, v2
	ds_read_b32 v2, v20 offset:4104
	v_or_b32_e32 v39, v39, v1
	s_waitcnt lgkmcnt(0)
	v_cmp_ne_u32_e32 vcc, 0, v2
	s_cbranch_vccnz .LBB75_207
; %bb.204:                              ;   in Loop: Header=BB75_20 Depth=1
	s_and_saveexec_b64 s[12:13], s[90:91]
; %bb.205:                              ;   in Loop: Header=BB75_20 Depth=1
	v_mov_b32_e32 v2, s14
	ds_write_b32 v20, v2 offset:4108
; %bb.206:                              ;   in Loop: Header=BB75_20 Depth=1
	s_or_b64 exec, exec, s[12:13]
	s_waitcnt lgkmcnt(0)
	s_barrier
.LBB75_207:                             ;   in Loop: Header=BB75_20 Depth=1
	s_or_saveexec_b64 s[10:11], s[10:11]
	v_mov_b32_e32 v2, 8
	s_xor_b64 exec, exec, s[10:11]
; %bb.208:                              ;   in Loop: Header=BB75_20 Depth=1
	v_subrev_u32_e32 v5, s14, v5
	v_mov_b32_e32 v2, 0
	s_mov_b64 s[42:43], exec
; %bb.209:                              ;   in Loop: Header=BB75_20 Depth=1
	s_or_b64 exec, exec, s[10:11]
	s_and_b64 s[42:43], s[42:43], exec
	v_mov_b32_e32 v4, v5
.LBB75_210:                             ;   in Loop: Header=BB75_20 Depth=1
	s_or_b64 exec, exec, s[84:85]
	s_mov_b64 s[10:11], -1
                                        ; implicit-def: $sgpr88_sgpr89
                                        ; implicit-def: $sgpr86_sgpr87
	s_and_saveexec_b64 s[84:85], s[42:43]
	s_cbranch_execz .LBB75_249
; %bb.211:                              ;   in Loop: Header=BB75_20 Depth=1
	s_cmp_eq_u32 s51, 1
	v_writelane_b32 v52, s90, 27
	s_cselect_b64 s[0:1], -1, 0
	v_cmp_eq_u32_e32 vcc, 1, v4
	v_writelane_b32 v52, s91, 28
	s_and_b64 s[90:91], s[0:1], vcc
                                        ; implicit-def: $sgpr88_sgpr89
                                        ; implicit-def: $sgpr86_sgpr87
	s_and_saveexec_b64 s[92:93], s[90:91]
	s_cbranch_execz .LBB75_237
; %bb.212:                              ;   in Loop: Header=BB75_20 Depth=1
	ds_read_b32 v3, v20 offset:4104
	s_waitcnt lgkmcnt(0)
	s_barrier
	v_readfirstlane_b32 s0, v3
	s_and_saveexec_b64 s[10:11], s[22:23]
; %bb.213:                              ;   in Loop: Header=BB75_20 Depth=1
	ds_write_b8 v0, v20 offset:3072
; %bb.214:                              ;   in Loop: Header=BB75_20 Depth=1
	s_or_b64 exec, exec, s[10:11]
	v_or_b32_e32 v32, v32, v1
	v_or_b32_e32 v39, v39, v1
	s_mov_b64 s[86:87], -1
	s_mov_b64 s[88:89], 0
	s_cmp_eq_u32 s0, 0
	s_mov_b64 s[94:95], 0
	s_mov_b64 s[42:43], -1
	s_waitcnt lgkmcnt(0)
	s_barrier
                                        ; implicit-def: $vgpr40
	s_cbranch_scc1 .LBB75_225
; %bb.215:                              ;   in Loop: Header=BB75_20 Depth=1
	s_add_i32 s1, s0, s37
	s_mul_hi_u32 s10, s1, s59
	s_mul_i32 s10, s10, s39
	s_sub_i32 s10, s1, s10
	s_sub_i32 s11, s10, s39
	s_cmp_ge_u32 s10, s39
	s_cselect_b32 s10, s11, s10
	s_sub_i32 s11, s10, s39
	s_cmp_ge_u32 s10, s39
	s_cselect_b32 s10, s11, s10
	s_sub_i32 s1, s1, s10
	v_cmp_gt_u32_e32 vcc, s1, v0
	s_mov_b64 s[42:43], 0
                                        ; implicit-def: $vgpr40
	s_and_saveexec_b64 s[46:47], vcc
	s_cbranch_execz .LBB75_224
; %bb.216:                              ;   in Loop: Header=BB75_20 Depth=1
	v_mov_b32_e32 v3, v0
                                        ; implicit-def: $sgpr10_sgpr11
	s_branch .LBB75_219
.LBB75_217:                             ;   in Loop: Header=BB75_219 Depth=2
	s_or_b64 exec, exec, s[12:13]
	s_waitcnt lgkmcnt(0)
	s_barrier
	ds_read_u16 v5, v20 offset:3072
	s_mov_b64 s[12:13], -1
	s_waitcnt lgkmcnt(0)
	s_barrier
	v_cmp_ne_u32_sdwa s[14:15], v5, v20 src0_sel:BYTE_0 src1_sel:DWORD
	s_and_b64 vcc, exec, s[14:15]
	s_mov_b64 s[14:15], -1
	s_cbranch_vccz .LBB75_222
.LBB75_218:                             ;   in Loop: Header=BB75_219 Depth=2
	s_and_b64 s[12:13], exec, s[12:13]
	s_or_b64 s[94:95], s[12:13], s[94:95]
	s_andn2_b64 s[10:11], s[10:11], exec
	s_and_b64 s[12:13], s[14:15], exec
	s_or_b64 s[10:11], s[10:11], s[12:13]
	s_andn2_b64 exec, exec, s[94:95]
	s_cbranch_execz .LBB75_223
.LBB75_219:                             ;   Parent Loop BB75_20 Depth=1
                                        ; =>  This Inner Loop Header: Depth=2
	v_cmp_gt_u32_e32 vcc, s0, v3
	s_and_saveexec_b64 s[12:13], vcc
	s_cbranch_execz .LBB75_217
; %bb.220:                              ;   in Loop: Header=BB75_219 Depth=2
	ds_read_u8 v5, v3
	s_waitcnt lgkmcnt(0)
	v_and_b32_e32 v6, v5, v39
	v_cmp_eq_u32_sdwa s[14:15], v6, v32 src0_sel:BYTE_0 src1_sel:DWORD
	s_and_b64 exec, exec, s[14:15]
	s_cbranch_execz .LBB75_217
; %bb.221:                              ;   in Loop: Header=BB75_219 Depth=2
	v_lshlrev_b16_e32 v5, 8, v5
	v_or_b32_e32 v5, 1, v5
	ds_write_b16 v20, v5 offset:3072
	s_branch .LBB75_217
.LBB75_222:                             ;   in Loop: Header=BB75_219 Depth=2
	v_add_u32_e32 v3, s39, v3
	v_cmp_le_u32_e32 vcc, s1, v3
	s_mov_b64 s[14:15], 0
	s_orn2_b64 s[12:13], vcc, exec
	s_branch .LBB75_218
.LBB75_223:                             ;   in Loop: Header=BB75_20 Depth=1
	s_or_b64 exec, exec, s[94:95]
	v_lshrrev_b32_sdwa v40, v38, v5 dst_sel:DWORD dst_unused:UNUSED_PAD src0_sel:DWORD src1_sel:WORD_0
	s_and_b64 s[94:95], s[10:11], exec
.LBB75_224:                             ;   in Loop: Header=BB75_20 Depth=1
	s_or_b64 exec, exec, s[46:47]
.LBB75_225:                             ;   in Loop: Header=BB75_20 Depth=1
	s_and_b64 vcc, exec, s[42:43]
	s_cbranch_vccz .LBB75_236
; %bb.226:                              ;   in Loop: Header=BB75_20 Depth=1
                                        ; implicit-def: $vgpr40
	s_mov_b64 s[42:43], exec
	v_readlane_b32 s0, v52, 25
	v_readlane_b32 s1, v52, 26
	s_and_b64 s[0:1], s[42:43], s[0:1]
	s_mov_b64 exec, s[0:1]
	s_cbranch_execz .LBB75_235
; %bb.227:                              ;   in Loop: Header=BB75_20 Depth=1
	s_mov_b64 s[46:47], 0
	v_mov_b32_e32 v3, v17
	v_mov_b32_e32 v5, v0
                                        ; implicit-def: $sgpr86_sgpr87
	s_branch .LBB75_230
.LBB75_228:                             ;   in Loop: Header=BB75_230 Depth=2
	s_or_b64 exec, exec, s[10:11]
	s_waitcnt lgkmcnt(0)
	s_barrier
	ds_read_u16 v6, v20 offset:3072
	s_mov_b64 s[10:11], -1
	s_mov_b64 s[12:13], -1
	s_waitcnt lgkmcnt(0)
	s_barrier
	v_cmp_eq_u32_sdwa s[0:1], v6, v20 src0_sel:BYTE_0 src1_sel:DWORD
	s_and_b64 vcc, exec, s[0:1]
	s_cbranch_vccnz .LBB75_233
.LBB75_229:                             ;   in Loop: Header=BB75_230 Depth=2
	s_and_b64 s[0:1], exec, s[10:11]
	s_or_b64 s[46:47], s[0:1], s[46:47]
	s_andn2_b64 s[0:1], s[86:87], exec
	s_and_b64 s[10:11], s[12:13], exec
	s_or_b64 s[86:87], s[0:1], s[10:11]
	s_andn2_b64 exec, exec, s[46:47]
	s_cbranch_execz .LBB75_234
.LBB75_230:                             ;   Parent Loop BB75_20 Depth=1
                                        ; =>  This Inner Loop Header: Depth=2
	v_cmp_gt_u32_e32 vcc, s36, v5
	s_and_saveexec_b64 s[10:11], vcc
	s_cbranch_execz .LBB75_228
; %bb.231:                              ;   in Loop: Header=BB75_230 Depth=2
	global_load_ubyte v6, v3, s[44:45]
	s_waitcnt vmcnt(0)
	v_and_b32_e32 v7, v6, v39
	v_cmp_eq_u32_sdwa s[0:1], v7, v32 src0_sel:BYTE_0 src1_sel:DWORD
	s_and_b64 exec, exec, s[0:1]
	s_cbranch_execz .LBB75_228
; %bb.232:                              ;   in Loop: Header=BB75_230 Depth=2
	v_lshlrev_b16_e32 v6, 8, v6
	v_or_b32_e32 v6, 1, v6
	ds_write_b16 v20, v6 offset:3072
	s_branch .LBB75_228
.LBB75_233:                             ;   in Loop: Header=BB75_230 Depth=2
	v_add_u32_e32 v5, s39, v5
	v_cmp_le_u32_e32 vcc, s20, v5
	v_add_u32_e32 v3, s54, v3
	s_mov_b64 s[12:13], 0
	s_orn2_b64 s[10:11], vcc, exec
	s_branch .LBB75_229
.LBB75_234:                             ;   in Loop: Header=BB75_20 Depth=1
	s_or_b64 exec, exec, s[46:47]
	s_andn2_b64 s[0:1], s[94:95], exec
	s_and_b64 s[10:11], s[86:87], exec
	v_lshrrev_b32_sdwa v40, v38, v6 dst_sel:DWORD dst_unused:UNUSED_PAD src0_sel:DWORD src1_sel:WORD_0
	s_or_b64 s[94:95], s[0:1], s[10:11]
.LBB75_235:                             ;   in Loop: Header=BB75_20 Depth=1
	s_or_b64 exec, exec, s[42:43]
	s_mov_b64 s[86:87], 0
	s_mov_b64 s[88:89], -1
.LBB75_236:                             ;   in Loop: Header=BB75_20 Depth=1
	s_orn2_b64 s[10:11], s[94:95], exec
.LBB75_237:                             ;   in Loop: Header=BB75_20 Depth=1
	s_or_b64 exec, exec, s[92:93]
	s_mov_b64 s[42:43], 0
	s_and_saveexec_b64 s[92:93], s[10:11]
	s_cbranch_execz .LBB75_248
; %bb.238:                              ;   in Loop: Header=BB75_20 Depth=1
	s_xor_b64 s[0:1], s[90:91], -1
	v_mov_b32_e32 v2, 1
	v_mov_b32_e32 v3, 1
	s_and_saveexec_b64 s[42:43], s[0:1]
	s_cbranch_execz .LBB75_247
; %bb.239:                              ;   in Loop: Header=BB75_20 Depth=1
	v_cmp_ge_u32_e32 vcc, s51, v4
	s_and_saveexec_b64 s[0:1], vcc
	s_xor_b64 s[10:11], exec, s[0:1]
	s_cbranch_execz .LBB75_244
; %bb.240:                              ;   in Loop: Header=BB75_20 Depth=1
	v_or_b32_e32 v32, v32, v1
	v_or_b32_e32 v39, v39, v1
	ds_read_b32 v1, v20 offset:4104
	v_readlane_b32 s0, v52, 27
	v_readlane_b32 s1, v52, 28
	s_waitcnt lgkmcnt(0)
	v_cmp_ne_u32_e32 vcc, 0, v1
	s_cbranch_vccnz .LBB75_244
; %bb.241:                              ;   in Loop: Header=BB75_20 Depth=1
	s_and_saveexec_b64 s[12:13], s[0:1]
; %bb.242:                              ;   in Loop: Header=BB75_20 Depth=1
	v_mov_b32_e32 v1, s51
	ds_write_b32 v20, v1 offset:4108
; %bb.243:                              ;   in Loop: Header=BB75_20 Depth=1
	s_or_b64 exec, exec, s[12:13]
	s_waitcnt lgkmcnt(0)
	s_barrier
.LBB75_244:                             ;   in Loop: Header=BB75_20 Depth=1
	s_andn2_saveexec_b64 s[10:11], s[10:11]
; %bb.245:                              ;   in Loop: Header=BB75_20 Depth=1
	v_subrev_u32_e32 v4, s51, v4
; %bb.246:                              ;   in Loop: Header=BB75_20 Depth=1
	s_or_b64 exec, exec, s[10:11]
	v_mov_b32_e32 v2, 8
	v_mov_b32_e32 v3, v4
.LBB75_247:                             ;   in Loop: Header=BB75_20 Depth=1
	s_or_b64 exec, exec, s[42:43]
	s_mov_b64 s[42:43], exec
	v_mov_b32_e32 v4, v3
.LBB75_248:                             ;   in Loop: Header=BB75_20 Depth=1
	s_or_b64 exec, exec, s[92:93]
	v_readlane_b32 s90, v52, 27
	s_orn2_b64 s[10:11], s[42:43], exec
	v_readlane_b32 s91, v52, 28
.LBB75_249:                             ;   in Loop: Header=BB75_20 Depth=1
	s_or_b64 exec, exec, s[84:85]
	s_andn2_b64 s[0:1], s[80:81], exec
	s_and_b64 s[12:13], s[88:89], exec
	s_or_b64 s[80:81], s[0:1], s[12:13]
	s_andn2_b64 s[0:1], s[78:79], exec
	s_and_b64 s[12:13], s[86:87], exec
	s_or_b64 s[78:79], s[0:1], s[12:13]
	s_and_b64 s[42:43], s[10:11], exec
	v_mov_b32_e32 v5, v4
.LBB75_250:                             ;   in Loop: Header=BB75_20 Depth=1
	s_or_b64 exec, exec, s[82:83]
	s_orn2_b64 s[10:11], s[42:43], exec
.LBB75_251:                             ;   in Loop: Header=BB75_20 Depth=1
	s_or_b64 exec, exec, s[76:77]
	s_andn2_b64 s[0:1], s[30:31], exec
	s_and_b64 s[12:13], s[80:81], exec
	s_or_b64 s[30:31], s[0:1], s[12:13]
	s_andn2_b64 s[0:1], s[28:29], exec
	s_and_b64 s[12:13], s[78:79], exec
	s_or_b64 s[28:29], s[0:1], s[12:13]
	s_and_b64 s[42:43], s[10:11], exec
	v_mov_b32_e32 v4, v5
.LBB75_252:                             ;   in Loop: Header=BB75_20 Depth=1
	s_or_b64 exec, exec, s[74:75]
	s_orn2_b64 s[10:11], s[42:43], exec
.LBB75_253:                             ;   in Loop: Header=BB75_20 Depth=1
	s_or_b64 exec, exec, s[26:27]
	s_mov_b64 s[26:27], 0
                                        ; implicit-def: $sgpr42
	s_and_saveexec_b64 s[0:1], s[10:11]
	s_xor_b64 s[10:11], exec, s[0:1]
	s_cbranch_execz .LBB75_18
; %bb.254:                              ;   in Loop: Header=BB75_20 Depth=1
	v_and_b32_e32 v1, 7, v2
	v_cmp_eq_u32_e32 vcc, 0, v1
	s_mov_b64 s[24:25], -1
	s_mov_b64 s[26:27], -1
                                        ; implicit-def: $sgpr42
	s_and_saveexec_b64 s[12:13], vcc
	s_cbranch_execz .LBB75_17
; %bb.255:                              ;   in Loop: Header=BB75_20 Depth=1
	v_add_u32_e32 v1, -2, v37
	v_cmp_eq_u32_e32 vcc, 0, v37
	s_xor_b32 s42, s57, 1
	s_xor_b64 s[26:27], exec, -1
	s_orn2_b64 s[24:25], vcc, exec
	v_mov_b32_e32 v37, v1
	s_branch .LBB75_17
.LBB75_256:
	s_or_b64 exec, exec, s[60:61]
	s_xor_b64 s[8:9], s[66:67], -1
	s_xor_b64 s[0:1], s[62:63], -1
	;; [unrolled: 1-line block ×3, first 2 shown]
	s_mov_b64 s[4:5], 0
	s_and_saveexec_b64 s[2:3], s[0:1]
	s_xor_b64 s[0:1], exec, s[2:3]
	s_cbranch_execnz .LBB75_261
; %bb.257:
	s_andn2_saveexec_b64 s[0:1], s[0:1]
	s_cbranch_execnz .LBB75_274
.LBB75_258:
	s_or_b64 exec, exec, s[0:1]
	s_and_saveexec_b64 s[0:1], s[4:5]
.LBB75_259:
	; divergent unreachable
.LBB75_260:
	s_endpgm
.LBB75_261:
	s_and_saveexec_b64 s[2:3], s[8:9]
	s_xor_b64 s[4:5], exec, s[2:3]
	s_cbranch_execz .LBB75_272
; %bb.262:
	s_and_saveexec_b64 s[2:3], s[6:7]
	s_xor_b64 s[6:7], exec, s[2:3]
; %bb.263:
	v_mov_b32_e32 v40, v32
; %bb.264:
	s_or_b64 exec, exec, s[6:7]
	v_readlane_b32 s2, v52, 0
	s_mul_i32 s2, s2, s33
	s_add_i32 s2, s2, s35
	v_mov_b32_e32 v1, s2
	v_readlane_b32 s2, v52, 2
	v_readlane_b32 s3, v52, 3
	s_nop 4
	global_store_byte v1, v40, s[2:3]
	s_mov_b64 s[6:7], exec
	v_readlane_b32 s2, v52, 6
	v_readlane_b32 s3, v52, 7
	s_and_b64 s[2:3], s[6:7], s[2:3]
	s_mov_b64 exec, s[2:3]
	s_cbranch_execz .LBB75_271
; %bb.265:
	s_mov_b64 s[2:3], 0
                                        ; implicit-def: $sgpr8_sgpr9
                                        ; implicit-def: $sgpr12_sgpr13
                                        ; implicit-def: $sgpr10_sgpr11
	s_branch .LBB75_267
.LBB75_266:                             ;   in Loop: Header=BB75_267 Depth=1
	s_or_b64 exec, exec, s[14:15]
	s_and_b64 s[14:15], exec, s[12:13]
	s_or_b64 s[2:3], s[14:15], s[2:3]
	s_andn2_b64 s[8:9], s[8:9], exec
	s_and_b64 s[14:15], s[10:11], exec
	s_or_b64 s[8:9], s[8:9], s[14:15]
	s_andn2_b64 exec, exec, s[2:3]
	s_cbranch_execz .LBB75_269
.LBB75_267:                             ; =>This Inner Loop Header: Depth=1
	global_load_ubyte v2, v17, s[44:45]
	v_mov_b32_e32 v1, v0
	s_or_b64 s[10:11], s[10:11], exec
	s_or_b64 s[12:13], s[12:13], exec
                                        ; implicit-def: $vgpr0
	s_waitcnt vmcnt(0)
	v_cmp_ne_u16_sdwa s[16:17], v2, v40 src0_sel:DWORD src1_sel:BYTE_0
	s_and_saveexec_b64 s[14:15], s[16:17]
	s_cbranch_execz .LBB75_266
; %bb.268:                              ;   in Loop: Header=BB75_267 Depth=1
	v_add_u32_e32 v0, s39, v1
	v_cmp_le_u32_e32 vcc, s36, v0
	s_andn2_b64 s[12:13], s[12:13], exec
	s_and_b64 s[16:17], vcc, exec
	v_add_u32_e32 v17, s54, v17
	s_andn2_b64 s[10:11], s[10:11], exec
	s_or_b64 s[12:13], s[12:13], s[16:17]
	s_branch .LBB75_266
.LBB75_269:
	s_or_b64 exec, exec, s[2:3]
	s_and_saveexec_b64 s[2:3], s[8:9]
	s_xor_b64 s[2:3], exec, s[2:3]
	s_cbranch_execz .LBB75_271
; %bb.270:
	v_readlane_b32 s2, v52, 1
	s_mul_i32 s2, s2, s34
	s_add_i32 s2, s2, s41
	s_mov_b32 s3, 0
	s_lshl_b64 s[2:3], s[2:3], 3
	v_readlane_b32 s8, v52, 4
	v_readlane_b32 s9, v52, 5
	s_add_u32 s2, s8, s2
	s_addc_u32 s3, s9, s3
	v_mov_b32_e32 v2, 0
	global_store_dwordx2 v2, v[1:2], s[2:3]
.LBB75_271:
	s_or_b64 exec, exec, s[6:7]
.LBB75_272:
	s_or_saveexec_b64 s[2:3], s[4:5]
	s_mov_b64 s[4:5], 0
	s_xor_b64 exec, exec, s[2:3]
	s_cbranch_execnz .LBB75_275
.LBB75_273:
	s_or_b64 exec, exec, s[2:3]
	s_and_b64 s[4:5], s[4:5], exec
	s_andn2_saveexec_b64 s[0:1], s[0:1]
	s_cbranch_execz .LBB75_258
.LBB75_274:
	s_or_b64 s[4:5], s[4:5], exec
	s_trap 2
	s_or_b64 exec, exec, s[0:1]
	s_and_saveexec_b64 s[0:1], s[4:5]
	s_cbranch_execnz .LBB75_259
	s_branch .LBB75_260
.LBB75_275:
	s_mov_b64 s[4:5], exec
	s_trap 2
	s_branch .LBB75_273
	.section	.rodata,"a",@progbits
	.p2align	6, 0x0
	.amdhsa_kernel _ZN2at6native12_GLOBAL__N_112gatherMedianIhjLin1EEEvNS_4cuda6detail10TensorInfoIT_T0_EENS5_IlS7_EENS5_IKS6_S7_EES7_S7_S7_b
		.amdhsa_group_segment_fixed_size 4120
		.amdhsa_private_segment_fixed_size 0
		.amdhsa_kernarg_size 920
		.amdhsa_user_sgpr_count 6
		.amdhsa_user_sgpr_private_segment_buffer 1
		.amdhsa_user_sgpr_dispatch_ptr 0
		.amdhsa_user_sgpr_queue_ptr 0
		.amdhsa_user_sgpr_kernarg_segment_ptr 1
		.amdhsa_user_sgpr_dispatch_id 0
		.amdhsa_user_sgpr_flat_scratch_init 0
		.amdhsa_user_sgpr_private_segment_size 0
		.amdhsa_uses_dynamic_stack 0
		.amdhsa_system_sgpr_private_segment_wavefront_offset 0
		.amdhsa_system_sgpr_workgroup_id_x 1
		.amdhsa_system_sgpr_workgroup_id_y 1
		.amdhsa_system_sgpr_workgroup_id_z 1
		.amdhsa_system_sgpr_workgroup_info 0
		.amdhsa_system_vgpr_workitem_id 0
		.amdhsa_next_free_vgpr 53
		.amdhsa_next_free_sgpr 96
		.amdhsa_reserve_vcc 1
		.amdhsa_reserve_flat_scratch 0
		.amdhsa_float_round_mode_32 0
		.amdhsa_float_round_mode_16_64 0
		.amdhsa_float_denorm_mode_32 3
		.amdhsa_float_denorm_mode_16_64 3
		.amdhsa_dx10_clamp 1
		.amdhsa_ieee_mode 1
		.amdhsa_fp16_overflow 0
		.amdhsa_exception_fp_ieee_invalid_op 0
		.amdhsa_exception_fp_denorm_src 0
		.amdhsa_exception_fp_ieee_div_zero 0
		.amdhsa_exception_fp_ieee_overflow 0
		.amdhsa_exception_fp_ieee_underflow 0
		.amdhsa_exception_fp_ieee_inexact 0
		.amdhsa_exception_int_div_zero 0
	.end_amdhsa_kernel
	.section	.text._ZN2at6native12_GLOBAL__N_112gatherMedianIhjLin1EEEvNS_4cuda6detail10TensorInfoIT_T0_EENS5_IlS7_EENS5_IKS6_S7_EES7_S7_S7_b,"axG",@progbits,_ZN2at6native12_GLOBAL__N_112gatherMedianIhjLin1EEEvNS_4cuda6detail10TensorInfoIT_T0_EENS5_IlS7_EENS5_IKS6_S7_EES7_S7_S7_b,comdat
.Lfunc_end75:
	.size	_ZN2at6native12_GLOBAL__N_112gatherMedianIhjLin1EEEvNS_4cuda6detail10TensorInfoIT_T0_EENS5_IlS7_EENS5_IKS6_S7_EES7_S7_S7_b, .Lfunc_end75-_ZN2at6native12_GLOBAL__N_112gatherMedianIhjLin1EEEvNS_4cuda6detail10TensorInfoIT_T0_EENS5_IlS7_EENS5_IKS6_S7_EES7_S7_S7_b
                                        ; -- End function
	.set _ZN2at6native12_GLOBAL__N_112gatherMedianIhjLin1EEEvNS_4cuda6detail10TensorInfoIT_T0_EENS5_IlS7_EENS5_IKS6_S7_EES7_S7_S7_b.num_vgpr, 53
	.set _ZN2at6native12_GLOBAL__N_112gatherMedianIhjLin1EEEvNS_4cuda6detail10TensorInfoIT_T0_EENS5_IlS7_EENS5_IKS6_S7_EES7_S7_S7_b.num_agpr, 0
	.set _ZN2at6native12_GLOBAL__N_112gatherMedianIhjLin1EEEvNS_4cuda6detail10TensorInfoIT_T0_EENS5_IlS7_EENS5_IKS6_S7_EES7_S7_S7_b.numbered_sgpr, 96
	.set _ZN2at6native12_GLOBAL__N_112gatherMedianIhjLin1EEEvNS_4cuda6detail10TensorInfoIT_T0_EENS5_IlS7_EENS5_IKS6_S7_EES7_S7_S7_b.num_named_barrier, 0
	.set _ZN2at6native12_GLOBAL__N_112gatherMedianIhjLin1EEEvNS_4cuda6detail10TensorInfoIT_T0_EENS5_IlS7_EENS5_IKS6_S7_EES7_S7_S7_b.private_seg_size, 0
	.set _ZN2at6native12_GLOBAL__N_112gatherMedianIhjLin1EEEvNS_4cuda6detail10TensorInfoIT_T0_EENS5_IlS7_EENS5_IKS6_S7_EES7_S7_S7_b.uses_vcc, 1
	.set _ZN2at6native12_GLOBAL__N_112gatherMedianIhjLin1EEEvNS_4cuda6detail10TensorInfoIT_T0_EENS5_IlS7_EENS5_IKS6_S7_EES7_S7_S7_b.uses_flat_scratch, 0
	.set _ZN2at6native12_GLOBAL__N_112gatherMedianIhjLin1EEEvNS_4cuda6detail10TensorInfoIT_T0_EENS5_IlS7_EENS5_IKS6_S7_EES7_S7_S7_b.has_dyn_sized_stack, 0
	.set _ZN2at6native12_GLOBAL__N_112gatherMedianIhjLin1EEEvNS_4cuda6detail10TensorInfoIT_T0_EENS5_IlS7_EENS5_IKS6_S7_EES7_S7_S7_b.has_recursion, 0
	.set _ZN2at6native12_GLOBAL__N_112gatherMedianIhjLin1EEEvNS_4cuda6detail10TensorInfoIT_T0_EENS5_IlS7_EENS5_IKS6_S7_EES7_S7_S7_b.has_indirect_call, 0
	.section	.AMDGPU.csdata,"",@progbits
; Kernel info:
; codeLenInByte = 10524
; TotalNumSgprs: 100
; NumVgprs: 53
; ScratchSize: 0
; MemoryBound: 0
; FloatMode: 240
; IeeeMode: 1
; LDSByteSize: 4120 bytes/workgroup (compile time only)
; SGPRBlocks: 12
; VGPRBlocks: 13
; NumSGPRsForWavesPerEU: 100
; NumVGPRsForWavesPerEU: 53
; Occupancy: 4
; WaveLimiterHint : 1
; COMPUTE_PGM_RSRC2:SCRATCH_EN: 0
; COMPUTE_PGM_RSRC2:USER_SGPR: 6
; COMPUTE_PGM_RSRC2:TRAP_HANDLER: 0
; COMPUTE_PGM_RSRC2:TGID_X_EN: 1
; COMPUTE_PGM_RSRC2:TGID_Y_EN: 1
; COMPUTE_PGM_RSRC2:TGID_Z_EN: 1
; COMPUTE_PGM_RSRC2:TIDIG_COMP_CNT: 0
	.section	.text._ZN2at6native12_GLOBAL__N_112gatherMedianIhmLi1EEEvNS_4cuda6detail10TensorInfoIT_T0_EENS5_IlS7_EENS5_IKS6_S7_EES7_S7_S7_b,"axG",@progbits,_ZN2at6native12_GLOBAL__N_112gatherMedianIhmLi1EEEvNS_4cuda6detail10TensorInfoIT_T0_EENS5_IlS7_EENS5_IKS6_S7_EES7_S7_S7_b,comdat
	.globl	_ZN2at6native12_GLOBAL__N_112gatherMedianIhmLi1EEEvNS_4cuda6detail10TensorInfoIT_T0_EENS5_IlS7_EENS5_IKS6_S7_EES7_S7_S7_b ; -- Begin function _ZN2at6native12_GLOBAL__N_112gatherMedianIhmLi1EEEvNS_4cuda6detail10TensorInfoIT_T0_EENS5_IlS7_EENS5_IKS6_S7_EES7_S7_S7_b
	.p2align	8
	.type	_ZN2at6native12_GLOBAL__N_112gatherMedianIhmLi1EEEvNS_4cuda6detail10TensorInfoIT_T0_EENS5_IlS7_EENS5_IKS6_S7_EES7_S7_S7_b,@function
_ZN2at6native12_GLOBAL__N_112gatherMedianIhmLi1EEEvNS_4cuda6detail10TensorInfoIT_T0_EENS5_IlS7_EENS5_IKS6_S7_EES7_S7_S7_b: ; @_ZN2at6native12_GLOBAL__N_112gatherMedianIhmLi1EEEvNS_4cuda6detail10TensorInfoIT_T0_EENS5_IlS7_EENS5_IKS6_S7_EES7_S7_S7_b
; %bb.0:
	s_load_dwordx2 s[16:17], s[4:5], 0x500
	s_load_dwordx4 s[24:27], s[4:5], 0x4e0
	s_add_u32 s18, s4, 0x500
	s_addc_u32 s19, s5, 0
	s_mov_b32 s11, 0
	s_waitcnt lgkmcnt(0)
	s_mul_i32 s0, s17, s8
	s_add_i32 s0, s0, s7
	s_mul_i32 s0, s0, s16
	s_add_i32 s10, s0, s6
	v_mov_b32_e32 v1, s10
	v_mov_b32_e32 v2, s11
	v_cmp_le_u64_e32 vcc, s[26:27], v[1:2]
	s_cbranch_vccnz .LBB76_278
; %bb.1:
	s_load_dwordx2 s[34:35], s[4:5], 0x4f0
	v_cmp_eq_u32_e64 s[0:1], 0, v0
	s_mov_b64 s[2:3], exec
                                        ; implicit-def: $vgpr61 : SGPR spill to VGPR lane
	v_writelane_b32 v61, s0, 0
	v_writelane_b32 v61, s1, 1
	s_and_b64 s[0:1], s[2:3], s[0:1]
	s_mov_b64 exec, s[0:1]
; %bb.2:
	v_mov_b32_e32 v1, 0
	v_mov_b32_e32 v2, v1
	ds_write_b64 v1, v[1:2] offset:5136
; %bb.3:
	s_or_b64 exec, exec, s[2:3]
	v_mov_b32_e32 v1, 0
	s_load_dword s0, s[4:5], 0x4f8
	s_waitcnt lgkmcnt(0)
	s_barrier
	s_barrier
	ds_read_b64 v[1:2], v1 offset:5136
	s_load_dwordx2 s[8:9], s[4:5], 0x410
	s_load_dwordx2 s[2:3], s[4:5], 0x340
	s_bitcmp1_b32 s0, 0
	s_cselect_b64 s[0:1], -1, 0
	v_mov_b32_e32 v24, s24
	s_waitcnt lgkmcnt(0)
	v_cmp_gt_i64_e32 vcc, 1, v[1:2]
	v_mov_b32_e32 v25, s25
	s_or_b64 s[0:1], s[0:1], vcc
	s_andn2_b64 vcc, exec, s[0:1]
	s_cbranch_vccnz .LBB76_5
; %bb.4:
	v_not_b32_e32 v1, v1
	v_not_b32_e32 v2, v2
	v_mov_b32_e32 v3, s25
	v_add_co_u32_e32 v1, vcc, s24, v1
	v_addc_co_u32_e32 v2, vcc, v3, v2, vcc
	v_lshrrev_b64 v[1:2], 1, v[1:2]
	v_add_co_u32_e32 v24, vcc, 1, v1
	v_addc_co_u32_e32 v25, vcc, 0, v2, vcc
.LBB76_5:
	s_load_dwordx2 s[0:1], s[4:5], 0x270
                                        ; kill: killed $sgpr4 killed $sgpr5
	s_waitcnt lgkmcnt(0)
	v_writelane_b32 v61, s0, 2
	v_writelane_b32 v61, s1, 3
	s_load_dwordx2 s[0:1], s[4:5], 0x1a0
	s_waitcnt lgkmcnt(0)
	v_writelane_b32 v61, s0, 4
	v_writelane_b32 v61, s1, 5
	s_load_dwordx2 s[0:1], s[4:5], 0xd0
	s_waitcnt lgkmcnt(0)
	v_writelane_b32 v61, s0, 6
	v_writelane_b32 v61, s1, 7
	s_load_dwordx2 s[0:1], s[4:5], 0x0
	s_waitcnt lgkmcnt(0)
	v_writelane_b32 v61, s0, 8
	v_writelane_b32 v61, s1, 9
	s_mov_b64 s[4:5], exec
	v_readlane_b32 s0, v61, 0
	v_readlane_b32 s1, v61, 1
	s_and_b64 s[0:1], s[4:5], s[0:1]
	s_mov_b64 exec, s[0:1]
	s_cbranch_execz .LBB76_7
; %bb.6:
	v_mov_b32_e32 v1, 0
	v_mov_b32_e32 v3, s24
	;; [unrolled: 1-line block ×4, first 2 shown]
	ds_write_b32 v1, v1 offset:5144
	ds_write_b128 v1, v[1:4] offset:5120
.LBB76_7:
	s_or_b64 exec, exec, s[4:5]
	s_mul_i32 s0, s9, s10
	s_mul_hi_u32 s1, s8, s10
	s_add_i32 s4, s1, s0
	s_mov_b32 s0, s10
	v_writelane_b32 v61, s0, 10
	v_writelane_b32 v61, s1, 11
	s_mul_i32 s0, s8, s10
	s_add_u32 s40, s2, s0
	v_mad_u64_u32 v[4:5], s[0:1], s34, v0, 0
	s_addc_u32 s41, s3, s4
	v_mov_b32_e32 v3, 0
	v_mov_b32_e32 v1, v5
	v_mad_u64_u32 v[1:2], s[0:1], s35, v0, v[1:2]
	v_mov_b32_e32 v2, s41
	v_add_co_u32_e32 v12, vcc, s40, v4
	v_mov_b32_e32 v5, 0xc00
	v_addc_co_u32_e32 v13, vcc, v2, v1, vcc
	v_add_u32_e32 v2, 2, v0
	v_mov_b32_e32 v6, 0
	v_cmp_gt_u64_e32 vcc, s[24:25], v[2:3]
	v_cmp_gt_u64_e64 s[0:1], s[24:25], v[5:6]
	v_mov_b32_e32 v5, v1
	v_mov_b32_e32 v1, s25
	v_cndmask_b32_e32 v6, 0, v1, vcc
	v_mov_b32_e32 v1, s24
	v_cndmask_b32_e32 v1, v2, v1, vcc
	v_not_b32_e32 v2, v0
	v_add_co_u32_e32 v1, vcc, v1, v2
	v_writelane_b32 v61, s0, 12
	v_addc_co_u32_e32 v2, vcc, -1, v6, vcc
	v_writelane_b32 v61, s1, 13
	v_cmp_lt_u64_e64 s[0:1], 3, v[1:2]
	v_and_b32_e32 v16, -4, v1
	v_writelane_b32 v61, s0, 14
	v_mov_b32_e32 v17, v2
	v_writelane_b32 v61, s1, 15
	v_cmp_ne_u64_e64 s[0:1], v[1:2], v[16:17]
	v_lshlrev_b32_e32 v14, 2, v0
	v_writelane_b32 v61, s0, 16
	v_or_b32_e32 v2, 3, v14
	v_writelane_b32 v61, s1, 17
	v_mad_u64_u32 v[18:19], s[0:1], s34, v2, 0
	v_or_b32_e32 v10, 2, v14
	v_mad_u64_u32 v[20:21], s[0:1], s34, v10, 0
	v_mov_b32_e32 v1, v19
	v_mov_b32_e32 v8, s34
	v_mad_u64_u32 v[1:2], s[0:1], s35, v2, v[1:2]
	v_mov_b32_e32 v9, s35
	v_mov_b32_e32 v2, v21
	v_mad_u64_u32 v[21:22], s[0:1], s34, v14, v[8:9]
	v_mad_u64_u32 v[8:9], s[0:1], s35, v10, v[2:3]
	v_mov_b32_e32 v2, v22
	v_mad_u64_u32 v[9:10], s[0:1], s35, v14, v[2:3]
	v_mov_b32_e32 v31, v1
	v_mov_b32_e32 v1, v3
	v_cmp_gt_u64_e64 s[0:1], s[24:25], v[0:1]
	s_waitcnt lgkmcnt(0)
	v_writelane_b32 v61, s0, 18
	v_writelane_b32 v61, s1, 19
	s_barrier
	s_load_dword s0, s[18:19], 0xc
	v_mbcnt_lo_u32_b32 v7, -1, 0
	v_mbcnt_hi_u32_b32 v28, -1, v7
	v_cmp_gt_u32_e32 vcc, 64, v0
	v_cmp_gt_i32_e64 s[12:13], 4, v28
	s_and_b64 s[44:45], vcc, s[12:13]
	s_waitcnt lgkmcnt(0)
	s_and_b32 s29, s0, 0xffff
	s_bfe_u32 s4, s0, 0xa0006
	s_cmp_gt_u32 s29, 63
	s_cselect_b64 s[0:1], -1, 0
	v_writelane_b32 v61, s0, 20
	v_writelane_b32 v61, s1, 21
	s_add_u32 s0, s29, -1
	s_addc_u32 s1, 0, -1
	s_add_u32 s55, s0, s24
	s_addc_u32 s49, s1, s25
	s_cmp_lt_u32 s6, s16
	v_writelane_b32 v61, s0, 22
	s_cselect_b32 s0, 12, 18
	s_add_u32 s50, s18, s0
	s_addc_u32 s51, s19, 0
	s_add_i32 s5, s4, -1
	s_bfe_u32 s6, s29, 0x30006
	s_and_b32 s5, s5, 0xffff
	s_cmp_gt_u32 s5, 6
	v_writelane_b32 v61, s1, 23
	s_cselect_b64 s[8:9], -1, 0
	v_writelane_b32 v61, s8, 24
	s_and_b32 s54, s4, 0x3f8
	v_lshlrev_b32_e32 v2, 2, v28
	v_writelane_b32 v61, s9, 25
	s_cmp_lg_u32 s6, 0
	v_and_b32_e32 v34, 0x100, v2
	v_lshrrev_b32_e32 v2, 1, v0
	v_writelane_b32 v61, s6, 26
	s_cselect_b64 s[4:5], -1, 0
	v_lshlrev_b64 v[6:7], v28, -1
	v_and_b32_e32 v2, 0x1e0, v2
	v_writelane_b32 v61, s4, 27
	v_or_b32_e32 v35, 0xc00, v2
	v_writelane_b32 v61, s5, 28
	v_lshlrev_b64 v[22:23], 2, v[4:5]
	v_mov_b32_e32 v2, 0xc00
	s_mul_i32 s4, s35, s29
	s_mul_hi_u32 s5, s34, s29
	v_not_b32_e32 v29, v7
	v_not_b32_e32 v30, v6
	v_mov_b32_e32 v32, v8
	v_mov_b32_e32 v33, v9
	s_mov_b32 s43, 0
	v_cmp_eq_u32_e64 s[10:11], 0, v28
	v_cmp_gt_u32_e64 s[12:13], 2, v0
	v_mov_b32_e32 v15, v3
	s_mov_b32 s28, s34
	s_mov_b32 s2, s35
	;; [unrolled: 1-line block ×7, first 2 shown]
	s_lshl_b64 s[56:57], s[34:35], 2
	v_lshl_or_b32 v36, v28, 3, v2
	s_add_i32 s33, s5, s4
	s_mul_i32 s52, s34, s29
	s_mov_b64 s[58:59], 0
	s_mov_b32 s47, 0xc0c0004
	s_mov_b32 s92, 0
	v_mov_b32_e32 v38, 0x4f800000
	v_mov_b32_e32 v39, 8
	;; [unrolled: 1-line block ×5, first 2 shown]
	v_add_co_u32_e32 v19, vcc, v16, v0
                                        ; implicit-def: $sgpr60_sgpr61
                                        ; implicit-def: $sgpr64_sgpr65
                                        ; implicit-def: $sgpr62_sgpr63
                                        ; implicit-def: $sgpr68_sgpr69
                                        ; implicit-def: $sgpr70_sgpr71
                                        ; implicit-def: $sgpr66_sgpr67
	s_branch .LBB76_11
.LBB76_8:                               ;   in Loop: Header=BB76_11 Depth=1
	s_or_b64 exec, exec, s[4:5]
	s_and_b64 s[16:17], s[16:17], exec
	s_andn2_b64 s[74:75], s[74:75], exec
	s_andn2_b64 s[6:7], s[6:7], exec
	s_orn2_b64 s[20:21], s[20:21], exec
.LBB76_9:                               ;   in Loop: Header=BB76_11 Depth=1
	s_or_b64 exec, exec, s[8:9]
	s_andn2_b64 s[4:5], s[66:67], exec
	s_and_b64 s[8:9], s[16:17], exec
	s_or_b64 s[66:67], s[4:5], s[8:9]
	s_andn2_b64 s[4:5], s[70:71], exec
	s_and_b64 s[8:9], s[74:75], exec
	s_or_b64 s[70:71], s[4:5], s[8:9]
	;; [unrolled: 3-line block ×3, first 2 shown]
	s_orn2_b64 s[6:7], s[20:21], exec
.LBB76_10:                              ;   in Loop: Header=BB76_11 Depth=1
	s_or_b64 exec, exec, s[18:19]
	s_and_b64 s[4:5], exec, s[6:7]
	s_or_b64 s[58:59], s[4:5], s[58:59]
	s_andn2_b64 s[4:5], s[62:63], exec
	s_and_b64 s[6:7], s[66:67], exec
	s_or_b64 s[62:63], s[4:5], s[6:7]
	s_andn2_b64 s[4:5], s[64:65], exec
	s_and_b64 s[6:7], s[70:71], exec
	;; [unrolled: 3-line block ×3, first 2 shown]
	v_mov_b32_e32 v25, v9
	s_or_b64 s[60:61], s[4:5], s[6:7]
	v_mov_b32_e32 v24, v8
	s_andn2_b64 exec, exec, s[58:59]
	s_cbranch_execz .LBB76_274
.LBB76_11:                              ; =>This Loop Header: Depth=1
                                        ;     Child Loop BB76_16 Depth 2
                                        ;     Child Loop BB76_30 Depth 2
	;; [unrolled: 1-line block ×17, first 2 shown]
	ds_read_b128 v[4:7], v3 offset:5120
	s_waitcnt lgkmcnt(0)
	v_readfirstlane_b32 s23, v5
	v_readfirstlane_b32 s22, v4
	s_cmp_lg_u64 s[22:23], 0
	s_cbranch_scc1 .LBB76_43
; %bb.12:                               ;   in Loop: Header=BB76_11 Depth=1
	v_readlane_b32 s4, v61, 12
	v_readlane_b32 s5, v61, 13
	s_and_b64 vcc, exec, s[4:5]
	s_cbranch_vccz .LBB76_24
; %bb.13:                               ;   in Loop: Header=BB76_11 Depth=1
	s_mov_b64 s[4:5], 0xc01
	v_cmp_gt_u64_e32 vcc, s[4:5], v[6:7]
	s_mov_b64 s[16:17], 0
	s_mov_b64 s[6:7], 0
	s_cbranch_vccz .LBB76_25
; %bb.14:                               ;   in Loop: Header=BB76_11 Depth=1
	global_load_ushort v6, v3, s[50:51]
	global_load_ubyte v2, v[12:13], off
	v_mov_b32_e32 v4, s40
	v_mov_b32_e32 v5, s41
	s_mov_b64 s[18:19], 0
	s_waitcnt vmcnt(1)
	v_and_b32_e32 v8, 0xffff, v6
	v_readfirstlane_b32 s6, v6
	v_add_co_u32_e32 v6, vcc, v0, v8
	v_addc_co_u32_e64 v7, s[4:5], 0, 0, vcc
	v_mul_lo_u32 v7, s34, v7
	v_mul_lo_u32 v9, s35, v6
	v_mad_u64_u32 v[4:5], s[4:5], s34, v6, v[4:5]
	s_and_b32 s6, 0xffff, s6
	s_mul_i32 s4, s35, s6
	s_mul_hi_u32 s5, s34, s6
	v_add3_u32 v5, v9, v5, v7
	v_mov_b32_e32 v7, v1
	s_mul_i32 s22, s34, s6
	s_add_i32 s23, s5, s4
	v_mov_b32_e32 v6, v0
	s_branch .LBB76_16
.LBB76_15:                              ;   in Loop: Header=BB76_16 Depth=2
	s_or_b64 exec, exec, s[4:5]
	v_mov_b32_e32 v2, s23
	v_add_co_u32_e32 v4, vcc, s22, v4
	v_addc_co_u32_e32 v5, vcc, v5, v2, vcc
	v_mov_b32_e32 v2, v9
	s_andn2_b64 exec, exec, s[18:19]
	s_cbranch_execz .LBB76_141
.LBB76_16:                              ;   Parent Loop BB76_11 Depth=1
                                        ; =>  This Inner Loop Header: Depth=2
	v_add_co_u32_e32 v6, vcc, v6, v8
	v_addc_co_u32_e32 v7, vcc, 0, v7, vcc
	v_cmp_gt_u64_e64 s[6:7], s[24:25], v[6:7]
	v_cmp_le_u64_e32 vcc, s[24:25], v[6:7]
	s_waitcnt lgkmcnt(0)
	v_mov_b32_e32 v10, 0
	v_mov_b32_e32 v9, 0
	s_and_saveexec_b64 s[4:5], s[6:7]
	s_cbranch_execz .LBB76_18
; %bb.17:                               ;   in Loop: Header=BB76_16 Depth=2
	global_load_ubyte v9, v[4:5], off
.LBB76_18:                              ;   in Loop: Header=BB76_16 Depth=2
	s_or_b64 exec, exec, s[4:5]
	s_waitcnt vmcnt(0)
	v_and_b32_e32 v11, v2, v40
	v_cmp_eq_u32_sdwa s[8:9], v11, v37 src0_sel:BYTE_0 src1_sel:DWORD
	s_cmp_lg_u64 s[8:9], 0
	s_cselect_b64 s[4:5], -1, 0
	s_and_b64 s[4:5], s[10:11], s[4:5]
	s_and_saveexec_b64 s[20:21], s[4:5]
	s_cbranch_execz .LBB76_22
; %bb.19:                               ;   in Loop: Header=BB76_16 Depth=2
	s_mov_b64 s[14:15], exec
	v_mbcnt_lo_u32_b32 v10, s14, 0
	v_mbcnt_hi_u32_b32 v10, s15, v10
	s_bcnt1_i32_b64 s26, s[8:9]
	v_cmp_eq_u32_e64 s[6:7], 0, v10
                                        ; implicit-def: $vgpr11
	s_and_saveexec_b64 s[4:5], s[6:7]
; %bb.20:                               ;   in Loop: Header=BB76_16 Depth=2
	s_bcnt1_i32_b64 s6, s[14:15]
	s_mul_i32 s6, s26, s6
	v_mov_b32_e32 v11, s6
	ds_add_rtn_u32 v11, v3, v11 offset:5144
; %bb.21:                               ;   in Loop: Header=BB76_16 Depth=2
	s_or_b64 exec, exec, s[4:5]
	s_waitcnt lgkmcnt(0)
	v_readfirstlane_b32 s4, v11
	v_mov_b32_e32 v11, s4
	v_mad_u32_u24 v10, s26, v10, v11
.LBB76_22:                              ;   in Loop: Header=BB76_16 Depth=2
	s_or_b64 exec, exec, s[20:21]
	ds_bpermute_b32 v10, v34, v10
	s_and_b64 s[4:5], exec, vcc
	s_or_b64 s[18:19], s[4:5], s[18:19]
	s_and_saveexec_b64 s[4:5], s[8:9]
	s_cbranch_execz .LBB76_15
; %bb.23:                               ;   in Loop: Header=BB76_16 Depth=2
	v_and_b32_e32 v26, s8, v30
	v_and_b32_e32 v11, s9, v29
	v_bcnt_u32_b32 v26, v26, 0
	v_bcnt_u32_b32 v11, v11, v26
	s_waitcnt lgkmcnt(0)
	v_add_u32_e32 v10, v10, v11
	ds_write_b8 v10, v2
	s_branch .LBB76_15
.LBB76_24:                              ;   in Loop: Header=BB76_11 Depth=1
	s_mov_b64 s[16:17], -1
	s_mov_b64 s[6:7], 0
.LBB76_25:                              ;   in Loop: Header=BB76_11 Depth=1
	s_and_b64 vcc, exec, s[16:17]
	s_cbranch_vccz .LBB76_41
.LBB76_26:                              ;   in Loop: Header=BB76_11 Depth=1
	s_mov_b64 s[18:19], exec
	v_readlane_b32 s4, v61, 18
	v_readlane_b32 s5, v61, 19
	s_and_b64 s[4:5], s[18:19], s[4:5]
	s_mov_b64 exec, s[4:5]
	s_cbranch_execz .LBB76_38
; %bb.27:                               ;   in Loop: Header=BB76_11 Depth=1
	global_load_ushort v2, v3, s[50:51]
	global_load_ubyte v42, v[12:13], off
	v_mov_b32_e32 v6, v0
	s_waitcnt vmcnt(1)
	v_readfirstlane_b32 s4, v2
	v_add_u32_sdwa v2, v2, v0 dst_sel:DWORD dst_unused:UNUSED_PAD src0_sel:WORD_0 src1_sel:DWORD
	v_cmp_gt_u64_e32 vcc, s[24:25], v[2:3]
	s_and_saveexec_b64 s[20:21], vcc
	s_cbranch_execz .LBB76_37
; %bb.28:                               ;   in Loop: Header=BB76_11 Depth=1
	s_and_b32 s4, s4, 0xffff
	s_cmp_eq_u32 s4, 1
	v_readlane_b32 s8, v61, 14
                                        ; implicit-def: $vgpr6_vgpr7
	s_cselect_b64 s[6:7], -1, 0
	v_readlane_b32 s9, v61, 15
	v_mov_b32_e32 v8, v1
	v_mov_b32_e32 v5, v3
	s_and_b64 s[8:9], s[8:9], s[6:7]
	s_mov_b64 s[6:7], -1
	v_mov_b32_e32 v7, v0
	v_mov_b32_e32 v4, v2
	s_and_saveexec_b64 s[22:23], s[8:9]
	s_cbranch_execz .LBB76_32
; %bb.29:                               ;   in Loop: Header=BB76_11 Depth=1
	v_add_co_u32_e32 v8, vcc, 3, v2
	v_addc_co_u32_e64 v9, s[6:7], 0, 0, vcc
	v_add_co_u32_e32 v6, vcc, 2, v2
	v_addc_co_u32_e64 v7, s[6:7], 0, 0, vcc
	;; [unrolled: 2-line block ×3, first 2 shown]
	v_mov_b32_e32 v27, v17
	v_mov_b32_e32 v11, v9
	s_waitcnt vmcnt(0)
	v_lshlrev_b32_e32 v44, 24, v42
	s_mov_b64 s[26:27], 0
	v_mov_b32_e32 v26, v16
	v_mov_b32_e32 v43, v0
	;; [unrolled: 1-line block ×9, first 2 shown]
.LBB76_30:                              ;   Parent Loop BB76_11 Depth=1
                                        ; =>  This Inner Loop Header: Depth=2
	v_mul_lo_u32 v42, v9, s3
	v_mul_lo_u32 v53, v8, s0
	v_mad_u64_u32 v[45:46], s[6:7], v8, s3, 0
	v_mul_lo_u32 v54, v7, s28
	v_mul_lo_u32 v55, v6, s2
	v_mad_u64_u32 v[47:48], s[6:7], v6, s28, 0
	v_mov_b32_e32 v52, s41
	v_mul_lo_u32 v56, v5, s34
	v_mul_lo_u32 v57, v4, s35
	v_mad_u64_u32 v[49:50], s[6:7], v4, s34, 0
	v_mov_b32_e32 v51, s40
	;; [unrolled: 4-line block ×3, first 2 shown]
	v_add3_u32 v42, v46, v53, v42
	v_add3_u32 v55, v48, v55, v54
	v_add_co_u32_e32 v46, vcc, s40, v47
	v_add3_u32 v50, v50, v57, v56
	v_add_co_u32_e64 v48, s[6:7], s40, v45
	v_add_co_u32_e64 v53, s[16:17], s40, v49
	v_addc_co_u32_e32 v47, vcc, v58, v55, vcc
	v_addc_co_u32_e64 v54, s[16:17], v58, v50, s[16:17]
	v_addc_co_u32_e64 v49, vcc, v58, v42, s[6:7]
	v_add3_u32 v52, v60, v52, v59
	global_load_ubyte v45, v[46:47], off
	s_nop 0
	global_load_ubyte v46, v[48:49], off
	global_load_ubyte v42, v[51:52], off
	;; [unrolled: 1-line block ×3, first 2 shown]
	v_add_co_u32_e32 v8, vcc, 4, v8
	v_addc_co_u32_e32 v9, vcc, 0, v9, vcc
	v_add_co_u32_e32 v6, vcc, 4, v6
	v_addc_co_u32_e32 v7, vcc, 0, v7, vcc
	;; [unrolled: 2-line block ×3, first 2 shown]
	v_add_co_u32_e32 v26, vcc, -4, v26
	v_addc_co_u32_e32 v27, vcc, -1, v27, vcc
	s_mov_b32 s5, 0xc0c0007
	v_cmp_eq_u64_e32 vcc, 0, v[26:27]
	v_add_co_u32_e64 v10, s[6:7], 4, v10
	v_addc_co_u32_e64 v11, s[6:7], 0, v11, s[6:7]
	s_or_b64 s[26:27], vcc, s[26:27]
	s_waitcnt vmcnt(1)
	v_perm_b32 v49, v46, v42, s47
	s_waitcnt vmcnt(0)
	v_perm_b32 v48, v47, v45, s47
	v_perm_b32 v45, v45, v46, s47
	;; [unrolled: 1-line block ×3, first 2 shown]
	v_lshl_or_b32 v46, v49, 16, v48
	v_lshl_or_b32 v44, v45, 16, v44
	ds_write_b32 v43, v44
	v_add_u32_e32 v43, 4, v43
	v_mov_b32_e32 v44, v46
	s_andn2_b64 exec, exec, s[26:27]
	s_cbranch_execnz .LBB76_30
; %bb.31:                               ;   in Loop: Header=BB76_11 Depth=1
	s_or_b64 exec, exec, s[26:27]
	v_readlane_b32 s6, v61, 16
	v_add_co_u32_e32 v4, vcc, v2, v16
	v_readlane_b32 s7, v61, 17
	v_addc_co_u32_e32 v5, vcc, 0, v17, vcc
	v_add_co_u32_e32 v6, vcc, -1, v4
	s_orn2_b64 s[6:7], s[6:7], exec
	v_mov_b32_e32 v7, v19
	v_mov_b32_e32 v8, v20
.LBB76_32:                              ;   in Loop: Header=BB76_11 Depth=1
	s_or_b64 exec, exec, s[22:23]
	s_and_saveexec_b64 s[8:9], s[6:7]
	s_cbranch_execz .LBB76_36
; %bb.33:                               ;   in Loop: Header=BB76_11 Depth=1
	v_mov_b32_e32 v8, s40
	v_mov_b32_e32 v9, s41
	v_mad_u64_u32 v[9:10], s[6:7], s34, v4, v[8:9]
	v_mul_lo_u32 v2, s34, v5
	v_mul_lo_u32 v6, s35, v4
	s_mul_i32 s6, s35, s4
	s_mul_hi_u32 s7, s34, s4
	s_mov_b64 s[16:17], 0
	s_sub_u32 s5, 0, s4
	v_add3_u32 v10, v6, v10, v2
	s_add_i32 s14, s7, s6
	s_mul_i32 s15, s34, s4
.LBB76_34:                              ;   Parent Loop BB76_11 Depth=1
                                        ; =>  This Inner Loop Header: Depth=2
	global_load_ubyte v2, v[9:10], off
	v_mov_b32_e32 v27, v5
	v_mov_b32_e32 v26, v4
	;; [unrolled: 1-line block ×3, first 2 shown]
	v_add_co_u32_e32 v9, vcc, s15, v9
	v_add_co_u32_e64 v4, s[6:7], s4, v26
	v_addc_co_u32_e64 v5, s[6:7], 0, v27, s[6:7]
	v_addc_co_u32_e32 v10, vcc, v10, v6, vcc
	v_cmp_le_u64_e32 vcc, s[24:25], v[4:5]
	s_waitcnt vmcnt(1)
	ds_write_b8 v7, v42
	v_mov_b32_e32 v7, v26
	v_add_co_u32_e64 v6, s[6:7], s5, v4
	s_or_b64 s[16:17], vcc, s[16:17]
	v_mov_b32_e32 v8, v27
	s_waitcnt vmcnt(0)
	v_mov_b32_e32 v42, v2
	s_andn2_b64 exec, exec, s[16:17]
	s_cbranch_execnz .LBB76_34
; %bb.35:                               ;   in Loop: Header=BB76_11 Depth=1
	s_or_b64 exec, exec, s[16:17]
	v_mov_b32_e32 v42, v2
.LBB76_36:                              ;   in Loop: Header=BB76_11 Depth=1
	s_or_b64 exec, exec, s[8:9]
.LBB76_37:                              ;   in Loop: Header=BB76_11 Depth=1
	s_or_b64 exec, exec, s[20:21]
	s_waitcnt vmcnt(0)
	ds_write_b8 v6, v42
.LBB76_38:                              ;   in Loop: Header=BB76_11 Depth=1
	s_or_b64 exec, exec, s[18:19]
	s_waitcnt lgkmcnt(0)
	s_barrier
	s_mov_b64 s[4:5], exec
	v_readlane_b32 s6, v61, 0
	v_readlane_b32 s7, v61, 1
	s_and_b64 s[6:7], s[4:5], s[6:7]
	s_mov_b64 exec, s[6:7]
; %bb.39:                               ;   in Loop: Header=BB76_11 Depth=1
	v_mov_b32_e32 v4, s24
	v_mov_b32_e32 v5, s25
	ds_write_b64 v3, v[4:5] offset:5120
; %bb.40:                               ;   in Loop: Header=BB76_11 Depth=1
	s_or_b64 exec, exec, s[4:5]
	s_mov_b64 s[6:7], -1
	s_waitcnt lgkmcnt(0)
	s_barrier
.LBB76_41:                              ;   in Loop: Header=BB76_11 Depth=1
	s_mov_b64 s[22:23], 0
	s_and_b64 vcc, exec, s[6:7]
	s_cbranch_vccz .LBB76_43
; %bb.42:                               ;   in Loop: Header=BB76_11 Depth=1
	ds_read_b64 v[4:5], v3 offset:5120
	s_waitcnt lgkmcnt(0)
	v_readfirstlane_b32 s22, v4
.LBB76_43:                              ;   in Loop: Header=BB76_11 Depth=1
	s_cmp_lt_i32 s22, 1
	s_mov_b64 s[6:7], -1
                                        ; implicit-def: $vgpr10_vgpr11
                                        ; implicit-def: $vgpr6_vgpr7
	s_cbranch_scc1 .LBB76_53
; %bb.44:                               ;   in Loop: Header=BB76_11 Depth=1
	s_and_b64 vcc, exec, s[6:7]
	s_cbranch_vccnz .LBB76_67
.LBB76_45:                              ;   in Loop: Header=BB76_11 Depth=1
	s_lshl_b32 s8, s92, 6
	s_and_saveexec_b64 s[4:5], s[10:11]
	s_cbranch_execz .LBB76_47
.LBB76_46:                              ;   in Loop: Header=BB76_11 Depth=1
	v_lshl_add_u32 v2, s8, 3, v35
	ds_write_b128 v2, v[4:7]
	ds_write_b128 v2, v[8:11] offset:16
.LBB76_47:                              ;   in Loop: Header=BB76_11 Depth=1
	s_or_b64 exec, exec, s[4:5]
	s_waitcnt lgkmcnt(0)
	s_barrier
	s_and_saveexec_b64 s[6:7], s[44:45]
	s_cbranch_execz .LBB76_82
; %bb.48:                               ;   in Loop: Header=BB76_11 Depth=1
	v_readlane_b32 s4, v61, 20
	v_mov_b32_e32 v4, 0
	v_readlane_b32 s5, v61, 21
	v_mov_b32_e32 v5, 0
	s_andn2_b64 vcc, exec, s[4:5]
	s_cbranch_vccnz .LBB76_81
; %bb.49:                               ;   in Loop: Header=BB76_11 Depth=1
	v_readlane_b32 s4, v61, 24
	v_readlane_b32 s5, v61, 25
	s_andn2_b64 vcc, exec, s[4:5]
	s_cbranch_vccnz .LBB76_77
; %bb.50:                               ;   in Loop: Header=BB76_11 Depth=1
	v_mov_b32_e32 v4, 0
	v_lshl_add_u32 v2, s92, 9, v36
	v_mov_b32_e32 v5, 0
	s_mov_b32 s4, 0
.LBB76_51:                              ;   Parent Loop BB76_11 Depth=1
                                        ; =>  This Inner Loop Header: Depth=2
	ds_read2_b64 v[6:9], v2 offset1:4
	ds_read2_b64 v[42:45], v2 offset0:8 offset1:12
	ds_read2_b64 v[46:49], v2 offset0:16 offset1:20
	;; [unrolled: 1-line block ×3, first 2 shown]
	s_add_i32 s4, s4, 8
	s_waitcnt lgkmcnt(3)
	v_add_co_u32_e32 v4, vcc, v6, v4
	v_addc_co_u32_e32 v5, vcc, v7, v5, vcc
	v_add_co_u32_e32 v4, vcc, v8, v4
	v_addc_co_u32_e32 v5, vcc, v9, v5, vcc
	s_waitcnt lgkmcnt(2)
	v_add_co_u32_e32 v4, vcc, v42, v4
	v_addc_co_u32_e32 v5, vcc, v43, v5, vcc
	v_add_co_u32_e32 v4, vcc, v44, v4
	v_addc_co_u32_e32 v5, vcc, v45, v5, vcc
	;; [unrolled: 5-line block ×3, first 2 shown]
	s_waitcnt lgkmcnt(0)
	v_add_co_u32_e32 v4, vcc, v50, v4
	v_addc_co_u32_e32 v5, vcc, v51, v5, vcc
	v_add_co_u32_e32 v4, vcc, v52, v4
	v_add_u32_e32 v2, 0x100, v2
	s_cmp_eq_u32 s54, s4
	v_addc_co_u32_e32 v5, vcc, v53, v5, vcc
	s_cbranch_scc0 .LBB76_51
; %bb.52:                               ;   in Loop: Header=BB76_11 Depth=1
	s_mov_b32 s4, s54
	s_branch .LBB76_78
.LBB76_53:                              ;   in Loop: Header=BB76_11 Depth=1
	global_load_ushort v2, v3, s[50:51]
	s_mov_b32 s4, s43
	s_waitcnt vmcnt(0)
	v_readfirstlane_b32 s5, v2
	s_and_b32 s8, s5, 0xffff
	s_lshl_b32 s9, s8, 2
	s_mov_b32 s5, s25
	s_cmp_lg_u64 s[4:5], 0
	s_cbranch_scc0 .LBB76_76
; %bb.54:                               ;   in Loop: Header=BB76_11 Depth=1
	v_cvt_f32_u32_e32 v2, s9
	s_sub_u32 s6, 0, s9
	s_subb_u32 s7, 0, 0
	v_mac_f32_e32 v2, 0, v38
	v_rcp_f32_e32 v2, v2
	v_mul_f32_e32 v2, 0x5f7ffffc, v2
	v_mul_f32_e32 v4, 0x2f800000, v2
	v_trunc_f32_e32 v4, v4
	v_mac_f32_e32 v2, 0xcf800000, v4
	v_cvt_u32_f32_e32 v4, v4
	v_cvt_u32_f32_e32 v2, v2
	v_readfirstlane_b32 s14, v4
	v_readfirstlane_b32 s4, v2
	s_mul_i32 s5, s6, s14
	s_mul_hi_u32 s16, s6, s4
	s_mul_i32 s15, s7, s4
	s_add_i32 s5, s16, s5
	s_mul_i32 s17, s6, s4
	s_add_i32 s5, s5, s15
	s_mul_hi_u32 s16, s4, s17
	s_mul_i32 s18, s4, s5
	s_mul_hi_u32 s15, s4, s5
	s_add_u32 s16, s16, s18
	s_addc_u32 s15, 0, s15
	s_mul_hi_u32 s19, s14, s17
	s_mul_i32 s17, s14, s17
	s_add_u32 s16, s16, s17
	s_mul_hi_u32 s18, s14, s5
	s_addc_u32 s15, s15, s19
	s_addc_u32 s16, s18, 0
	s_mul_i32 s5, s14, s5
	s_add_u32 s5, s15, s5
	s_addc_u32 s15, 0, s16
	s_add_u32 s16, s4, s5
	s_cselect_b64 s[4:5], -1, 0
	s_cmp_lg_u64 s[4:5], 0
	s_addc_u32 s14, s14, s15
	s_mul_i32 s4, s6, s14
	s_mul_hi_u32 s5, s6, s16
	s_add_i32 s4, s5, s4
	s_mul_i32 s7, s7, s16
	s_add_i32 s4, s4, s7
	s_mul_i32 s6, s6, s16
	s_mul_hi_u32 s7, s14, s6
	s_mul_i32 s15, s14, s6
	s_mul_i32 s18, s16, s4
	s_mul_hi_u32 s6, s16, s6
	s_mul_hi_u32 s17, s16, s4
	s_add_u32 s6, s6, s18
	s_addc_u32 s17, 0, s17
	s_add_u32 s6, s6, s15
	s_mul_hi_u32 s5, s14, s4
	s_addc_u32 s6, s17, s7
	s_addc_u32 s5, s5, 0
	s_mul_i32 s4, s14, s4
	s_add_u32 s4, s6, s4
	s_addc_u32 s6, 0, s5
	s_add_u32 s7, s16, s4
	s_cselect_b64 s[4:5], -1, 0
	s_cmp_lg_u64 s[4:5], 0
	s_addc_u32 s4, s14, s6
	s_mul_i32 s6, s24, s4
	s_mul_hi_u32 s14, s24, s7
	s_mul_hi_u32 s5, s24, s4
	s_add_u32 s6, s14, s6
	s_addc_u32 s5, 0, s5
	s_mul_hi_u32 s15, s25, s7
	s_mul_i32 s7, s25, s7
	s_add_u32 s6, s6, s7
	s_mul_hi_u32 s14, s25, s4
	s_addc_u32 s5, s5, s15
	s_addc_u32 s6, s14, 0
	s_mul_i32 s4, s25, s4
	s_add_u32 s4, s5, s4
	s_addc_u32 s5, 0, s6
	s_mul_i32 s5, s9, s5
	s_mul_hi_u32 s6, s9, s4
	s_add_i32 s6, s6, s5
	s_mul_i32 s4, s9, s4
	s_sub_u32 s14, s24, s4
	s_cselect_b64 s[4:5], -1, 0
	s_cmp_lg_u64 s[4:5], 0
	s_subb_u32 s6, s25, s6
	s_sub_u32 s7, s14, s9
	s_cselect_b64 s[4:5], -1, 0
	s_cmp_lg_u64 s[4:5], 0
	s_subb_u32 s15, s6, 0
	s_sub_u32 s16, s7, s9
	s_cselect_b64 s[4:5], -1, 0
	s_cmp_lg_u64 s[4:5], 0
	s_subb_u32 s4, s15, 0
	s_cmp_ge_u32 s7, s9
	s_cselect_b32 s5, -1, 0
	s_cmp_eq_u32 s15, 0
	s_cselect_b32 s5, s5, -1
	s_cmp_lg_u32 s5, 0
	s_cselect_b32 s4, s4, s15
	s_cselect_b32 s5, s16, s7
	s_cmp_ge_u32 s14, s9
	s_cselect_b32 s7, -1, 0
	s_cmp_eq_u32 s6, 0
	s_cselect_b32 s7, s7, -1
	s_cmp_lg_u32 s7, 0
	s_cselect_b32 s7, s4, s6
	s_cselect_b32 s6, s5, s14
	s_cbranch_execnz .LBB76_56
.LBB76_55:                              ;   in Loop: Header=BB76_11 Depth=1
	v_cvt_f32_u32_e32 v2, s9
	s_sub_i32 s4, 0, s9
	v_rcp_iflag_f32_e32 v2, v2
	v_mul_f32_e32 v2, 0x4f7ffffe, v2
	v_cvt_u32_f32_e32 v2, v2
	v_readfirstlane_b32 s5, v2
	s_mul_i32 s4, s4, s5
	s_mul_hi_u32 s4, s5, s4
	s_add_i32 s5, s5, s4
	s_mul_hi_u32 s4, s24, s5
	s_mul_i32 s4, s4, s9
	s_sub_i32 s4, s24, s4
	s_sub_i32 s5, s4, s9
	s_cmp_ge_u32 s4, s9
	s_cselect_b32 s4, s5, s4
	s_sub_i32 s5, s4, s9
	s_cmp_ge_u32 s4, s9
	s_cselect_b32 s42, s5, s4
	s_mov_b64 s[6:7], s[42:43]
.LBB76_56:                              ;   in Loop: Header=BB76_11 Depth=1
	s_sub_u32 s72, s24, s6
	s_subb_u32 s73, s25, s7
	v_cmp_gt_u64_e32 vcc, s[72:73], v[14:15]
	v_mov_b32_e32 v4, 0
	v_mov_b32_e32 v6, 0
	;; [unrolled: 1-line block ×8, first 2 shown]
	s_and_saveexec_b64 s[74:75], vcc
	s_cbranch_execz .LBB76_60
; %bb.57:                               ;   in Loop: Header=BB76_11 Depth=1
	s_mul_i32 s4, s57, s8
	s_mul_hi_u32 s5, s56, s8
	v_mov_b32_e32 v27, v15
	s_add_i32 s4, s5, s4
	s_mov_b64 s[76:77], 0
	s_mov_b64 s[78:79], s[40:41]
	;; [unrolled: 1-line block ×6, first 2 shown]
	v_mov_b32_e32 v26, v14
.LBB76_58:                              ;   Parent Loop BB76_11 Depth=1
                                        ; =>  This Inner Loop Header: Depth=2
	v_add_co_u32_e32 v4, vcc, s78, v22
	v_mov_b32_e32 v2, s79
	v_addc_co_u32_e32 v5, vcc, v2, v23, vcc
	global_load_ubyte v6, v[4:5], off
	v_add_co_u32_e32 v4, vcc, s78, v21
	v_addc_co_u32_e32 v5, vcc, v2, v33, vcc
	global_load_ubyte v7, v[4:5], off
	v_add_co_u32_e32 v4, vcc, s78, v20
	;; [unrolled: 3-line block ×3, first 2 shown]
	v_addc_co_u32_e32 v5, vcc, v2, v31, vcc
	global_load_ubyte v2, v[4:5], off
	s_waitcnt vmcnt(3)
	v_and_b32_e32 v4, v40, v6
	v_cmp_eq_u32_e32 vcc, v4, v37
	s_waitcnt vmcnt(2)
	v_and_b32_e32 v4, v40, v7
	v_cmp_eq_u32_e64 s[6:7], v4, v37
	v_bfe_u32 v5, v7, s46, 2
	s_waitcnt vmcnt(1)
	v_and_b32_e32 v4, v40, v8
	v_cmp_eq_u32_e64 s[16:17], v4, v37
	s_waitcnt vmcnt(0)
	v_and_b32_e32 v4, v40, v2
	v_cmp_eq_u32_e64 s[18:19], v4, v37
	v_bfe_u32 v4, v6, s46, 2
	v_cmp_eq_u32_e64 s[20:21], 0, v4
	v_bfe_u32 v6, v8, s46, 2
	s_and_b64 s[14:15], vcc, s[20:21]
	v_cmp_eq_u32_e64 s[20:21], 0, v5
	v_bfe_u32 v2, v2, s46, 2
	s_and_b64 s[26:27], s[6:7], s[20:21]
	v_cmp_eq_u32_e64 s[20:21], 0, v6
	s_and_b64 s[30:31], s[16:17], s[20:21]
	v_cmp_eq_u32_e64 s[20:21], 0, v2
	v_cndmask_b32_e64 v7, 0, 1, s[14:15]
	s_and_b64 s[36:37], s[18:19], s[20:21]
	v_cmp_ne_u32_e64 s[20:21], 0, v7
	v_cndmask_b32_e64 v7, 0, 1, s[26:27]
	s_bcnt1_i32_b64 s5, s[20:21]
	v_cmp_ne_u32_e64 s[20:21], 0, v7
	v_cndmask_b32_e64 v7, 0, 1, s[30:31]
	s_bcnt1_i32_b64 s14, s[20:21]
	;; [unrolled: 3-line block ×3, first 2 shown]
	v_cmp_ne_u32_e64 s[20:21], 0, v7
	s_bcnt1_i32_b64 s20, s[20:21]
	s_add_u32 s5, s5, s86
	s_addc_u32 s21, 0, s87
	s_add_u32 s5, s5, s14
	s_addc_u32 s14, s21, 0
	;; [unrolled: 2-line block ×3, first 2 shown]
	s_add_u32 s86, s5, s20
	v_cmp_eq_u32_e64 s[20:21], 1, v4
	s_addc_u32 s87, s14, 0
	s_and_b64 s[14:15], vcc, s[20:21]
	v_cmp_eq_u32_e64 s[20:21], 1, v5
	s_and_b64 s[26:27], s[6:7], s[20:21]
	v_cmp_eq_u32_e64 s[20:21], 1, v6
	s_and_b64 s[30:31], s[16:17], s[20:21]
	v_cmp_eq_u32_e64 s[20:21], 1, v2
	v_cndmask_b32_e64 v7, 0, 1, s[14:15]
	s_and_b64 s[36:37], s[18:19], s[20:21]
	v_cmp_ne_u32_e64 s[20:21], 0, v7
	v_cndmask_b32_e64 v7, 0, 1, s[26:27]
	s_bcnt1_i32_b64 s5, s[20:21]
	v_cmp_ne_u32_e64 s[20:21], 0, v7
	v_cndmask_b32_e64 v7, 0, 1, s[30:31]
	s_bcnt1_i32_b64 s14, s[20:21]
	;; [unrolled: 3-line block ×3, first 2 shown]
	v_cmp_ne_u32_e64 s[20:21], 0, v7
	s_bcnt1_i32_b64 s20, s[20:21]
	s_add_u32 s5, s5, s84
	s_addc_u32 s21, 0, s85
	s_add_u32 s5, s5, s14
	s_addc_u32 s14, s21, 0
	;; [unrolled: 2-line block ×3, first 2 shown]
	s_add_u32 s84, s5, s20
	v_cmp_eq_u32_e64 s[20:21], 2, v4
	s_addc_u32 s85, s14, 0
	s_and_b64 s[14:15], vcc, s[20:21]
	v_cmp_eq_u32_e64 s[20:21], 2, v5
	s_and_b64 s[26:27], s[6:7], s[20:21]
	v_cmp_eq_u32_e64 s[20:21], 2, v6
	s_and_b64 s[30:31], s[16:17], s[20:21]
	v_cmp_eq_u32_e64 s[20:21], 2, v2
	v_cndmask_b32_e64 v7, 0, 1, s[14:15]
	s_and_b64 s[36:37], s[18:19], s[20:21]
	v_cmp_ne_u32_e64 s[20:21], 0, v7
	v_cndmask_b32_e64 v7, 0, 1, s[26:27]
	s_bcnt1_i32_b64 s5, s[20:21]
	v_cmp_ne_u32_e64 s[20:21], 0, v7
	v_cndmask_b32_e64 v7, 0, 1, s[30:31]
	s_bcnt1_i32_b64 s14, s[20:21]
	;; [unrolled: 3-line block ×3, first 2 shown]
	v_cmp_ne_u32_e64 s[20:21], 0, v7
	s_bcnt1_i32_b64 s20, s[20:21]
	s_add_u32 s5, s5, s82
	s_addc_u32 s21, 0, s83
	s_add_u32 s5, s5, s14
	s_addc_u32 s14, s21, 0
	;; [unrolled: 2-line block ×3, first 2 shown]
	s_add_u32 s82, s5, s20
	v_cmp_eq_u32_e64 s[20:21], 3, v4
	s_addc_u32 s83, s14, 0
	s_and_b64 s[14:15], vcc, s[20:21]
	v_cmp_eq_u32_e32 vcc, 3, v5
	s_and_b64 s[6:7], s[6:7], vcc
	v_cmp_eq_u32_e32 vcc, 3, v6
	s_and_b64 s[16:17], s[16:17], vcc
	v_cmp_eq_u32_e32 vcc, 3, v2
	v_cndmask_b32_e64 v2, 0, 1, s[14:15]
	s_and_b64 s[18:19], s[18:19], vcc
	v_cmp_ne_u32_e32 vcc, 0, v2
	v_cndmask_b32_e64 v2, 0, 1, s[6:7]
	s_bcnt1_i32_b64 s5, vcc
	v_cmp_ne_u32_e32 vcc, 0, v2
	v_cndmask_b32_e64 v2, 0, 1, s[16:17]
	s_bcnt1_i32_b64 s6, vcc
	;; [unrolled: 3-line block ×3, first 2 shown]
	v_cmp_ne_u32_e32 vcc, 0, v2
	s_bcnt1_i32_b64 s14, vcc
	s_add_u32 s5, s5, s80
	s_addc_u32 s15, 0, s81
	s_add_u32 s5, s5, s6
	s_addc_u32 s6, s15, 0
	;; [unrolled: 2-line block ×3, first 2 shown]
	s_add_u32 s80, s5, s14
	v_add_co_u32_e32 v26, vcc, s9, v26
	s_addc_u32 s81, s6, 0
	v_addc_co_u32_e32 v27, vcc, 0, v27, vcc
	s_mul_i32 s5, s56, s8
	s_add_u32 s78, s78, s5
	v_cmp_le_u64_e32 vcc, s[72:73], v[26:27]
	s_addc_u32 s79, s79, s4
	v_mov_b32_e32 v4, s86
	v_mov_b32_e32 v6, s84
	;; [unrolled: 1-line block ×4, first 2 shown]
	s_or_b64 s[76:77], vcc, s[76:77]
	v_mov_b32_e32 v5, s87
	v_mov_b32_e32 v7, s85
	;; [unrolled: 1-line block ×4, first 2 shown]
	s_andn2_b64 exec, exec, s[76:77]
	s_cbranch_execnz .LBB76_58
; %bb.59:                               ;   in Loop: Header=BB76_11 Depth=1
	s_or_b64 exec, exec, s[76:77]
.LBB76_60:                              ;   in Loop: Header=BB76_11 Depth=1
	s_or_b64 exec, exec, s[74:75]
	v_mov_b32_e32 v2, s73
	v_add_co_u32_e32 v26, vcc, s72, v0
	v_addc_co_u32_e32 v27, vcc, 0, v2, vcc
	v_cmp_gt_u64_e32 vcc, s[24:25], v[26:27]
	s_and_saveexec_b64 s[16:17], vcc
	s_cbranch_execz .LBB76_66
; %bb.61:                               ;   in Loop: Header=BB76_11 Depth=1
	v_mov_b32_e32 v43, s41
	v_mov_b32_e32 v42, s40
	v_mad_u64_u32 v[42:43], s[4:5], v26, s34, v[42:43]
	v_mul_lo_u32 v2, v26, s35
	v_mul_lo_u32 v44, v27, s34
	s_mov_b64 s[18:19], 0
	v_add3_u32 v43, v44, v43, v2
	global_load_ubyte v42, v[42:43], off
	s_branch .LBB76_63
.LBB76_62:                              ;   in Loop: Header=BB76_63 Depth=2
	s_or_b64 exec, exec, s[4:5]
	s_waitcnt vmcnt(0)
	v_and_b32_e32 v42, 0xff, v42
	s_and_b64 s[4:5], exec, vcc
	v_and_b32_e32 v43, v40, v42
	v_bfe_u32 v42, v42, s46, 2
	s_or_b64 s[18:19], s[4:5], s[18:19]
	v_cmp_eq_u32_e32 vcc, v43, v37
	v_cmp_eq_u32_e64 s[6:7], 0, v42
	s_and_b64 s[4:5], vcc, s[6:7]
	v_cndmask_b32_e64 v43, 0, 1, s[4:5]
	v_cmp_ne_u32_e64 s[6:7], 0, v43
	s_bcnt1_i32_b64 s4, s[6:7]
	v_add_co_u32_e64 v4, s[6:7], s4, v4
	v_addc_co_u32_e64 v5, s[6:7], 0, v5, s[6:7]
	v_cmp_eq_u32_e64 s[6:7], 1, v42
	s_and_b64 s[4:5], vcc, s[6:7]
	v_cndmask_b32_e64 v43, 0, 1, s[4:5]
	v_cmp_ne_u32_e64 s[6:7], 0, v43
	s_bcnt1_i32_b64 s4, s[6:7]
	v_add_co_u32_e64 v6, s[6:7], s4, v6
	v_addc_co_u32_e64 v7, s[6:7], 0, v7, s[6:7]
	;; [unrolled: 7-line block ×3, first 2 shown]
	v_cmp_eq_u32_e64 s[6:7], 3, v42
	s_and_b64 s[4:5], vcc, s[6:7]
	v_cndmask_b32_e64 v42, 0, 1, s[4:5]
	v_cmp_ne_u32_e32 vcc, 0, v42
	s_bcnt1_i32_b64 s4, vcc
	v_add_co_u32_e32 v10, vcc, s4, v10
	v_addc_co_u32_e32 v11, vcc, 0, v11, vcc
	v_mov_b32_e32 v42, v2
	s_andn2_b64 exec, exec, s[18:19]
	s_cbranch_execz .LBB76_65
.LBB76_63:                              ;   Parent Loop BB76_11 Depth=1
                                        ; =>  This Inner Loop Header: Depth=2
	v_add_co_u32_e32 v26, vcc, s8, v26
	v_addc_co_u32_e32 v27, vcc, 0, v27, vcc
	v_cmp_gt_u64_e64 s[6:7], s[24:25], v[26:27]
	v_cmp_le_u64_e32 vcc, s[24:25], v[26:27]
	v_mov_b32_e32 v2, 0
	s_and_saveexec_b64 s[4:5], s[6:7]
	s_cbranch_execz .LBB76_62
; %bb.64:                               ;   in Loop: Header=BB76_63 Depth=2
	v_mov_b32_e32 v44, s41
	v_mov_b32_e32 v43, s40
	v_mad_u64_u32 v[43:44], s[6:7], v26, s34, v[43:44]
	v_mul_lo_u32 v2, v26, s35
	v_mul_lo_u32 v45, v27, s34
	v_add3_u32 v44, v45, v44, v2
	global_load_ubyte v2, v[43:44], off
	s_branch .LBB76_62
.LBB76_65:                              ;   in Loop: Header=BB76_11 Depth=1
	s_or_b64 exec, exec, s[18:19]
.LBB76_66:                              ;   in Loop: Header=BB76_11 Depth=1
	s_or_b64 exec, exec, s[16:17]
	s_branch .LBB76_45
.LBB76_67:                              ;   in Loop: Header=BB76_11 Depth=1
	global_load_ushort v2, v3, s[50:51]
	v_mov_b32_e32 v8, 0
	v_mov_b32_e32 v9, 0
	s_waitcnt vmcnt(0)
	v_readfirstlane_b32 s4, v2
	s_and_b32 s4, 0xffff, s4
	s_lshl_b32 s5, s4, 2
	v_cvt_f32_u32_e32 v4, s5
	s_sub_i32 s6, 0, s5
	v_rcp_iflag_f32_e32 v6, v4
	v_mov_b32_e32 v4, 0
	v_mov_b32_e32 v5, 0
	v_mul_f32_e32 v6, 0x4f7ffffe, v6
	v_cvt_u32_f32_e32 v10, v6
	v_mov_b32_e32 v6, 0
	v_mov_b32_e32 v7, 0
	v_readfirstlane_b32 s7, v10
	s_mul_i32 s6, s6, s7
	s_mul_hi_u32 s6, s7, s6
	s_add_i32 s7, s7, s6
	s_mul_hi_u32 s6, s22, s7
	s_mul_i32 s7, s6, s5
	s_sub_i32 s7, s22, s7
	s_add_i32 s8, s6, 1
	s_sub_i32 s9, s7, s5
	s_cmp_ge_u32 s7, s5
	s_cselect_b32 s6, s8, s6
	s_cselect_b32 s7, s9, s7
	s_add_i32 s8, s6, 1
	s_cmp_ge_u32 s7, s5
	s_cselect_b32 s6, s8, s6
	s_mul_hi_u32 s73, s4, s6
	s_mul_i32 s72, s4, s6
	s_lshl_b64 s[74:75], s[72:73], 2
	v_cmp_gt_u64_e32 vcc, s[74:75], v[14:15]
	v_mov_b32_e32 v10, 0
	v_mov_b32_e32 v11, 0
	s_and_saveexec_b64 s[76:77], vcc
	s_cbranch_execz .LBB76_71
; %bb.68:                               ;   in Loop: Header=BB76_11 Depth=1
	v_mov_b32_e32 v27, v15
	s_mov_b64 s[78:79], 0
	v_mov_b32_e32 v42, v14
	s_mov_b64 s[80:81], 0
	s_mov_b64 s[82:83], 0
	;; [unrolled: 1-line block ×4, first 2 shown]
	v_mov_b32_e32 v26, v14
.LBB76_69:                              ;   Parent Loop BB76_11 Depth=1
                                        ; =>  This Inner Loop Header: Depth=2
	ds_read_b32 v4, v42
	v_add_u32_e32 v42, s5, v42
	s_waitcnt lgkmcnt(0)
	v_and_b32_e32 v6, 0xff, v4
	v_bfe_u32 v7, v4, 8, 8
	v_and_b32_e32 v8, v40, v6
	v_bfe_u32 v6, v6, s46, 2
	v_lshrrev_b32_e32 v5, 24, v4
	v_bfe_u32 v4, v4, 16, 8
	v_cmp_eq_u32_e32 vcc, v8, v37
	v_and_b32_e32 v8, v40, v7
	v_bfe_u32 v7, v7, s46, 2
	v_cmp_eq_u32_e64 s[20:21], 0, v6
	v_cmp_eq_u32_e64 s[6:7], v8, v37
	v_and_b32_e32 v8, v40, v4
	v_bfe_u32 v4, v4, s46, 2
	s_and_b64 s[8:9], vcc, s[20:21]
	v_cmp_eq_u32_e64 s[20:21], 0, v7
	v_cmp_eq_u32_e64 s[16:17], v8, v37
	v_and_b32_e32 v8, v40, v5
	v_bfe_u32 v5, v5, s46, 2
	s_and_b64 s[14:15], s[6:7], s[20:21]
	v_cmp_eq_u32_e64 s[20:21], 0, v4
	v_cmp_eq_u32_e64 s[18:19], v8, v37
	s_and_b64 s[26:27], s[16:17], s[20:21]
	v_cmp_eq_u32_e64 s[20:21], 0, v5
	v_cndmask_b32_e64 v8, 0, 1, s[8:9]
	s_and_b64 s[30:31], s[18:19], s[20:21]
	v_cmp_ne_u32_e64 s[20:21], 0, v8
	v_cndmask_b32_e64 v8, 0, 1, s[14:15]
	s_bcnt1_i32_b64 s8, s[20:21]
	v_cmp_ne_u32_e64 s[20:21], 0, v8
	v_cndmask_b32_e64 v8, 0, 1, s[26:27]
	s_bcnt1_i32_b64 s9, s[20:21]
	;; [unrolled: 3-line block ×3, first 2 shown]
	v_cmp_ne_u32_e64 s[20:21], 0, v8
	s_bcnt1_i32_b64 s15, s[20:21]
	s_add_u32 s8, s8, s86
	s_addc_u32 s20, 0, s87
	s_add_u32 s8, s8, s9
	s_addc_u32 s9, s20, 0
	;; [unrolled: 2-line block ×3, first 2 shown]
	s_add_u32 s86, s8, s15
	v_cmp_eq_u32_e64 s[20:21], 1, v6
	s_addc_u32 s87, s9, 0
	s_and_b64 s[8:9], vcc, s[20:21]
	v_cmp_eq_u32_e64 s[20:21], 1, v7
	s_and_b64 s[14:15], s[6:7], s[20:21]
	v_cmp_eq_u32_e64 s[20:21], 1, v4
	s_and_b64 s[26:27], s[16:17], s[20:21]
	v_cmp_eq_u32_e64 s[20:21], 1, v5
	v_cndmask_b32_e64 v8, 0, 1, s[8:9]
	s_and_b64 s[30:31], s[18:19], s[20:21]
	v_cmp_ne_u32_e64 s[20:21], 0, v8
	v_cndmask_b32_e64 v8, 0, 1, s[14:15]
	s_bcnt1_i32_b64 s8, s[20:21]
	v_cmp_ne_u32_e64 s[20:21], 0, v8
	v_cndmask_b32_e64 v8, 0, 1, s[26:27]
	s_bcnt1_i32_b64 s9, s[20:21]
	;; [unrolled: 3-line block ×3, first 2 shown]
	v_cmp_ne_u32_e64 s[20:21], 0, v8
	s_bcnt1_i32_b64 s15, s[20:21]
	s_add_u32 s8, s8, s84
	s_addc_u32 s20, 0, s85
	s_add_u32 s8, s8, s9
	s_addc_u32 s9, s20, 0
	;; [unrolled: 2-line block ×3, first 2 shown]
	s_add_u32 s84, s8, s15
	v_cmp_eq_u32_e64 s[20:21], 2, v6
	s_addc_u32 s85, s9, 0
	s_and_b64 s[8:9], vcc, s[20:21]
	v_cmp_eq_u32_e64 s[20:21], 2, v7
	s_and_b64 s[14:15], s[6:7], s[20:21]
	v_cmp_eq_u32_e64 s[20:21], 2, v4
	s_and_b64 s[26:27], s[16:17], s[20:21]
	v_cmp_eq_u32_e64 s[20:21], 2, v5
	v_cndmask_b32_e64 v8, 0, 1, s[8:9]
	s_and_b64 s[30:31], s[18:19], s[20:21]
	v_cmp_ne_u32_e64 s[20:21], 0, v8
	v_cndmask_b32_e64 v8, 0, 1, s[14:15]
	s_bcnt1_i32_b64 s8, s[20:21]
	v_cmp_ne_u32_e64 s[20:21], 0, v8
	v_cndmask_b32_e64 v8, 0, 1, s[26:27]
	s_bcnt1_i32_b64 s9, s[20:21]
	;; [unrolled: 3-line block ×3, first 2 shown]
	v_cmp_ne_u32_e64 s[20:21], 0, v8
	s_bcnt1_i32_b64 s15, s[20:21]
	s_add_u32 s8, s8, s82
	s_addc_u32 s20, 0, s83
	s_add_u32 s8, s8, s9
	s_addc_u32 s9, s20, 0
	;; [unrolled: 2-line block ×3, first 2 shown]
	s_add_u32 s82, s8, s15
	v_cmp_eq_u32_e64 s[20:21], 3, v6
	s_addc_u32 s83, s9, 0
	s_and_b64 s[8:9], vcc, s[20:21]
	v_cmp_eq_u32_e32 vcc, 3, v7
	s_and_b64 s[6:7], s[6:7], vcc
	v_cmp_eq_u32_e32 vcc, 3, v4
	s_and_b64 s[14:15], s[16:17], vcc
	v_cmp_eq_u32_e32 vcc, 3, v5
	v_cndmask_b32_e64 v4, 0, 1, s[8:9]
	s_and_b64 s[16:17], s[18:19], vcc
	v_cmp_ne_u32_e32 vcc, 0, v4
	v_cndmask_b32_e64 v4, 0, 1, s[6:7]
	s_bcnt1_i32_b64 s8, vcc
	v_cmp_ne_u32_e32 vcc, 0, v4
	v_cndmask_b32_e64 v4, 0, 1, s[14:15]
	s_bcnt1_i32_b64 s6, vcc
	;; [unrolled: 3-line block ×3, first 2 shown]
	v_cmp_ne_u32_e32 vcc, 0, v4
	s_bcnt1_i32_b64 s9, vcc
	s_add_u32 s8, s8, s80
	s_addc_u32 s14, 0, s81
	s_add_u32 s6, s8, s6
	s_addc_u32 s8, s14, 0
	s_add_u32 s6, s6, s7
	v_add_co_u32_e32 v26, vcc, s5, v26
	s_addc_u32 s7, s8, 0
	v_addc_co_u32_e32 v27, vcc, 0, v27, vcc
	s_add_u32 s80, s6, s9
	v_cmp_le_u64_e32 vcc, s[74:75], v[26:27]
	s_addc_u32 s81, s7, 0
	v_mov_b32_e32 v4, s86
	v_mov_b32_e32 v6, s84
	;; [unrolled: 1-line block ×4, first 2 shown]
	s_or_b64 s[78:79], vcc, s[78:79]
	v_mov_b32_e32 v5, s87
	v_mov_b32_e32 v7, s85
	;; [unrolled: 1-line block ×4, first 2 shown]
	s_andn2_b64 exec, exec, s[78:79]
	s_cbranch_execnz .LBB76_69
; %bb.70:                               ;   in Loop: Header=BB76_11 Depth=1
	s_or_b64 exec, exec, s[78:79]
.LBB76_71:                              ;   in Loop: Header=BB76_11 Depth=1
	s_or_b64 exec, exec, s[76:77]
	v_mov_b32_e32 v27, s75
	v_add_co_u32_e32 v26, vcc, s74, v0
	s_and_b32 s42, s22, 0x7fffffff
	v_addc_co_u32_e32 v27, vcc, 0, v27, vcc
	v_cmp_gt_u64_e32 vcc, s[42:43], v[26:27]
	s_and_saveexec_b64 s[26:27], vcc
	s_cbranch_execz .LBB76_75
; %bb.72:                               ;   in Loop: Header=BB76_11 Depth=1
	v_lshl_add_u32 v42, s72, 2, v0
	s_mov_b64 s[30:31], 0
.LBB76_73:                              ;   Parent Loop BB76_11 Depth=1
                                        ; =>  This Inner Loop Header: Depth=2
	ds_read_u8 v43, v42
	v_add_co_u32_sdwa v26, vcc, v26, v2 dst_sel:DWORD dst_unused:UNUSED_PAD src0_sel:DWORD src1_sel:WORD_0
	v_addc_co_u32_e32 v27, vcc, 0, v27, vcc
	s_waitcnt lgkmcnt(0)
	v_and_b32_e32 v44, v40, v43
	v_bfe_u32 v43, v43, s46, 2
	v_cmp_eq_u32_e64 s[6:7], v44, v37
	v_cmp_eq_u32_e64 s[16:17], 0, v43
	;; [unrolled: 1-line block ×3, first 2 shown]
	s_and_b64 s[8:9], s[6:7], s[16:17]
	v_cmp_eq_u32_e64 s[20:21], 2, v43
	v_cmp_eq_u32_e64 s[22:23], 3, v43
	v_cndmask_b32_e64 v43, 0, 1, s[8:9]
	s_and_b64 s[8:9], s[6:7], s[18:19]
	v_cndmask_b32_e64 v44, 0, 1, s[8:9]
	s_and_b64 s[8:9], s[6:7], s[20:21]
	s_and_b64 s[6:7], s[6:7], s[22:23]
	v_cndmask_b32_e64 v46, 0, 1, s[6:7]
	v_cmp_ne_u32_e64 s[6:7], 0, v43
	s_bcnt1_i32_b64 s5, s[6:7]
	v_cmp_ne_u32_e64 s[16:17], 0, v44
	v_add_co_u32_e64 v4, s[6:7], s5, v4
	v_cndmask_b32_e64 v45, 0, 1, s[8:9]
	s_bcnt1_i32_b64 s8, s[16:17]
	v_addc_co_u32_e64 v5, s[6:7], 0, v5, s[6:7]
	v_cmp_le_u64_e32 vcc, s[42:43], v[26:27]
	v_cmp_ne_u32_e64 s[18:19], 0, v45
	v_cmp_ne_u32_e64 s[20:21], 0, v46
	v_add_co_u32_e64 v6, s[6:7], s8, v6
	s_bcnt1_i32_b64 s9, s[18:19]
	s_bcnt1_i32_b64 s14, s[20:21]
	v_addc_co_u32_e64 v7, s[6:7], 0, v7, s[6:7]
	v_add_co_u32_e64 v8, s[6:7], s9, v8
	s_or_b64 s[30:31], vcc, s[30:31]
	v_add_co_u32_e32 v10, vcc, s14, v10
	v_add_u32_e32 v42, s4, v42
	v_addc_co_u32_e64 v9, s[6:7], 0, v9, s[6:7]
	v_addc_co_u32_e32 v11, vcc, 0, v11, vcc
	s_andn2_b64 exec, exec, s[30:31]
	s_cbranch_execnz .LBB76_73
; %bb.74:                               ;   in Loop: Header=BB76_11 Depth=1
	s_or_b64 exec, exec, s[30:31]
.LBB76_75:                              ;   in Loop: Header=BB76_11 Depth=1
	s_or_b64 exec, exec, s[26:27]
	s_lshl_b32 s8, s92, 6
	s_and_saveexec_b64 s[4:5], s[10:11]
	s_cbranch_execnz .LBB76_46
	s_branch .LBB76_47
.LBB76_76:                              ;   in Loop: Header=BB76_11 Depth=1
                                        ; implicit-def: $sgpr6_sgpr7
	s_branch .LBB76_55
.LBB76_77:                              ;   in Loop: Header=BB76_11 Depth=1
	v_mov_b32_e32 v4, 0
	v_mov_b32_e32 v5, 0
	s_mov_b32 s4, 0
.LBB76_78:                              ;   in Loop: Header=BB76_11 Depth=1
	v_readlane_b32 s14, v61, 27
	v_readlane_b32 s15, v61, 28
	s_andn2_b64 vcc, exec, s[14:15]
	s_cbranch_vccnz .LBB76_81
; %bb.79:                               ;   in Loop: Header=BB76_11 Depth=1
	s_lshl_b32 s5, s92, 9
	s_lshl_b32 s4, s4, 5
	s_add_i32 s5, s5, s4
	v_add_u32_e32 v2, s5, v36
	v_readlane_b32 s4, v61, 26
.LBB76_80:                              ;   Parent Loop BB76_11 Depth=1
                                        ; =>  This Inner Loop Header: Depth=2
	ds_read_b64 v[6:7], v2
	s_add_i32 s4, s4, -1
	v_add_u32_e32 v2, 32, v2
	s_cmp_lg_u32 s4, 0
	s_waitcnt lgkmcnt(0)
	v_add_co_u32_e32 v4, vcc, v6, v4
	v_addc_co_u32_e32 v5, vcc, v7, v5, vcc
	s_cbranch_scc1 .LBB76_80
.LBB76_81:                              ;   in Loop: Header=BB76_11 Depth=1
	v_add_lshl_u32 v2, s8, v28, 3
	ds_write_b64 v2, v[4:5] offset:3072
.LBB76_82:                              ;   in Loop: Header=BB76_11 Depth=1
	s_or_b64 exec, exec, s[6:7]
	s_lshl_b32 s4, s8, 3
	v_mov_b32_e32 v2, s4
	s_waitcnt lgkmcnt(0)
	s_barrier
	ds_read_b128 v[8:11], v2 offset:3088
	ds_read_b128 v[4:7], v2 offset:3072
	v_cmp_eq_u64_e64 s[6:7], 1, v[24:25]
	s_lshl_b32 s93, 3, s46
	s_not_b32 s14, s93
	s_waitcnt lgkmcnt(1)
	v_readfirstlane_b32 s72, v8
	s_waitcnt lgkmcnt(0)
	v_cmp_eq_u64_e32 vcc, 1, v[4:5]
	v_readfirstlane_b32 s73, v9
	v_readfirstlane_b32 s16, v10
	;; [unrolled: 1-line block ×3, first 2 shown]
	s_and_b64 s[20:21], vcc, s[6:7]
	s_mov_b64 s[6:7], -1
	s_mov_b64 s[8:9], -1
                                        ; implicit-def: $sgpr74_sgpr75
                                        ; implicit-def: $sgpr22_sgpr23
	s_and_saveexec_b64 s[18:19], s[20:21]
	s_cbranch_execz .LBB76_114
; %bb.83:                               ;   in Loop: Header=BB76_11 Depth=1
	ds_read_b64 v[8:9], v3 offset:5120
	s_waitcnt lgkmcnt(0)
	s_barrier
	v_readfirstlane_b32 s26, v8
	v_readfirstlane_b32 s27, v9
	s_and_saveexec_b64 s[4:5], s[12:13]
; %bb.84:                               ;   in Loop: Header=BB76_11 Depth=1
	ds_write_b8 v0, v3 offset:3072
; %bb.85:                               ;   in Loop: Header=BB76_11 Depth=1
	s_or_b64 exec, exec, s[4:5]
	v_and_b32_e32 v37, s14, v37
	v_or_b32_e32 v40, s93, v40
	s_mov_b64 s[22:23], -1
	s_mov_b64 s[74:75], 0
	s_cmp_eq_u64 s[26:27], 0
	s_mov_b64 s[76:77], 0
	s_mov_b64 s[30:31], -1
	s_waitcnt lgkmcnt(0)
	s_barrier
                                        ; implicit-def: $vgpr41
	s_cbranch_scc1 .LBB76_99
; %bb.86:                               ;   in Loop: Header=BB76_11 Depth=1
	v_readlane_b32 s4, v61, 22
	s_add_u32 s15, s26, s4
	v_readlane_b32 s4, v61, 23
	s_addc_u32 s77, s27, s4
	s_mov_b32 s76, s43
	s_cmp_lg_u64 s[76:77], 0
	s_cbranch_scc0 .LBB76_140
; %bb.87:                               ;   in Loop: Header=BB76_11 Depth=1
	v_cvt_f32_u32_e32 v2, s29
	s_sub_u32 s8, 0, s29
	s_subb_u32 s9, 0, 0
	v_mac_f32_e32 v2, 0, v38
	v_rcp_f32_e32 v2, v2
	v_mul_f32_e32 v2, 0x5f7ffffc, v2
	v_mul_f32_e32 v8, 0x2f800000, v2
	v_trunc_f32_e32 v8, v8
	v_mac_f32_e32 v2, 0xcf800000, v8
	v_cvt_u32_f32_e32 v8, v8
	v_cvt_u32_f32_e32 v2, v2
	v_readfirstlane_b32 s30, v8
	v_readfirstlane_b32 s4, v2
	s_mul_i32 s5, s8, s30
	s_mul_hi_u32 s36, s8, s4
	s_mul_i32 s31, s9, s4
	s_add_i32 s5, s36, s5
	s_mul_i32 s37, s8, s4
	s_add_i32 s5, s5, s31
	s_mul_hi_u32 s36, s4, s37
	s_mul_i32 s38, s4, s5
	s_mul_hi_u32 s31, s4, s5
	s_add_u32 s36, s36, s38
	s_addc_u32 s31, 0, s31
	s_mul_hi_u32 s39, s30, s37
	s_mul_i32 s37, s30, s37
	s_add_u32 s36, s36, s37
	s_mul_hi_u32 s38, s30, s5
	s_addc_u32 s31, s31, s39
	s_addc_u32 s36, s38, 0
	s_mul_i32 s5, s30, s5
	s_add_u32 s5, s31, s5
	s_addc_u32 s31, 0, s36
	s_add_u32 s36, s4, s5
	s_cselect_b64 s[4:5], -1, 0
	s_cmp_lg_u64 s[4:5], 0
	s_addc_u32 s30, s30, s31
	s_mul_i32 s4, s8, s30
	s_mul_hi_u32 s5, s8, s36
	s_add_i32 s4, s5, s4
	s_mul_i32 s9, s9, s36
	s_add_i32 s4, s4, s9
	s_mul_i32 s8, s8, s36
	s_mul_hi_u32 s9, s30, s8
	s_mul_i32 s31, s30, s8
	s_mul_i32 s38, s36, s4
	s_mul_hi_u32 s8, s36, s8
	s_mul_hi_u32 s37, s36, s4
	s_add_u32 s8, s8, s38
	s_addc_u32 s37, 0, s37
	s_add_u32 s8, s8, s31
	s_mul_hi_u32 s5, s30, s4
	s_addc_u32 s8, s37, s9
	s_addc_u32 s5, s5, 0
	s_mul_i32 s4, s30, s4
	s_add_u32 s4, s8, s4
	s_addc_u32 s8, 0, s5
	s_add_u32 s9, s36, s4
	s_cselect_b64 s[4:5], -1, 0
	s_cmp_lg_u64 s[4:5], 0
	s_addc_u32 s4, s30, s8
	s_mul_i32 s8, s15, s4
	s_mul_hi_u32 s30, s15, s9
	s_mul_hi_u32 s5, s15, s4
	s_add_u32 s8, s30, s8
	s_addc_u32 s5, 0, s5
	s_mul_hi_u32 s31, s77, s9
	s_mul_i32 s9, s77, s9
	s_add_u32 s8, s8, s9
	s_mul_hi_u32 s30, s77, s4
	s_addc_u32 s5, s5, s31
	s_addc_u32 s8, s30, 0
	s_mul_i32 s4, s77, s4
	s_add_u32 s4, s5, s4
	s_addc_u32 s5, 0, s8
	s_mul_i32 s5, s29, s5
	s_mul_hi_u32 s8, s29, s4
	s_add_i32 s8, s8, s5
	s_mul_i32 s4, s29, s4
	s_sub_u32 s30, s15, s4
	s_cselect_b64 s[4:5], -1, 0
	s_cmp_lg_u64 s[4:5], 0
	s_subb_u32 s8, s77, s8
	s_sub_u32 s9, s30, s29
	s_cselect_b64 s[4:5], -1, 0
	s_cmp_lg_u64 s[4:5], 0
	s_subb_u32 s31, s8, 0
	;; [unrolled: 4-line block ×3, first 2 shown]
	s_cmp_ge_u32 s9, s29
	s_cselect_b32 s5, -1, 0
	s_cmp_eq_u32 s31, 0
	s_cselect_b32 s5, s5, -1
	s_cmp_lg_u32 s5, 0
	s_cselect_b32 s4, s4, s31
	s_cselect_b32 s5, s36, s9
	s_cmp_ge_u32 s30, s29
	s_cselect_b32 s9, -1, 0
	s_cmp_eq_u32 s8, 0
	s_cselect_b32 s9, s9, -1
	s_cmp_lg_u32 s9, 0
	s_cselect_b32 s9, s4, s8
	s_cselect_b32 s8, s5, s30
	s_cbranch_execnz .LBB76_89
.LBB76_88:                              ;   in Loop: Header=BB76_11 Depth=1
	v_cvt_f32_u32_e32 v2, s29
	s_sub_i32 s4, 0, s29
	v_rcp_iflag_f32_e32 v2, v2
	v_mul_f32_e32 v2, 0x4f7ffffe, v2
	v_cvt_u32_f32_e32 v2, v2
	v_readfirstlane_b32 s5, v2
	s_mul_i32 s4, s4, s5
	s_mul_hi_u32 s4, s5, s4
	s_add_i32 s5, s5, s4
	s_mul_hi_u32 s4, s15, s5
	s_mul_i32 s4, s4, s29
	s_sub_i32 s4, s15, s4
	s_sub_i32 s5, s4, s29
	s_cmp_ge_u32 s4, s29
	s_cselect_b32 s4, s5, s4
	s_sub_i32 s5, s4, s29
	s_cmp_ge_u32 s4, s29
	s_cselect_b32 s42, s5, s4
	s_mov_b64 s[8:9], s[42:43]
.LBB76_89:                              ;   in Loop: Header=BB76_11 Depth=1
	s_sub_u32 s38, s15, s8
	s_subb_u32 s39, s77, s9
	v_cmp_gt_u64_e32 vcc, s[38:39], v[0:1]
	s_mov_b64 s[30:31], 0
	s_mov_b64 s[76:77], 0
                                        ; implicit-def: $vgpr41
	s_and_saveexec_b64 s[36:37], vcc
	s_cbranch_execz .LBB76_98
; %bb.90:                               ;   in Loop: Header=BB76_11 Depth=1
	v_mov_b32_e32 v9, v1
	v_mov_b32_e32 v2, v0
	;; [unrolled: 1-line block ×3, first 2 shown]
                                        ; implicit-def: $sgpr8_sgpr9
	s_branch .LBB76_93
.LBB76_91:                              ;   in Loop: Header=BB76_93 Depth=2
	s_or_b64 exec, exec, s[4:5]
	s_waitcnt lgkmcnt(0)
	s_barrier
	ds_read_u16 v10, v3 offset:3072
	s_mov_b64 s[4:5], -1
	s_waitcnt lgkmcnt(0)
	s_barrier
	v_cmp_ne_u32_sdwa s[78:79], v10, v3 src0_sel:BYTE_0 src1_sel:DWORD
	s_and_b64 vcc, exec, s[78:79]
	s_mov_b64 s[78:79], -1
	s_cbranch_vccz .LBB76_96
.LBB76_92:                              ;   in Loop: Header=BB76_93 Depth=2
	s_and_b64 s[4:5], exec, s[4:5]
	s_or_b64 s[76:77], s[4:5], s[76:77]
	s_andn2_b64 s[4:5], s[8:9], exec
	s_and_b64 s[8:9], s[78:79], exec
	s_or_b64 s[8:9], s[4:5], s[8:9]
	s_andn2_b64 exec, exec, s[76:77]
	s_cbranch_execz .LBB76_97
.LBB76_93:                              ;   Parent Loop BB76_11 Depth=1
                                        ; =>  This Inner Loop Header: Depth=2
	v_cmp_gt_u64_e32 vcc, s[26:27], v[8:9]
	s_and_saveexec_b64 s[4:5], vcc
	s_cbranch_execz .LBB76_91
; %bb.94:                               ;   in Loop: Header=BB76_93 Depth=2
	ds_read_u8 v10, v2
	s_waitcnt lgkmcnt(0)
	v_and_b32_e32 v11, v10, v40
	v_cmp_eq_u32_sdwa s[78:79], v11, v37 src0_sel:BYTE_0 src1_sel:DWORD
	s_and_b64 exec, exec, s[78:79]
	s_cbranch_execz .LBB76_91
; %bb.95:                               ;   in Loop: Header=BB76_93 Depth=2
	v_lshlrev_b16_e32 v10, 8, v10
	v_or_b32_e32 v10, 1, v10
	ds_write_b16 v3, v10 offset:3072
	s_branch .LBB76_91
.LBB76_96:                              ;   in Loop: Header=BB76_93 Depth=2
	v_add_co_u32_e32 v8, vcc, s29, v8
	v_addc_co_u32_e32 v9, vcc, 0, v9, vcc
	v_cmp_le_u64_e32 vcc, s[38:39], v[8:9]
	v_add_u32_e32 v2, s29, v2
	s_mov_b64 s[78:79], 0
	s_orn2_b64 s[4:5], vcc, exec
	s_branch .LBB76_92
.LBB76_97:                              ;   in Loop: Header=BB76_11 Depth=1
	s_or_b64 exec, exec, s[76:77]
	v_lshrrev_b32_sdwa v41, v39, v10 dst_sel:DWORD dst_unused:UNUSED_PAD src0_sel:DWORD src1_sel:WORD_0
	s_and_b64 s[76:77], s[8:9], exec
.LBB76_98:                              ;   in Loop: Header=BB76_11 Depth=1
	s_or_b64 exec, exec, s[36:37]
.LBB76_99:                              ;   in Loop: Header=BB76_11 Depth=1
	s_and_b64 vcc, exec, s[30:31]
	s_cbranch_vccz .LBB76_113
; %bb.100:                              ;   in Loop: Header=BB76_11 Depth=1
	s_mov_b32 s48, s43
	s_cmp_lg_u64 s[48:49], 0
	s_cbranch_scc0 .LBB76_144
; %bb.101:                              ;   in Loop: Header=BB76_11 Depth=1
	v_cvt_f32_u32_e32 v2, s29
	s_sub_u32 s8, 0, s29
	s_subb_u32 s9, 0, 0
	v_mac_f32_e32 v2, 0, v38
	v_rcp_f32_e32 v2, v2
	v_mul_f32_e32 v2, 0x5f7ffffc, v2
	v_mul_f32_e32 v8, 0x2f800000, v2
	v_trunc_f32_e32 v8, v8
	v_mac_f32_e32 v2, 0xcf800000, v8
	v_cvt_u32_f32_e32 v8, v8
	v_cvt_u32_f32_e32 v2, v2
	v_readfirstlane_b32 s15, v8
	v_readfirstlane_b32 s4, v2
	s_mul_i32 s5, s8, s15
	s_mul_hi_u32 s23, s8, s4
	s_mul_i32 s22, s9, s4
	s_add_i32 s5, s23, s5
	s_mul_i32 s26, s8, s4
	s_add_i32 s5, s5, s22
	s_mul_hi_u32 s23, s4, s26
	s_mul_i32 s27, s4, s5
	s_mul_hi_u32 s22, s4, s5
	s_add_u32 s23, s23, s27
	s_addc_u32 s22, 0, s22
	s_mul_hi_u32 s30, s15, s26
	s_mul_i32 s26, s15, s26
	s_add_u32 s23, s23, s26
	s_mul_hi_u32 s27, s15, s5
	s_addc_u32 s22, s22, s30
	s_addc_u32 s23, s27, 0
	s_mul_i32 s5, s15, s5
	s_add_u32 s5, s22, s5
	s_addc_u32 s22, 0, s23
	s_add_u32 s23, s4, s5
	s_cselect_b64 s[4:5], -1, 0
	s_cmp_lg_u64 s[4:5], 0
	s_addc_u32 s15, s15, s22
	s_mul_i32 s4, s8, s15
	s_mul_hi_u32 s5, s8, s23
	s_add_i32 s4, s5, s4
	s_mul_i32 s9, s9, s23
	s_add_i32 s4, s4, s9
	s_mul_i32 s8, s8, s23
	s_mul_hi_u32 s9, s15, s8
	s_mul_i32 s22, s15, s8
	s_mul_i32 s27, s23, s4
	s_mul_hi_u32 s8, s23, s8
	s_mul_hi_u32 s26, s23, s4
	s_add_u32 s8, s8, s27
	s_addc_u32 s26, 0, s26
	s_add_u32 s8, s8, s22
	s_mul_hi_u32 s5, s15, s4
	s_addc_u32 s8, s26, s9
	s_addc_u32 s5, s5, 0
	s_mul_i32 s4, s15, s4
	s_add_u32 s4, s8, s4
	s_addc_u32 s8, 0, s5
	s_add_u32 s9, s23, s4
	s_cselect_b64 s[4:5], -1, 0
	s_cmp_lg_u64 s[4:5], 0
	s_addc_u32 s4, s15, s8
	s_mul_i32 s8, s55, s4
	s_mul_hi_u32 s15, s55, s9
	s_mul_hi_u32 s5, s55, s4
	s_add_u32 s8, s15, s8
	s_addc_u32 s5, 0, s5
	s_mul_hi_u32 s22, s49, s9
	s_mul_i32 s9, s49, s9
	s_add_u32 s8, s8, s9
	s_mul_hi_u32 s15, s49, s4
	s_addc_u32 s5, s5, s22
	s_addc_u32 s8, s15, 0
	s_mul_i32 s4, s49, s4
	s_add_u32 s4, s5, s4
	s_addc_u32 s5, 0, s8
	s_mul_i32 s5, s29, s5
	s_mul_hi_u32 s8, s29, s4
	s_add_i32 s8, s8, s5
	s_mul_i32 s4, s29, s4
	s_sub_u32 s15, s55, s4
	s_cselect_b64 s[4:5], -1, 0
	s_cmp_lg_u64 s[4:5], 0
	s_subb_u32 s8, s49, s8
	s_sub_u32 s9, s15, s29
	s_cselect_b64 s[4:5], -1, 0
	s_cmp_lg_u64 s[4:5], 0
	s_subb_u32 s22, s8, 0
	;; [unrolled: 4-line block ×3, first 2 shown]
	s_cmp_ge_u32 s9, s29
	s_cselect_b32 s5, -1, 0
	s_cmp_eq_u32 s22, 0
	s_cselect_b32 s5, s5, -1
	s_cmp_lg_u32 s5, 0
	s_cselect_b32 s4, s4, s22
	s_cselect_b32 s5, s23, s9
	s_cmp_ge_u32 s15, s29
	s_cselect_b32 s9, -1, 0
	s_cmp_eq_u32 s8, 0
	s_cselect_b32 s9, s9, -1
	s_cmp_lg_u32 s9, 0
	s_cselect_b32 s9, s4, s8
	s_cselect_b32 s8, s5, s15
	s_cbranch_execnz .LBB76_103
.LBB76_102:                             ;   in Loop: Header=BB76_11 Depth=1
	v_cvt_f32_u32_e32 v2, s29
	s_sub_i32 s4, 0, s29
	v_rcp_iflag_f32_e32 v2, v2
	v_mul_f32_e32 v2, 0x4f7ffffe, v2
	v_cvt_u32_f32_e32 v2, v2
	v_readfirstlane_b32 s5, v2
	s_mul_i32 s4, s4, s5
	s_mul_hi_u32 s4, s5, s4
	s_add_i32 s5, s5, s4
	s_mul_hi_u32 s4, s55, s5
	s_mul_i32 s4, s4, s29
	s_sub_i32 s4, s55, s4
	s_sub_i32 s5, s4, s29
	s_cmp_ge_u32 s4, s29
	s_cselect_b32 s4, s5, s4
	s_sub_i32 s5, s4, s29
	s_cmp_ge_u32 s4, s29
	s_cselect_b32 s42, s5, s4
	s_mov_b64 s[8:9], s[42:43]
.LBB76_103:                             ;   in Loop: Header=BB76_11 Depth=1
	s_sub_u32 s26, s55, s8
	s_subb_u32 s27, s49, s9
	v_cmp_gt_u64_e32 vcc, s[26:27], v[0:1]
                                        ; implicit-def: $vgpr41
	s_and_saveexec_b64 s[22:23], vcc
	s_cbranch_execz .LBB76_112
; %bb.104:                              ;   in Loop: Header=BB76_11 Depth=1
	v_mov_b32_e32 v8, v12
	v_mov_b32_e32 v11, v1
	s_mov_b64 s[30:31], 0
	v_mov_b32_e32 v9, v13
	v_mov_b32_e32 v10, v0
                                        ; implicit-def: $sgpr36_sgpr37
	s_branch .LBB76_107
.LBB76_105:                             ;   in Loop: Header=BB76_107 Depth=2
	s_or_b64 exec, exec, s[4:5]
	s_waitcnt lgkmcnt(0)
	s_barrier
	ds_read_u16 v2, v3 offset:3072
	s_mov_b64 s[4:5], -1
	s_waitcnt lgkmcnt(0)
	s_barrier
	v_cmp_ne_u32_sdwa s[8:9], v2, v3 src0_sel:BYTE_0 src1_sel:DWORD
	s_and_b64 vcc, exec, s[8:9]
	s_mov_b64 s[8:9], -1
	s_cbranch_vccz .LBB76_110
.LBB76_106:                             ;   in Loop: Header=BB76_107 Depth=2
	s_and_b64 s[4:5], exec, s[4:5]
	s_or_b64 s[30:31], s[4:5], s[30:31]
	s_andn2_b64 s[4:5], s[36:37], exec
	s_and_b64 s[8:9], s[8:9], exec
	s_or_b64 s[36:37], s[4:5], s[8:9]
	s_andn2_b64 exec, exec, s[30:31]
	s_cbranch_execz .LBB76_111
.LBB76_107:                             ;   Parent Loop BB76_11 Depth=1
                                        ; =>  This Inner Loop Header: Depth=2
	v_cmp_gt_u64_e32 vcc, s[24:25], v[10:11]
	s_and_saveexec_b64 s[4:5], vcc
	s_cbranch_execz .LBB76_105
; %bb.108:                              ;   in Loop: Header=BB76_107 Depth=2
	global_load_ubyte v2, v[8:9], off
	s_waitcnt vmcnt(0)
	v_and_b32_e32 v26, v2, v40
	v_cmp_eq_u32_sdwa s[8:9], v26, v37 src0_sel:BYTE_0 src1_sel:DWORD
	s_and_b64 exec, exec, s[8:9]
	s_cbranch_execz .LBB76_105
; %bb.109:                              ;   in Loop: Header=BB76_107 Depth=2
	v_lshlrev_b16_e32 v2, 8, v2
	v_or_b32_e32 v2, 1, v2
	ds_write_b16 v3, v2 offset:3072
	s_branch .LBB76_105
.LBB76_110:                             ;   in Loop: Header=BB76_107 Depth=2
	v_add_co_u32_e32 v10, vcc, s29, v10
	v_addc_co_u32_e32 v11, vcc, 0, v11, vcc
	v_mov_b32_e32 v26, s33
	v_add_co_u32_e32 v8, vcc, s52, v8
	v_addc_co_u32_e32 v9, vcc, v9, v26, vcc
	v_cmp_le_u64_e32 vcc, s[26:27], v[10:11]
	s_mov_b64 s[8:9], 0
	s_orn2_b64 s[4:5], vcc, exec
	s_branch .LBB76_106
.LBB76_111:                             ;   in Loop: Header=BB76_11 Depth=1
	s_or_b64 exec, exec, s[30:31]
	s_andn2_b64 s[4:5], s[76:77], exec
	s_and_b64 s[8:9], s[36:37], exec
	v_lshrrev_b32_sdwa v41, v39, v2 dst_sel:DWORD dst_unused:UNUSED_PAD src0_sel:DWORD src1_sel:WORD_0
	s_or_b64 s[76:77], s[4:5], s[8:9]
.LBB76_112:                             ;   in Loop: Header=BB76_11 Depth=1
	s_or_b64 exec, exec, s[22:23]
	s_mov_b64 s[22:23], 0
	s_mov_b64 s[74:75], -1
.LBB76_113:                             ;   in Loop: Header=BB76_11 Depth=1
	s_orn2_b64 s[8:9], s[76:77], exec
.LBB76_114:                             ;   in Loop: Header=BB76_11 Depth=1
	s_or_b64 exec, exec, s[18:19]
	s_andn2_b64 s[4:5], s[70:71], exec
	s_and_b64 s[18:19], s[74:75], exec
	s_or_b64 s[70:71], s[4:5], s[18:19]
	s_andn2_b64 s[4:5], s[68:69], exec
	s_and_b64 s[18:19], s[22:23], exec
	s_andn2_b64 s[66:67], s[66:67], exec
	s_or_b64 s[68:69], s[4:5], s[18:19]
                                        ; implicit-def: $vgpr8_vgpr9
	s_and_saveexec_b64 s[18:19], s[8:9]
	s_cbranch_execz .LBB76_10
; %bb.115:                              ;   in Loop: Header=BB76_11 Depth=1
	v_mov_b32_e32 v8, 1
	s_xor_b64 s[4:5], s[20:21], -1
	v_mov_b32_e32 v2, 1
	v_mov_b32_e32 v9, 0
	s_mov_b64 s[22:23], 0
	s_and_saveexec_b64 s[6:7], s[4:5]
	s_cbranch_execz .LBB76_124
; %bb.116:                              ;   in Loop: Header=BB76_11 Depth=1
	v_cmp_le_u64_e32 vcc, v[24:25], v[4:5]
	s_and_saveexec_b64 s[4:5], vcc
	s_xor_b64 s[8:9], exec, s[4:5]
	s_cbranch_execz .LBB76_121
; %bb.117:                              ;   in Loop: Header=BB76_11 Depth=1
	ds_read_b64 v[8:9], v3 offset:5120
	v_and_b32_e32 v37, s14, v37
	v_or_b32_e32 v40, s93, v40
	s_waitcnt lgkmcnt(0)
	v_cmp_ne_u64_e32 vcc, 0, v[8:9]
	s_cbranch_vccnz .LBB76_121
; %bb.118:                              ;   in Loop: Header=BB76_11 Depth=1
	s_mov_b64 s[4:5], exec
	v_readlane_b32 s20, v61, 0
	v_readlane_b32 s21, v61, 1
	s_and_b64 s[20:21], s[4:5], s[20:21]
	s_mov_b64 exec, s[20:21]
; %bb.119:                              ;   in Loop: Header=BB76_11 Depth=1
	ds_write_b64 v3, v[4:5] offset:5128
; %bb.120:                              ;   in Loop: Header=BB76_11 Depth=1
	s_or_b64 exec, exec, s[4:5]
	s_waitcnt lgkmcnt(0)
	s_barrier
.LBB76_121:                             ;   in Loop: Header=BB76_11 Depth=1
	s_or_saveexec_b64 s[8:9], s[8:9]
	s_mov_b64 s[20:21], 0
	v_mov_b32_e32 v2, 8
	s_xor_b64 exec, exec, s[8:9]
; %bb.122:                              ;   in Loop: Header=BB76_11 Depth=1
	v_sub_co_u32_e32 v24, vcc, v24, v4
	s_mov_b64 s[20:21], exec
	v_subb_co_u32_e32 v25, vcc, v25, v5, vcc
	v_mov_b32_e32 v2, 0
; %bb.123:                              ;   in Loop: Header=BB76_11 Depth=1
	s_or_b64 exec, exec, s[8:9]
	v_mov_b32_e32 v8, v24
	s_and_b64 s[22:23], s[20:21], exec
	v_mov_b32_e32 v9, v25
.LBB76_124:                             ;   in Loop: Header=BB76_11 Depth=1
	s_or_b64 exec, exec, s[6:7]
	s_mov_b64 s[20:21], -1
	s_mov_b64 s[8:9], -1
                                        ; implicit-def: $sgpr6_sgpr7
                                        ; implicit-def: $sgpr74_sgpr75
	s_and_saveexec_b64 s[4:5], s[22:23]
	s_xor_b64 s[22:23], exec, s[4:5]
	s_cbranch_execz .LBB76_269
; %bb.125:                              ;   in Loop: Header=BB76_11 Depth=1
	v_cmp_eq_u64_e32 vcc, 1, v[6:7]
	v_cmp_eq_u64_e64 s[6:7], 1, v[8:9]
                                        ; implicit-def: $sgpr74_sgpr75
	s_and_b64 s[78:79], vcc, s[6:7]
                                        ; implicit-def: $sgpr6_sgpr7
	s_and_saveexec_b64 s[76:77], s[78:79]
	s_cbranch_execz .LBB76_162
; %bb.126:                              ;   in Loop: Header=BB76_11 Depth=1
	ds_read_b64 v[4:5], v3 offset:5120
	s_waitcnt lgkmcnt(0)
	s_barrier
	v_readfirstlane_b32 s82, v4
	v_readfirstlane_b32 s83, v5
	s_and_saveexec_b64 s[4:5], s[12:13]
; %bb.127:                              ;   in Loop: Header=BB76_11 Depth=1
	ds_write_b8 v0, v3 offset:3072
; %bb.128:                              ;   in Loop: Header=BB76_11 Depth=1
	s_or_b64 exec, exec, s[4:5]
	v_and_b32_e32 v4, s14, v37
	v_lshl_or_b32 v37, 1, s46, v4
	v_or_b32_e32 v40, s93, v40
	s_mov_b64 s[6:7], -1
	s_mov_b64 s[74:75], 0
	s_cmp_eq_u64 s[82:83], 0
	s_mov_b64 s[80:81], 0
	s_mov_b64 s[26:27], -1
	s_waitcnt lgkmcnt(0)
	s_barrier
                                        ; implicit-def: $vgpr41
	s_cbranch_scc1 .LBB76_147
; %bb.129:                              ;   in Loop: Header=BB76_11 Depth=1
	v_readlane_b32 s4, v61, 22
	s_add_u32 s15, s82, s4
	v_readlane_b32 s4, v61, 23
	s_addc_u32 s27, s83, s4
	s_mov_b32 s26, s43
	s_cmp_lg_u64 s[26:27], 0
	s_cbranch_scc0 .LBB76_189
; %bb.130:                              ;   in Loop: Header=BB76_11 Depth=1
	v_cvt_f32_u32_e32 v4, s29
	s_sub_u32 s8, 0, s29
	s_subb_u32 s9, 0, 0
	v_mac_f32_e32 v4, 0, v38
	v_rcp_f32_e32 v4, v4
	v_mul_f32_e32 v4, 0x5f7ffffc, v4
	v_mul_f32_e32 v5, 0x2f800000, v4
	v_trunc_f32_e32 v5, v5
	v_mac_f32_e32 v4, 0xcf800000, v5
	v_cvt_u32_f32_e32 v5, v5
	v_cvt_u32_f32_e32 v4, v4
	v_readfirstlane_b32 s26, v5
	v_readfirstlane_b32 s4, v4
	s_mul_i32 s5, s8, s26
	s_mul_hi_u32 s31, s8, s4
	s_mul_i32 s30, s9, s4
	s_add_i32 s5, s31, s5
	s_mul_i32 s36, s8, s4
	s_add_i32 s5, s5, s30
	s_mul_hi_u32 s31, s4, s36
	s_mul_i32 s37, s4, s5
	s_mul_hi_u32 s30, s4, s5
	s_add_u32 s31, s31, s37
	s_addc_u32 s30, 0, s30
	s_mul_hi_u32 s38, s26, s36
	s_mul_i32 s36, s26, s36
	s_add_u32 s31, s31, s36
	s_mul_hi_u32 s37, s26, s5
	s_addc_u32 s30, s30, s38
	s_addc_u32 s31, s37, 0
	s_mul_i32 s5, s26, s5
	s_add_u32 s5, s30, s5
	s_addc_u32 s30, 0, s31
	s_add_u32 s31, s4, s5
	s_cselect_b64 s[4:5], -1, 0
	s_cmp_lg_u64 s[4:5], 0
	s_addc_u32 s26, s26, s30
	s_mul_i32 s4, s8, s26
	s_mul_hi_u32 s5, s8, s31
	s_add_i32 s4, s5, s4
	s_mul_i32 s9, s9, s31
	s_add_i32 s4, s4, s9
	s_mul_i32 s8, s8, s31
	s_mul_hi_u32 s9, s26, s8
	s_mul_i32 s30, s26, s8
	s_mul_i32 s37, s31, s4
	s_mul_hi_u32 s8, s31, s8
	s_mul_hi_u32 s36, s31, s4
	s_add_u32 s8, s8, s37
	s_addc_u32 s36, 0, s36
	s_add_u32 s8, s8, s30
	s_mul_hi_u32 s5, s26, s4
	s_addc_u32 s8, s36, s9
	s_addc_u32 s5, s5, 0
	s_mul_i32 s4, s26, s4
	s_add_u32 s4, s8, s4
	s_addc_u32 s8, 0, s5
	s_add_u32 s9, s31, s4
	s_cselect_b64 s[4:5], -1, 0
	s_cmp_lg_u64 s[4:5], 0
	s_addc_u32 s4, s26, s8
	s_mul_i32 s8, s15, s4
	s_mul_hi_u32 s26, s15, s9
	s_mul_hi_u32 s5, s15, s4
	s_add_u32 s8, s26, s8
	s_addc_u32 s5, 0, s5
	s_mul_hi_u32 s30, s27, s9
	s_mul_i32 s9, s27, s9
	s_add_u32 s8, s8, s9
	s_mul_hi_u32 s26, s27, s4
	s_addc_u32 s5, s5, s30
	s_addc_u32 s8, s26, 0
	s_mul_i32 s4, s27, s4
	s_add_u32 s4, s5, s4
	s_addc_u32 s5, 0, s8
	s_mul_i32 s5, s29, s5
	s_mul_hi_u32 s8, s29, s4
	s_add_i32 s8, s8, s5
	s_mul_i32 s4, s29, s4
	s_sub_u32 s26, s15, s4
	s_cselect_b64 s[4:5], -1, 0
	s_cmp_lg_u64 s[4:5], 0
	s_subb_u32 s8, s27, s8
	s_sub_u32 s9, s26, s29
	s_cselect_b64 s[4:5], -1, 0
	s_cmp_lg_u64 s[4:5], 0
	s_subb_u32 s30, s8, 0
	s_sub_u32 s31, s9, s29
	s_cselect_b64 s[4:5], -1, 0
	s_cmp_lg_u64 s[4:5], 0
	s_subb_u32 s4, s30, 0
	s_cmp_ge_u32 s9, s29
	s_cselect_b32 s5, -1, 0
	s_cmp_eq_u32 s30, 0
	s_cselect_b32 s5, s5, -1
	s_cmp_lg_u32 s5, 0
	s_cselect_b32 s4, s4, s30
	s_cselect_b32 s5, s31, s9
	s_cmp_ge_u32 s26, s29
	s_cselect_b32 s9, -1, 0
	s_cmp_eq_u32 s8, 0
	s_cselect_b32 s9, s9, -1
	s_cmp_lg_u32 s9, 0
	s_cselect_b32 s9, s4, s8
	s_cselect_b32 s8, s5, s26
	s_cbranch_execnz .LBB76_132
.LBB76_131:                             ;   in Loop: Header=BB76_11 Depth=1
	v_cvt_f32_u32_e32 v4, s29
	s_sub_i32 s4, 0, s29
	v_rcp_iflag_f32_e32 v4, v4
	v_mul_f32_e32 v4, 0x4f7ffffe, v4
	v_cvt_u32_f32_e32 v4, v4
	v_readfirstlane_b32 s5, v4
	s_mul_i32 s4, s4, s5
	s_mul_hi_u32 s4, s5, s4
	s_add_i32 s5, s5, s4
	s_mul_hi_u32 s4, s15, s5
	s_mul_i32 s4, s4, s29
	s_sub_i32 s4, s15, s4
	s_sub_i32 s5, s4, s29
	s_cmp_ge_u32 s4, s29
	s_cselect_b32 s4, s5, s4
	s_sub_i32 s5, s4, s29
	s_cmp_ge_u32 s4, s29
	s_cselect_b32 s42, s5, s4
	s_mov_b64 s[8:9], s[42:43]
.LBB76_132:                             ;   in Loop: Header=BB76_11 Depth=1
	s_sub_u32 s36, s15, s8
	s_subb_u32 s37, s27, s9
	v_cmp_gt_u64_e32 vcc, s[36:37], v[0:1]
	s_mov_b64 s[26:27], 0
                                        ; implicit-def: $vgpr41
	s_and_saveexec_b64 s[30:31], vcc
	s_cbranch_execz .LBB76_146
; %bb.133:                              ;   in Loop: Header=BB76_11 Depth=1
	v_mov_b32_e32 v5, v1
	s_mov_b64 s[38:39], 0
	v_mov_b32_e32 v10, v0
	v_mov_b32_e32 v4, v0
                                        ; implicit-def: $sgpr80_sgpr81
	s_branch .LBB76_136
.LBB76_134:                             ;   in Loop: Header=BB76_136 Depth=2
	s_or_b64 exec, exec, s[8:9]
	s_waitcnt lgkmcnt(0)
	s_barrier
	ds_read_u16 v11, v3 offset:3072
	s_mov_b64 s[4:5], -1
	s_waitcnt lgkmcnt(0)
	s_barrier
	v_cmp_ne_u32_sdwa s[8:9], v11, v3 src0_sel:BYTE_0 src1_sel:DWORD
	s_and_b64 vcc, exec, s[8:9]
	s_mov_b64 s[8:9], -1
	s_cbranch_vccz .LBB76_139
.LBB76_135:                             ;   in Loop: Header=BB76_136 Depth=2
	s_and_b64 s[4:5], exec, s[4:5]
	s_or_b64 s[38:39], s[4:5], s[38:39]
	s_andn2_b64 s[4:5], s[80:81], exec
	s_and_b64 s[8:9], s[8:9], exec
	s_or_b64 s[80:81], s[4:5], s[8:9]
	s_andn2_b64 exec, exec, s[38:39]
	s_cbranch_execz .LBB76_145
.LBB76_136:                             ;   Parent Loop BB76_11 Depth=1
                                        ; =>  This Inner Loop Header: Depth=2
	v_cmp_gt_u64_e32 vcc, s[82:83], v[4:5]
	s_and_saveexec_b64 s[8:9], vcc
	s_cbranch_execz .LBB76_134
; %bb.137:                              ;   in Loop: Header=BB76_136 Depth=2
	ds_read_u8 v11, v10
	s_waitcnt lgkmcnt(0)
	v_and_b32_e32 v24, v11, v40
	v_cmp_eq_u32_sdwa s[4:5], v24, v37 src0_sel:BYTE_0 src1_sel:DWORD
	s_and_b64 exec, exec, s[4:5]
	s_cbranch_execz .LBB76_134
; %bb.138:                              ;   in Loop: Header=BB76_136 Depth=2
	v_lshlrev_b16_e32 v11, 8, v11
	v_or_b32_e32 v11, 1, v11
	ds_write_b16 v3, v11 offset:3072
	s_branch .LBB76_134
.LBB76_139:                             ;   in Loop: Header=BB76_136 Depth=2
	v_add_co_u32_e32 v4, vcc, s29, v4
	v_addc_co_u32_e32 v5, vcc, 0, v5, vcc
	v_cmp_le_u64_e32 vcc, s[36:37], v[4:5]
	v_add_u32_e32 v10, s29, v10
	s_mov_b64 s[8:9], 0
	s_orn2_b64 s[4:5], vcc, exec
	s_branch .LBB76_135
.LBB76_140:                             ;   in Loop: Header=BB76_11 Depth=1
                                        ; implicit-def: $sgpr8_sgpr9
	s_branch .LBB76_88
.LBB76_141:                             ;   in Loop: Header=BB76_11 Depth=1
	s_or_b64 exec, exec, s[18:19]
	s_waitcnt lgkmcnt(0)
	s_barrier
	s_mov_b64 s[4:5], exec
	v_readlane_b32 s6, v61, 0
	v_readlane_b32 s7, v61, 1
	s_and_b64 s[6:7], s[4:5], s[6:7]
	s_mov_b64 exec, s[6:7]
	s_cbranch_execz .LBB76_143
; %bb.142:                              ;   in Loop: Header=BB76_11 Depth=1
	ds_read_b32 v4, v3 offset:5144
	s_waitcnt lgkmcnt(0)
	v_ashrrev_i32_e32 v5, 31, v4
	ds_write_b64 v3, v[4:5] offset:5120
.LBB76_143:                             ;   in Loop: Header=BB76_11 Depth=1
	s_or_b64 exec, exec, s[4:5]
	s_waitcnt lgkmcnt(0)
	s_barrier
	s_mov_b64 s[6:7], -1
	s_and_b64 vcc, exec, s[16:17]
	s_cbranch_vccnz .LBB76_26
	s_branch .LBB76_41
.LBB76_144:                             ;   in Loop: Header=BB76_11 Depth=1
                                        ; implicit-def: $sgpr8_sgpr9
	s_branch .LBB76_102
.LBB76_145:                             ;   in Loop: Header=BB76_11 Depth=1
	s_or_b64 exec, exec, s[38:39]
	v_lshrrev_b32_sdwa v41, v39, v11 dst_sel:DWORD dst_unused:UNUSED_PAD src0_sel:DWORD src1_sel:WORD_0
	s_and_b64 s[80:81], s[80:81], exec
.LBB76_146:                             ;   in Loop: Header=BB76_11 Depth=1
	s_or_b64 exec, exec, s[30:31]
.LBB76_147:                             ;   in Loop: Header=BB76_11 Depth=1
	s_and_b64 vcc, exec, s[26:27]
	s_cbranch_vccz .LBB76_161
; %bb.148:                              ;   in Loop: Header=BB76_11 Depth=1
	s_mov_b32 s48, s43
	s_cmp_lg_u64 s[48:49], 0
	s_cbranch_scc0 .LBB76_190
; %bb.149:                              ;   in Loop: Header=BB76_11 Depth=1
	v_cvt_f32_u32_e32 v4, s29
	s_sub_u32 s6, 0, s29
	s_subb_u32 s7, 0, 0
	v_mac_f32_e32 v4, 0, v38
	v_rcp_f32_e32 v4, v4
	v_mul_f32_e32 v4, 0x5f7ffffc, v4
	v_mul_f32_e32 v5, 0x2f800000, v4
	v_trunc_f32_e32 v5, v5
	v_mac_f32_e32 v4, 0xcf800000, v5
	v_cvt_u32_f32_e32 v5, v5
	v_cvt_u32_f32_e32 v4, v4
	v_readfirstlane_b32 s8, v5
	v_readfirstlane_b32 s4, v4
	s_mul_i32 s5, s6, s8
	s_mul_hi_u32 s15, s6, s4
	s_mul_i32 s9, s7, s4
	s_add_i32 s5, s15, s5
	s_mul_i32 s26, s6, s4
	s_add_i32 s5, s5, s9
	s_mul_hi_u32 s15, s4, s26
	s_mul_i32 s27, s4, s5
	s_mul_hi_u32 s9, s4, s5
	s_add_u32 s15, s15, s27
	s_addc_u32 s9, 0, s9
	s_mul_hi_u32 s30, s8, s26
	s_mul_i32 s26, s8, s26
	s_add_u32 s15, s15, s26
	s_mul_hi_u32 s27, s8, s5
	s_addc_u32 s9, s9, s30
	s_addc_u32 s15, s27, 0
	s_mul_i32 s5, s8, s5
	s_add_u32 s5, s9, s5
	s_addc_u32 s9, 0, s15
	s_add_u32 s15, s4, s5
	s_cselect_b64 s[4:5], -1, 0
	s_cmp_lg_u64 s[4:5], 0
	s_addc_u32 s8, s8, s9
	s_mul_i32 s4, s6, s8
	s_mul_hi_u32 s5, s6, s15
	s_add_i32 s4, s5, s4
	s_mul_i32 s7, s7, s15
	s_add_i32 s4, s4, s7
	s_mul_i32 s6, s6, s15
	s_mul_hi_u32 s7, s8, s6
	s_mul_i32 s9, s8, s6
	s_mul_i32 s27, s15, s4
	s_mul_hi_u32 s6, s15, s6
	s_mul_hi_u32 s26, s15, s4
	s_add_u32 s6, s6, s27
	s_addc_u32 s26, 0, s26
	s_add_u32 s6, s6, s9
	s_mul_hi_u32 s5, s8, s4
	s_addc_u32 s6, s26, s7
	s_addc_u32 s5, s5, 0
	s_mul_i32 s4, s8, s4
	s_add_u32 s4, s6, s4
	s_addc_u32 s6, 0, s5
	s_add_u32 s7, s15, s4
	s_cselect_b64 s[4:5], -1, 0
	s_cmp_lg_u64 s[4:5], 0
	s_addc_u32 s4, s8, s6
	s_mul_i32 s6, s55, s4
	s_mul_hi_u32 s8, s55, s7
	s_mul_hi_u32 s5, s55, s4
	s_add_u32 s6, s8, s6
	s_addc_u32 s5, 0, s5
	s_mul_hi_u32 s9, s49, s7
	s_mul_i32 s7, s49, s7
	s_add_u32 s6, s6, s7
	s_mul_hi_u32 s8, s49, s4
	s_addc_u32 s5, s5, s9
	s_addc_u32 s6, s8, 0
	s_mul_i32 s4, s49, s4
	s_add_u32 s4, s5, s4
	s_addc_u32 s5, 0, s6
	s_mul_i32 s5, s29, s5
	s_mul_hi_u32 s6, s29, s4
	s_add_i32 s6, s6, s5
	s_mul_i32 s4, s29, s4
	s_sub_u32 s8, s55, s4
	s_cselect_b64 s[4:5], -1, 0
	s_cmp_lg_u64 s[4:5], 0
	s_subb_u32 s6, s49, s6
	s_sub_u32 s7, s8, s29
	s_cselect_b64 s[4:5], -1, 0
	s_cmp_lg_u64 s[4:5], 0
	s_subb_u32 s9, s6, 0
	;; [unrolled: 4-line block ×3, first 2 shown]
	s_cmp_ge_u32 s7, s29
	s_cselect_b32 s5, -1, 0
	s_cmp_eq_u32 s9, 0
	s_cselect_b32 s5, s5, -1
	s_cmp_lg_u32 s5, 0
	s_cselect_b32 s4, s4, s9
	s_cselect_b32 s5, s15, s7
	s_cmp_ge_u32 s8, s29
	s_cselect_b32 s7, -1, 0
	s_cmp_eq_u32 s6, 0
	s_cselect_b32 s7, s7, -1
	s_cmp_lg_u32 s7, 0
	s_cselect_b32 s7, s4, s6
	s_cselect_b32 s6, s5, s8
	s_cbranch_execnz .LBB76_151
.LBB76_150:                             ;   in Loop: Header=BB76_11 Depth=1
	v_cvt_f32_u32_e32 v4, s29
	s_sub_i32 s4, 0, s29
	v_rcp_iflag_f32_e32 v4, v4
	v_mul_f32_e32 v4, 0x4f7ffffe, v4
	v_cvt_u32_f32_e32 v4, v4
	v_readfirstlane_b32 s5, v4
	s_mul_i32 s4, s4, s5
	s_mul_hi_u32 s4, s5, s4
	s_add_i32 s5, s5, s4
	s_mul_hi_u32 s4, s55, s5
	s_mul_i32 s4, s4, s29
	s_sub_i32 s4, s55, s4
	s_sub_i32 s5, s4, s29
	s_cmp_ge_u32 s4, s29
	s_cselect_b32 s4, s5, s4
	s_sub_i32 s5, s4, s29
	s_cmp_ge_u32 s4, s29
	s_cselect_b32 s42, s5, s4
	s_mov_b64 s[6:7], s[42:43]
.LBB76_151:                             ;   in Loop: Header=BB76_11 Depth=1
	s_sub_u32 s26, s55, s6
	s_subb_u32 s27, s49, s7
	v_cmp_gt_u64_e32 vcc, s[26:27], v[0:1]
                                        ; implicit-def: $vgpr41
	s_and_saveexec_b64 s[6:7], vcc
	s_cbranch_execz .LBB76_160
; %bb.152:                              ;   in Loop: Header=BB76_11 Depth=1
	v_mov_b32_e32 v4, v12
	v_mov_b32_e32 v11, v1
	s_mov_b64 s[30:31], 0
	v_mov_b32_e32 v5, v13
	v_mov_b32_e32 v10, v0
                                        ; implicit-def: $sgpr36_sgpr37
	s_branch .LBB76_155
.LBB76_153:                             ;   in Loop: Header=BB76_155 Depth=2
	s_or_b64 exec, exec, s[8:9]
	s_waitcnt lgkmcnt(0)
	s_barrier
	ds_read_u16 v24, v3 offset:3072
	s_mov_b64 s[4:5], -1
	s_waitcnt lgkmcnt(0)
	s_barrier
	v_cmp_eq_u32_sdwa s[8:9], v24, v3 src0_sel:BYTE_0 src1_sel:DWORD
	s_and_b64 vcc, exec, s[8:9]
	s_mov_b64 s[8:9], -1
	s_cbranch_vccnz .LBB76_158
.LBB76_154:                             ;   in Loop: Header=BB76_155 Depth=2
	s_and_b64 s[4:5], exec, s[4:5]
	s_or_b64 s[30:31], s[4:5], s[30:31]
	s_andn2_b64 s[4:5], s[36:37], exec
	s_and_b64 s[8:9], s[8:9], exec
	s_or_b64 s[36:37], s[4:5], s[8:9]
	s_andn2_b64 exec, exec, s[30:31]
	s_cbranch_execz .LBB76_159
.LBB76_155:                             ;   Parent Loop BB76_11 Depth=1
                                        ; =>  This Inner Loop Header: Depth=2
	v_cmp_gt_u64_e32 vcc, s[24:25], v[10:11]
	s_and_saveexec_b64 s[8:9], vcc
	s_cbranch_execz .LBB76_153
; %bb.156:                              ;   in Loop: Header=BB76_155 Depth=2
	global_load_ubyte v24, v[4:5], off
	s_waitcnt vmcnt(0)
	v_and_b32_e32 v25, v24, v40
	v_cmp_eq_u32_sdwa s[4:5], v25, v37 src0_sel:BYTE_0 src1_sel:DWORD
	s_and_b64 exec, exec, s[4:5]
	s_cbranch_execz .LBB76_153
; %bb.157:                              ;   in Loop: Header=BB76_155 Depth=2
	v_lshlrev_b16_e32 v24, 8, v24
	v_or_b32_e32 v24, 1, v24
	ds_write_b16 v3, v24 offset:3072
	s_branch .LBB76_153
.LBB76_158:                             ;   in Loop: Header=BB76_155 Depth=2
	v_add_co_u32_e32 v10, vcc, s29, v10
	v_addc_co_u32_e32 v11, vcc, 0, v11, vcc
	v_mov_b32_e32 v25, s33
	v_add_co_u32_e32 v4, vcc, s52, v4
	v_addc_co_u32_e32 v5, vcc, v5, v25, vcc
	v_cmp_le_u64_e32 vcc, s[26:27], v[10:11]
	s_mov_b64 s[8:9], 0
	s_orn2_b64 s[4:5], vcc, exec
	s_branch .LBB76_154
.LBB76_159:                             ;   in Loop: Header=BB76_11 Depth=1
	s_or_b64 exec, exec, s[30:31]
	s_andn2_b64 s[4:5], s[80:81], exec
	s_and_b64 s[8:9], s[36:37], exec
	v_lshrrev_b32_sdwa v41, v39, v24 dst_sel:DWORD dst_unused:UNUSED_PAD src0_sel:DWORD src1_sel:WORD_0
	s_or_b64 s[80:81], s[4:5], s[8:9]
.LBB76_160:                             ;   in Loop: Header=BB76_11 Depth=1
	s_or_b64 exec, exec, s[6:7]
	s_mov_b64 s[6:7], 0
	s_mov_b64 s[74:75], -1
.LBB76_161:                             ;   in Loop: Header=BB76_11 Depth=1
	s_orn2_b64 s[8:9], s[80:81], exec
.LBB76_162:                             ;   in Loop: Header=BB76_11 Depth=1
	s_or_b64 exec, exec, s[76:77]
	s_mov_b64 s[26:27], 0
	s_and_saveexec_b64 s[76:77], s[8:9]
	s_cbranch_execz .LBB76_268
; %bb.163:                              ;   in Loop: Header=BB76_11 Depth=1
	v_mov_b32_e32 v4, 1
	s_xor_b64 s[4:5], s[78:79], -1
	v_mov_b32_e32 v2, 1
	v_mov_b32_e32 v5, 0
	s_mov_b64 s[30:31], 0
	s_and_saveexec_b64 s[26:27], s[4:5]
	s_cbranch_execz .LBB76_173
; %bb.164:                              ;   in Loop: Header=BB76_11 Depth=1
	v_cmp_le_u64_e32 vcc, v[8:9], v[6:7]
	s_and_saveexec_b64 s[4:5], vcc
	s_xor_b64 s[8:9], exec, s[4:5]
	s_cbranch_execz .LBB76_170
; %bb.165:                              ;   in Loop: Header=BB76_11 Depth=1
	ds_read_b64 v[4:5], v3 offset:5120
	v_and_b32_e32 v2, s14, v37
	v_lshl_or_b32 v37, 1, s46, v2
	v_or_b32_e32 v40, s93, v40
	s_waitcnt lgkmcnt(0)
	v_cmp_ne_u64_e32 vcc, 0, v[4:5]
	s_cbranch_vccnz .LBB76_169
; %bb.166:                              ;   in Loop: Header=BB76_11 Depth=1
	s_mov_b64 s[4:5], exec
	v_readlane_b32 s30, v61, 0
	v_readlane_b32 s31, v61, 1
	s_and_b64 s[30:31], s[4:5], s[30:31]
	s_mov_b64 exec, s[30:31]
; %bb.167:                              ;   in Loop: Header=BB76_11 Depth=1
	ds_write_b64 v3, v[6:7] offset:5128
; %bb.168:                              ;   in Loop: Header=BB76_11 Depth=1
	s_or_b64 exec, exec, s[4:5]
	s_waitcnt lgkmcnt(0)
	s_barrier
.LBB76_169:                             ;   in Loop: Header=BB76_11 Depth=1
                                        ; implicit-def: $vgpr4_vgpr5_vgpr6_vgpr7
.LBB76_170:                             ;   in Loop: Header=BB76_11 Depth=1
	s_or_saveexec_b64 s[8:9], s[8:9]
	s_mov_b64 s[30:31], 0
	v_mov_b32_e32 v2, 8
	s_xor_b64 exec, exec, s[8:9]
; %bb.171:                              ;   in Loop: Header=BB76_11 Depth=1
	v_sub_co_u32_e32 v8, vcc, v8, v6
	v_subb_co_u32_e32 v9, vcc, v9, v7, vcc
	v_mov_b32_e32 v2, 0
	s_mov_b64 s[30:31], exec
; %bb.172:                              ;   in Loop: Header=BB76_11 Depth=1
	s_or_b64 exec, exec, s[8:9]
	v_mov_b32_e32 v4, v8
	s_and_b64 s[30:31], s[30:31], exec
	v_mov_b32_e32 v5, v9
.LBB76_173:                             ;   in Loop: Header=BB76_11 Depth=1
	s_or_b64 exec, exec, s[26:27]
	s_mov_b64 s[8:9], -1
                                        ; implicit-def: $sgpr80_sgpr81
                                        ; implicit-def: $sgpr82_sgpr83
	s_and_saveexec_b64 s[78:79], s[30:31]
	s_cbranch_execz .LBB76_267
; %bb.174:                              ;   in Loop: Header=BB76_11 Depth=1
	s_cmp_eq_u64 s[72:73], 1
	v_cmp_eq_u64_e32 vcc, 1, v[4:5]
	s_cselect_b64 s[4:5], -1, 0
	s_and_b64 s[86:87], s[4:5], vcc
                                        ; implicit-def: $sgpr82_sgpr83
                                        ; implicit-def: $sgpr80_sgpr81
	s_and_saveexec_b64 s[84:85], s[86:87]
	s_cbranch_execz .LBB76_208
; %bb.175:                              ;   in Loop: Header=BB76_11 Depth=1
	ds_read_b64 v[6:7], v3 offset:5120
	s_waitcnt lgkmcnt(0)
	s_barrier
	v_readfirstlane_b32 s90, v6
	v_readfirstlane_b32 s91, v7
	s_and_saveexec_b64 s[4:5], s[12:13]
; %bb.176:                              ;   in Loop: Header=BB76_11 Depth=1
	ds_write_b8 v0, v3 offset:3072
; %bb.177:                              ;   in Loop: Header=BB76_11 Depth=1
	s_or_b64 exec, exec, s[4:5]
	v_and_b32_e32 v6, s14, v37
	v_lshl_or_b32 v37, 2, s46, v6
	v_or_b32_e32 v40, s93, v40
	s_mov_b64 s[80:81], -1
	s_mov_b64 s[82:83], 0
	s_cmp_eq_u64 s[90:91], 0
	s_mov_b64 s[88:89], 0
	s_mov_b64 s[26:27], -1
	s_waitcnt lgkmcnt(0)
	s_barrier
                                        ; implicit-def: $vgpr41
	s_cbranch_scc1 .LBB76_193
; %bb.178:                              ;   in Loop: Header=BB76_11 Depth=1
	v_readlane_b32 s4, v61, 22
	s_add_u32 s15, s90, s4
	v_readlane_b32 s4, v61, 23
	s_addc_u32 s27, s91, s4
	s_mov_b32 s26, s43
	s_cmp_lg_u64 s[26:27], 0
	s_cbranch_scc0 .LBB76_234
; %bb.179:                              ;   in Loop: Header=BB76_11 Depth=1
	v_cvt_f32_u32_e32 v6, s29
	s_sub_u32 s8, 0, s29
	s_subb_u32 s9, 0, 0
	v_mac_f32_e32 v6, 0, v38
	v_rcp_f32_e32 v6, v6
	v_mul_f32_e32 v6, 0x5f7ffffc, v6
	v_mul_f32_e32 v7, 0x2f800000, v6
	v_trunc_f32_e32 v7, v7
	v_mac_f32_e32 v6, 0xcf800000, v7
	v_cvt_u32_f32_e32 v7, v7
	v_cvt_u32_f32_e32 v6, v6
	v_readfirstlane_b32 s26, v7
	v_readfirstlane_b32 s4, v6
	s_mul_i32 s5, s8, s26
	s_mul_hi_u32 s31, s8, s4
	s_mul_i32 s30, s9, s4
	s_add_i32 s5, s31, s5
	s_mul_i32 s36, s8, s4
	s_add_i32 s5, s5, s30
	s_mul_hi_u32 s31, s4, s36
	s_mul_i32 s37, s4, s5
	s_mul_hi_u32 s30, s4, s5
	s_add_u32 s31, s31, s37
	s_addc_u32 s30, 0, s30
	s_mul_hi_u32 s38, s26, s36
	s_mul_i32 s36, s26, s36
	s_add_u32 s31, s31, s36
	s_mul_hi_u32 s37, s26, s5
	s_addc_u32 s30, s30, s38
	s_addc_u32 s31, s37, 0
	s_mul_i32 s5, s26, s5
	s_add_u32 s5, s30, s5
	s_addc_u32 s30, 0, s31
	s_add_u32 s31, s4, s5
	s_cselect_b64 s[4:5], -1, 0
	s_cmp_lg_u64 s[4:5], 0
	s_addc_u32 s26, s26, s30
	s_mul_i32 s4, s8, s26
	s_mul_hi_u32 s5, s8, s31
	s_add_i32 s4, s5, s4
	s_mul_i32 s9, s9, s31
	s_add_i32 s4, s4, s9
	s_mul_i32 s8, s8, s31
	s_mul_hi_u32 s9, s26, s8
	s_mul_i32 s30, s26, s8
	s_mul_i32 s37, s31, s4
	s_mul_hi_u32 s8, s31, s8
	s_mul_hi_u32 s36, s31, s4
	s_add_u32 s8, s8, s37
	s_addc_u32 s36, 0, s36
	s_add_u32 s8, s8, s30
	s_mul_hi_u32 s5, s26, s4
	s_addc_u32 s8, s36, s9
	s_addc_u32 s5, s5, 0
	s_mul_i32 s4, s26, s4
	s_add_u32 s4, s8, s4
	s_addc_u32 s8, 0, s5
	s_add_u32 s9, s31, s4
	s_cselect_b64 s[4:5], -1, 0
	s_cmp_lg_u64 s[4:5], 0
	s_addc_u32 s4, s26, s8
	s_mul_i32 s8, s15, s4
	s_mul_hi_u32 s26, s15, s9
	s_mul_hi_u32 s5, s15, s4
	s_add_u32 s8, s26, s8
	s_addc_u32 s5, 0, s5
	s_mul_hi_u32 s30, s27, s9
	s_mul_i32 s9, s27, s9
	s_add_u32 s8, s8, s9
	s_mul_hi_u32 s26, s27, s4
	s_addc_u32 s5, s5, s30
	s_addc_u32 s8, s26, 0
	s_mul_i32 s4, s27, s4
	s_add_u32 s4, s5, s4
	s_addc_u32 s5, 0, s8
	s_mul_i32 s5, s29, s5
	s_mul_hi_u32 s8, s29, s4
	s_add_i32 s8, s8, s5
	s_mul_i32 s4, s29, s4
	s_sub_u32 s26, s15, s4
	s_cselect_b64 s[4:5], -1, 0
	s_cmp_lg_u64 s[4:5], 0
	s_subb_u32 s8, s27, s8
	s_sub_u32 s9, s26, s29
	s_cselect_b64 s[4:5], -1, 0
	s_cmp_lg_u64 s[4:5], 0
	s_subb_u32 s30, s8, 0
	;; [unrolled: 4-line block ×3, first 2 shown]
	s_cmp_ge_u32 s9, s29
	s_cselect_b32 s5, -1, 0
	s_cmp_eq_u32 s30, 0
	s_cselect_b32 s5, s5, -1
	s_cmp_lg_u32 s5, 0
	s_cselect_b32 s4, s4, s30
	s_cselect_b32 s5, s31, s9
	s_cmp_ge_u32 s26, s29
	s_cselect_b32 s9, -1, 0
	s_cmp_eq_u32 s8, 0
	s_cselect_b32 s9, s9, -1
	s_cmp_lg_u32 s9, 0
	s_cselect_b32 s9, s4, s8
	s_cselect_b32 s8, s5, s26
	s_cbranch_execnz .LBB76_181
.LBB76_180:                             ;   in Loop: Header=BB76_11 Depth=1
	v_cvt_f32_u32_e32 v6, s29
	s_sub_i32 s4, 0, s29
	v_rcp_iflag_f32_e32 v6, v6
	v_mul_f32_e32 v6, 0x4f7ffffe, v6
	v_cvt_u32_f32_e32 v6, v6
	v_readfirstlane_b32 s5, v6
	s_mul_i32 s4, s4, s5
	s_mul_hi_u32 s4, s5, s4
	s_add_i32 s5, s5, s4
	s_mul_hi_u32 s4, s15, s5
	s_mul_i32 s4, s4, s29
	s_sub_i32 s4, s15, s4
	s_sub_i32 s5, s4, s29
	s_cmp_ge_u32 s4, s29
	s_cselect_b32 s4, s5, s4
	s_sub_i32 s5, s4, s29
	s_cmp_ge_u32 s4, s29
	s_cselect_b32 s42, s5, s4
	s_mov_b64 s[8:9], s[42:43]
.LBB76_181:                             ;   in Loop: Header=BB76_11 Depth=1
	s_sub_u32 s36, s15, s8
	s_subb_u32 s37, s27, s9
	v_cmp_gt_u64_e32 vcc, s[36:37], v[0:1]
	s_mov_b64 s[26:27], 0
                                        ; implicit-def: $vgpr41
	s_and_saveexec_b64 s[30:31], vcc
	s_cbranch_execz .LBB76_192
; %bb.182:                              ;   in Loop: Header=BB76_11 Depth=1
	v_mov_b32_e32 v7, v1
	s_mov_b64 s[38:39], 0
	v_mov_b32_e32 v8, v0
	v_mov_b32_e32 v6, v0
                                        ; implicit-def: $sgpr88_sgpr89
	s_branch .LBB76_185
.LBB76_183:                             ;   in Loop: Header=BB76_185 Depth=2
	s_or_b64 exec, exec, s[8:9]
	s_waitcnt lgkmcnt(0)
	s_barrier
	ds_read_u16 v9, v3 offset:3072
	s_mov_b64 s[4:5], -1
	s_waitcnt lgkmcnt(0)
	s_barrier
	v_cmp_ne_u32_sdwa s[8:9], v9, v3 src0_sel:BYTE_0 src1_sel:DWORD
	s_and_b64 vcc, exec, s[8:9]
	s_mov_b64 s[8:9], -1
	s_cbranch_vccz .LBB76_188
.LBB76_184:                             ;   in Loop: Header=BB76_185 Depth=2
	s_and_b64 s[4:5], exec, s[4:5]
	s_or_b64 s[38:39], s[4:5], s[38:39]
	s_andn2_b64 s[4:5], s[88:89], exec
	s_and_b64 s[8:9], s[8:9], exec
	s_or_b64 s[88:89], s[4:5], s[8:9]
	s_andn2_b64 exec, exec, s[38:39]
	s_cbranch_execz .LBB76_191
.LBB76_185:                             ;   Parent Loop BB76_11 Depth=1
                                        ; =>  This Inner Loop Header: Depth=2
	v_cmp_gt_u64_e32 vcc, s[90:91], v[6:7]
	s_and_saveexec_b64 s[8:9], vcc
	s_cbranch_execz .LBB76_183
; %bb.186:                              ;   in Loop: Header=BB76_185 Depth=2
	ds_read_u8 v9, v8
	s_waitcnt lgkmcnt(0)
	v_and_b32_e32 v10, v9, v40
	v_cmp_eq_u32_sdwa s[4:5], v10, v37 src0_sel:BYTE_0 src1_sel:DWORD
	s_and_b64 exec, exec, s[4:5]
	s_cbranch_execz .LBB76_183
; %bb.187:                              ;   in Loop: Header=BB76_185 Depth=2
	v_lshlrev_b16_e32 v9, 8, v9
	v_or_b32_e32 v9, 1, v9
	ds_write_b16 v3, v9 offset:3072
	s_branch .LBB76_183
.LBB76_188:                             ;   in Loop: Header=BB76_185 Depth=2
	v_add_co_u32_e32 v6, vcc, s29, v6
	v_addc_co_u32_e32 v7, vcc, 0, v7, vcc
	v_cmp_le_u64_e32 vcc, s[36:37], v[6:7]
	v_add_u32_e32 v8, s29, v8
	s_mov_b64 s[8:9], 0
	s_orn2_b64 s[4:5], vcc, exec
	s_branch .LBB76_184
.LBB76_189:                             ;   in Loop: Header=BB76_11 Depth=1
                                        ; implicit-def: $sgpr8_sgpr9
	s_branch .LBB76_131
.LBB76_190:                             ;   in Loop: Header=BB76_11 Depth=1
                                        ; implicit-def: $sgpr6_sgpr7
	s_branch .LBB76_150
.LBB76_191:                             ;   in Loop: Header=BB76_11 Depth=1
	s_or_b64 exec, exec, s[38:39]
	v_lshrrev_b32_sdwa v41, v39, v9 dst_sel:DWORD dst_unused:UNUSED_PAD src0_sel:DWORD src1_sel:WORD_0
	s_and_b64 s[88:89], s[88:89], exec
.LBB76_192:                             ;   in Loop: Header=BB76_11 Depth=1
	s_or_b64 exec, exec, s[30:31]
.LBB76_193:                             ;   in Loop: Header=BB76_11 Depth=1
	s_and_b64 vcc, exec, s[26:27]
	s_cbranch_vccz .LBB76_207
; %bb.194:                              ;   in Loop: Header=BB76_11 Depth=1
	s_mov_b32 s48, s43
	s_cmp_lg_u64 s[48:49], 0
	s_cbranch_scc0 .LBB76_235
; %bb.195:                              ;   in Loop: Header=BB76_11 Depth=1
	v_cvt_f32_u32_e32 v6, s29
	s_sub_u32 s8, 0, s29
	s_subb_u32 s9, 0, 0
	v_mac_f32_e32 v6, 0, v38
	v_rcp_f32_e32 v6, v6
	v_mul_f32_e32 v6, 0x5f7ffffc, v6
	v_mul_f32_e32 v7, 0x2f800000, v6
	v_trunc_f32_e32 v7, v7
	v_mac_f32_e32 v6, 0xcf800000, v7
	v_cvt_u32_f32_e32 v7, v7
	v_cvt_u32_f32_e32 v6, v6
	v_readfirstlane_b32 s15, v7
	v_readfirstlane_b32 s4, v6
	s_mul_i32 s5, s8, s15
	s_mul_hi_u32 s27, s8, s4
	s_mul_i32 s26, s9, s4
	s_add_i32 s5, s27, s5
	s_mul_i32 s30, s8, s4
	s_add_i32 s5, s5, s26
	s_mul_hi_u32 s27, s4, s30
	s_mul_i32 s31, s4, s5
	s_mul_hi_u32 s26, s4, s5
	s_add_u32 s27, s27, s31
	s_addc_u32 s26, 0, s26
	s_mul_hi_u32 s36, s15, s30
	s_mul_i32 s30, s15, s30
	s_add_u32 s27, s27, s30
	s_mul_hi_u32 s31, s15, s5
	s_addc_u32 s26, s26, s36
	s_addc_u32 s27, s31, 0
	s_mul_i32 s5, s15, s5
	s_add_u32 s5, s26, s5
	s_addc_u32 s26, 0, s27
	s_add_u32 s27, s4, s5
	s_cselect_b64 s[4:5], -1, 0
	s_cmp_lg_u64 s[4:5], 0
	s_addc_u32 s15, s15, s26
	s_mul_i32 s4, s8, s15
	s_mul_hi_u32 s5, s8, s27
	s_add_i32 s4, s5, s4
	s_mul_i32 s9, s9, s27
	s_add_i32 s4, s4, s9
	s_mul_i32 s8, s8, s27
	s_mul_hi_u32 s9, s15, s8
	s_mul_i32 s26, s15, s8
	s_mul_i32 s31, s27, s4
	s_mul_hi_u32 s8, s27, s8
	s_mul_hi_u32 s30, s27, s4
	s_add_u32 s8, s8, s31
	s_addc_u32 s30, 0, s30
	s_add_u32 s8, s8, s26
	s_mul_hi_u32 s5, s15, s4
	s_addc_u32 s8, s30, s9
	s_addc_u32 s5, s5, 0
	s_mul_i32 s4, s15, s4
	s_add_u32 s4, s8, s4
	s_addc_u32 s8, 0, s5
	s_add_u32 s9, s27, s4
	s_cselect_b64 s[4:5], -1, 0
	s_cmp_lg_u64 s[4:5], 0
	s_addc_u32 s4, s15, s8
	s_mul_i32 s8, s55, s4
	s_mul_hi_u32 s15, s55, s9
	s_mul_hi_u32 s5, s55, s4
	s_add_u32 s8, s15, s8
	s_addc_u32 s5, 0, s5
	s_mul_hi_u32 s26, s49, s9
	s_mul_i32 s9, s49, s9
	s_add_u32 s8, s8, s9
	s_mul_hi_u32 s15, s49, s4
	s_addc_u32 s5, s5, s26
	s_addc_u32 s8, s15, 0
	s_mul_i32 s4, s49, s4
	s_add_u32 s4, s5, s4
	s_addc_u32 s5, 0, s8
	s_mul_i32 s5, s29, s5
	s_mul_hi_u32 s8, s29, s4
	s_add_i32 s8, s8, s5
	s_mul_i32 s4, s29, s4
	s_sub_u32 s15, s55, s4
	s_cselect_b64 s[4:5], -1, 0
	s_cmp_lg_u64 s[4:5], 0
	s_subb_u32 s8, s49, s8
	s_sub_u32 s9, s15, s29
	s_cselect_b64 s[4:5], -1, 0
	s_cmp_lg_u64 s[4:5], 0
	s_subb_u32 s26, s8, 0
	;; [unrolled: 4-line block ×3, first 2 shown]
	s_cmp_ge_u32 s9, s29
	s_cselect_b32 s5, -1, 0
	s_cmp_eq_u32 s26, 0
	s_cselect_b32 s5, s5, -1
	s_cmp_lg_u32 s5, 0
	s_cselect_b32 s4, s4, s26
	s_cselect_b32 s5, s27, s9
	s_cmp_ge_u32 s15, s29
	s_cselect_b32 s9, -1, 0
	s_cmp_eq_u32 s8, 0
	s_cselect_b32 s9, s9, -1
	s_cmp_lg_u32 s9, 0
	s_cselect_b32 s9, s4, s8
	s_cselect_b32 s8, s5, s15
	s_cbranch_execnz .LBB76_197
.LBB76_196:                             ;   in Loop: Header=BB76_11 Depth=1
	v_cvt_f32_u32_e32 v6, s29
	s_sub_i32 s4, 0, s29
	v_rcp_iflag_f32_e32 v6, v6
	v_mul_f32_e32 v6, 0x4f7ffffe, v6
	v_cvt_u32_f32_e32 v6, v6
	v_readfirstlane_b32 s5, v6
	s_mul_i32 s4, s4, s5
	s_mul_hi_u32 s4, s5, s4
	s_add_i32 s5, s5, s4
	s_mul_hi_u32 s4, s55, s5
	s_mul_i32 s4, s4, s29
	s_sub_i32 s4, s55, s4
	s_sub_i32 s5, s4, s29
	s_cmp_ge_u32 s4, s29
	s_cselect_b32 s4, s5, s4
	s_sub_i32 s5, s4, s29
	s_cmp_ge_u32 s4, s29
	s_cselect_b32 s42, s5, s4
	s_mov_b64 s[8:9], s[42:43]
.LBB76_197:                             ;   in Loop: Header=BB76_11 Depth=1
	s_sub_u32 s30, s55, s8
	s_subb_u32 s31, s49, s9
	v_cmp_gt_u64_e32 vcc, s[30:31], v[0:1]
                                        ; implicit-def: $vgpr41
	s_and_saveexec_b64 s[26:27], vcc
	s_cbranch_execz .LBB76_206
; %bb.198:                              ;   in Loop: Header=BB76_11 Depth=1
	v_mov_b32_e32 v6, v12
	v_mov_b32_e32 v9, v1
	s_mov_b64 s[36:37], 0
	v_mov_b32_e32 v7, v13
	v_mov_b32_e32 v8, v0
                                        ; implicit-def: $sgpr38_sgpr39
	s_branch .LBB76_201
.LBB76_199:                             ;   in Loop: Header=BB76_201 Depth=2
	s_or_b64 exec, exec, s[8:9]
	s_waitcnt lgkmcnt(0)
	s_barrier
	ds_read_u16 v10, v3 offset:3072
	s_mov_b64 s[4:5], -1
	s_waitcnt lgkmcnt(0)
	s_barrier
	v_cmp_eq_u32_sdwa s[8:9], v10, v3 src0_sel:BYTE_0 src1_sel:DWORD
	s_and_b64 vcc, exec, s[8:9]
	s_mov_b64 s[8:9], -1
	s_cbranch_vccnz .LBB76_204
.LBB76_200:                             ;   in Loop: Header=BB76_201 Depth=2
	s_and_b64 s[4:5], exec, s[4:5]
	s_or_b64 s[36:37], s[4:5], s[36:37]
	s_andn2_b64 s[4:5], s[38:39], exec
	s_and_b64 s[8:9], s[8:9], exec
	s_or_b64 s[38:39], s[4:5], s[8:9]
	s_andn2_b64 exec, exec, s[36:37]
	s_cbranch_execz .LBB76_205
.LBB76_201:                             ;   Parent Loop BB76_11 Depth=1
                                        ; =>  This Inner Loop Header: Depth=2
	v_cmp_gt_u64_e32 vcc, s[24:25], v[8:9]
	s_and_saveexec_b64 s[8:9], vcc
	s_cbranch_execz .LBB76_199
; %bb.202:                              ;   in Loop: Header=BB76_201 Depth=2
	global_load_ubyte v10, v[6:7], off
	s_waitcnt vmcnt(0)
	v_and_b32_e32 v11, v10, v40
	v_cmp_eq_u32_sdwa s[4:5], v11, v37 src0_sel:BYTE_0 src1_sel:DWORD
	s_and_b64 exec, exec, s[4:5]
	s_cbranch_execz .LBB76_199
; %bb.203:                              ;   in Loop: Header=BB76_201 Depth=2
	v_lshlrev_b16_e32 v10, 8, v10
	v_or_b32_e32 v10, 1, v10
	ds_write_b16 v3, v10 offset:3072
	s_branch .LBB76_199
.LBB76_204:                             ;   in Loop: Header=BB76_201 Depth=2
	v_add_co_u32_e32 v8, vcc, s29, v8
	v_addc_co_u32_e32 v9, vcc, 0, v9, vcc
	v_mov_b32_e32 v11, s33
	v_add_co_u32_e32 v6, vcc, s52, v6
	v_addc_co_u32_e32 v7, vcc, v7, v11, vcc
	v_cmp_le_u64_e32 vcc, s[30:31], v[8:9]
	s_mov_b64 s[8:9], 0
	s_orn2_b64 s[4:5], vcc, exec
	s_branch .LBB76_200
.LBB76_205:                             ;   in Loop: Header=BB76_11 Depth=1
	s_or_b64 exec, exec, s[36:37]
	s_andn2_b64 s[4:5], s[88:89], exec
	s_and_b64 s[8:9], s[38:39], exec
	v_lshrrev_b32_sdwa v41, v39, v10 dst_sel:DWORD dst_unused:UNUSED_PAD src0_sel:DWORD src1_sel:WORD_0
	s_or_b64 s[88:89], s[4:5], s[8:9]
.LBB76_206:                             ;   in Loop: Header=BB76_11 Depth=1
	s_or_b64 exec, exec, s[26:27]
	s_mov_b64 s[80:81], 0
	s_mov_b64 s[82:83], -1
.LBB76_207:                             ;   in Loop: Header=BB76_11 Depth=1
	s_orn2_b64 s[8:9], s[88:89], exec
.LBB76_208:                             ;   in Loop: Header=BB76_11 Depth=1
	s_or_b64 exec, exec, s[84:85]
	s_mov_b64 s[26:27], 0
	s_and_saveexec_b64 s[84:85], s[8:9]
	s_cbranch_execz .LBB76_266
; %bb.209:                              ;   in Loop: Header=BB76_11 Depth=1
	v_mov_b32_e32 v6, 1
	s_xor_b64 s[4:5], s[86:87], -1
	v_mov_b32_e32 v2, 1
	v_mov_b32_e32 v7, 0
	s_mov_b64 s[30:31], 0
	s_and_saveexec_b64 s[26:27], s[4:5]
	s_cbranch_execz .LBB76_218
; %bb.210:                              ;   in Loop: Header=BB76_11 Depth=1
	v_cmp_ge_u64_e32 vcc, s[72:73], v[4:5]
	s_and_saveexec_b64 s[4:5], vcc
	s_xor_b64 s[8:9], exec, s[4:5]
	s_cbranch_execz .LBB76_215
; %bb.211:                              ;   in Loop: Header=BB76_11 Depth=1
	ds_read_b64 v[6:7], v3 offset:5120
	v_and_b32_e32 v2, s14, v37
	v_lshl_or_b32 v37, 2, s46, v2
	v_or_b32_e32 v40, s93, v40
	s_waitcnt lgkmcnt(0)
	v_cmp_ne_u64_e32 vcc, 0, v[6:7]
	s_cbranch_vccnz .LBB76_215
; %bb.212:                              ;   in Loop: Header=BB76_11 Depth=1
	s_mov_b64 s[4:5], exec
	v_readlane_b32 s14, v61, 0
	v_readlane_b32 s15, v61, 1
	s_and_b64 s[14:15], s[4:5], s[14:15]
	s_mov_b64 exec, s[14:15]
; %bb.213:                              ;   in Loop: Header=BB76_11 Depth=1
	v_mov_b32_e32 v6, s72
	v_mov_b32_e32 v7, s73
	ds_write_b64 v3, v[6:7] offset:5128
; %bb.214:                              ;   in Loop: Header=BB76_11 Depth=1
	s_or_b64 exec, exec, s[4:5]
	s_waitcnt lgkmcnt(0)
	s_barrier
.LBB76_215:                             ;   in Loop: Header=BB76_11 Depth=1
	s_or_saveexec_b64 s[8:9], s[8:9]
	v_mov_b32_e32 v2, 8
	s_xor_b64 exec, exec, s[8:9]
; %bb.216:                              ;   in Loop: Header=BB76_11 Depth=1
	v_subrev_co_u32_e32 v4, vcc, s72, v4
	v_mov_b32_e32 v2, s73
	v_subb_co_u32_e32 v5, vcc, v5, v2, vcc
	v_mov_b32_e32 v2, 0
	s_mov_b64 s[30:31], exec
; %bb.217:                              ;   in Loop: Header=BB76_11 Depth=1
	s_or_b64 exec, exec, s[8:9]
	v_mov_b32_e32 v7, v5
	s_and_b64 s[30:31], s[30:31], exec
	v_mov_b32_e32 v6, v4
.LBB76_218:                             ;   in Loop: Header=BB76_11 Depth=1
	s_or_b64 exec, exec, s[26:27]
	s_mov_b64 s[8:9], -1
                                        ; implicit-def: $sgpr86_sgpr87
                                        ; implicit-def: $sgpr90_sgpr91
	s_and_saveexec_b64 s[72:73], s[30:31]
	s_cbranch_execz .LBB76_265
; %bb.219:                              ;   in Loop: Header=BB76_11 Depth=1
	s_cmp_eq_u64 s[16:17], 1
	v_cmp_eq_u64_e32 vcc, 1, v[6:7]
	s_cselect_b64 s[4:5], -1, 0
	s_and_b64 s[4:5], s[4:5], vcc
                                        ; implicit-def: $sgpr86_sgpr87
                                        ; implicit-def: $sgpr90_sgpr91
	s_mov_b64 s[88:89], exec
	v_writelane_b32 v61, s4, 29
	v_writelane_b32 v61, s5, 30
	s_and_b64 s[4:5], s[88:89], s[4:5]
	s_mov_b64 exec, s[4:5]
	s_cbranch_execz .LBB76_253
; %bb.220:                              ;   in Loop: Header=BB76_11 Depth=1
	ds_read_b64 v[4:5], v3 offset:5120
	s_waitcnt lgkmcnt(0)
	s_barrier
	v_readfirstlane_b32 s26, v4
	v_readfirstlane_b32 s27, v5
	s_and_saveexec_b64 s[4:5], s[12:13]
; %bb.221:                              ;   in Loop: Header=BB76_11 Depth=1
	ds_write_b8 v0, v3 offset:3072
; %bb.222:                              ;   in Loop: Header=BB76_11 Depth=1
	s_or_b64 exec, exec, s[4:5]
	v_or_b32_e32 v37, s93, v37
	v_or_b32_e32 v40, s93, v40
	s_mov_b64 s[90:91], -1
	s_mov_b64 s[86:87], 0
	s_cmp_eq_u64 s[26:27], 0
	s_mov_b64 s[94:95], 0
	s_mov_b64 s[30:31], -1
	s_waitcnt lgkmcnt(0)
	s_barrier
                                        ; implicit-def: $vgpr41
	s_cbranch_scc1 .LBB76_238
; %bb.223:                              ;   in Loop: Header=BB76_11 Depth=1
	v_readlane_b32 s4, v61, 22
	s_add_u32 s14, s26, s4
	v_readlane_b32 s4, v61, 23
	s_addc_u32 s95, s27, s4
	s_mov_b32 s94, s43
	s_cmp_lg_u64 s[94:95], 0
	s_cbranch_scc0 .LBB76_272
; %bb.224:                              ;   in Loop: Header=BB76_11 Depth=1
	v_cvt_f32_u32_e32 v4, s29
	s_sub_u32 s8, 0, s29
	s_subb_u32 s9, 0, 0
	v_mac_f32_e32 v4, 0, v38
	v_rcp_f32_e32 v4, v4
	v_mul_f32_e32 v4, 0x5f7ffffc, v4
	v_mul_f32_e32 v5, 0x2f800000, v4
	v_trunc_f32_e32 v5, v5
	v_mac_f32_e32 v4, 0xcf800000, v5
	v_cvt_u32_f32_e32 v5, v5
	v_cvt_u32_f32_e32 v4, v4
	v_readfirstlane_b32 s15, v5
	v_readfirstlane_b32 s4, v4
	s_mul_i32 s5, s8, s15
	s_mul_hi_u32 s31, s8, s4
	s_mul_i32 s30, s9, s4
	s_add_i32 s5, s31, s5
	s_mul_i32 s36, s8, s4
	s_add_i32 s5, s5, s30
	s_mul_hi_u32 s31, s4, s36
	s_mul_i32 s37, s4, s5
	s_mul_hi_u32 s30, s4, s5
	s_add_u32 s31, s31, s37
	s_addc_u32 s30, 0, s30
	s_mul_hi_u32 s38, s15, s36
	s_mul_i32 s36, s15, s36
	s_add_u32 s31, s31, s36
	s_mul_hi_u32 s37, s15, s5
	s_addc_u32 s30, s30, s38
	s_addc_u32 s31, s37, 0
	s_mul_i32 s5, s15, s5
	s_add_u32 s5, s30, s5
	s_addc_u32 s30, 0, s31
	s_add_u32 s31, s4, s5
	s_cselect_b64 s[4:5], -1, 0
	s_cmp_lg_u64 s[4:5], 0
	s_addc_u32 s15, s15, s30
	s_mul_i32 s4, s8, s15
	s_mul_hi_u32 s5, s8, s31
	s_add_i32 s4, s5, s4
	s_mul_i32 s9, s9, s31
	s_add_i32 s4, s4, s9
	s_mul_i32 s8, s8, s31
	s_mul_hi_u32 s9, s15, s8
	s_mul_i32 s30, s15, s8
	s_mul_i32 s37, s31, s4
	s_mul_hi_u32 s8, s31, s8
	s_mul_hi_u32 s36, s31, s4
	s_add_u32 s8, s8, s37
	s_addc_u32 s36, 0, s36
	s_add_u32 s8, s8, s30
	s_mul_hi_u32 s5, s15, s4
	s_addc_u32 s8, s36, s9
	s_addc_u32 s5, s5, 0
	s_mul_i32 s4, s15, s4
	s_add_u32 s4, s8, s4
	s_addc_u32 s8, 0, s5
	s_add_u32 s9, s31, s4
	s_cselect_b64 s[4:5], -1, 0
	s_cmp_lg_u64 s[4:5], 0
	s_addc_u32 s4, s15, s8
	s_mul_i32 s8, s14, s4
	s_mul_hi_u32 s15, s14, s9
	s_mul_hi_u32 s5, s14, s4
	s_add_u32 s8, s15, s8
	s_addc_u32 s5, 0, s5
	s_mul_hi_u32 s30, s95, s9
	s_mul_i32 s9, s95, s9
	s_add_u32 s8, s8, s9
	s_mul_hi_u32 s15, s95, s4
	s_addc_u32 s5, s5, s30
	s_addc_u32 s8, s15, 0
	s_mul_i32 s4, s95, s4
	s_add_u32 s4, s5, s4
	s_addc_u32 s5, 0, s8
	s_mul_i32 s5, s29, s5
	s_mul_hi_u32 s8, s29, s4
	s_add_i32 s8, s8, s5
	s_mul_i32 s4, s29, s4
	s_sub_u32 s15, s14, s4
	s_cselect_b64 s[4:5], -1, 0
	s_cmp_lg_u64 s[4:5], 0
	s_subb_u32 s8, s95, s8
	s_sub_u32 s9, s15, s29
	s_cselect_b64 s[4:5], -1, 0
	s_cmp_lg_u64 s[4:5], 0
	s_subb_u32 s30, s8, 0
	;; [unrolled: 4-line block ×3, first 2 shown]
	s_cmp_ge_u32 s9, s29
	s_cselect_b32 s5, -1, 0
	s_cmp_eq_u32 s30, 0
	s_cselect_b32 s5, s5, -1
	s_cmp_lg_u32 s5, 0
	s_cselect_b32 s4, s4, s30
	s_cselect_b32 s5, s31, s9
	s_cmp_ge_u32 s15, s29
	s_cselect_b32 s9, -1, 0
	s_cmp_eq_u32 s8, 0
	s_cselect_b32 s9, s9, -1
	s_cmp_lg_u32 s9, 0
	s_cselect_b32 s9, s4, s8
	s_cselect_b32 s8, s5, s15
	s_cbranch_execnz .LBB76_226
.LBB76_225:                             ;   in Loop: Header=BB76_11 Depth=1
	v_cvt_f32_u32_e32 v4, s29
	s_sub_i32 s4, 0, s29
	v_rcp_iflag_f32_e32 v4, v4
	v_mul_f32_e32 v4, 0x4f7ffffe, v4
	v_cvt_u32_f32_e32 v4, v4
	v_readfirstlane_b32 s5, v4
	s_mul_i32 s4, s4, s5
	s_mul_hi_u32 s4, s5, s4
	s_add_i32 s5, s5, s4
	s_mul_hi_u32 s4, s14, s5
	s_mul_i32 s4, s4, s29
	s_sub_i32 s4, s14, s4
	s_sub_i32 s5, s4, s29
	s_cmp_ge_u32 s4, s29
	s_cselect_b32 s4, s5, s4
	s_sub_i32 s5, s4, s29
	s_cmp_ge_u32 s4, s29
	s_cselect_b32 s42, s5, s4
	s_mov_b64 s[8:9], s[42:43]
.LBB76_226:                             ;   in Loop: Header=BB76_11 Depth=1
	s_sub_u32 s38, s14, s8
	s_subb_u32 s39, s95, s9
	v_cmp_gt_u64_e32 vcc, s[38:39], v[0:1]
	s_mov_b64 s[30:31], 0
	s_mov_b64 s[94:95], 0
                                        ; implicit-def: $vgpr41
	s_and_saveexec_b64 s[36:37], vcc
	s_cbranch_execz .LBB76_237
; %bb.227:                              ;   in Loop: Header=BB76_11 Depth=1
	v_mov_b32_e32 v5, v1
	v_mov_b32_e32 v8, v0
	;; [unrolled: 1-line block ×3, first 2 shown]
                                        ; implicit-def: $sgpr8_sgpr9
	s_branch .LBB76_230
.LBB76_228:                             ;   in Loop: Header=BB76_230 Depth=2
	s_or_b64 exec, exec, s[4:5]
	s_waitcnt lgkmcnt(0)
	s_barrier
	ds_read_u16 v9, v3 offset:3072
	s_mov_b64 s[4:5], -1
	s_waitcnt lgkmcnt(0)
	s_barrier
	v_cmp_ne_u32_sdwa s[14:15], v9, v3 src0_sel:BYTE_0 src1_sel:DWORD
	s_and_b64 vcc, exec, s[14:15]
	s_mov_b64 s[14:15], -1
	s_cbranch_vccz .LBB76_233
.LBB76_229:                             ;   in Loop: Header=BB76_230 Depth=2
	s_and_b64 s[4:5], exec, s[4:5]
	s_or_b64 s[94:95], s[4:5], s[94:95]
	s_andn2_b64 s[4:5], s[8:9], exec
	s_and_b64 s[8:9], s[14:15], exec
	s_or_b64 s[8:9], s[4:5], s[8:9]
	s_andn2_b64 exec, exec, s[94:95]
	s_cbranch_execz .LBB76_236
.LBB76_230:                             ;   Parent Loop BB76_11 Depth=1
                                        ; =>  This Inner Loop Header: Depth=2
	v_cmp_gt_u64_e32 vcc, s[26:27], v[4:5]
	s_and_saveexec_b64 s[4:5], vcc
	s_cbranch_execz .LBB76_228
; %bb.231:                              ;   in Loop: Header=BB76_230 Depth=2
	ds_read_u8 v9, v8
	s_waitcnt lgkmcnt(0)
	v_and_b32_e32 v10, v9, v40
	v_cmp_eq_u32_sdwa s[14:15], v10, v37 src0_sel:BYTE_0 src1_sel:DWORD
	s_and_b64 exec, exec, s[14:15]
	s_cbranch_execz .LBB76_228
; %bb.232:                              ;   in Loop: Header=BB76_230 Depth=2
	v_lshlrev_b16_e32 v9, 8, v9
	v_or_b32_e32 v9, 1, v9
	ds_write_b16 v3, v9 offset:3072
	s_branch .LBB76_228
.LBB76_233:                             ;   in Loop: Header=BB76_230 Depth=2
	v_add_co_u32_e32 v4, vcc, s29, v4
	v_addc_co_u32_e32 v5, vcc, 0, v5, vcc
	v_cmp_le_u64_e32 vcc, s[38:39], v[4:5]
	v_add_u32_e32 v8, s29, v8
	s_mov_b64 s[14:15], 0
	s_orn2_b64 s[4:5], vcc, exec
	s_branch .LBB76_229
.LBB76_234:                             ;   in Loop: Header=BB76_11 Depth=1
                                        ; implicit-def: $sgpr8_sgpr9
	s_branch .LBB76_180
.LBB76_235:                             ;   in Loop: Header=BB76_11 Depth=1
                                        ; implicit-def: $sgpr8_sgpr9
	s_branch .LBB76_196
.LBB76_236:                             ;   in Loop: Header=BB76_11 Depth=1
	s_or_b64 exec, exec, s[94:95]
	v_lshrrev_b32_sdwa v41, v39, v9 dst_sel:DWORD dst_unused:UNUSED_PAD src0_sel:DWORD src1_sel:WORD_0
	s_and_b64 s[94:95], s[8:9], exec
.LBB76_237:                             ;   in Loop: Header=BB76_11 Depth=1
	s_or_b64 exec, exec, s[36:37]
.LBB76_238:                             ;   in Loop: Header=BB76_11 Depth=1
	s_and_b64 vcc, exec, s[30:31]
	s_cbranch_vccz .LBB76_252
; %bb.239:                              ;   in Loop: Header=BB76_11 Depth=1
	s_mov_b32 s48, s43
	s_cmp_lg_u64 s[48:49], 0
	s_cbranch_scc0 .LBB76_273
; %bb.240:                              ;   in Loop: Header=BB76_11 Depth=1
	v_cvt_f32_u32_e32 v4, s29
	s_sub_u32 s8, 0, s29
	s_subb_u32 s9, 0, 0
	v_mac_f32_e32 v4, 0, v38
	v_rcp_f32_e32 v4, v4
	v_mul_f32_e32 v4, 0x5f7ffffc, v4
	v_mul_f32_e32 v5, 0x2f800000, v4
	v_trunc_f32_e32 v5, v5
	v_mac_f32_e32 v4, 0xcf800000, v5
	v_cvt_u32_f32_e32 v5, v5
	v_cvt_u32_f32_e32 v4, v4
	v_readfirstlane_b32 s14, v5
	v_readfirstlane_b32 s4, v4
	s_mul_i32 s5, s8, s14
	s_mul_hi_u32 s26, s8, s4
	s_mul_i32 s15, s9, s4
	s_add_i32 s5, s26, s5
	s_mul_i32 s27, s8, s4
	s_add_i32 s5, s5, s15
	s_mul_hi_u32 s26, s4, s27
	s_mul_i32 s30, s4, s5
	s_mul_hi_u32 s15, s4, s5
	s_add_u32 s26, s26, s30
	s_addc_u32 s15, 0, s15
	s_mul_hi_u32 s31, s14, s27
	s_mul_i32 s27, s14, s27
	s_add_u32 s26, s26, s27
	s_mul_hi_u32 s30, s14, s5
	s_addc_u32 s15, s15, s31
	s_addc_u32 s26, s30, 0
	s_mul_i32 s5, s14, s5
	s_add_u32 s5, s15, s5
	s_addc_u32 s15, 0, s26
	s_add_u32 s26, s4, s5
	s_cselect_b64 s[4:5], -1, 0
	s_cmp_lg_u64 s[4:5], 0
	s_addc_u32 s14, s14, s15
	s_mul_i32 s4, s8, s14
	s_mul_hi_u32 s5, s8, s26
	s_add_i32 s4, s5, s4
	s_mul_i32 s9, s9, s26
	s_add_i32 s4, s4, s9
	s_mul_i32 s8, s8, s26
	s_mul_hi_u32 s9, s14, s8
	s_mul_i32 s15, s14, s8
	s_mul_i32 s30, s26, s4
	s_mul_hi_u32 s8, s26, s8
	s_mul_hi_u32 s27, s26, s4
	s_add_u32 s8, s8, s30
	s_addc_u32 s27, 0, s27
	s_add_u32 s8, s8, s15
	s_mul_hi_u32 s5, s14, s4
	s_addc_u32 s8, s27, s9
	s_addc_u32 s5, s5, 0
	s_mul_i32 s4, s14, s4
	s_add_u32 s4, s8, s4
	s_addc_u32 s8, 0, s5
	s_add_u32 s9, s26, s4
	s_cselect_b64 s[4:5], -1, 0
	s_cmp_lg_u64 s[4:5], 0
	s_addc_u32 s4, s14, s8
	s_mul_i32 s8, s55, s4
	s_mul_hi_u32 s14, s55, s9
	s_mul_hi_u32 s5, s55, s4
	s_add_u32 s8, s14, s8
	s_addc_u32 s5, 0, s5
	s_mul_hi_u32 s15, s49, s9
	s_mul_i32 s9, s49, s9
	s_add_u32 s8, s8, s9
	s_mul_hi_u32 s14, s49, s4
	s_addc_u32 s5, s5, s15
	s_addc_u32 s8, s14, 0
	s_mul_i32 s4, s49, s4
	s_add_u32 s4, s5, s4
	s_addc_u32 s5, 0, s8
	s_mul_i32 s5, s29, s5
	s_mul_hi_u32 s8, s29, s4
	s_add_i32 s8, s8, s5
	s_mul_i32 s4, s29, s4
	s_sub_u32 s14, s55, s4
	s_cselect_b64 s[4:5], -1, 0
	s_cmp_lg_u64 s[4:5], 0
	s_subb_u32 s8, s49, s8
	s_sub_u32 s9, s14, s29
	s_cselect_b64 s[4:5], -1, 0
	s_cmp_lg_u64 s[4:5], 0
	s_subb_u32 s15, s8, 0
	s_sub_u32 s26, s9, s29
	s_cselect_b64 s[4:5], -1, 0
	s_cmp_lg_u64 s[4:5], 0
	s_subb_u32 s4, s15, 0
	s_cmp_ge_u32 s9, s29
	s_cselect_b32 s5, -1, 0
	s_cmp_eq_u32 s15, 0
	s_cselect_b32 s5, s5, -1
	s_cmp_lg_u32 s5, 0
	s_cselect_b32 s4, s4, s15
	s_cselect_b32 s5, s26, s9
	s_cmp_ge_u32 s14, s29
	s_cselect_b32 s9, -1, 0
	s_cmp_eq_u32 s8, 0
	s_cselect_b32 s9, s9, -1
	s_cmp_lg_u32 s9, 0
	s_cselect_b32 s9, s4, s8
	s_cselect_b32 s8, s5, s14
	s_cbranch_execnz .LBB76_242
.LBB76_241:                             ;   in Loop: Header=BB76_11 Depth=1
	v_cvt_f32_u32_e32 v4, s29
	s_sub_i32 s4, 0, s29
	v_rcp_iflag_f32_e32 v4, v4
	v_mul_f32_e32 v4, 0x4f7ffffe, v4
	v_cvt_u32_f32_e32 v4, v4
	v_readfirstlane_b32 s5, v4
	s_mul_i32 s4, s4, s5
	s_mul_hi_u32 s4, s5, s4
	s_add_i32 s5, s5, s4
	s_mul_hi_u32 s4, s55, s5
	s_mul_i32 s4, s4, s29
	s_sub_i32 s4, s55, s4
	s_sub_i32 s5, s4, s29
	s_cmp_ge_u32 s4, s29
	s_cselect_b32 s4, s5, s4
	s_sub_i32 s5, s4, s29
	s_cmp_ge_u32 s4, s29
	s_cselect_b32 s42, s5, s4
	s_mov_b64 s[8:9], s[42:43]
.LBB76_242:                             ;   in Loop: Header=BB76_11 Depth=1
	s_sub_u32 s30, s55, s8
	s_subb_u32 s31, s49, s9
	v_cmp_gt_u64_e32 vcc, s[30:31], v[0:1]
                                        ; implicit-def: $vgpr41
	s_and_saveexec_b64 s[26:27], vcc
	s_cbranch_execz .LBB76_251
; %bb.243:                              ;   in Loop: Header=BB76_11 Depth=1
	v_mov_b32_e32 v4, v12
	v_mov_b32_e32 v9, v1
	s_mov_b64 s[36:37], 0
	v_mov_b32_e32 v5, v13
	v_mov_b32_e32 v8, v0
                                        ; implicit-def: $sgpr38_sgpr39
	s_branch .LBB76_246
.LBB76_244:                             ;   in Loop: Header=BB76_246 Depth=2
	s_or_b64 exec, exec, s[4:5]
	s_waitcnt lgkmcnt(0)
	s_barrier
	ds_read_u16 v10, v3 offset:3072
	s_mov_b64 s[4:5], -1
	s_waitcnt lgkmcnt(0)
	s_barrier
	v_cmp_eq_u32_sdwa s[8:9], v10, v3 src0_sel:BYTE_0 src1_sel:DWORD
	s_and_b64 vcc, exec, s[8:9]
	s_mov_b64 s[8:9], -1
	s_cbranch_vccnz .LBB76_249
.LBB76_245:                             ;   in Loop: Header=BB76_246 Depth=2
	s_and_b64 s[4:5], exec, s[4:5]
	s_or_b64 s[36:37], s[4:5], s[36:37]
	s_andn2_b64 s[4:5], s[38:39], exec
	s_and_b64 s[8:9], s[8:9], exec
	s_or_b64 s[38:39], s[4:5], s[8:9]
	s_andn2_b64 exec, exec, s[36:37]
	s_cbranch_execz .LBB76_250
.LBB76_246:                             ;   Parent Loop BB76_11 Depth=1
                                        ; =>  This Inner Loop Header: Depth=2
	v_cmp_gt_u64_e32 vcc, s[24:25], v[8:9]
	s_and_saveexec_b64 s[4:5], vcc
	s_cbranch_execz .LBB76_244
; %bb.247:                              ;   in Loop: Header=BB76_246 Depth=2
	global_load_ubyte v10, v[4:5], off
	s_waitcnt vmcnt(0)
	v_and_b32_e32 v11, v10, v40
	v_cmp_eq_u32_sdwa s[8:9], v11, v37 src0_sel:BYTE_0 src1_sel:DWORD
	s_and_b64 exec, exec, s[8:9]
	s_cbranch_execz .LBB76_244
; %bb.248:                              ;   in Loop: Header=BB76_246 Depth=2
	v_lshlrev_b16_e32 v10, 8, v10
	v_or_b32_e32 v10, 1, v10
	ds_write_b16 v3, v10 offset:3072
	s_branch .LBB76_244
.LBB76_249:                             ;   in Loop: Header=BB76_246 Depth=2
	v_add_co_u32_e32 v8, vcc, s29, v8
	v_addc_co_u32_e32 v9, vcc, 0, v9, vcc
	v_mov_b32_e32 v11, s33
	v_add_co_u32_e32 v4, vcc, s52, v4
	v_addc_co_u32_e32 v5, vcc, v5, v11, vcc
	v_cmp_le_u64_e32 vcc, s[30:31], v[8:9]
	s_mov_b64 s[8:9], 0
	s_orn2_b64 s[4:5], vcc, exec
	s_branch .LBB76_245
.LBB76_250:                             ;   in Loop: Header=BB76_11 Depth=1
	s_or_b64 exec, exec, s[36:37]
	s_andn2_b64 s[4:5], s[94:95], exec
	s_and_b64 s[8:9], s[38:39], exec
	v_lshrrev_b32_sdwa v41, v39, v10 dst_sel:DWORD dst_unused:UNUSED_PAD src0_sel:DWORD src1_sel:WORD_0
	s_or_b64 s[94:95], s[4:5], s[8:9]
.LBB76_251:                             ;   in Loop: Header=BB76_11 Depth=1
	s_or_b64 exec, exec, s[26:27]
	s_mov_b64 s[90:91], 0
	s_mov_b64 s[86:87], -1
.LBB76_252:                             ;   in Loop: Header=BB76_11 Depth=1
	s_orn2_b64 s[8:9], s[94:95], exec
.LBB76_253:                             ;   in Loop: Header=BB76_11 Depth=1
	s_or_b64 exec, exec, s[88:89]
	s_mov_b64 s[30:31], 0
	s_and_saveexec_b64 s[26:27], s[8:9]
	s_cbranch_execz .LBB76_264
; %bb.254:                              ;   in Loop: Header=BB76_11 Depth=1
	v_readlane_b32 s4, v61, 29
	v_readlane_b32 s5, v61, 30
	v_mov_b32_e32 v4, 1
	s_xor_b64 s[4:5], s[4:5], -1
	v_mov_b32_e32 v5, 0
	v_mov_b32_e32 v2, 1
	s_and_saveexec_b64 s[30:31], s[4:5]
	s_cbranch_execz .LBB76_263
; %bb.255:                              ;   in Loop: Header=BB76_11 Depth=1
	v_cmp_ge_u64_e32 vcc, s[16:17], v[6:7]
	s_and_saveexec_b64 s[4:5], vcc
	s_xor_b64 s[8:9], exec, s[4:5]
	s_cbranch_execz .LBB76_260
; %bb.256:                              ;   in Loop: Header=BB76_11 Depth=1
	ds_read_b64 v[4:5], v3 offset:5120
	v_or_b32_e32 v37, s93, v37
	v_or_b32_e32 v40, s93, v40
	s_waitcnt lgkmcnt(0)
	v_cmp_ne_u64_e32 vcc, 0, v[4:5]
	s_cbranch_vccnz .LBB76_260
; %bb.257:                              ;   in Loop: Header=BB76_11 Depth=1
	s_mov_b64 s[4:5], exec
	v_readlane_b32 s14, v61, 0
	v_readlane_b32 s15, v61, 1
	s_and_b64 s[14:15], s[4:5], s[14:15]
	s_mov_b64 exec, s[14:15]
; %bb.258:                              ;   in Loop: Header=BB76_11 Depth=1
	v_mov_b32_e32 v4, s16
	v_mov_b32_e32 v5, s17
	ds_write_b64 v3, v[4:5] offset:5128
; %bb.259:                              ;   in Loop: Header=BB76_11 Depth=1
	s_or_b64 exec, exec, s[4:5]
	s_waitcnt lgkmcnt(0)
	s_barrier
.LBB76_260:                             ;   in Loop: Header=BB76_11 Depth=1
	s_andn2_saveexec_b64 s[8:9], s[8:9]
; %bb.261:                              ;   in Loop: Header=BB76_11 Depth=1
	v_mov_b32_e32 v2, s17
	v_subrev_co_u32_e32 v6, vcc, s16, v6
	v_subb_co_u32_e32 v7, vcc, v7, v2, vcc
; %bb.262:                              ;   in Loop: Header=BB76_11 Depth=1
	s_or_b64 exec, exec, s[8:9]
	v_mov_b32_e32 v4, v6
	v_mov_b32_e32 v2, 8
	;; [unrolled: 1-line block ×3, first 2 shown]
.LBB76_263:                             ;   in Loop: Header=BB76_11 Depth=1
	s_or_b64 exec, exec, s[30:31]
	v_mov_b32_e32 v7, v5
	s_mov_b64 s[30:31], exec
	v_mov_b32_e32 v6, v4
.LBB76_264:                             ;   in Loop: Header=BB76_11 Depth=1
	s_or_b64 exec, exec, s[26:27]
	s_orn2_b64 s[8:9], s[30:31], exec
.LBB76_265:                             ;   in Loop: Header=BB76_11 Depth=1
	s_or_b64 exec, exec, s[72:73]
	s_andn2_b64 s[4:5], s[82:83], exec
	s_and_b64 s[14:15], s[86:87], exec
	s_or_b64 s[82:83], s[4:5], s[14:15]
	s_andn2_b64 s[4:5], s[80:81], exec
	s_and_b64 s[14:15], s[90:91], exec
	v_mov_b32_e32 v4, v6
	s_or_b64 s[80:81], s[4:5], s[14:15]
	s_and_b64 s[26:27], s[8:9], exec
	v_mov_b32_e32 v5, v7
.LBB76_266:                             ;   in Loop: Header=BB76_11 Depth=1
	s_or_b64 exec, exec, s[84:85]
	s_orn2_b64 s[8:9], s[26:27], exec
.LBB76_267:                             ;   in Loop: Header=BB76_11 Depth=1
	s_or_b64 exec, exec, s[78:79]
	s_andn2_b64 s[4:5], s[74:75], exec
	s_and_b64 s[14:15], s[82:83], exec
	s_or_b64 s[74:75], s[4:5], s[14:15]
	s_andn2_b64 s[4:5], s[6:7], exec
	s_and_b64 s[6:7], s[80:81], exec
	v_mov_b32_e32 v9, v5
	s_or_b64 s[6:7], s[4:5], s[6:7]
	s_and_b64 s[26:27], s[8:9], exec
	v_mov_b32_e32 v8, v4
.LBB76_268:                             ;   in Loop: Header=BB76_11 Depth=1
	s_or_b64 exec, exec, s[76:77]
	s_orn2_b64 s[8:9], s[26:27], exec
.LBB76_269:                             ;   in Loop: Header=BB76_11 Depth=1
	s_or_b64 exec, exec, s[22:23]
	s_mov_b64 s[16:17], 0
	s_and_saveexec_b64 s[4:5], s[8:9]
	s_xor_b64 s[8:9], exec, s[4:5]
	s_cbranch_execz .LBB76_9
; %bb.270:                              ;   in Loop: Header=BB76_11 Depth=1
	v_and_b32_e32 v2, 7, v2
	v_cmp_eq_u32_e32 vcc, 0, v2
	s_mov_b64 s[20:21], -1
	s_mov_b64 s[16:17], -1
	s_and_saveexec_b64 s[4:5], vcc
	s_cbranch_execz .LBB76_8
; %bb.271:                              ;   in Loop: Header=BB76_11 Depth=1
	s_xor_b32 s92, s92, 1
	s_add_i32 s22, s46, -2
	s_cmp_eq_u32 s46, 0
	s_cselect_b64 s[14:15], -1, 0
	s_xor_b64 s[16:17], exec, -1
	s_orn2_b64 s[20:21], s[14:15], exec
	s_mov_b32 s46, s22
	s_branch .LBB76_8
.LBB76_272:                             ;   in Loop: Header=BB76_11 Depth=1
                                        ; implicit-def: $sgpr8_sgpr9
	s_branch .LBB76_225
.LBB76_273:                             ;   in Loop: Header=BB76_11 Depth=1
                                        ; implicit-def: $sgpr8_sgpr9
	s_branch .LBB76_241
.LBB76_274:
	s_or_b64 exec, exec, s[58:59]
	s_xor_b64 s[6:7], s[64:65], -1
	s_xor_b64 s[0:1], s[60:61], -1
	;; [unrolled: 1-line block ×3, first 2 shown]
	s_mov_b64 s[2:3], 0
	s_and_saveexec_b64 s[8:9], s[0:1]
	s_xor_b64 s[0:1], exec, s[8:9]
	s_cbranch_execnz .LBB76_279
; %bb.275:
	s_andn2_saveexec_b64 s[0:1], s[0:1]
	s_cbranch_execnz .LBB76_292
.LBB76_276:
	s_or_b64 exec, exec, s[0:1]
	s_and_saveexec_b64 s[0:1], s[2:3]
.LBB76_277:
	; divergent unreachable
.LBB76_278:
	s_endpgm
.LBB76_279:
	s_and_saveexec_b64 s[2:3], s[6:7]
	s_xor_b64 s[2:3], exec, s[2:3]
	s_cbranch_execz .LBB76_290
; %bb.280:
	s_and_saveexec_b64 s[6:7], s[4:5]
	s_xor_b64 s[4:5], exec, s[6:7]
; %bb.281:
	v_mov_b32_e32 v41, v37
; %bb.282:
	s_or_b64 exec, exec, s[4:5]
	v_readlane_b32 s6, v61, 6
	v_readlane_b32 s18, v61, 10
	v_readlane_b32 s7, v61, 7
	s_mul_i32 s4, s7, s18
	s_mul_hi_u32 s5, s6, s18
	s_add_i32 s5, s5, s4
	s_mul_i32 s4, s6, s18
	v_readlane_b32 s6, v61, 8
	v_readlane_b32 s7, v61, 9
	s_add_u32 s4, s6, s4
	s_addc_u32 s5, s7, s5
	v_mov_b32_e32 v2, 0
	v_readlane_b32 s19, v61, 11
	global_store_byte v2, v41, s[4:5]
	s_mov_b64 s[4:5], exec
	v_readlane_b32 s6, v61, 18
	v_readlane_b32 s7, v61, 19
	s_and_b64 s[6:7], s[4:5], s[6:7]
	s_mov_b64 exec, s[6:7]
	s_cbranch_execz .LBB76_289
; %bb.283:
	s_mov_b64 s[6:7], 0
                                        ; implicit-def: $sgpr8_sgpr9
                                        ; implicit-def: $sgpr12_sgpr13
                                        ; implicit-def: $sgpr10_sgpr11
	s_branch .LBB76_285
.LBB76_284:                             ;   in Loop: Header=BB76_285 Depth=1
	s_or_b64 exec, exec, s[14:15]
	s_and_b64 s[14:15], exec, s[12:13]
	s_or_b64 s[6:7], s[14:15], s[6:7]
	s_andn2_b64 s[8:9], s[8:9], exec
	s_and_b64 s[14:15], s[10:11], exec
	s_or_b64 s[8:9], s[8:9], s[14:15]
	s_andn2_b64 exec, exec, s[6:7]
	s_cbranch_execz .LBB76_287
.LBB76_285:                             ; =>This Inner Loop Header: Depth=1
	global_load_ubyte v4, v[12:13], off
	v_mov_b32_e32 v3, v1
	v_mov_b32_e32 v2, v0
	s_or_b64 s[10:11], s[10:11], exec
	s_or_b64 s[12:13], s[12:13], exec
                                        ; implicit-def: $vgpr0_vgpr1
	s_waitcnt vmcnt(0)
	v_cmp_ne_u16_sdwa s[16:17], v4, v41 src0_sel:DWORD src1_sel:BYTE_0
	s_and_saveexec_b64 s[14:15], s[16:17]
	s_cbranch_execz .LBB76_284
; %bb.286:                              ;   in Loop: Header=BB76_285 Depth=1
	v_add_co_u32_e32 v0, vcc, s29, v2
	v_addc_co_u32_e32 v1, vcc, 0, v3, vcc
	v_mov_b32_e32 v4, s33
	v_add_co_u32_e32 v12, vcc, s52, v12
	v_addc_co_u32_e32 v13, vcc, v13, v4, vcc
	v_cmp_le_u64_e32 vcc, s[24:25], v[0:1]
	s_andn2_b64 s[12:13], s[12:13], exec
	s_and_b64 s[16:17], vcc, exec
	s_andn2_b64 s[10:11], s[10:11], exec
	s_or_b64 s[12:13], s[12:13], s[16:17]
	s_branch .LBB76_284
.LBB76_287:
	s_or_b64 exec, exec, s[6:7]
	s_and_saveexec_b64 s[6:7], s[8:9]
	s_xor_b64 s[6:7], exec, s[6:7]
	s_cbranch_execz .LBB76_289
; %bb.288:
	v_readlane_b32 s8, v61, 2
	v_readlane_b32 s9, v61, 3
	s_mul_i32 s6, s9, s18
	s_mul_hi_u32 s7, s8, s18
	s_add_i32 s7, s7, s6
	s_mul_i32 s6, s8, s18
	s_lshl_b64 s[6:7], s[6:7], 3
	v_readlane_b32 s8, v61, 4
	v_readlane_b32 s9, v61, 5
	s_add_u32 s6, s8, s6
	s_addc_u32 s7, s9, s7
	v_mov_b32_e32 v0, 0
	global_store_dwordx2 v0, v[2:3], s[6:7]
.LBB76_289:
	s_or_b64 exec, exec, s[4:5]
.LBB76_290:
	s_or_saveexec_b64 s[2:3], s[2:3]
	s_mov_b64 s[4:5], 0
	s_xor_b64 exec, exec, s[2:3]
	s_cbranch_execnz .LBB76_293
.LBB76_291:
	s_or_b64 exec, exec, s[2:3]
	s_and_b64 s[2:3], s[4:5], exec
	s_andn2_saveexec_b64 s[0:1], s[0:1]
	s_cbranch_execz .LBB76_276
.LBB76_292:
	s_or_b64 s[2:3], s[2:3], exec
	s_trap 2
	s_or_b64 exec, exec, s[0:1]
	s_and_saveexec_b64 s[0:1], s[2:3]
	s_cbranch_execnz .LBB76_277
	s_branch .LBB76_278
.LBB76_293:
	s_mov_b64 s[4:5], exec
	s_trap 2
	s_branch .LBB76_291
	.section	.rodata,"a",@progbits
	.p2align	6, 0x0
	.amdhsa_kernel _ZN2at6native12_GLOBAL__N_112gatherMedianIhmLi1EEEvNS_4cuda6detail10TensorInfoIT_T0_EENS5_IlS7_EENS5_IKS6_S7_EES7_S7_S7_b
		.amdhsa_group_segment_fixed_size 5152
		.amdhsa_private_segment_fixed_size 0
		.amdhsa_kernarg_size 1536
		.amdhsa_user_sgpr_count 6
		.amdhsa_user_sgpr_private_segment_buffer 1
		.amdhsa_user_sgpr_dispatch_ptr 0
		.amdhsa_user_sgpr_queue_ptr 0
		.amdhsa_user_sgpr_kernarg_segment_ptr 1
		.amdhsa_user_sgpr_dispatch_id 0
		.amdhsa_user_sgpr_flat_scratch_init 0
		.amdhsa_user_sgpr_private_segment_size 0
		.amdhsa_uses_dynamic_stack 0
		.amdhsa_system_sgpr_private_segment_wavefront_offset 0
		.amdhsa_system_sgpr_workgroup_id_x 1
		.amdhsa_system_sgpr_workgroup_id_y 1
		.amdhsa_system_sgpr_workgroup_id_z 1
		.amdhsa_system_sgpr_workgroup_info 0
		.amdhsa_system_vgpr_workitem_id 0
		.amdhsa_next_free_vgpr 62
		.amdhsa_next_free_sgpr 96
		.amdhsa_reserve_vcc 1
		.amdhsa_reserve_flat_scratch 0
		.amdhsa_float_round_mode_32 0
		.amdhsa_float_round_mode_16_64 0
		.amdhsa_float_denorm_mode_32 3
		.amdhsa_float_denorm_mode_16_64 3
		.amdhsa_dx10_clamp 1
		.amdhsa_ieee_mode 1
		.amdhsa_fp16_overflow 0
		.amdhsa_exception_fp_ieee_invalid_op 0
		.amdhsa_exception_fp_denorm_src 0
		.amdhsa_exception_fp_ieee_div_zero 0
		.amdhsa_exception_fp_ieee_overflow 0
		.amdhsa_exception_fp_ieee_underflow 0
		.amdhsa_exception_fp_ieee_inexact 0
		.amdhsa_exception_int_div_zero 0
	.end_amdhsa_kernel
	.section	.text._ZN2at6native12_GLOBAL__N_112gatherMedianIhmLi1EEEvNS_4cuda6detail10TensorInfoIT_T0_EENS5_IlS7_EENS5_IKS6_S7_EES7_S7_S7_b,"axG",@progbits,_ZN2at6native12_GLOBAL__N_112gatherMedianIhmLi1EEEvNS_4cuda6detail10TensorInfoIT_T0_EENS5_IlS7_EENS5_IKS6_S7_EES7_S7_S7_b,comdat
.Lfunc_end76:
	.size	_ZN2at6native12_GLOBAL__N_112gatherMedianIhmLi1EEEvNS_4cuda6detail10TensorInfoIT_T0_EENS5_IlS7_EENS5_IKS6_S7_EES7_S7_S7_b, .Lfunc_end76-_ZN2at6native12_GLOBAL__N_112gatherMedianIhmLi1EEEvNS_4cuda6detail10TensorInfoIT_T0_EENS5_IlS7_EENS5_IKS6_S7_EES7_S7_S7_b
                                        ; -- End function
	.set _ZN2at6native12_GLOBAL__N_112gatherMedianIhmLi1EEEvNS_4cuda6detail10TensorInfoIT_T0_EENS5_IlS7_EENS5_IKS6_S7_EES7_S7_S7_b.num_vgpr, 62
	.set _ZN2at6native12_GLOBAL__N_112gatherMedianIhmLi1EEEvNS_4cuda6detail10TensorInfoIT_T0_EENS5_IlS7_EENS5_IKS6_S7_EES7_S7_S7_b.num_agpr, 0
	.set _ZN2at6native12_GLOBAL__N_112gatherMedianIhmLi1EEEvNS_4cuda6detail10TensorInfoIT_T0_EENS5_IlS7_EENS5_IKS6_S7_EES7_S7_S7_b.numbered_sgpr, 96
	.set _ZN2at6native12_GLOBAL__N_112gatherMedianIhmLi1EEEvNS_4cuda6detail10TensorInfoIT_T0_EENS5_IlS7_EENS5_IKS6_S7_EES7_S7_S7_b.num_named_barrier, 0
	.set _ZN2at6native12_GLOBAL__N_112gatherMedianIhmLi1EEEvNS_4cuda6detail10TensorInfoIT_T0_EENS5_IlS7_EENS5_IKS6_S7_EES7_S7_S7_b.private_seg_size, 0
	.set _ZN2at6native12_GLOBAL__N_112gatherMedianIhmLi1EEEvNS_4cuda6detail10TensorInfoIT_T0_EENS5_IlS7_EENS5_IKS6_S7_EES7_S7_S7_b.uses_vcc, 1
	.set _ZN2at6native12_GLOBAL__N_112gatherMedianIhmLi1EEEvNS_4cuda6detail10TensorInfoIT_T0_EENS5_IlS7_EENS5_IKS6_S7_EES7_S7_S7_b.uses_flat_scratch, 0
	.set _ZN2at6native12_GLOBAL__N_112gatherMedianIhmLi1EEEvNS_4cuda6detail10TensorInfoIT_T0_EENS5_IlS7_EENS5_IKS6_S7_EES7_S7_S7_b.has_dyn_sized_stack, 0
	.set _ZN2at6native12_GLOBAL__N_112gatherMedianIhmLi1EEEvNS_4cuda6detail10TensorInfoIT_T0_EENS5_IlS7_EENS5_IKS6_S7_EES7_S7_S7_b.has_recursion, 0
	.set _ZN2at6native12_GLOBAL__N_112gatherMedianIhmLi1EEEvNS_4cuda6detail10TensorInfoIT_T0_EENS5_IlS7_EENS5_IKS6_S7_EES7_S7_S7_b.has_indirect_call, 0
	.section	.AMDGPU.csdata,"",@progbits
; Kernel info:
; codeLenInByte = 14900
; TotalNumSgprs: 100
; NumVgprs: 62
; ScratchSize: 0
; MemoryBound: 0
; FloatMode: 240
; IeeeMode: 1
; LDSByteSize: 5152 bytes/workgroup (compile time only)
; SGPRBlocks: 12
; VGPRBlocks: 15
; NumSGPRsForWavesPerEU: 100
; NumVGPRsForWavesPerEU: 62
; Occupancy: 4
; WaveLimiterHint : 1
; COMPUTE_PGM_RSRC2:SCRATCH_EN: 0
; COMPUTE_PGM_RSRC2:USER_SGPR: 6
; COMPUTE_PGM_RSRC2:TRAP_HANDLER: 0
; COMPUTE_PGM_RSRC2:TGID_X_EN: 1
; COMPUTE_PGM_RSRC2:TGID_Y_EN: 1
; COMPUTE_PGM_RSRC2:TGID_Z_EN: 1
; COMPUTE_PGM_RSRC2:TIDIG_COMP_CNT: 0
	.section	.text._ZN2at6native12_GLOBAL__N_112gatherMedianIhmLi2EEEvNS_4cuda6detail10TensorInfoIT_T0_EENS5_IlS7_EENS5_IKS6_S7_EES7_S7_S7_b,"axG",@progbits,_ZN2at6native12_GLOBAL__N_112gatherMedianIhmLi2EEEvNS_4cuda6detail10TensorInfoIT_T0_EENS5_IlS7_EENS5_IKS6_S7_EES7_S7_S7_b,comdat
	.globl	_ZN2at6native12_GLOBAL__N_112gatherMedianIhmLi2EEEvNS_4cuda6detail10TensorInfoIT_T0_EENS5_IlS7_EENS5_IKS6_S7_EES7_S7_S7_b ; -- Begin function _ZN2at6native12_GLOBAL__N_112gatherMedianIhmLi2EEEvNS_4cuda6detail10TensorInfoIT_T0_EENS5_IlS7_EENS5_IKS6_S7_EES7_S7_S7_b
	.p2align	8
	.type	_ZN2at6native12_GLOBAL__N_112gatherMedianIhmLi2EEEvNS_4cuda6detail10TensorInfoIT_T0_EENS5_IlS7_EENS5_IKS6_S7_EES7_S7_S7_b,@function
_ZN2at6native12_GLOBAL__N_112gatherMedianIhmLi2EEEvNS_4cuda6detail10TensorInfoIT_T0_EENS5_IlS7_EENS5_IKS6_S7_EES7_S7_S7_b: ; @_ZN2at6native12_GLOBAL__N_112gatherMedianIhmLi2EEEvNS_4cuda6detail10TensorInfoIT_T0_EENS5_IlS7_EENS5_IKS6_S7_EES7_S7_S7_b
; %bb.0:
	s_load_dwordx2 s[12:13], s[4:5], 0x500
	s_load_dwordx4 s[24:27], s[4:5], 0x4e0
	s_add_u32 s16, s4, 0x500
	s_addc_u32 s17, s5, 0
	s_mov_b32 s23, 0
	s_waitcnt lgkmcnt(0)
	s_mul_i32 s0, s13, s8
	s_add_i32 s0, s0, s7
	s_mul_i32 s0, s0, s12
	s_add_i32 s22, s0, s6
	v_mov_b32_e32 v1, s22
	v_mov_b32_e32 v2, s23
	v_cmp_le_u64_e32 vcc, s[26:27], v[1:2]
	s_cbranch_vccnz .LBB77_284
; %bb.1:
	s_load_dwordx2 s[10:11], s[4:5], 0x10
	s_load_dwordx2 s[2:3], s[4:5], 0x350
	;; [unrolled: 1-line block ×3, first 2 shown]
                                        ; implicit-def: $vgpr55 : SGPR spill to VGPR lane
	s_waitcnt lgkmcnt(0)
	v_mov_b32_e32 v1, s10
	v_mov_b32_e32 v2, s11
	v_writelane_b32 v55, s0, 0
	v_writelane_b32 v55, s1, 1
	v_cmp_lt_u64_e32 vcc, s[22:23], v[1:2]
	s_mov_b64 s[0:1], 0
	v_writelane_b32 v55, s0, 2
	v_writelane_b32 v55, s1, 3
	s_mov_b64 s[0:1], 0
	s_cbranch_vccnz .LBB77_3
; %bb.2:
	v_cvt_f32_u32_e32 v1, s10
	s_sub_i32 s0, 0, s10
	v_rcp_iflag_f32_e32 v1, v1
	v_mul_f32_e32 v1, 0x4f7ffffe, v1
	v_cvt_u32_f32_e32 v1, v1
	v_readfirstlane_b32 s1, v1
	s_mul_i32 s0, s0, s1
	s_mul_hi_u32 s0, s1, s0
	s_add_i32 s1, s1, s0
	s_mul_hi_u32 s0, s22, s1
	s_mul_i32 s7, s0, s10
	s_sub_i32 s7, s22, s7
	s_add_i32 s1, s0, 1
	s_sub_i32 s8, s7, s10
	s_cmp_ge_u32 s7, s10
	s_cselect_b32 s0, s1, s0
	s_cselect_b32 s7, s8, s7
	s_add_i32 s1, s0, 1
	s_cmp_ge_u32 s7, s10
	s_cselect_b32 s0, s1, s0
.LBB77_3:
	v_writelane_b32 v55, s0, 4
	v_writelane_b32 v55, s1, 5
	s_load_dwordx2 s[40:41], s[4:5], 0x4f0
	s_load_dwordx2 s[0:1], s[4:5], 0x1b0
	v_writelane_b32 v55, s10, 6
	v_writelane_b32 v55, s11, 7
	s_waitcnt lgkmcnt(0)
	v_mov_b32_e32 v2, s1
	v_mov_b32_e32 v1, s0
	v_cmp_lt_u64_e32 vcc, s[22:23], v[1:2]
	s_cbranch_vccnz .LBB77_5
; %bb.4:
	s_load_dwordx2 s[10:11], s[4:5], 0x1b0
	s_waitcnt lgkmcnt(0)
	v_cvt_f32_u32_e32 v1, s10
	s_sub_i32 s0, 0, s10
	v_rcp_iflag_f32_e32 v1, v1
	v_mul_f32_e32 v1, 0x4f7ffffe, v1
	v_cvt_u32_f32_e32 v1, v1
	v_readfirstlane_b32 s1, v1
	s_mul_i32 s0, s0, s1
	s_mul_hi_u32 s0, s1, s0
	s_add_i32 s1, s1, s0
	s_mul_hi_u32 s0, s22, s1
	s_mul_i32 s7, s0, s10
	s_sub_i32 s7, s22, s7
	s_add_i32 s1, s0, 1
	s_sub_i32 s8, s7, s10
	s_cmp_ge_u32 s7, s10
	s_cselect_b32 s0, s1, s0
	s_cselect_b32 s7, s8, s7
	s_add_i32 s1, s0, 1
	s_cmp_ge_u32 s7, s10
	s_cselect_b32 s0, s1, s0
	v_writelane_b32 v55, s0, 2
	v_writelane_b32 v55, s1, 3
.LBB77_5:
	v_mov_b32_e32 v1, s2
	v_mov_b32_e32 v2, s3
	v_cmp_lt_u64_e32 vcc, s[22:23], v[1:2]
	s_mov_b64 s[14:15], 0
	s_cbranch_vccnz .LBB77_7
; %bb.6:
	v_cvt_f32_u32_e32 v1, s2
	s_sub_i32 s0, 0, s2
	v_rcp_iflag_f32_e32 v1, v1
	v_mul_f32_e32 v1, 0x4f7ffffe, v1
	v_cvt_u32_f32_e32 v1, v1
	v_readfirstlane_b32 s1, v1
	s_mul_i32 s0, s0, s1
	s_mul_hi_u32 s0, s1, s0
	s_add_i32 s1, s1, s0
	s_mul_hi_u32 s0, s22, s1
	s_mul_i32 s7, s0, s2
	s_sub_i32 s7, s22, s7
	s_add_i32 s1, s0, 1
	s_sub_i32 s8, s7, s2
	s_cmp_ge_u32 s7, s2
	s_cselect_b32 s0, s1, s0
	s_cselect_b32 s7, s8, s7
	s_add_i32 s1, s0, 1
	s_cmp_ge_u32 s7, s2
	s_cselect_b32 s14, s1, s0
.LBB77_7:
	v_cmp_eq_u32_e64 s[0:1], 0, v0
	s_mov_b64 s[8:9], exec
	v_writelane_b32 v55, s0, 8
	v_writelane_b32 v55, s1, 9
	s_and_b64 s[0:1], s[8:9], s[0:1]
	s_mov_b64 exec, s[0:1]
; %bb.8:
	v_mov_b32_e32 v1, 0
	v_mov_b32_e32 v2, v1
	ds_write_b64 v1, v[1:2] offset:5136
; %bb.9:
	s_or_b64 exec, exec, s[8:9]
	v_mov_b32_e32 v1, 0
	s_load_dword s0, s[4:5], 0x4f8
	s_load_dwordx2 s[18:19], s[4:5], 0x340
	s_waitcnt lgkmcnt(0)
	s_barrier
	s_barrier
	ds_read_b64 v[1:2], v1 offset:5136
	s_bitcmp1_b32 s0, 0
	s_cselect_b64 s[0:1], -1, 0
	v_mov_b32_e32 v19, s24
	v_mov_b32_e32 v20, s25
	s_waitcnt lgkmcnt(0)
	v_cmp_gt_i64_e32 vcc, 1, v[1:2]
	s_or_b64 s[0:1], s[0:1], vcc
	s_andn2_b64 vcc, exec, s[0:1]
	s_cbranch_vccnz .LBB77_11
; %bb.10:
	v_not_b32_e32 v1, v1
	v_not_b32_e32 v2, v2
	v_mov_b32_e32 v3, s25
	v_add_co_u32_e32 v1, vcc, s24, v1
	v_addc_co_u32_e32 v2, vcc, v3, v2, vcc
	v_lshrrev_b64 v[1:2], 1, v[1:2]
	v_add_co_u32_e32 v19, vcc, 1, v1
	v_addc_co_u32_e32 v20, vcc, 0, v2, vcc
.LBB77_11:
	s_load_dwordx2 s[0:1], s[4:5], 0x1a0
	s_load_dwordx4 s[8:11], s[4:5], 0x410
	s_waitcnt lgkmcnt(0)
	v_writelane_b32 v55, s0, 10
	v_writelane_b32 v55, s1, 11
	s_load_dwordx2 s[0:1], s[4:5], 0x0
	s_waitcnt lgkmcnt(0)
	v_writelane_b32 v55, s0, 12
	v_writelane_b32 v55, s1, 13
	s_mov_b64 s[20:21], exec
	v_readlane_b32 s0, v55, 8
	v_readlane_b32 s1, v55, 9
	s_and_b64 s[0:1], s[20:21], s[0:1]
	s_mov_b64 exec, s[0:1]
	s_cbranch_execz .LBB77_13
; %bb.12:
	v_mov_b32_e32 v1, 0
	v_mov_b32_e32 v3, s24
	;; [unrolled: 1-line block ×4, first 2 shown]
	ds_write_b32 v1, v1 offset:5144
	ds_write_b128 v1, v[1:4] offset:5120
.LBB77_13:
	s_or_b64 exec, exec, s[20:21]
	s_load_dwordx4 s[28:31], s[4:5], 0x270
	s_mul_i32 s0, s14, s3
	s_mul_hi_u32 s1, s14, s2
	s_add_i32 s1, s1, s0
	s_mul_i32 s0, s14, s2
	s_waitcnt lgkmcnt(0)
	v_writelane_b32 v55, s28, 14
	v_writelane_b32 v55, s29, 15
	v_writelane_b32 v55, s30, 16
	v_writelane_b32 v55, s31, 17
	s_load_dwordx4 s[28:31], s[4:5], 0xd0
	s_mov_b32 s2, s22
	s_sub_u32 s0, s22, s0
	s_subb_u32 s1, 0, s1
	s_mul_i32 s1, s1, s10
	s_waitcnt lgkmcnt(0)
	v_writelane_b32 v55, s28, 18
	v_writelane_b32 v55, s29, 19
	;; [unrolled: 1-line block ×6, first 2 shown]
	s_mul_i32 s2, s0, s11
	s_mul_hi_u32 s3, s0, s10
	s_add_i32 s2, s3, s2
	s_add_i32 s2, s2, s1
	s_mul_i32 s1, s14, s9
	s_mul_hi_u32 s3, s14, s8
	s_add_i32 s3, s3, s1
	s_mul_i32 s1, s14, s8
	s_add_u32 s1, s18, s1
	v_mov_b32_e32 v3, 0
	s_mul_i32 s0, s0, s10
	s_addc_u32 s3, s19, s3
	v_mov_b32_e32 v1, v3
	s_add_u32 s50, s1, s0
	v_cmp_gt_u64_e64 s[0:1], s[24:25], v[0:1]
	s_addc_u32 s51, s3, s2
	v_mov_b32_e32 v4, s50
	v_writelane_b32 v55, s0, 24
	v_mov_b32_e32 v5, s51
	v_writelane_b32 v55, s1, 25
	v_mad_u64_u32 v[12:13], s[0:1], s40, v0, v[4:5]
	v_mbcnt_lo_u32_b32 v2, -1, 0
	v_mbcnt_hi_u32_b32 v23, -1, v2
	v_mov_b32_e32 v2, v13
	v_mad_u64_u32 v[4:5], s[0:1], s41, v0, v[2:3]
	v_mov_b32_e32 v5, 0xc00
	v_mov_b32_e32 v6, 0
	v_cmp_gt_u64_e64 s[0:1], s[24:25], v[5:6]
	v_writelane_b32 v55, s0, 26
	s_barrier
	v_writelane_b32 v55, s1, 27
	s_load_dword s0, s[16:17], 0xc
	v_lshlrev_b32_e32 v2, 2, v23
	v_and_b32_e32 v24, 0x100, v2
	v_lshrrev_b32_e32 v2, 1, v0
	v_and_b32_e32 v2, 0x1e0, v2
	v_cmp_gt_u32_e32 vcc, 64, v0
	v_cmp_gt_i32_e64 s[8:9], 4, v23
	v_mov_b32_e32 v13, v4
	v_lshlrev_b64 v[4:5], v23, -1
	v_or_b32_e32 v27, 0xc00, v2
	v_add_u32_e32 v2, 2, v0
	s_and_b64 s[54:55], vcc, s[8:9]
	s_waitcnt lgkmcnt(0)
	s_and_b32 s23, s0, 0xffff
	s_bfe_u32 s0, s0, 0xa0006
	v_cmp_gt_u64_e32 vcc, s[24:25], v[2:3]
	v_not_b32_e32 v26, v4
	s_cmp_gt_u32 s23, 63
	v_mov_b32_e32 v4, s25
	v_not_b32_e32 v25, v5
	s_cselect_b64 s[56:57], -1, 0
	s_add_u32 s1, s23, -1
	v_cndmask_b32_e32 v5, 0, v4, vcc
	v_mov_b32_e32 v4, s24
	s_addc_u32 s2, 0, -1
	v_cndmask_b32_e32 v2, v2, v4, vcc
	v_not_b32_e32 v4, v0
	s_add_u32 s3, s1, s24
	v_add_co_u32_e32 v4, vcc, v2, v4
	s_addc_u32 s59, s2, s25
	v_addc_co_u32_e32 v5, vcc, -1, v5, vcc
	v_writelane_b32 v55, s1, 28
	s_cmp_lt_u32 s6, s12
	v_cmp_lt_u64_e64 s[6:7], 3, v[4:5]
	v_writelane_b32 v55, s2, 29
	v_writelane_b32 v55, s6, 30
	v_and_b32_e32 v16, -4, v4
	v_mov_b32_e32 v17, v5
	s_cselect_b32 s1, 12, 18
	v_writelane_b32 v55, s7, 31
	v_cmp_ne_u64_e64 s[6:7], v[4:5], v[16:17]
	s_add_u32 s60, s16, s1
	s_addc_u32 s61, s17, 0
	v_writelane_b32 v55, s6, 32
	s_add_i32 s1, s0, -1
	v_writelane_b32 v55, s7, 33
	s_bfe_u32 s6, s23, 0x30006
	s_and_b32 s2, s1, 0xffff
	s_cmp_gt_u32 s2, 6
	s_cselect_b64 s[10:11], -1, 0
	v_writelane_b32 v55, s10, 34
	s_and_b32 s0, s0, 0x3f8
	v_writelane_b32 v55, s11, 35
	s_cmp_lg_u32 s6, 0
	v_writelane_b32 v55, s6, 36
	s_cselect_b64 s[6:7], -1, 0
	v_mov_b32_e32 v2, 0xc00
                                        ; kill: killed $sgpr4 killed $sgpr5
	s_mov_b32 s53, 0
	v_cmp_eq_u32_e64 s[4:5], 0, v23
	v_cmp_gt_u32_e64 s[14:15], 2, v0
	v_lshlrev_b32_e32 v14, 2, v0
	v_mov_b32_e32 v15, v3
	v_add_co_u32_e32 v18, vcc, v16, v0
	s_mov_b32 s62, s40
	s_mov_b32 s63, s41
	;; [unrolled: 1-line block ×7, first 2 shown]
	v_writelane_b32 v55, s6, 37
	v_lshl_or_b32 v29, v23, 3, v2
	s_mov_b64 s[66:67], 0
	s_mov_b32 s22, 0xc0c0004
	v_mov_b32_e32 v30, 0x4f800000
	v_mov_b32_e32 v31, 8
	;; [unrolled: 1-line block ×3, first 2 shown]
	s_mov_b32 s33, 0
	v_mov_b32_e32 v28, 0
	v_mov_b32_e32 v32, 0
	v_writelane_b32 v55, s7, 38
                                        ; implicit-def: $sgpr68_sgpr69
                                        ; implicit-def: $sgpr72_sgpr73
                                        ; implicit-def: $sgpr70_sgpr71
                                        ; implicit-def: $sgpr76_sgpr77
                                        ; implicit-def: $sgpr78_sgpr79
                                        ; implicit-def: $sgpr74_sgpr75
	s_branch .LBB77_17
.LBB77_14:                              ;   in Loop: Header=BB77_17 Depth=1
	s_or_b64 exec, exec, s[20:21]
	s_and_b64 s[12:13], s[12:13], exec
	s_andn2_b64 s[84:85], s[84:85], exec
	s_andn2_b64 s[6:7], s[6:7], exec
	s_orn2_b64 s[20:21], s[16:17], exec
.LBB77_15:                              ;   in Loop: Header=BB77_17 Depth=1
	s_or_b64 exec, exec, s[10:11]
	s_andn2_b64 s[10:11], s[74:75], exec
	s_and_b64 s[12:13], s[12:13], exec
	s_or_b64 s[74:75], s[10:11], s[12:13]
	s_andn2_b64 s[10:11], s[78:79], exec
	s_and_b64 s[12:13], s[84:85], exec
	s_or_b64 s[78:79], s[10:11], s[12:13]
	s_andn2_b64 s[10:11], s[76:77], exec
	s_and_b64 s[6:7], s[6:7], exec
	s_or_b64 s[76:77], s[10:11], s[6:7]
	s_orn2_b64 s[6:7], s[20:21], exec
.LBB77_16:                              ;   in Loop: Header=BB77_17 Depth=1
	s_or_b64 exec, exec, s[18:19]
	s_and_b64 s[6:7], exec, s[6:7]
	s_or_b64 s[66:67], s[6:7], s[66:67]
	s_andn2_b64 s[6:7], s[70:71], exec
	s_and_b64 s[10:11], s[74:75], exec
	s_or_b64 s[70:71], s[6:7], s[10:11]
	s_andn2_b64 s[6:7], s[72:73], exec
	s_and_b64 s[10:11], s[78:79], exec
	s_or_b64 s[72:73], s[6:7], s[10:11]
	s_andn2_b64 s[6:7], s[68:69], exec
	s_and_b64 s[10:11], s[76:77], exec
	v_mov_b32_e32 v20, v9
	s_or_b64 s[68:69], s[6:7], s[10:11]
	v_mov_b32_e32 v19, v8
	s_andn2_b64 exec, exec, s[66:67]
	s_cbranch_execz .LBB77_280
.LBB77_17:                              ; =>This Loop Header: Depth=1
                                        ;     Child Loop BB77_22 Depth 2
                                        ;     Child Loop BB77_36 Depth 2
	;; [unrolled: 1-line block ×17, first 2 shown]
	ds_read_b128 v[4:7], v3 offset:5120
	s_waitcnt lgkmcnt(0)
	v_readfirstlane_b32 s81, v5
	v_readfirstlane_b32 s80, v4
	s_cmp_lg_u64 s[80:81], 0
	s_cbranch_scc1 .LBB77_49
; %bb.18:                               ;   in Loop: Header=BB77_17 Depth=1
	v_readlane_b32 s6, v55, 26
	v_readlane_b32 s7, v55, 27
	s_and_b64 vcc, exec, s[6:7]
	s_cbranch_vccz .LBB77_30
; %bb.19:                               ;   in Loop: Header=BB77_17 Depth=1
	s_mov_b64 s[6:7], 0xc01
	v_cmp_gt_u64_e32 vcc, s[6:7], v[6:7]
	s_mov_b64 s[12:13], 0
	s_mov_b64 s[6:7], 0
	s_cbranch_vccz .LBB77_31
; %bb.20:                               ;   in Loop: Header=BB77_17 Depth=1
	global_load_ubyte v6, v[12:13], off
	global_load_ushort v2, v3, s[60:61]
	v_mov_b32_e32 v5, v1
	s_mov_b64 s[10:11], 0
	v_mov_b32_e32 v4, v0
	s_branch .LBB77_22
.LBB77_21:                              ;   in Loop: Header=BB77_22 Depth=2
	s_or_b64 exec, exec, s[6:7]
	s_waitcnt vmcnt(0)
	v_mov_b32_e32 v6, v7
	s_andn2_b64 exec, exec, s[10:11]
	s_cbranch_execz .LBB77_147
.LBB77_22:                              ;   Parent Loop BB77_17 Depth=1
                                        ; =>  This Inner Loop Header: Depth=2
	s_waitcnt vmcnt(0)
	v_add_co_u32_sdwa v4, vcc, v4, v2 dst_sel:DWORD dst_unused:UNUSED_PAD src0_sel:DWORD src1_sel:WORD_0
	v_addc_co_u32_e32 v5, vcc, 0, v5, vcc
	v_cmp_gt_u64_e64 s[6:7], s[24:25], v[4:5]
	v_cmp_le_u64_e32 vcc, s[24:25], v[4:5]
	s_waitcnt lgkmcnt(0)
	v_mov_b32_e32 v8, 0
	v_mov_b32_e32 v7, 0
	s_and_saveexec_b64 s[16:17], s[6:7]
	s_cbranch_execz .LBB77_24
; %bb.23:                               ;   in Loop: Header=BB77_22 Depth=2
	v_mov_b32_e32 v9, s50
	v_mov_b32_e32 v10, s51
	v_mad_u64_u32 v[9:10], s[6:7], v4, s40, v[9:10]
	v_mul_lo_u32 v7, v4, s41
	v_mul_lo_u32 v11, v5, s40
	v_add3_u32 v10, v11, v10, v7
	global_load_ubyte v7, v[9:10], off
.LBB77_24:                              ;   in Loop: Header=BB77_22 Depth=2
	s_or_b64 exec, exec, s[16:17]
	v_and_b32_e32 v9, v6, v32
	v_cmp_eq_u32_sdwa s[16:17], v9, v28 src0_sel:BYTE_0 src1_sel:DWORD
	s_cmp_lg_u64 s[16:17], 0
	s_cselect_b64 s[6:7], -1, 0
	s_and_b64 s[6:7], s[4:5], s[6:7]
	s_and_saveexec_b64 s[18:19], s[6:7]
	s_cbranch_execz .LBB77_28
; %bb.25:                               ;   in Loop: Header=BB77_22 Depth=2
	s_mov_b64 s[26:27], exec
	v_mbcnt_lo_u32_b32 v8, s26, 0
	v_mbcnt_hi_u32_b32 v8, s27, v8
	s_bcnt1_i32_b64 s2, s[16:17]
	v_cmp_eq_u32_e64 s[6:7], 0, v8
                                        ; implicit-def: $vgpr9
	s_and_saveexec_b64 s[20:21], s[6:7]
; %bb.26:                               ;   in Loop: Header=BB77_22 Depth=2
	s_bcnt1_i32_b64 s6, s[26:27]
	s_mul_i32 s6, s2, s6
	v_mov_b32_e32 v9, s6
	ds_add_rtn_u32 v9, v3, v9 offset:5144
; %bb.27:                               ;   in Loop: Header=BB77_22 Depth=2
	s_or_b64 exec, exec, s[20:21]
	s_waitcnt lgkmcnt(0)
	v_readfirstlane_b32 s6, v9
	v_mov_b32_e32 v9, s6
	v_mad_u32_u24 v8, s2, v8, v9
.LBB77_28:                              ;   in Loop: Header=BB77_22 Depth=2
	s_or_b64 exec, exec, s[18:19]
	ds_bpermute_b32 v8, v24, v8
	s_and_b64 s[6:7], exec, vcc
	s_or_b64 s[10:11], s[6:7], s[10:11]
	s_and_saveexec_b64 s[6:7], s[16:17]
	s_cbranch_execz .LBB77_21
; %bb.29:                               ;   in Loop: Header=BB77_22 Depth=2
	v_and_b32_e32 v10, s16, v26
	v_and_b32_e32 v9, s17, v25
	v_bcnt_u32_b32 v10, v10, 0
	v_bcnt_u32_b32 v9, v9, v10
	s_waitcnt lgkmcnt(0)
	v_add_u32_e32 v8, v8, v9
	ds_write_b8 v8, v6
	s_branch .LBB77_21
.LBB77_30:                              ;   in Loop: Header=BB77_17 Depth=1
	s_mov_b64 s[12:13], -1
	s_mov_b64 s[6:7], 0
.LBB77_31:                              ;   in Loop: Header=BB77_17 Depth=1
	s_and_b64 vcc, exec, s[12:13]
	s_cbranch_vccz .LBB77_47
.LBB77_32:                              ;   in Loop: Header=BB77_17 Depth=1
	s_mov_b64 s[12:13], exec
	v_readlane_b32 s6, v55, 24
	v_readlane_b32 s7, v55, 25
	s_and_b64 s[6:7], s[12:13], s[6:7]
	s_mov_b64 exec, s[6:7]
	s_cbranch_execz .LBB77_44
; %bb.33:                               ;   in Loop: Header=BB77_17 Depth=1
	global_load_ushort v2, v3, s[60:61]
	global_load_ubyte v34, v[12:13], off
	v_mov_b32_e32 v4, v0
	s_waitcnt vmcnt(1)
	v_readfirstlane_b32 s2, v2
	v_add_u32_sdwa v2, v2, v0 dst_sel:DWORD dst_unused:UNUSED_PAD src0_sel:WORD_0 src1_sel:DWORD
	v_cmp_gt_u64_e32 vcc, s[24:25], v[2:3]
	s_and_saveexec_b64 s[18:19], vcc
	s_cbranch_execz .LBB77_43
; %bb.34:                               ;   in Loop: Header=BB77_17 Depth=1
	s_and_b32 s2, s2, 0xffff
	s_cmp_eq_u32 s2, 1
	v_readlane_b32 s10, v55, 30
                                        ; implicit-def: $vgpr4_vgpr5
	s_cselect_b64 s[6:7], -1, 0
	v_readlane_b32 s11, v55, 31
	v_mov_b32_e32 v8, v1
	v_mov_b32_e32 v6, v3
	s_and_b64 s[10:11], s[10:11], s[6:7]
	s_mov_b64 s[6:7], -1
	v_mov_b32_e32 v7, v0
	v_mov_b32_e32 v5, v2
	s_and_saveexec_b64 s[20:21], s[10:11]
	s_cbranch_execz .LBB77_38
; %bb.35:                               ;   in Loop: Header=BB77_17 Depth=1
	v_add_co_u32_e32 v8, vcc, 3, v2
	v_addc_co_u32_e64 v9, s[6:7], 0, 0, vcc
	v_add_co_u32_e32 v6, vcc, 2, v2
	v_addc_co_u32_e64 v7, s[6:7], 0, 0, vcc
	v_add_co_u32_e32 v4, vcc, 1, v2
	v_addc_co_u32_e64 v5, s[6:7], 0, 0, vcc
	v_mov_b32_e32 v22, v17
	v_mov_b32_e32 v11, v9
	s_waitcnt vmcnt(0)
	v_lshlrev_b32_e32 v36, 24, v34
	s_mov_b64 s[28:29], 0
	v_mov_b32_e32 v21, v16
	v_mov_b32_e32 v35, v0
	;; [unrolled: 1-line block ×9, first 2 shown]
.LBB77_36:                              ;   Parent Loop BB77_17 Depth=1
                                        ; =>  This Inner Loop Header: Depth=2
	v_mul_lo_u32 v34, v9, s64
	v_mul_lo_u32 v45, v8, s65
	v_mad_u64_u32 v[37:38], s[6:7], v8, s64, 0
	v_mul_lo_u32 v46, v7, s62
	v_mul_lo_u32 v47, v6, s63
	v_mad_u64_u32 v[39:40], s[6:7], v6, s62, 0
	v_mov_b32_e32 v43, s50
	v_mul_lo_u32 v48, v5, s40
	v_mul_lo_u32 v49, v4, s41
	v_mad_u64_u32 v[41:42], s[6:7], v4, s40, 0
	v_mov_b32_e32 v44, s51
	;; [unrolled: 4-line block ×3, first 2 shown]
	v_add3_u32 v34, v38, v45, v34
	v_add3_u32 v47, v40, v47, v46
	v_add_co_u32_e32 v38, vcc, s50, v39
	v_mov_b32_e32 v50, s51
	v_mov_b32_e32 v52, s51
	v_add3_u32 v42, v42, v49, v48
	v_add_co_u32_e64 v40, s[6:7], s50, v37
	v_add_co_u32_e64 v45, s[16:17], s50, v41
	v_addc_co_u32_e32 v39, vcc, v51, v47, vcc
	v_addc_co_u32_e64 v46, s[16:17], v50, v42, s[16:17]
	v_addc_co_u32_e64 v41, vcc, v52, v34, s[6:7]
	v_add3_u32 v44, v54, v44, v53
	global_load_ubyte v37, v[38:39], off
	s_nop 0
	global_load_ubyte v38, v[40:41], off
	global_load_ubyte v34, v[43:44], off
	;; [unrolled: 1-line block ×3, first 2 shown]
	v_add_co_u32_e32 v8, vcc, 4, v8
	v_addc_co_u32_e32 v9, vcc, 0, v9, vcc
	v_add_co_u32_e32 v6, vcc, 4, v6
	v_addc_co_u32_e32 v7, vcc, 0, v7, vcc
	;; [unrolled: 2-line block ×3, first 2 shown]
	v_add_co_u32_e32 v21, vcc, -4, v21
	v_addc_co_u32_e32 v22, vcc, -1, v22, vcc
	s_mov_b32 s10, 0xc0c0007
	v_cmp_eq_u64_e32 vcc, 0, v[21:22]
	v_add_co_u32_e64 v10, s[6:7], 4, v10
	v_addc_co_u32_e64 v11, s[6:7], 0, v11, s[6:7]
	s_or_b64 s[28:29], vcc, s[28:29]
	s_waitcnt vmcnt(1)
	v_perm_b32 v41, v38, v34, s22
	s_waitcnt vmcnt(0)
	v_perm_b32 v40, v39, v37, s22
	v_perm_b32 v37, v37, v38, s22
	;; [unrolled: 1-line block ×3, first 2 shown]
	v_lshl_or_b32 v38, v41, 16, v40
	v_lshl_or_b32 v36, v37, 16, v36
	ds_write_b32 v35, v36
	v_add_u32_e32 v35, 4, v35
	v_mov_b32_e32 v36, v38
	s_andn2_b64 exec, exec, s[28:29]
	s_cbranch_execnz .LBB77_36
; %bb.37:                               ;   in Loop: Header=BB77_17 Depth=1
	s_or_b64 exec, exec, s[28:29]
	v_readlane_b32 s6, v55, 32
	v_add_co_u32_e32 v5, vcc, v2, v16
	v_readlane_b32 s7, v55, 33
	v_addc_co_u32_e32 v6, vcc, 0, v17, vcc
	v_add_co_u32_e32 v4, vcc, -1, v5
	s_orn2_b64 s[6:7], s[6:7], exec
	v_mov_b32_e32 v7, v18
	v_mov_b32_e32 v8, v19
.LBB77_38:                              ;   in Loop: Header=BB77_17 Depth=1
	s_or_b64 exec, exec, s[20:21]
	s_and_saveexec_b64 s[10:11], s[6:7]
	s_cbranch_execz .LBB77_42
; %bb.39:                               ;   in Loop: Header=BB77_17 Depth=1
	s_mov_b64 s[16:17], 0
	s_sub_u32 s20, 0, s2
.LBB77_40:                              ;   Parent Loop BB77_17 Depth=1
                                        ; =>  This Inner Loop Header: Depth=2
	v_mov_b32_e32 v9, v6
	v_mov_b32_e32 v8, v5
	v_mov_b32_e32 v4, s50
	v_mov_b32_e32 v5, s51
	v_mad_u64_u32 v[4:5], s[6:7], v8, s40, v[4:5]
	v_mul_lo_u32 v2, v8, s41
	v_mul_lo_u32 v6, v9, s40
	s_waitcnt vmcnt(0)
	ds_write_b8 v7, v34
	v_add3_u32 v5, v6, v5, v2
	global_load_ubyte v2, v[4:5], off
	v_add_co_u32_e32 v5, vcc, s2, v8
	v_addc_co_u32_e32 v6, vcc, 0, v9, vcc
	v_cmp_le_u64_e32 vcc, s[24:25], v[5:6]
	v_mov_b32_e32 v7, v8
	v_add_co_u32_e64 v4, s[6:7], s20, v5
	s_or_b64 s[16:17], vcc, s[16:17]
	v_mov_b32_e32 v8, v9
	s_waitcnt vmcnt(0)
	v_mov_b32_e32 v34, v2
	s_andn2_b64 exec, exec, s[16:17]
	s_cbranch_execnz .LBB77_40
; %bb.41:                               ;   in Loop: Header=BB77_17 Depth=1
	s_or_b64 exec, exec, s[16:17]
	v_mov_b32_e32 v34, v2
.LBB77_42:                              ;   in Loop: Header=BB77_17 Depth=1
	s_or_b64 exec, exec, s[10:11]
.LBB77_43:                              ;   in Loop: Header=BB77_17 Depth=1
	s_or_b64 exec, exec, s[18:19]
	s_waitcnt vmcnt(0)
	ds_write_b8 v4, v34
.LBB77_44:                              ;   in Loop: Header=BB77_17 Depth=1
	s_or_b64 exec, exec, s[12:13]
	s_waitcnt lgkmcnt(0)
	s_barrier
	s_mov_b64 s[6:7], exec
	v_readlane_b32 s10, v55, 8
	v_readlane_b32 s11, v55, 9
	s_and_b64 s[10:11], s[6:7], s[10:11]
	s_mov_b64 exec, s[10:11]
; %bb.45:                               ;   in Loop: Header=BB77_17 Depth=1
	v_mov_b32_e32 v4, s24
	v_mov_b32_e32 v5, s25
	ds_write_b64 v3, v[4:5] offset:5120
; %bb.46:                               ;   in Loop: Header=BB77_17 Depth=1
	s_or_b64 exec, exec, s[6:7]
	s_mov_b64 s[6:7], -1
	s_waitcnt lgkmcnt(0)
	s_barrier
.LBB77_47:                              ;   in Loop: Header=BB77_17 Depth=1
	s_mov_b64 s[80:81], 0
	s_and_b64 vcc, exec, s[6:7]
	s_cbranch_vccz .LBB77_49
; %bb.48:                               ;   in Loop: Header=BB77_17 Depth=1
	ds_read_b64 v[4:5], v3 offset:5120
	s_waitcnt lgkmcnt(0)
	v_readfirstlane_b32 s80, v4
.LBB77_49:                              ;   in Loop: Header=BB77_17 Depth=1
	s_cmp_lt_i32 s80, 1
	s_mov_b64 s[6:7], -1
                                        ; implicit-def: $vgpr10_vgpr11
                                        ; implicit-def: $vgpr6_vgpr7
	s_cbranch_scc1 .LBB77_59
; %bb.50:                               ;   in Loop: Header=BB77_17 Depth=1
	s_and_b64 vcc, exec, s[6:7]
	s_cbranch_vccnz .LBB77_73
.LBB77_51:                              ;   in Loop: Header=BB77_17 Depth=1
	s_lshl_b32 s2, s33, 6
	s_and_saveexec_b64 s[6:7], s[4:5]
	s_cbranch_execz .LBB77_53
.LBB77_52:                              ;   in Loop: Header=BB77_17 Depth=1
	v_lshl_add_u32 v2, s2, 3, v27
	ds_write_b128 v2, v[4:7]
	ds_write_b128 v2, v[8:11] offset:16
.LBB77_53:                              ;   in Loop: Header=BB77_17 Depth=1
	s_or_b64 exec, exec, s[6:7]
	s_waitcnt lgkmcnt(0)
	s_barrier
	s_and_saveexec_b64 s[6:7], s[54:55]
	s_cbranch_execz .LBB77_88
; %bb.54:                               ;   in Loop: Header=BB77_17 Depth=1
	v_mov_b32_e32 v4, 0
	v_mov_b32_e32 v5, 0
	s_andn2_b64 vcc, exec, s[56:57]
	s_cbranch_vccnz .LBB77_87
; %bb.55:                               ;   in Loop: Header=BB77_17 Depth=1
	v_readlane_b32 s10, v55, 34
	v_readlane_b32 s11, v55, 35
	s_andn2_b64 vcc, exec, s[10:11]
	s_cbranch_vccnz .LBB77_83
; %bb.56:                               ;   in Loop: Header=BB77_17 Depth=1
	v_mov_b32_e32 v4, 0
	v_lshl_add_u32 v2, s33, 9, v29
	v_mov_b32_e32 v5, 0
	s_mov_b32 s10, 0
.LBB77_57:                              ;   Parent Loop BB77_17 Depth=1
                                        ; =>  This Inner Loop Header: Depth=2
	ds_read2_b64 v[6:9], v2 offset1:4
	ds_read2_b64 v[34:37], v2 offset0:8 offset1:12
	ds_read2_b64 v[38:41], v2 offset0:16 offset1:20
	;; [unrolled: 1-line block ×3, first 2 shown]
	s_add_i32 s10, s10, 8
	s_waitcnt lgkmcnt(3)
	v_add_co_u32_e32 v4, vcc, v6, v4
	v_addc_co_u32_e32 v5, vcc, v7, v5, vcc
	v_add_co_u32_e32 v4, vcc, v8, v4
	v_addc_co_u32_e32 v5, vcc, v9, v5, vcc
	s_waitcnt lgkmcnt(2)
	v_add_co_u32_e32 v4, vcc, v34, v4
	v_addc_co_u32_e32 v5, vcc, v35, v5, vcc
	v_add_co_u32_e32 v4, vcc, v36, v4
	v_addc_co_u32_e32 v5, vcc, v37, v5, vcc
	;; [unrolled: 5-line block ×3, first 2 shown]
	s_waitcnt lgkmcnt(0)
	v_add_co_u32_e32 v4, vcc, v42, v4
	v_addc_co_u32_e32 v5, vcc, v43, v5, vcc
	v_add_co_u32_e32 v4, vcc, v44, v4
	v_add_u32_e32 v2, 0x100, v2
	s_cmp_eq_u32 s0, s10
	v_addc_co_u32_e32 v5, vcc, v45, v5, vcc
	s_cbranch_scc0 .LBB77_57
; %bb.58:                               ;   in Loop: Header=BB77_17 Depth=1
	s_mov_b32 s10, s0
	s_branch .LBB77_84
.LBB77_59:                              ;   in Loop: Header=BB77_17 Depth=1
	global_load_ushort v2, v3, s[60:61]
	s_mov_b32 s6, s53
	s_mov_b32 s7, s25
	s_waitcnt vmcnt(0)
	v_readfirstlane_b32 s2, v2
	s_and_b32 s2, 0xffff, s2
	s_lshl_b32 s2, s2, 2
	s_cmp_lg_u64 s[6:7], 0
	s_cbranch_scc0 .LBB77_82
; %bb.60:                               ;   in Loop: Header=BB77_17 Depth=1
	v_cvt_f32_u32_e32 v4, s2
	s_sub_u32 s10, 0, s2
	s_subb_u32 s11, 0, 0
	v_mac_f32_e32 v4, 0, v30
	v_rcp_f32_e32 v4, v4
	v_mul_f32_e32 v4, 0x5f7ffffc, v4
	v_mul_f32_e32 v5, 0x2f800000, v4
	v_trunc_f32_e32 v5, v5
	v_mac_f32_e32 v4, 0xcf800000, v5
	v_cvt_u32_f32_e32 v5, v5
	v_cvt_u32_f32_e32 v4, v4
	v_readfirstlane_b32 s12, v5
	v_readfirstlane_b32 s6, v4
	s_mul_i32 s7, s10, s12
	s_mul_hi_u32 s16, s10, s6
	s_mul_i32 s13, s11, s6
	s_add_i32 s7, s16, s7
	s_mul_i32 s17, s10, s6
	s_add_i32 s7, s7, s13
	s_mul_hi_u32 s16, s6, s17
	s_mul_i32 s18, s6, s7
	s_mul_hi_u32 s13, s6, s7
	s_add_u32 s16, s16, s18
	s_addc_u32 s13, 0, s13
	s_mul_hi_u32 s19, s12, s17
	s_mul_i32 s17, s12, s17
	s_add_u32 s16, s16, s17
	s_mul_hi_u32 s18, s12, s7
	s_addc_u32 s13, s13, s19
	s_addc_u32 s16, s18, 0
	s_mul_i32 s7, s12, s7
	s_add_u32 s7, s13, s7
	s_addc_u32 s13, 0, s16
	s_add_u32 s16, s6, s7
	s_cselect_b64 s[6:7], -1, 0
	s_cmp_lg_u64 s[6:7], 0
	s_addc_u32 s12, s12, s13
	s_mul_i32 s6, s10, s12
	s_mul_hi_u32 s7, s10, s16
	s_add_i32 s6, s7, s6
	s_mul_i32 s11, s11, s16
	s_add_i32 s6, s6, s11
	s_mul_i32 s10, s10, s16
	s_mul_hi_u32 s11, s12, s10
	s_mul_i32 s13, s12, s10
	s_mul_i32 s18, s16, s6
	s_mul_hi_u32 s10, s16, s10
	s_mul_hi_u32 s17, s16, s6
	s_add_u32 s10, s10, s18
	s_addc_u32 s17, 0, s17
	s_add_u32 s10, s10, s13
	s_mul_hi_u32 s7, s12, s6
	s_addc_u32 s10, s17, s11
	s_addc_u32 s7, s7, 0
	s_mul_i32 s6, s12, s6
	s_add_u32 s6, s10, s6
	s_addc_u32 s10, 0, s7
	s_add_u32 s11, s16, s6
	s_cselect_b64 s[6:7], -1, 0
	s_cmp_lg_u64 s[6:7], 0
	s_addc_u32 s6, s12, s10
	s_mul_i32 s10, s24, s6
	s_mul_hi_u32 s12, s24, s11
	s_mul_hi_u32 s7, s24, s6
	s_add_u32 s10, s12, s10
	s_addc_u32 s7, 0, s7
	s_mul_hi_u32 s13, s25, s11
	s_mul_i32 s11, s25, s11
	s_add_u32 s10, s10, s11
	s_mul_hi_u32 s12, s25, s6
	s_addc_u32 s7, s7, s13
	s_addc_u32 s10, s12, 0
	s_mul_i32 s6, s25, s6
	s_add_u32 s6, s7, s6
	s_addc_u32 s7, 0, s10
	s_mul_i32 s7, s2, s7
	s_mul_hi_u32 s10, s2, s6
	s_add_i32 s10, s10, s7
	s_mul_i32 s6, s2, s6
	s_sub_u32 s11, s24, s6
	s_cselect_b64 s[6:7], -1, 0
	s_cmp_lg_u64 s[6:7], 0
	s_subb_u32 s10, s25, s10
	s_sub_u32 s12, s11, s2
	s_cselect_b64 s[6:7], -1, 0
	s_cmp_lg_u64 s[6:7], 0
	s_subb_u32 s13, s10, 0
	s_sub_u32 s16, s12, s2
	s_cselect_b64 s[6:7], -1, 0
	s_cmp_lg_u64 s[6:7], 0
	s_subb_u32 s6, s13, 0
	s_cmp_ge_u32 s12, s2
	s_cselect_b32 s7, -1, 0
	s_cmp_eq_u32 s13, 0
	s_cselect_b32 s7, s7, -1
	s_cmp_lg_u32 s7, 0
	s_cselect_b32 s6, s6, s13
	s_cselect_b32 s12, s16, s12
	s_cmp_ge_u32 s11, s2
	s_cselect_b32 s7, -1, 0
	s_cmp_eq_u32 s10, 0
	s_cselect_b32 s7, s7, -1
	s_cmp_lg_u32 s7, 0
	s_cselect_b32 s7, s6, s10
	s_cselect_b32 s6, s12, s11
	s_cbranch_execnz .LBB77_62
.LBB77_61:                              ;   in Loop: Header=BB77_17 Depth=1
	v_cvt_f32_u32_e32 v4, s2
	s_sub_i32 s6, 0, s2
	v_rcp_iflag_f32_e32 v4, v4
	v_mul_f32_e32 v4, 0x4f7ffffe, v4
	v_cvt_u32_f32_e32 v4, v4
	v_readfirstlane_b32 s7, v4
	s_mul_i32 s6, s6, s7
	s_mul_hi_u32 s6, s7, s6
	s_add_i32 s7, s7, s6
	s_mul_hi_u32 s6, s24, s7
	s_mul_i32 s6, s6, s2
	s_sub_i32 s6, s24, s6
	s_sub_i32 s7, s6, s2
	s_cmp_ge_u32 s6, s2
	s_cselect_b32 s6, s7, s6
	s_sub_i32 s7, s6, s2
	s_cmp_ge_u32 s6, s2
	s_cselect_b32 s52, s7, s6
	s_mov_b64 s[6:7], s[52:53]
.LBB77_62:                              ;   in Loop: Header=BB77_17 Depth=1
	s_sub_u32 s82, s24, s6
	s_subb_u32 s83, s25, s7
	v_cmp_gt_u64_e32 vcc, s[82:83], v[14:15]
	v_mov_b32_e32 v4, 0
	v_mov_b32_e32 v6, 0
	;; [unrolled: 1-line block ×8, first 2 shown]
	s_and_saveexec_b64 s[84:85], vcc
	s_cbranch_execz .LBB77_66
; %bb.63:                               ;   in Loop: Header=BB77_17 Depth=1
	v_mov_b32_e32 v22, v15
	s_mov_b64 s[86:87], 0
	s_mov_b64 s[88:89], 0
	;; [unrolled: 1-line block ×5, first 2 shown]
	v_mov_b32_e32 v21, v14
.LBB77_64:                              ;   Parent Loop BB77_17 Depth=1
                                        ; =>  This Inner Loop Header: Depth=2
	v_mov_b32_e32 v4, s50
	v_mov_b32_e32 v5, s51
	v_mad_u64_u32 v[4:5], s[6:7], v21, s40, v[4:5]
	v_mul_lo_u32 v6, v21, s41
	v_mul_lo_u32 v7, v22, s40
	v_mov_b32_e32 v8, s41
	v_mov_b32_e32 v9, s41
	v_add3_u32 v5, v7, v5, v6
	global_load_ubyte v6, v[4:5], off
	v_add_co_u32_e32 v4, vcc, s40, v4
	v_mov_b32_e32 v7, s41
	v_addc_co_u32_e32 v5, vcc, v5, v7, vcc
	global_load_ubyte v7, v[4:5], off
	v_add_co_u32_e32 v4, vcc, s40, v4
	v_addc_co_u32_e32 v5, vcc, v5, v8, vcc
	global_load_ubyte v8, v[4:5], off
	v_add_co_u32_e32 v4, vcc, s40, v4
	v_addc_co_u32_e32 v5, vcc, v5, v9, vcc
	global_load_ubyte v4, v[4:5], off
	s_waitcnt vmcnt(3)
	v_and_b32_e32 v5, v32, v6
	v_cmp_eq_u32_e32 vcc, v5, v28
	s_waitcnt vmcnt(2)
	v_and_b32_e32 v5, v32, v7
	v_cmp_eq_u32_e64 s[6:7], v5, v28
	s_waitcnt vmcnt(1)
	v_and_b32_e32 v5, v32, v8
	v_cmp_eq_u32_e64 s[16:17], v5, v28
	;; [unrolled: 3-line block ×3, first 2 shown]
	v_bfe_u32 v5, v6, s1, 2
	v_bfe_u32 v6, v7, s1, 2
	v_cmp_eq_u32_e64 s[20:21], 0, v5
	v_bfe_u32 v7, v8, s1, 2
	s_and_b64 s[10:11], vcc, s[20:21]
	v_cmp_eq_u32_e64 s[20:21], 0, v6
	v_bfe_u32 v4, v4, s1, 2
	s_and_b64 s[12:13], s[6:7], s[20:21]
	v_cmp_eq_u32_e64 s[20:21], 0, v7
	s_and_b64 s[26:27], s[16:17], s[20:21]
	v_cmp_eq_u32_e64 s[20:21], 0, v4
	v_cndmask_b32_e64 v8, 0, 1, s[10:11]
	s_and_b64 s[28:29], s[18:19], s[20:21]
	v_cmp_ne_u32_e64 s[20:21], 0, v8
	v_cndmask_b32_e64 v8, 0, 1, s[12:13]
	s_bcnt1_i32_b64 s10, s[20:21]
	v_cmp_ne_u32_e64 s[20:21], 0, v8
	v_cndmask_b32_e64 v8, 0, 1, s[26:27]
	s_bcnt1_i32_b64 s11, s[20:21]
	;; [unrolled: 3-line block ×3, first 2 shown]
	v_cmp_ne_u32_e64 s[20:21], 0, v8
	s_bcnt1_i32_b64 s13, s[20:21]
	s_add_u32 s10, s10, s94
	s_addc_u32 s20, 0, s95
	s_add_u32 s10, s10, s11
	s_addc_u32 s11, s20, 0
	;; [unrolled: 2-line block ×3, first 2 shown]
	s_add_u32 s94, s10, s13
	v_cmp_eq_u32_e64 s[20:21], 1, v5
	s_addc_u32 s95, s11, 0
	s_and_b64 s[10:11], vcc, s[20:21]
	v_cmp_eq_u32_e64 s[20:21], 1, v6
	s_and_b64 s[12:13], s[6:7], s[20:21]
	v_cmp_eq_u32_e64 s[20:21], 1, v7
	s_and_b64 s[26:27], s[16:17], s[20:21]
	v_cmp_eq_u32_e64 s[20:21], 1, v4
	v_cndmask_b32_e64 v8, 0, 1, s[10:11]
	s_and_b64 s[28:29], s[18:19], s[20:21]
	v_cmp_ne_u32_e64 s[20:21], 0, v8
	v_cndmask_b32_e64 v8, 0, 1, s[12:13]
	s_bcnt1_i32_b64 s10, s[20:21]
	v_cmp_ne_u32_e64 s[20:21], 0, v8
	v_cndmask_b32_e64 v8, 0, 1, s[26:27]
	s_bcnt1_i32_b64 s11, s[20:21]
	;; [unrolled: 3-line block ×3, first 2 shown]
	v_cmp_ne_u32_e64 s[20:21], 0, v8
	s_bcnt1_i32_b64 s13, s[20:21]
	s_add_u32 s10, s10, s92
	s_addc_u32 s20, 0, s93
	s_add_u32 s10, s10, s11
	s_addc_u32 s11, s20, 0
	;; [unrolled: 2-line block ×3, first 2 shown]
	s_add_u32 s92, s10, s13
	v_cmp_eq_u32_e64 s[20:21], 2, v5
	s_addc_u32 s93, s11, 0
	s_and_b64 s[10:11], vcc, s[20:21]
	v_cmp_eq_u32_e64 s[20:21], 2, v6
	s_and_b64 s[12:13], s[6:7], s[20:21]
	v_cmp_eq_u32_e64 s[20:21], 2, v7
	s_and_b64 s[26:27], s[16:17], s[20:21]
	v_cmp_eq_u32_e64 s[20:21], 2, v4
	v_cndmask_b32_e64 v8, 0, 1, s[10:11]
	s_and_b64 s[28:29], s[18:19], s[20:21]
	v_cmp_ne_u32_e64 s[20:21], 0, v8
	v_cndmask_b32_e64 v8, 0, 1, s[12:13]
	s_bcnt1_i32_b64 s10, s[20:21]
	v_cmp_ne_u32_e64 s[20:21], 0, v8
	v_cndmask_b32_e64 v8, 0, 1, s[26:27]
	s_bcnt1_i32_b64 s11, s[20:21]
	;; [unrolled: 3-line block ×3, first 2 shown]
	v_cmp_ne_u32_e64 s[20:21], 0, v8
	s_bcnt1_i32_b64 s13, s[20:21]
	s_add_u32 s10, s10, s90
	s_addc_u32 s20, 0, s91
	s_add_u32 s10, s10, s11
	s_addc_u32 s11, s20, 0
	;; [unrolled: 2-line block ×3, first 2 shown]
	s_add_u32 s90, s10, s13
	v_cmp_eq_u32_e64 s[20:21], 3, v5
	s_addc_u32 s91, s11, 0
	s_and_b64 s[10:11], vcc, s[20:21]
	v_cmp_eq_u32_e32 vcc, 3, v6
	s_and_b64 s[6:7], s[6:7], vcc
	v_cmp_eq_u32_e32 vcc, 3, v7
	s_and_b64 s[12:13], s[16:17], vcc
	v_cmp_eq_u32_e32 vcc, 3, v4
	v_cndmask_b32_e64 v4, 0, 1, s[10:11]
	s_and_b64 s[16:17], s[18:19], vcc
	v_cmp_ne_u32_e32 vcc, 0, v4
	v_cndmask_b32_e64 v4, 0, 1, s[6:7]
	s_bcnt1_i32_b64 s10, vcc
	v_cmp_ne_u32_e32 vcc, 0, v4
	v_cndmask_b32_e64 v4, 0, 1, s[12:13]
	s_bcnt1_i32_b64 s6, vcc
	;; [unrolled: 3-line block ×3, first 2 shown]
	v_cmp_ne_u32_e32 vcc, 0, v4
	s_bcnt1_i32_b64 s11, vcc
	s_add_u32 s10, s10, s88
	s_addc_u32 s12, 0, s89
	s_add_u32 s6, s10, s6
	s_addc_u32 s10, s12, 0
	s_add_u32 s6, s6, s7
	v_add_co_u32_e32 v21, vcc, s2, v21
	s_addc_u32 s7, s10, 0
	v_addc_co_u32_e32 v22, vcc, 0, v22, vcc
	s_add_u32 s88, s6, s11
	v_cmp_le_u64_e32 vcc, s[82:83], v[21:22]
	s_addc_u32 s89, s7, 0
	v_mov_b32_e32 v4, s94
	v_mov_b32_e32 v6, s92
	;; [unrolled: 1-line block ×4, first 2 shown]
	s_or_b64 s[86:87], vcc, s[86:87]
	v_mov_b32_e32 v5, s95
	v_mov_b32_e32 v7, s93
	;; [unrolled: 1-line block ×4, first 2 shown]
	s_andn2_b64 exec, exec, s[86:87]
	s_cbranch_execnz .LBB77_64
; %bb.65:                               ;   in Loop: Header=BB77_17 Depth=1
	s_or_b64 exec, exec, s[86:87]
.LBB77_66:                              ;   in Loop: Header=BB77_17 Depth=1
	s_or_b64 exec, exec, s[84:85]
	v_mov_b32_e32 v22, s83
	v_add_co_u32_e32 v21, vcc, s82, v0
	v_addc_co_u32_e32 v22, vcc, 0, v22, vcc
	v_cmp_gt_u64_e32 vcc, s[24:25], v[21:22]
	s_and_saveexec_b64 s[12:13], vcc
	s_cbranch_execz .LBB77_72
; %bb.67:                               ;   in Loop: Header=BB77_17 Depth=1
	v_mov_b32_e32 v34, s50
	v_mov_b32_e32 v35, s51
	v_mad_u64_u32 v[34:35], s[6:7], v21, s40, v[34:35]
	v_mul_lo_u32 v36, v21, s41
	v_mul_lo_u32 v37, v22, s40
	s_mov_b64 s[10:11], 0
	v_add3_u32 v35, v37, v35, v36
	global_load_ubyte v35, v[34:35], off
	s_branch .LBB77_69
.LBB77_68:                              ;   in Loop: Header=BB77_69 Depth=2
	s_or_b64 exec, exec, s[16:17]
	s_waitcnt vmcnt(0)
	v_and_b32_e32 v35, 0xff, v35
	s_and_b64 s[6:7], exec, vcc
	v_and_b32_e32 v36, v32, v35
	v_bfe_u32 v35, v35, s1, 2
	s_or_b64 s[10:11], s[6:7], s[10:11]
	v_cmp_eq_u32_e32 vcc, v36, v28
	v_cmp_eq_u32_e64 s[6:7], 0, v35
	s_and_b64 s[6:7], vcc, s[6:7]
	v_cndmask_b32_e64 v36, 0, 1, s[6:7]
	v_cmp_ne_u32_e64 s[6:7], 0, v36
	s_bcnt1_i32_b64 s2, s[6:7]
	v_add_co_u32_e64 v4, s[6:7], s2, v4
	v_addc_co_u32_e64 v5, s[6:7], 0, v5, s[6:7]
	v_cmp_eq_u32_e64 s[6:7], 1, v35
	s_and_b64 s[6:7], vcc, s[6:7]
	v_cndmask_b32_e64 v36, 0, 1, s[6:7]
	v_cmp_ne_u32_e64 s[6:7], 0, v36
	s_bcnt1_i32_b64 s2, s[6:7]
	v_add_co_u32_e64 v6, s[6:7], s2, v6
	v_addc_co_u32_e64 v7, s[6:7], 0, v7, s[6:7]
	;; [unrolled: 7-line block ×3, first 2 shown]
	v_cmp_eq_u32_e64 s[6:7], 3, v35
	s_and_b64 s[6:7], vcc, s[6:7]
	v_cndmask_b32_e64 v35, 0, 1, s[6:7]
	v_cmp_ne_u32_e32 vcc, 0, v35
	s_bcnt1_i32_b64 s2, vcc
	v_add_co_u32_e32 v10, vcc, s2, v10
	v_addc_co_u32_e32 v11, vcc, 0, v11, vcc
	v_mov_b32_e32 v35, v34
	s_andn2_b64 exec, exec, s[10:11]
	s_cbranch_execz .LBB77_71
.LBB77_69:                              ;   Parent Loop BB77_17 Depth=1
                                        ; =>  This Inner Loop Header: Depth=2
	v_add_co_u32_sdwa v21, vcc, v21, v2 dst_sel:DWORD dst_unused:UNUSED_PAD src0_sel:DWORD src1_sel:WORD_0
	v_addc_co_u32_e32 v22, vcc, 0, v22, vcc
	v_cmp_gt_u64_e64 s[6:7], s[24:25], v[21:22]
	v_cmp_le_u64_e32 vcc, s[24:25], v[21:22]
	v_mov_b32_e32 v34, 0
	s_and_saveexec_b64 s[16:17], s[6:7]
	s_cbranch_execz .LBB77_68
; %bb.70:                               ;   in Loop: Header=BB77_69 Depth=2
	v_mov_b32_e32 v36, s50
	v_mov_b32_e32 v37, s51
	v_mad_u64_u32 v[36:37], s[6:7], v21, s40, v[36:37]
	v_mul_lo_u32 v34, v21, s41
	v_mul_lo_u32 v38, v22, s40
	v_add3_u32 v37, v38, v37, v34
	global_load_ubyte v34, v[36:37], off
	s_branch .LBB77_68
.LBB77_71:                              ;   in Loop: Header=BB77_17 Depth=1
	s_or_b64 exec, exec, s[10:11]
.LBB77_72:                              ;   in Loop: Header=BB77_17 Depth=1
	s_or_b64 exec, exec, s[12:13]
	s_branch .LBB77_51
.LBB77_73:                              ;   in Loop: Header=BB77_17 Depth=1
	global_load_ushort v2, v3, s[60:61]
	v_mov_b32_e32 v8, 0
	v_mov_b32_e32 v9, 0
	s_waitcnt vmcnt(0)
	v_readfirstlane_b32 s2, v2
	s_and_b32 s2, 0xffff, s2
	s_lshl_b32 s10, s2, 2
	v_cvt_f32_u32_e32 v4, s10
	s_sub_i32 s6, 0, s10
	v_rcp_iflag_f32_e32 v6, v4
	v_mov_b32_e32 v4, 0
	v_mov_b32_e32 v5, 0
	v_mul_f32_e32 v6, 0x4f7ffffe, v6
	v_cvt_u32_f32_e32 v10, v6
	v_mov_b32_e32 v6, 0
	v_mov_b32_e32 v7, 0
	v_readfirstlane_b32 s7, v10
	s_mul_i32 s6, s6, s7
	s_mul_hi_u32 s6, s7, s6
	s_add_i32 s7, s7, s6
	s_mul_hi_u32 s6, s80, s7
	s_mul_i32 s7, s6, s10
	s_sub_i32 s7, s80, s7
	s_add_i32 s11, s6, 1
	s_sub_i32 s12, s7, s10
	s_cmp_ge_u32 s7, s10
	s_cselect_b32 s6, s11, s6
	s_cselect_b32 s7, s12, s7
	s_add_i32 s11, s6, 1
	s_cmp_ge_u32 s7, s10
	s_cselect_b32 s6, s11, s6
	s_mul_hi_u32 s83, s2, s6
	s_mul_i32 s82, s2, s6
	s_lshl_b64 s[84:85], s[82:83], 2
	v_cmp_gt_u64_e32 vcc, s[84:85], v[14:15]
	v_mov_b32_e32 v10, 0
	v_mov_b32_e32 v11, 0
	s_and_saveexec_b64 s[86:87], vcc
	s_cbranch_execz .LBB77_77
; %bb.74:                               ;   in Loop: Header=BB77_17 Depth=1
	v_mov_b32_e32 v22, v15
	s_mov_b64 s[88:89], 0
	v_mov_b32_e32 v34, v14
	s_mov_b64 s[90:91], 0
	s_mov_b64 s[92:93], 0
	;; [unrolled: 1-line block ×4, first 2 shown]
	v_mov_b32_e32 v21, v14
.LBB77_75:                              ;   Parent Loop BB77_17 Depth=1
                                        ; =>  This Inner Loop Header: Depth=2
	ds_read_b32 v4, v34
	v_add_u32_e32 v34, s10, v34
	s_waitcnt lgkmcnt(0)
	v_and_b32_e32 v6, 0xff, v4
	v_bfe_u32 v7, v4, 8, 8
	v_and_b32_e32 v8, v32, v6
	v_bfe_u32 v6, v6, s1, 2
	v_lshrrev_b32_e32 v5, 24, v4
	v_bfe_u32 v4, v4, 16, 8
	v_cmp_eq_u32_e32 vcc, v8, v28
	v_and_b32_e32 v8, v32, v7
	v_bfe_u32 v7, v7, s1, 2
	v_cmp_eq_u32_e64 s[20:21], 0, v6
	v_cmp_eq_u32_e64 s[6:7], v8, v28
	v_and_b32_e32 v8, v32, v4
	v_bfe_u32 v4, v4, s1, 2
	s_and_b64 s[12:13], vcc, s[20:21]
	v_cmp_eq_u32_e64 s[20:21], 0, v7
	v_cmp_eq_u32_e64 s[16:17], v8, v28
	v_and_b32_e32 v8, v32, v5
	v_bfe_u32 v5, v5, s1, 2
	s_and_b64 s[26:27], s[6:7], s[20:21]
	v_cmp_eq_u32_e64 s[20:21], 0, v4
	v_cmp_eq_u32_e64 s[18:19], v8, v28
	s_and_b64 s[28:29], s[16:17], s[20:21]
	v_cmp_eq_u32_e64 s[20:21], 0, v5
	v_cndmask_b32_e64 v8, 0, 1, s[12:13]
	s_and_b64 s[30:31], s[18:19], s[20:21]
	v_cmp_ne_u32_e64 s[20:21], 0, v8
	v_cndmask_b32_e64 v8, 0, 1, s[26:27]
	s_bcnt1_i32_b64 s11, s[20:21]
	v_cmp_ne_u32_e64 s[20:21], 0, v8
	v_cndmask_b32_e64 v8, 0, 1, s[28:29]
	s_bcnt1_i32_b64 s12, s[20:21]
	;; [unrolled: 3-line block ×3, first 2 shown]
	v_cmp_ne_u32_e64 s[20:21], 0, v8
	s_bcnt1_i32_b64 s20, s[20:21]
	s_add_u32 s11, s11, s46
	s_addc_u32 s21, 0, s47
	s_add_u32 s11, s11, s12
	s_addc_u32 s12, s21, 0
	;; [unrolled: 2-line block ×3, first 2 shown]
	s_add_u32 s46, s11, s20
	v_cmp_eq_u32_e64 s[20:21], 1, v6
	s_addc_u32 s47, s12, 0
	s_and_b64 s[12:13], vcc, s[20:21]
	v_cmp_eq_u32_e64 s[20:21], 1, v7
	s_and_b64 s[26:27], s[6:7], s[20:21]
	v_cmp_eq_u32_e64 s[20:21], 1, v4
	s_and_b64 s[28:29], s[16:17], s[20:21]
	v_cmp_eq_u32_e64 s[20:21], 1, v5
	v_cndmask_b32_e64 v8, 0, 1, s[12:13]
	s_and_b64 s[30:31], s[18:19], s[20:21]
	v_cmp_ne_u32_e64 s[20:21], 0, v8
	v_cndmask_b32_e64 v8, 0, 1, s[26:27]
	s_bcnt1_i32_b64 s11, s[20:21]
	v_cmp_ne_u32_e64 s[20:21], 0, v8
	v_cndmask_b32_e64 v8, 0, 1, s[28:29]
	s_bcnt1_i32_b64 s12, s[20:21]
	;; [unrolled: 3-line block ×3, first 2 shown]
	v_cmp_ne_u32_e64 s[20:21], 0, v8
	s_bcnt1_i32_b64 s20, s[20:21]
	s_add_u32 s11, s11, s94
	s_addc_u32 s21, 0, s95
	s_add_u32 s11, s11, s12
	s_addc_u32 s12, s21, 0
	s_add_u32 s11, s11, s13
	s_addc_u32 s12, s12, 0
	s_add_u32 s94, s11, s20
	v_cmp_eq_u32_e64 s[20:21], 2, v6
	s_addc_u32 s95, s12, 0
	s_and_b64 s[12:13], vcc, s[20:21]
	v_cmp_eq_u32_e64 s[20:21], 2, v7
	s_and_b64 s[26:27], s[6:7], s[20:21]
	v_cmp_eq_u32_e64 s[20:21], 2, v4
	s_and_b64 s[28:29], s[16:17], s[20:21]
	v_cmp_eq_u32_e64 s[20:21], 2, v5
	v_cndmask_b32_e64 v8, 0, 1, s[12:13]
	s_and_b64 s[30:31], s[18:19], s[20:21]
	v_cmp_ne_u32_e64 s[20:21], 0, v8
	v_cndmask_b32_e64 v8, 0, 1, s[26:27]
	s_bcnt1_i32_b64 s11, s[20:21]
	v_cmp_ne_u32_e64 s[20:21], 0, v8
	v_cndmask_b32_e64 v8, 0, 1, s[28:29]
	s_bcnt1_i32_b64 s12, s[20:21]
	v_cmp_ne_u32_e64 s[20:21], 0, v8
	v_cndmask_b32_e64 v8, 0, 1, s[30:31]
	s_bcnt1_i32_b64 s13, s[20:21]
	v_cmp_ne_u32_e64 s[20:21], 0, v8
	s_bcnt1_i32_b64 s20, s[20:21]
	s_add_u32 s11, s11, s92
	s_addc_u32 s21, 0, s93
	s_add_u32 s11, s11, s12
	s_addc_u32 s12, s21, 0
	;; [unrolled: 2-line block ×3, first 2 shown]
	s_add_u32 s92, s11, s20
	v_cmp_eq_u32_e64 s[20:21], 3, v6
	s_addc_u32 s93, s12, 0
	s_and_b64 s[12:13], vcc, s[20:21]
	v_cmp_eq_u32_e32 vcc, 3, v7
	s_and_b64 s[6:7], s[6:7], vcc
	v_cmp_eq_u32_e32 vcc, 3, v4
	s_and_b64 s[16:17], s[16:17], vcc
	v_cmp_eq_u32_e32 vcc, 3, v5
	v_cndmask_b32_e64 v4, 0, 1, s[12:13]
	s_and_b64 s[18:19], s[18:19], vcc
	v_cmp_ne_u32_e32 vcc, 0, v4
	v_cndmask_b32_e64 v4, 0, 1, s[6:7]
	s_bcnt1_i32_b64 s11, vcc
	v_cmp_ne_u32_e32 vcc, 0, v4
	v_cndmask_b32_e64 v4, 0, 1, s[16:17]
	s_bcnt1_i32_b64 s6, vcc
	;; [unrolled: 3-line block ×3, first 2 shown]
	v_cmp_ne_u32_e32 vcc, 0, v4
	s_bcnt1_i32_b64 s12, vcc
	s_add_u32 s11, s11, s90
	s_addc_u32 s13, 0, s91
	s_add_u32 s6, s11, s6
	s_addc_u32 s11, s13, 0
	s_add_u32 s6, s6, s7
	v_add_co_u32_e32 v21, vcc, s10, v21
	s_addc_u32 s7, s11, 0
	v_addc_co_u32_e32 v22, vcc, 0, v22, vcc
	s_add_u32 s90, s6, s12
	v_cmp_le_u64_e32 vcc, s[84:85], v[21:22]
	s_addc_u32 s91, s7, 0
	v_mov_b32_e32 v4, s46
	v_mov_b32_e32 v6, s94
	;; [unrolled: 1-line block ×4, first 2 shown]
	s_or_b64 s[88:89], vcc, s[88:89]
	v_mov_b32_e32 v5, s47
	v_mov_b32_e32 v7, s95
	;; [unrolled: 1-line block ×4, first 2 shown]
	s_andn2_b64 exec, exec, s[88:89]
	s_cbranch_execnz .LBB77_75
; %bb.76:                               ;   in Loop: Header=BB77_17 Depth=1
	s_or_b64 exec, exec, s[88:89]
.LBB77_77:                              ;   in Loop: Header=BB77_17 Depth=1
	s_or_b64 exec, exec, s[86:87]
	v_mov_b32_e32 v22, s85
	v_add_co_u32_e32 v21, vcc, s84, v0
	s_and_b32 s52, s80, 0x7fffffff
	v_addc_co_u32_e32 v22, vcc, 0, v22, vcc
	v_cmp_gt_u64_e32 vcc, s[52:53], v[21:22]
	s_and_saveexec_b64 s[16:17], vcc
	s_cbranch_execz .LBB77_81
; %bb.78:                               ;   in Loop: Header=BB77_17 Depth=1
	v_lshl_add_u32 v34, s82, 2, v0
	s_mov_b64 s[18:19], 0
.LBB77_79:                              ;   Parent Loop BB77_17 Depth=1
                                        ; =>  This Inner Loop Header: Depth=2
	ds_read_u8 v35, v34
	v_add_u32_e32 v34, s2, v34
	s_waitcnt lgkmcnt(0)
	v_and_b32_e32 v36, v32, v35
	v_bfe_u32 v35, v35, s1, 2
	v_cmp_eq_u32_e32 vcc, v36, v28
	v_cmp_eq_u32_e64 s[6:7], 0, v35
	s_and_b64 s[6:7], vcc, s[6:7]
	v_cndmask_b32_e64 v36, 0, 1, s[6:7]
	v_cmp_ne_u32_e64 s[6:7], 0, v36
	s_bcnt1_i32_b64 s6, s[6:7]
	v_add_co_u32_e64 v4, s[6:7], s6, v4
	v_addc_co_u32_e64 v5, s[6:7], 0, v5, s[6:7]
	v_cmp_eq_u32_e64 s[6:7], 1, v35
	s_and_b64 s[6:7], vcc, s[6:7]
	v_cndmask_b32_e64 v36, 0, 1, s[6:7]
	v_cmp_ne_u32_e64 s[6:7], 0, v36
	s_bcnt1_i32_b64 s6, s[6:7]
	v_add_co_u32_e64 v6, s[6:7], s6, v6
	v_addc_co_u32_e64 v7, s[6:7], 0, v7, s[6:7]
	;; [unrolled: 7-line block ×3, first 2 shown]
	v_cmp_eq_u32_e64 s[6:7], 3, v35
	s_and_b64 s[6:7], vcc, s[6:7]
	v_cndmask_b32_e64 v35, 0, 1, s[6:7]
	v_cmp_ne_u32_e32 vcc, 0, v35
	s_bcnt1_i32_b64 s6, vcc
	v_add_co_u32_e32 v10, vcc, s6, v10
	v_addc_co_u32_e32 v11, vcc, 0, v11, vcc
	v_add_co_u32_sdwa v21, vcc, v21, v2 dst_sel:DWORD dst_unused:UNUSED_PAD src0_sel:DWORD src1_sel:WORD_0
	v_addc_co_u32_e32 v22, vcc, 0, v22, vcc
	v_cmp_le_u64_e32 vcc, s[52:53], v[21:22]
	s_or_b64 s[18:19], vcc, s[18:19]
	s_andn2_b64 exec, exec, s[18:19]
	s_cbranch_execnz .LBB77_79
; %bb.80:                               ;   in Loop: Header=BB77_17 Depth=1
	s_or_b64 exec, exec, s[18:19]
.LBB77_81:                              ;   in Loop: Header=BB77_17 Depth=1
	s_or_b64 exec, exec, s[16:17]
	s_lshl_b32 s2, s33, 6
	s_and_saveexec_b64 s[6:7], s[4:5]
	s_cbranch_execnz .LBB77_52
	s_branch .LBB77_53
.LBB77_82:                              ;   in Loop: Header=BB77_17 Depth=1
                                        ; implicit-def: $sgpr6_sgpr7
	s_branch .LBB77_61
.LBB77_83:                              ;   in Loop: Header=BB77_17 Depth=1
	v_mov_b32_e32 v4, 0
	v_mov_b32_e32 v5, 0
	s_mov_b32 s10, 0
.LBB77_84:                              ;   in Loop: Header=BB77_17 Depth=1
	v_readlane_b32 s12, v55, 37
	v_readlane_b32 s13, v55, 38
	s_andn2_b64 vcc, exec, s[12:13]
	s_cbranch_vccnz .LBB77_87
; %bb.85:                               ;   in Loop: Header=BB77_17 Depth=1
	s_lshl_b32 s11, s33, 9
	s_lshl_b32 s10, s10, 5
	s_add_i32 s11, s11, s10
	v_add_u32_e32 v2, s11, v29
	v_readlane_b32 s10, v55, 36
.LBB77_86:                              ;   Parent Loop BB77_17 Depth=1
                                        ; =>  This Inner Loop Header: Depth=2
	ds_read_b64 v[6:7], v2
	s_add_i32 s10, s10, -1
	v_add_u32_e32 v2, 32, v2
	s_cmp_lg_u32 s10, 0
	s_waitcnt lgkmcnt(0)
	v_add_co_u32_e32 v4, vcc, v6, v4
	v_addc_co_u32_e32 v5, vcc, v7, v5, vcc
	s_cbranch_scc1 .LBB77_86
.LBB77_87:                              ;   in Loop: Header=BB77_17 Depth=1
	v_add_lshl_u32 v2, s2, v23, 3
	ds_write_b64 v2, v[4:5] offset:3072
.LBB77_88:                              ;   in Loop: Header=BB77_17 Depth=1
	s_or_b64 exec, exec, s[6:7]
	s_lshl_b32 s2, s2, 3
	v_mov_b32_e32 v2, s2
	s_waitcnt lgkmcnt(0)
	s_barrier
	ds_read_b128 v[8:11], v2 offset:3088
	ds_read_b128 v[4:7], v2 offset:3072
	v_cmp_eq_u64_e64 s[6:7], 1, v[19:20]
	s_lshl_b32 s2, 3, s1
	s_not_b32 s42, s2
	s_waitcnt lgkmcnt(1)
	v_readfirstlane_b32 s82, v8
	s_waitcnt lgkmcnt(0)
	v_cmp_eq_u64_e32 vcc, 1, v[4:5]
	v_readfirstlane_b32 s83, v9
	v_readfirstlane_b32 s16, v10
	;; [unrolled: 1-line block ×3, first 2 shown]
	s_and_b64 s[20:21], vcc, s[6:7]
	s_mov_b64 s[6:7], -1
	s_mov_b64 s[10:11], -1
                                        ; implicit-def: $sgpr30_sgpr31
                                        ; implicit-def: $sgpr28_sgpr29
	s_and_saveexec_b64 s[18:19], s[20:21]
	s_cbranch_execz .LBB77_120
; %bb.89:                               ;   in Loop: Header=BB77_17 Depth=1
	ds_read_b64 v[8:9], v3 offset:5120
	s_waitcnt lgkmcnt(0)
	s_barrier
	v_readfirstlane_b32 s34, v8
	v_readfirstlane_b32 s35, v9
	s_and_saveexec_b64 s[10:11], s[14:15]
; %bb.90:                               ;   in Loop: Header=BB77_17 Depth=1
	ds_write_b8 v0, v3 offset:3072
; %bb.91:                               ;   in Loop: Header=BB77_17 Depth=1
	s_or_b64 exec, exec, s[10:11]
	v_and_b32_e32 v28, s42, v28
	v_or_b32_e32 v32, s2, v32
	s_mov_b64 s[28:29], -1
	s_mov_b64 s[30:31], 0
	s_cmp_eq_u64 s[34:35], 0
	s_mov_b64 s[12:13], 0
	s_mov_b64 s[10:11], -1
	s_waitcnt lgkmcnt(0)
	s_barrier
                                        ; implicit-def: $vgpr33
	s_cbranch_scc1 .LBB77_105
; %bb.92:                               ;   in Loop: Header=BB77_17 Depth=1
	v_readlane_b32 s10, v55, 28
	s_add_u32 s36, s34, s10
	v_readlane_b32 s10, v55, 29
	s_addc_u32 s13, s35, s10
	s_mov_b32 s12, s53
	s_cmp_lg_u64 s[12:13], 0
	s_cbranch_scc0 .LBB77_146
; %bb.93:                               ;   in Loop: Header=BB77_17 Depth=1
	v_cvt_f32_u32_e32 v2, s23
	s_sub_u32 s12, 0, s23
	s_subb_u32 s26, 0, 0
	v_mac_f32_e32 v2, 0, v30
	v_rcp_f32_e32 v2, v2
	v_mul_f32_e32 v2, 0x5f7ffffc, v2
	v_mul_f32_e32 v8, 0x2f800000, v2
	v_trunc_f32_e32 v8, v8
	v_mac_f32_e32 v2, 0xcf800000, v8
	v_cvt_u32_f32_e32 v8, v8
	v_cvt_u32_f32_e32 v2, v2
	v_readfirstlane_b32 s27, v8
	v_readfirstlane_b32 s10, v2
	s_mul_i32 s11, s12, s27
	s_mul_hi_u32 s38, s12, s10
	s_mul_i32 s37, s26, s10
	s_add_i32 s11, s38, s11
	s_mul_i32 s39, s12, s10
	s_add_i32 s11, s11, s37
	s_mul_hi_u32 s38, s10, s39
	s_mul_i32 s43, s10, s11
	s_mul_hi_u32 s37, s10, s11
	s_add_u32 s38, s38, s43
	s_addc_u32 s37, 0, s37
	s_mul_hi_u32 s44, s27, s39
	s_mul_i32 s39, s27, s39
	s_add_u32 s38, s38, s39
	s_mul_hi_u32 s43, s27, s11
	s_addc_u32 s37, s37, s44
	s_addc_u32 s38, s43, 0
	s_mul_i32 s11, s27, s11
	s_add_u32 s11, s37, s11
	s_addc_u32 s37, 0, s38
	s_add_u32 s38, s10, s11
	s_cselect_b64 s[10:11], -1, 0
	s_cmp_lg_u64 s[10:11], 0
	s_addc_u32 s27, s27, s37
	s_mul_i32 s10, s12, s27
	s_mul_hi_u32 s11, s12, s38
	s_add_i32 s10, s11, s10
	s_mul_i32 s26, s26, s38
	s_add_i32 s10, s10, s26
	s_mul_i32 s12, s12, s38
	s_mul_hi_u32 s26, s27, s12
	s_mul_i32 s37, s27, s12
	s_mul_i32 s43, s38, s10
	s_mul_hi_u32 s12, s38, s12
	s_mul_hi_u32 s39, s38, s10
	s_add_u32 s12, s12, s43
	s_addc_u32 s39, 0, s39
	s_add_u32 s12, s12, s37
	s_mul_hi_u32 s11, s27, s10
	s_addc_u32 s12, s39, s26
	s_addc_u32 s11, s11, 0
	s_mul_i32 s10, s27, s10
	s_add_u32 s10, s12, s10
	s_addc_u32 s12, 0, s11
	s_add_u32 s26, s38, s10
	s_cselect_b64 s[10:11], -1, 0
	s_cmp_lg_u64 s[10:11], 0
	s_addc_u32 s10, s27, s12
	s_mul_i32 s12, s36, s10
	s_mul_hi_u32 s27, s36, s26
	s_mul_hi_u32 s11, s36, s10
	s_add_u32 s12, s27, s12
	s_addc_u32 s11, 0, s11
	s_mul_hi_u32 s37, s13, s26
	s_mul_i32 s26, s13, s26
	s_add_u32 s12, s12, s26
	s_mul_hi_u32 s27, s13, s10
	s_addc_u32 s11, s11, s37
	s_addc_u32 s12, s27, 0
	s_mul_i32 s10, s13, s10
	s_add_u32 s10, s11, s10
	s_addc_u32 s11, 0, s12
	s_mul_i32 s11, s23, s11
	s_mul_hi_u32 s12, s23, s10
	s_add_i32 s12, s12, s11
	s_mul_i32 s10, s23, s10
	s_sub_u32 s26, s36, s10
	s_cselect_b64 s[10:11], -1, 0
	s_cmp_lg_u64 s[10:11], 0
	s_subb_u32 s12, s13, s12
	s_sub_u32 s27, s26, s23
	s_cselect_b64 s[10:11], -1, 0
	s_cmp_lg_u64 s[10:11], 0
	s_subb_u32 s37, s12, 0
	s_sub_u32 s38, s27, s23
	s_cselect_b64 s[10:11], -1, 0
	s_cmp_lg_u64 s[10:11], 0
	s_subb_u32 s10, s37, 0
	s_cmp_ge_u32 s27, s23
	s_cselect_b32 s11, -1, 0
	s_cmp_eq_u32 s37, 0
	s_cselect_b32 s11, s11, -1
	s_cmp_lg_u32 s11, 0
	s_cselect_b32 s10, s10, s37
	s_cselect_b32 s27, s38, s27
	s_cmp_ge_u32 s26, s23
	s_cselect_b32 s11, -1, 0
	s_cmp_eq_u32 s12, 0
	s_cselect_b32 s11, s11, -1
	s_cmp_lg_u32 s11, 0
	s_cselect_b32 s11, s10, s12
	s_cselect_b32 s10, s27, s26
	s_cbranch_execnz .LBB77_95
.LBB77_94:                              ;   in Loop: Header=BB77_17 Depth=1
	v_cvt_f32_u32_e32 v2, s23
	s_sub_i32 s10, 0, s23
	v_rcp_iflag_f32_e32 v2, v2
	v_mul_f32_e32 v2, 0x4f7ffffe, v2
	v_cvt_u32_f32_e32 v2, v2
	v_readfirstlane_b32 s11, v2
	s_mul_i32 s10, s10, s11
	s_mul_hi_u32 s10, s11, s10
	s_add_i32 s11, s11, s10
	s_mul_hi_u32 s10, s36, s11
	s_mul_i32 s10, s10, s23
	s_sub_i32 s10, s36, s10
	s_sub_i32 s11, s10, s23
	s_cmp_ge_u32 s10, s23
	s_cselect_b32 s10, s11, s10
	s_sub_i32 s11, s10, s23
	s_cmp_ge_u32 s10, s23
	s_cselect_b32 s52, s11, s10
	s_mov_b64 s[10:11], s[52:53]
.LBB77_95:                              ;   in Loop: Header=BB77_17 Depth=1
	s_sub_u32 s38, s36, s10
	s_subb_u32 s39, s13, s11
	v_cmp_gt_u64_e32 vcc, s[38:39], v[0:1]
	s_mov_b64 s[10:11], 0
	s_mov_b64 s[12:13], 0
                                        ; implicit-def: $vgpr33
	s_and_saveexec_b64 s[36:37], vcc
	s_cbranch_execz .LBB77_104
; %bb.96:                               ;   in Loop: Header=BB77_17 Depth=1
	v_mov_b32_e32 v9, v1
	v_mov_b32_e32 v2, v0
	;; [unrolled: 1-line block ×3, first 2 shown]
                                        ; implicit-def: $sgpr44_sgpr45
	s_branch .LBB77_99
.LBB77_97:                              ;   in Loop: Header=BB77_99 Depth=2
	s_or_b64 exec, exec, s[26:27]
	s_waitcnt lgkmcnt(0)
	s_barrier
	ds_read_u16 v10, v3 offset:3072
	s_mov_b64 s[26:27], -1
	s_waitcnt lgkmcnt(0)
	s_barrier
	v_cmp_ne_u32_sdwa s[46:47], v10, v3 src0_sel:BYTE_0 src1_sel:DWORD
	s_and_b64 vcc, exec, s[46:47]
	s_mov_b64 s[46:47], -1
	s_cbranch_vccz .LBB77_102
.LBB77_98:                              ;   in Loop: Header=BB77_99 Depth=2
	s_and_b64 s[26:27], exec, s[26:27]
	s_or_b64 s[12:13], s[26:27], s[12:13]
	s_andn2_b64 s[26:27], s[44:45], exec
	s_and_b64 s[44:45], s[46:47], exec
	s_or_b64 s[44:45], s[26:27], s[44:45]
	s_andn2_b64 exec, exec, s[12:13]
	s_cbranch_execz .LBB77_103
.LBB77_99:                              ;   Parent Loop BB77_17 Depth=1
                                        ; =>  This Inner Loop Header: Depth=2
	v_cmp_gt_u64_e32 vcc, s[34:35], v[8:9]
	s_and_saveexec_b64 s[26:27], vcc
	s_cbranch_execz .LBB77_97
; %bb.100:                              ;   in Loop: Header=BB77_99 Depth=2
	ds_read_u8 v10, v2
	s_waitcnt lgkmcnt(0)
	v_and_b32_e32 v11, v10, v32
	v_cmp_eq_u32_sdwa s[46:47], v11, v28 src0_sel:BYTE_0 src1_sel:DWORD
	s_and_b64 exec, exec, s[46:47]
	s_cbranch_execz .LBB77_97
; %bb.101:                              ;   in Loop: Header=BB77_99 Depth=2
	v_lshlrev_b16_e32 v10, 8, v10
	v_or_b32_e32 v10, 1, v10
	ds_write_b16 v3, v10 offset:3072
	s_branch .LBB77_97
.LBB77_102:                             ;   in Loop: Header=BB77_99 Depth=2
	v_add_co_u32_e32 v8, vcc, s23, v8
	v_addc_co_u32_e32 v9, vcc, 0, v9, vcc
	v_cmp_le_u64_e32 vcc, s[38:39], v[8:9]
	v_add_u32_e32 v2, s23, v2
	s_mov_b64 s[46:47], 0
	s_orn2_b64 s[26:27], vcc, exec
	s_branch .LBB77_98
.LBB77_103:                             ;   in Loop: Header=BB77_17 Depth=1
	s_or_b64 exec, exec, s[12:13]
	v_lshrrev_b32_sdwa v33, v31, v10 dst_sel:DWORD dst_unused:UNUSED_PAD src0_sel:DWORD src1_sel:WORD_0
	s_and_b64 s[12:13], s[44:45], exec
.LBB77_104:                             ;   in Loop: Header=BB77_17 Depth=1
	s_or_b64 exec, exec, s[36:37]
.LBB77_105:                             ;   in Loop: Header=BB77_17 Depth=1
	s_and_b64 vcc, exec, s[10:11]
	s_cbranch_vccz .LBB77_119
; %bb.106:                              ;   in Loop: Header=BB77_17 Depth=1
	s_mov_b32 s58, s53
	s_cmp_lg_u64 s[58:59], 0
	s_cbranch_scc0 .LBB77_150
; %bb.107:                              ;   in Loop: Header=BB77_17 Depth=1
	v_cvt_f32_u32_e32 v2, s23
	s_sub_u32 s26, 0, s23
	s_subb_u32 s27, 0, 0
	v_mac_f32_e32 v2, 0, v30
	v_rcp_f32_e32 v2, v2
	v_mul_f32_e32 v2, 0x5f7ffffc, v2
	v_mul_f32_e32 v8, 0x2f800000, v2
	v_trunc_f32_e32 v8, v8
	v_mac_f32_e32 v2, 0xcf800000, v8
	v_cvt_u32_f32_e32 v8, v8
	v_cvt_u32_f32_e32 v2, v2
	v_readfirstlane_b32 s28, v8
	v_readfirstlane_b32 s10, v2
	s_mul_i32 s11, s26, s28
	s_mul_hi_u32 s30, s26, s10
	s_mul_i32 s29, s27, s10
	s_add_i32 s11, s30, s11
	s_mul_i32 s31, s26, s10
	s_add_i32 s11, s11, s29
	s_mul_hi_u32 s30, s10, s31
	s_mul_i32 s34, s10, s11
	s_mul_hi_u32 s29, s10, s11
	s_add_u32 s30, s30, s34
	s_addc_u32 s29, 0, s29
	s_mul_hi_u32 s35, s28, s31
	s_mul_i32 s31, s28, s31
	s_add_u32 s30, s30, s31
	s_mul_hi_u32 s34, s28, s11
	s_addc_u32 s29, s29, s35
	s_addc_u32 s30, s34, 0
	s_mul_i32 s11, s28, s11
	s_add_u32 s11, s29, s11
	s_addc_u32 s29, 0, s30
	s_add_u32 s30, s10, s11
	s_cselect_b64 s[10:11], -1, 0
	s_cmp_lg_u64 s[10:11], 0
	s_addc_u32 s28, s28, s29
	s_mul_i32 s10, s26, s28
	s_mul_hi_u32 s11, s26, s30
	s_add_i32 s10, s11, s10
	s_mul_i32 s27, s27, s30
	s_add_i32 s10, s10, s27
	s_mul_i32 s26, s26, s30
	s_mul_hi_u32 s27, s28, s26
	s_mul_i32 s29, s28, s26
	s_mul_i32 s34, s30, s10
	s_mul_hi_u32 s26, s30, s26
	s_mul_hi_u32 s31, s30, s10
	s_add_u32 s26, s26, s34
	s_addc_u32 s31, 0, s31
	s_add_u32 s26, s26, s29
	s_mul_hi_u32 s11, s28, s10
	s_addc_u32 s26, s31, s27
	s_addc_u32 s11, s11, 0
	s_mul_i32 s10, s28, s10
	s_add_u32 s10, s26, s10
	s_addc_u32 s26, 0, s11
	s_add_u32 s27, s30, s10
	s_cselect_b64 s[10:11], -1, 0
	s_cmp_lg_u64 s[10:11], 0
	s_addc_u32 s10, s28, s26
	s_mul_i32 s26, s3, s10
	s_mul_hi_u32 s28, s3, s27
	s_mul_hi_u32 s11, s3, s10
	s_add_u32 s26, s28, s26
	s_addc_u32 s11, 0, s11
	s_mul_hi_u32 s29, s59, s27
	s_mul_i32 s27, s59, s27
	s_add_u32 s26, s26, s27
	s_mul_hi_u32 s28, s59, s10
	s_addc_u32 s11, s11, s29
	s_addc_u32 s26, s28, 0
	s_mul_i32 s10, s59, s10
	s_add_u32 s10, s11, s10
	s_addc_u32 s11, 0, s26
	s_mul_i32 s11, s23, s11
	s_mul_hi_u32 s26, s23, s10
	s_add_i32 s26, s26, s11
	s_mul_i32 s10, s23, s10
	s_sub_u32 s27, s3, s10
	s_cselect_b64 s[10:11], -1, 0
	s_cmp_lg_u64 s[10:11], 0
	s_subb_u32 s26, s59, s26
	s_sub_u32 s28, s27, s23
	s_cselect_b64 s[10:11], -1, 0
	s_cmp_lg_u64 s[10:11], 0
	s_subb_u32 s29, s26, 0
	;; [unrolled: 4-line block ×3, first 2 shown]
	s_cmp_ge_u32 s28, s23
	s_cselect_b32 s11, -1, 0
	s_cmp_eq_u32 s29, 0
	s_cselect_b32 s11, s11, -1
	s_cmp_lg_u32 s11, 0
	s_cselect_b32 s10, s10, s29
	s_cselect_b32 s28, s30, s28
	s_cmp_ge_u32 s27, s23
	s_cselect_b32 s11, -1, 0
	s_cmp_eq_u32 s26, 0
	s_cselect_b32 s11, s11, -1
	s_cmp_lg_u32 s11, 0
	s_cselect_b32 s11, s10, s26
	s_cselect_b32 s10, s28, s27
	s_cbranch_execnz .LBB77_109
.LBB77_108:                             ;   in Loop: Header=BB77_17 Depth=1
	v_cvt_f32_u32_e32 v2, s23
	s_sub_i32 s10, 0, s23
	v_rcp_iflag_f32_e32 v2, v2
	v_mul_f32_e32 v2, 0x4f7ffffe, v2
	v_cvt_u32_f32_e32 v2, v2
	v_readfirstlane_b32 s11, v2
	s_mul_i32 s10, s10, s11
	s_mul_hi_u32 s10, s11, s10
	s_add_i32 s11, s11, s10
	s_mul_hi_u32 s10, s3, s11
	s_mul_i32 s10, s10, s23
	s_sub_i32 s10, s3, s10
	s_sub_i32 s11, s10, s23
	s_cmp_ge_u32 s10, s23
	s_cselect_b32 s10, s11, s10
	s_sub_i32 s11, s10, s23
	s_cmp_ge_u32 s10, s23
	s_cselect_b32 s52, s11, s10
	s_mov_b64 s[10:11], s[52:53]
.LBB77_109:                             ;   in Loop: Header=BB77_17 Depth=1
	s_sub_u32 s28, s3, s10
	s_subb_u32 s29, s59, s11
	v_cmp_gt_u64_e32 vcc, s[28:29], v[0:1]
                                        ; implicit-def: $vgpr33
	s_and_saveexec_b64 s[10:11], vcc
	s_cbranch_execz .LBB77_118
; %bb.110:                              ;   in Loop: Header=BB77_17 Depth=1
	v_mov_b32_e32 v9, v1
	s_mov_b64 s[30:31], 0
	v_mov_b32_e32 v8, v0
                                        ; implicit-def: $sgpr34_sgpr35
	s_branch .LBB77_113
.LBB77_111:                             ;   in Loop: Header=BB77_113 Depth=2
	s_or_b64 exec, exec, s[36:37]
	s_waitcnt lgkmcnt(0)
	s_barrier
	ds_read_u16 v2, v3 offset:3072
	s_mov_b64 s[26:27], -1
	s_waitcnt lgkmcnt(0)
	s_barrier
	v_cmp_ne_u32_sdwa s[36:37], v2, v3 src0_sel:BYTE_0 src1_sel:DWORD
	s_and_b64 vcc, exec, s[36:37]
	s_mov_b64 s[36:37], -1
	s_cbranch_vccz .LBB77_116
.LBB77_112:                             ;   in Loop: Header=BB77_113 Depth=2
	s_and_b64 s[26:27], exec, s[26:27]
	s_or_b64 s[30:31], s[26:27], s[30:31]
	s_andn2_b64 s[26:27], s[34:35], exec
	s_and_b64 s[34:35], s[36:37], exec
	s_or_b64 s[34:35], s[26:27], s[34:35]
	s_andn2_b64 exec, exec, s[30:31]
	s_cbranch_execz .LBB77_117
.LBB77_113:                             ;   Parent Loop BB77_17 Depth=1
                                        ; =>  This Inner Loop Header: Depth=2
	v_cmp_gt_u64_e32 vcc, s[24:25], v[8:9]
	s_and_saveexec_b64 s[36:37], vcc
	s_cbranch_execz .LBB77_111
; %bb.114:                              ;   in Loop: Header=BB77_113 Depth=2
	v_mov_b32_e32 v10, s50
	v_mov_b32_e32 v11, s51
	v_mad_u64_u32 v[10:11], s[26:27], v8, s40, v[10:11]
	v_mul_lo_u32 v2, v8, s41
	v_mul_lo_u32 v21, v9, s40
	v_add3_u32 v11, v21, v11, v2
	global_load_ubyte v2, v[10:11], off
	s_waitcnt vmcnt(0)
	v_and_b32_e32 v10, v2, v32
	v_cmp_eq_u32_sdwa s[26:27], v10, v28 src0_sel:BYTE_0 src1_sel:DWORD
	s_and_b64 exec, exec, s[26:27]
	s_cbranch_execz .LBB77_111
; %bb.115:                              ;   in Loop: Header=BB77_113 Depth=2
	v_lshlrev_b16_e32 v2, 8, v2
	v_or_b32_e32 v2, 1, v2
	ds_write_b16 v3, v2 offset:3072
	s_branch .LBB77_111
.LBB77_116:                             ;   in Loop: Header=BB77_113 Depth=2
	v_add_co_u32_e32 v8, vcc, s23, v8
	v_addc_co_u32_e32 v9, vcc, 0, v9, vcc
	v_cmp_le_u64_e32 vcc, s[28:29], v[8:9]
	s_mov_b64 s[36:37], 0
	s_orn2_b64 s[26:27], vcc, exec
	s_branch .LBB77_112
.LBB77_117:                             ;   in Loop: Header=BB77_17 Depth=1
	s_or_b64 exec, exec, s[30:31]
	s_andn2_b64 s[12:13], s[12:13], exec
	s_and_b64 s[26:27], s[34:35], exec
	v_lshrrev_b32_sdwa v33, v31, v2 dst_sel:DWORD dst_unused:UNUSED_PAD src0_sel:DWORD src1_sel:WORD_0
	s_or_b64 s[12:13], s[12:13], s[26:27]
.LBB77_118:                             ;   in Loop: Header=BB77_17 Depth=1
	s_or_b64 exec, exec, s[10:11]
	s_mov_b64 s[28:29], 0
	s_mov_b64 s[30:31], -1
.LBB77_119:                             ;   in Loop: Header=BB77_17 Depth=1
	s_orn2_b64 s[10:11], s[12:13], exec
.LBB77_120:                             ;   in Loop: Header=BB77_17 Depth=1
	s_or_b64 exec, exec, s[18:19]
	s_andn2_b64 s[12:13], s[78:79], exec
	s_and_b64 s[18:19], s[30:31], exec
	s_or_b64 s[78:79], s[12:13], s[18:19]
	s_andn2_b64 s[12:13], s[76:77], exec
	s_and_b64 s[18:19], s[28:29], exec
	s_andn2_b64 s[74:75], s[74:75], exec
	s_or_b64 s[76:77], s[12:13], s[18:19]
                                        ; implicit-def: $vgpr8_vgpr9
	s_and_saveexec_b64 s[18:19], s[10:11]
	s_cbranch_execz .LBB77_16
; %bb.121:                              ;   in Loop: Header=BB77_17 Depth=1
	v_mov_b32_e32 v8, 1
	s_xor_b64 s[10:11], s[20:21], -1
	v_mov_b32_e32 v2, 1
	v_mov_b32_e32 v9, 0
	s_mov_b64 s[12:13], 0
	s_and_saveexec_b64 s[6:7], s[10:11]
	s_cbranch_execz .LBB77_130
; %bb.122:                              ;   in Loop: Header=BB77_17 Depth=1
	v_cmp_le_u64_e32 vcc, v[19:20], v[4:5]
	s_and_saveexec_b64 s[10:11], vcc
	s_xor_b64 s[10:11], exec, s[10:11]
	s_cbranch_execz .LBB77_127
; %bb.123:                              ;   in Loop: Header=BB77_17 Depth=1
	ds_read_b64 v[8:9], v3 offset:5120
	v_and_b32_e32 v28, s42, v28
	v_or_b32_e32 v32, s2, v32
	s_waitcnt lgkmcnt(0)
	v_cmp_ne_u64_e32 vcc, 0, v[8:9]
	s_cbranch_vccnz .LBB77_127
; %bb.124:                              ;   in Loop: Header=BB77_17 Depth=1
	s_mov_b64 s[12:13], exec
	v_readlane_b32 s20, v55, 8
	v_readlane_b32 s21, v55, 9
	s_and_b64 s[20:21], s[12:13], s[20:21]
	s_mov_b64 exec, s[20:21]
; %bb.125:                              ;   in Loop: Header=BB77_17 Depth=1
	ds_write_b64 v3, v[4:5] offset:5128
; %bb.126:                              ;   in Loop: Header=BB77_17 Depth=1
	s_or_b64 exec, exec, s[12:13]
	s_waitcnt lgkmcnt(0)
	s_barrier
.LBB77_127:                             ;   in Loop: Header=BB77_17 Depth=1
	s_or_saveexec_b64 s[10:11], s[10:11]
	s_mov_b64 s[12:13], 0
	v_mov_b32_e32 v2, 8
	s_xor_b64 exec, exec, s[10:11]
; %bb.128:                              ;   in Loop: Header=BB77_17 Depth=1
	v_sub_co_u32_e32 v19, vcc, v19, v4
	s_mov_b64 s[12:13], exec
	v_subb_co_u32_e32 v20, vcc, v20, v5, vcc
	v_mov_b32_e32 v2, 0
; %bb.129:                              ;   in Loop: Header=BB77_17 Depth=1
	s_or_b64 exec, exec, s[10:11]
	v_mov_b32_e32 v8, v19
	s_and_b64 s[12:13], s[12:13], exec
	v_mov_b32_e32 v9, v20
.LBB77_130:                             ;   in Loop: Header=BB77_17 Depth=1
	s_or_b64 exec, exec, s[6:7]
	s_mov_b64 s[20:21], -1
	s_mov_b64 s[10:11], -1
                                        ; implicit-def: $sgpr6_sgpr7
                                        ; implicit-def: $sgpr84_sgpr85
	s_and_saveexec_b64 s[26:27], s[12:13]
	s_xor_b64 s[80:81], exec, s[26:27]
	s_cbranch_execz .LBB77_275
; %bb.131:                              ;   in Loop: Header=BB77_17 Depth=1
	v_cmp_eq_u64_e32 vcc, 1, v[6:7]
	v_cmp_eq_u64_e64 s[6:7], 1, v[8:9]
                                        ; implicit-def: $sgpr84_sgpr85
	s_and_b64 s[46:47], vcc, s[6:7]
                                        ; implicit-def: $sgpr6_sgpr7
	s_and_saveexec_b64 s[86:87], s[46:47]
	s_cbranch_execz .LBB77_168
; %bb.132:                              ;   in Loop: Header=BB77_17 Depth=1
	ds_read_b64 v[4:5], v3 offset:5120
	s_waitcnt lgkmcnt(0)
	s_barrier
	v_readfirstlane_b32 s12, v4
	v_readfirstlane_b32 s13, v5
	s_and_saveexec_b64 s[6:7], s[14:15]
; %bb.133:                              ;   in Loop: Header=BB77_17 Depth=1
	ds_write_b8 v0, v3 offset:3072
; %bb.134:                              ;   in Loop: Header=BB77_17 Depth=1
	s_or_b64 exec, exec, s[6:7]
	v_and_b32_e32 v4, s42, v28
	v_lshl_or_b32 v28, 1, s1, v4
	v_or_b32_e32 v32, s2, v32
	s_mov_b64 s[6:7], -1
	s_mov_b64 s[84:85], 0
	s_cmp_eq_u64 s[12:13], 0
	s_mov_b64 s[28:29], 0
	s_mov_b64 s[30:31], -1
	s_waitcnt lgkmcnt(0)
	s_barrier
                                        ; implicit-def: $vgpr33
	s_cbranch_scc1 .LBB77_153
; %bb.135:                              ;   in Loop: Header=BB77_17 Depth=1
	v_readlane_b32 s10, v55, 28
	s_add_u32 s30, s12, s10
	v_readlane_b32 s10, v55, 29
	s_addc_u32 s29, s13, s10
	s_mov_b32 s28, s53
	s_cmp_lg_u64 s[28:29], 0
	s_cbranch_scc0 .LBB77_195
; %bb.136:                              ;   in Loop: Header=BB77_17 Depth=1
	v_cvt_f32_u32_e32 v4, s23
	s_sub_u32 s26, 0, s23
	s_subb_u32 s27, 0, 0
	v_mac_f32_e32 v4, 0, v30
	v_rcp_f32_e32 v4, v4
	v_mul_f32_e32 v4, 0x5f7ffffc, v4
	v_mul_f32_e32 v5, 0x2f800000, v4
	v_trunc_f32_e32 v5, v5
	v_mac_f32_e32 v4, 0xcf800000, v5
	v_cvt_u32_f32_e32 v5, v5
	v_cvt_u32_f32_e32 v4, v4
	v_readfirstlane_b32 s28, v5
	v_readfirstlane_b32 s10, v4
	s_mul_i32 s11, s26, s28
	s_mul_hi_u32 s34, s26, s10
	s_mul_i32 s31, s27, s10
	s_add_i32 s11, s34, s11
	s_mul_i32 s35, s26, s10
	s_add_i32 s11, s11, s31
	s_mul_hi_u32 s34, s10, s35
	s_mul_i32 s36, s10, s11
	s_mul_hi_u32 s31, s10, s11
	s_add_u32 s34, s34, s36
	s_addc_u32 s31, 0, s31
	s_mul_hi_u32 s37, s28, s35
	s_mul_i32 s35, s28, s35
	s_add_u32 s34, s34, s35
	s_mul_hi_u32 s36, s28, s11
	s_addc_u32 s31, s31, s37
	s_addc_u32 s34, s36, 0
	s_mul_i32 s11, s28, s11
	s_add_u32 s11, s31, s11
	s_addc_u32 s31, 0, s34
	s_add_u32 s34, s10, s11
	s_cselect_b64 s[10:11], -1, 0
	s_cmp_lg_u64 s[10:11], 0
	s_addc_u32 s28, s28, s31
	s_mul_i32 s10, s26, s28
	s_mul_hi_u32 s11, s26, s34
	s_add_i32 s10, s11, s10
	s_mul_i32 s27, s27, s34
	s_add_i32 s10, s10, s27
	s_mul_i32 s26, s26, s34
	s_mul_hi_u32 s27, s28, s26
	s_mul_i32 s31, s28, s26
	s_mul_i32 s36, s34, s10
	s_mul_hi_u32 s26, s34, s26
	s_mul_hi_u32 s35, s34, s10
	s_add_u32 s26, s26, s36
	s_addc_u32 s35, 0, s35
	s_add_u32 s26, s26, s31
	s_mul_hi_u32 s11, s28, s10
	s_addc_u32 s26, s35, s27
	s_addc_u32 s11, s11, 0
	s_mul_i32 s10, s28, s10
	s_add_u32 s10, s26, s10
	s_addc_u32 s26, 0, s11
	s_add_u32 s27, s34, s10
	s_cselect_b64 s[10:11], -1, 0
	s_cmp_lg_u64 s[10:11], 0
	s_addc_u32 s10, s28, s26
	s_mul_i32 s26, s30, s10
	s_mul_hi_u32 s28, s30, s27
	s_mul_hi_u32 s11, s30, s10
	s_add_u32 s26, s28, s26
	s_addc_u32 s11, 0, s11
	s_mul_hi_u32 s31, s29, s27
	s_mul_i32 s27, s29, s27
	s_add_u32 s26, s26, s27
	s_mul_hi_u32 s28, s29, s10
	s_addc_u32 s11, s11, s31
	s_addc_u32 s26, s28, 0
	s_mul_i32 s10, s29, s10
	s_add_u32 s10, s11, s10
	s_addc_u32 s11, 0, s26
	s_mul_i32 s11, s23, s11
	s_mul_hi_u32 s26, s23, s10
	s_add_i32 s26, s26, s11
	s_mul_i32 s10, s23, s10
	s_sub_u32 s27, s30, s10
	s_cselect_b64 s[10:11], -1, 0
	s_cmp_lg_u64 s[10:11], 0
	s_subb_u32 s26, s29, s26
	s_sub_u32 s28, s27, s23
	s_cselect_b64 s[10:11], -1, 0
	s_cmp_lg_u64 s[10:11], 0
	s_subb_u32 s31, s26, 0
	s_sub_u32 s34, s28, s23
	s_cselect_b64 s[10:11], -1, 0
	s_cmp_lg_u64 s[10:11], 0
	s_subb_u32 s10, s31, 0
	s_cmp_ge_u32 s28, s23
	s_cselect_b32 s11, -1, 0
	s_cmp_eq_u32 s31, 0
	s_cselect_b32 s11, s11, -1
	s_cmp_lg_u32 s11, 0
	s_cselect_b32 s10, s10, s31
	s_cselect_b32 s28, s34, s28
	s_cmp_ge_u32 s27, s23
	s_cselect_b32 s11, -1, 0
	s_cmp_eq_u32 s26, 0
	s_cselect_b32 s11, s11, -1
	s_cmp_lg_u32 s11, 0
	s_cselect_b32 s11, s10, s26
	s_cselect_b32 s10, s28, s27
	s_cbranch_execnz .LBB77_138
.LBB77_137:                             ;   in Loop: Header=BB77_17 Depth=1
	v_cvt_f32_u32_e32 v4, s23
	s_sub_i32 s10, 0, s23
	v_rcp_iflag_f32_e32 v4, v4
	v_mul_f32_e32 v4, 0x4f7ffffe, v4
	v_cvt_u32_f32_e32 v4, v4
	v_readfirstlane_b32 s11, v4
	s_mul_i32 s10, s10, s11
	s_mul_hi_u32 s10, s11, s10
	s_add_i32 s11, s11, s10
	s_mul_hi_u32 s10, s30, s11
	s_mul_i32 s10, s10, s23
	s_sub_i32 s10, s30, s10
	s_sub_i32 s11, s10, s23
	s_cmp_ge_u32 s10, s23
	s_cselect_b32 s10, s11, s10
	s_sub_i32 s11, s10, s23
	s_cmp_ge_u32 s10, s23
	s_cselect_b32 s52, s11, s10
	s_mov_b64 s[10:11], s[52:53]
.LBB77_138:                             ;   in Loop: Header=BB77_17 Depth=1
	s_sub_u32 s34, s30, s10
	s_subb_u32 s35, s29, s11
	v_cmp_gt_u64_e32 vcc, s[34:35], v[0:1]
	s_mov_b64 s[30:31], 0
	s_mov_b64 s[28:29], 0
                                        ; implicit-def: $vgpr33
	s_and_saveexec_b64 s[10:11], vcc
	s_cbranch_execz .LBB77_152
; %bb.139:                              ;   in Loop: Header=BB77_17 Depth=1
	v_mov_b32_e32 v5, v1
	v_mov_b32_e32 v10, v0
	;; [unrolled: 1-line block ×3, first 2 shown]
                                        ; implicit-def: $sgpr36_sgpr37
	s_branch .LBB77_142
.LBB77_140:                             ;   in Loop: Header=BB77_142 Depth=2
	s_or_b64 exec, exec, s[38:39]
	s_waitcnt lgkmcnt(0)
	s_barrier
	ds_read_u16 v11, v3 offset:3072
	s_mov_b64 s[26:27], -1
	s_waitcnt lgkmcnt(0)
	s_barrier
	v_cmp_ne_u32_sdwa s[38:39], v11, v3 src0_sel:BYTE_0 src1_sel:DWORD
	s_and_b64 vcc, exec, s[38:39]
	s_mov_b64 s[38:39], -1
	s_cbranch_vccz .LBB77_145
.LBB77_141:                             ;   in Loop: Header=BB77_142 Depth=2
	s_and_b64 s[26:27], exec, s[26:27]
	s_or_b64 s[28:29], s[26:27], s[28:29]
	s_andn2_b64 s[26:27], s[36:37], exec
	s_and_b64 s[36:37], s[38:39], exec
	s_or_b64 s[36:37], s[26:27], s[36:37]
	s_andn2_b64 exec, exec, s[28:29]
	s_cbranch_execz .LBB77_151
.LBB77_142:                             ;   Parent Loop BB77_17 Depth=1
                                        ; =>  This Inner Loop Header: Depth=2
	v_cmp_gt_u64_e32 vcc, s[12:13], v[4:5]
	s_and_saveexec_b64 s[38:39], vcc
	s_cbranch_execz .LBB77_140
; %bb.143:                              ;   in Loop: Header=BB77_142 Depth=2
	ds_read_u8 v11, v10
	s_waitcnt lgkmcnt(0)
	v_and_b32_e32 v19, v11, v32
	v_cmp_eq_u32_sdwa s[26:27], v19, v28 src0_sel:BYTE_0 src1_sel:DWORD
	s_and_b64 exec, exec, s[26:27]
	s_cbranch_execz .LBB77_140
; %bb.144:                              ;   in Loop: Header=BB77_142 Depth=2
	v_lshlrev_b16_e32 v11, 8, v11
	v_or_b32_e32 v11, 1, v11
	ds_write_b16 v3, v11 offset:3072
	s_branch .LBB77_140
.LBB77_145:                             ;   in Loop: Header=BB77_142 Depth=2
	v_add_co_u32_e32 v4, vcc, s23, v4
	v_addc_co_u32_e32 v5, vcc, 0, v5, vcc
	v_cmp_le_u64_e32 vcc, s[34:35], v[4:5]
	v_add_u32_e32 v10, s23, v10
	s_mov_b64 s[38:39], 0
	s_orn2_b64 s[26:27], vcc, exec
	s_branch .LBB77_141
.LBB77_146:                             ;   in Loop: Header=BB77_17 Depth=1
                                        ; implicit-def: $sgpr10_sgpr11
	s_branch .LBB77_94
.LBB77_147:                             ;   in Loop: Header=BB77_17 Depth=1
	s_or_b64 exec, exec, s[10:11]
	s_waitcnt lgkmcnt(0)
	s_barrier
	s_mov_b64 s[6:7], exec
	v_readlane_b32 s10, v55, 8
	v_readlane_b32 s11, v55, 9
	s_and_b64 s[10:11], s[6:7], s[10:11]
	s_mov_b64 exec, s[10:11]
	s_cbranch_execz .LBB77_149
; %bb.148:                              ;   in Loop: Header=BB77_17 Depth=1
	ds_read_b32 v4, v3 offset:5144
	s_waitcnt lgkmcnt(0)
	v_ashrrev_i32_e32 v5, 31, v4
	ds_write_b64 v3, v[4:5] offset:5120
.LBB77_149:                             ;   in Loop: Header=BB77_17 Depth=1
	s_or_b64 exec, exec, s[6:7]
	s_waitcnt lgkmcnt(0)
	s_barrier
	s_mov_b64 s[6:7], -1
	s_and_b64 vcc, exec, s[12:13]
	s_cbranch_vccnz .LBB77_32
	s_branch .LBB77_47
.LBB77_150:                             ;   in Loop: Header=BB77_17 Depth=1
                                        ; implicit-def: $sgpr10_sgpr11
	s_branch .LBB77_108
.LBB77_151:                             ;   in Loop: Header=BB77_17 Depth=1
	s_or_b64 exec, exec, s[28:29]
	v_lshrrev_b32_sdwa v33, v31, v11 dst_sel:DWORD dst_unused:UNUSED_PAD src0_sel:DWORD src1_sel:WORD_0
	s_and_b64 s[28:29], s[36:37], exec
.LBB77_152:                             ;   in Loop: Header=BB77_17 Depth=1
	s_or_b64 exec, exec, s[10:11]
.LBB77_153:                             ;   in Loop: Header=BB77_17 Depth=1
	s_and_b64 vcc, exec, s[30:31]
	s_cbranch_vccz .LBB77_167
; %bb.154:                              ;   in Loop: Header=BB77_17 Depth=1
	s_mov_b32 s58, s53
	s_cmp_lg_u64 s[58:59], 0
	s_cbranch_scc0 .LBB77_196
; %bb.155:                              ;   in Loop: Header=BB77_17 Depth=1
	v_cvt_f32_u32_e32 v4, s23
	s_sub_u32 s10, 0, s23
	s_subb_u32 s11, 0, 0
	v_mac_f32_e32 v4, 0, v30
	v_rcp_f32_e32 v4, v4
	v_mul_f32_e32 v4, 0x5f7ffffc, v4
	v_mul_f32_e32 v5, 0x2f800000, v4
	v_trunc_f32_e32 v5, v5
	v_mac_f32_e32 v4, 0xcf800000, v5
	v_cvt_u32_f32_e32 v5, v5
	v_cvt_u32_f32_e32 v4, v4
	v_readfirstlane_b32 s12, v5
	v_readfirstlane_b32 s6, v4
	s_mul_i32 s7, s10, s12
	s_mul_hi_u32 s26, s10, s6
	s_mul_i32 s13, s11, s6
	s_add_i32 s7, s26, s7
	s_mul_i32 s27, s10, s6
	s_add_i32 s7, s7, s13
	s_mul_hi_u32 s26, s6, s27
	s_mul_i32 s30, s6, s7
	s_mul_hi_u32 s13, s6, s7
	s_add_u32 s26, s26, s30
	s_addc_u32 s13, 0, s13
	s_mul_hi_u32 s31, s12, s27
	s_mul_i32 s27, s12, s27
	s_add_u32 s26, s26, s27
	s_mul_hi_u32 s30, s12, s7
	s_addc_u32 s13, s13, s31
	s_addc_u32 s26, s30, 0
	s_mul_i32 s7, s12, s7
	s_add_u32 s7, s13, s7
	s_addc_u32 s13, 0, s26
	s_add_u32 s26, s6, s7
	s_cselect_b64 s[6:7], -1, 0
	s_cmp_lg_u64 s[6:7], 0
	s_addc_u32 s12, s12, s13
	s_mul_i32 s6, s10, s12
	s_mul_hi_u32 s7, s10, s26
	s_add_i32 s6, s7, s6
	s_mul_i32 s11, s11, s26
	s_add_i32 s6, s6, s11
	s_mul_i32 s10, s10, s26
	s_mul_hi_u32 s11, s12, s10
	s_mul_i32 s13, s12, s10
	s_mul_i32 s30, s26, s6
	s_mul_hi_u32 s10, s26, s10
	s_mul_hi_u32 s27, s26, s6
	s_add_u32 s10, s10, s30
	s_addc_u32 s27, 0, s27
	s_add_u32 s10, s10, s13
	s_mul_hi_u32 s7, s12, s6
	s_addc_u32 s10, s27, s11
	s_addc_u32 s7, s7, 0
	s_mul_i32 s6, s12, s6
	s_add_u32 s6, s10, s6
	s_addc_u32 s10, 0, s7
	s_add_u32 s11, s26, s6
	s_cselect_b64 s[6:7], -1, 0
	s_cmp_lg_u64 s[6:7], 0
	s_addc_u32 s6, s12, s10
	s_mul_i32 s10, s3, s6
	s_mul_hi_u32 s12, s3, s11
	s_mul_hi_u32 s7, s3, s6
	s_add_u32 s10, s12, s10
	s_addc_u32 s7, 0, s7
	s_mul_hi_u32 s13, s59, s11
	s_mul_i32 s11, s59, s11
	s_add_u32 s10, s10, s11
	s_mul_hi_u32 s12, s59, s6
	s_addc_u32 s7, s7, s13
	s_addc_u32 s10, s12, 0
	s_mul_i32 s6, s59, s6
	s_add_u32 s6, s7, s6
	s_addc_u32 s7, 0, s10
	s_mul_i32 s7, s23, s7
	s_mul_hi_u32 s10, s23, s6
	s_add_i32 s10, s10, s7
	s_mul_i32 s6, s23, s6
	s_sub_u32 s11, s3, s6
	s_cselect_b64 s[6:7], -1, 0
	s_cmp_lg_u64 s[6:7], 0
	s_subb_u32 s10, s59, s10
	s_sub_u32 s12, s11, s23
	s_cselect_b64 s[6:7], -1, 0
	s_cmp_lg_u64 s[6:7], 0
	s_subb_u32 s13, s10, 0
	;; [unrolled: 4-line block ×3, first 2 shown]
	s_cmp_ge_u32 s12, s23
	s_cselect_b32 s7, -1, 0
	s_cmp_eq_u32 s13, 0
	s_cselect_b32 s7, s7, -1
	s_cmp_lg_u32 s7, 0
	s_cselect_b32 s6, s6, s13
	s_cselect_b32 s12, s26, s12
	s_cmp_ge_u32 s11, s23
	s_cselect_b32 s7, -1, 0
	s_cmp_eq_u32 s10, 0
	s_cselect_b32 s7, s7, -1
	s_cmp_lg_u32 s7, 0
	s_cselect_b32 s7, s6, s10
	s_cselect_b32 s6, s12, s11
	s_cbranch_execnz .LBB77_157
.LBB77_156:                             ;   in Loop: Header=BB77_17 Depth=1
	v_cvt_f32_u32_e32 v4, s23
	s_sub_i32 s6, 0, s23
	v_rcp_iflag_f32_e32 v4, v4
	v_mul_f32_e32 v4, 0x4f7ffffe, v4
	v_cvt_u32_f32_e32 v4, v4
	v_readfirstlane_b32 s7, v4
	s_mul_i32 s6, s6, s7
	s_mul_hi_u32 s6, s7, s6
	s_add_i32 s7, s7, s6
	s_mul_hi_u32 s6, s3, s7
	s_mul_i32 s6, s6, s23
	s_sub_i32 s6, s3, s6
	s_sub_i32 s7, s6, s23
	s_cmp_ge_u32 s6, s23
	s_cselect_b32 s6, s7, s6
	s_sub_i32 s7, s6, s23
	s_cmp_ge_u32 s6, s23
	s_cselect_b32 s52, s7, s6
	s_mov_b64 s[6:7], s[52:53]
.LBB77_157:                             ;   in Loop: Header=BB77_17 Depth=1
	s_sub_u32 s10, s3, s6
	s_subb_u32 s11, s59, s7
	v_cmp_gt_u64_e32 vcc, s[10:11], v[0:1]
                                        ; implicit-def: $vgpr33
	s_and_saveexec_b64 s[6:7], vcc
	s_cbranch_execz .LBB77_166
; %bb.158:                              ;   in Loop: Header=BB77_17 Depth=1
	v_mov_b32_e32 v5, v1
	s_mov_b64 s[12:13], 0
	v_mov_b32_e32 v4, v0
                                        ; implicit-def: $sgpr30_sgpr31
	s_branch .LBB77_161
.LBB77_159:                             ;   in Loop: Header=BB77_161 Depth=2
	s_or_b64 exec, exec, s[34:35]
	s_waitcnt lgkmcnt(0)
	s_barrier
	ds_read_u16 v10, v3 offset:3072
	s_mov_b64 s[26:27], -1
	s_waitcnt lgkmcnt(0)
	s_barrier
	v_cmp_eq_u32_sdwa s[34:35], v10, v3 src0_sel:BYTE_0 src1_sel:DWORD
	s_and_b64 vcc, exec, s[34:35]
	s_mov_b64 s[34:35], -1
	s_cbranch_vccnz .LBB77_164
.LBB77_160:                             ;   in Loop: Header=BB77_161 Depth=2
	s_and_b64 s[26:27], exec, s[26:27]
	s_or_b64 s[12:13], s[26:27], s[12:13]
	s_andn2_b64 s[26:27], s[30:31], exec
	s_and_b64 s[30:31], s[34:35], exec
	s_or_b64 s[30:31], s[26:27], s[30:31]
	s_andn2_b64 exec, exec, s[12:13]
	s_cbranch_execz .LBB77_165
.LBB77_161:                             ;   Parent Loop BB77_17 Depth=1
                                        ; =>  This Inner Loop Header: Depth=2
	v_cmp_gt_u64_e32 vcc, s[24:25], v[4:5]
	s_and_saveexec_b64 s[34:35], vcc
	s_cbranch_execz .LBB77_159
; %bb.162:                              ;   in Loop: Header=BB77_161 Depth=2
	v_mov_b32_e32 v10, s50
	v_mov_b32_e32 v11, s51
	v_mad_u64_u32 v[10:11], s[26:27], v4, s40, v[10:11]
	v_mul_lo_u32 v19, v4, s41
	v_mul_lo_u32 v20, v5, s40
	v_add3_u32 v11, v20, v11, v19
	global_load_ubyte v10, v[10:11], off
	s_waitcnt vmcnt(0)
	v_and_b32_e32 v11, v10, v32
	v_cmp_eq_u32_sdwa s[26:27], v11, v28 src0_sel:BYTE_0 src1_sel:DWORD
	s_and_b64 exec, exec, s[26:27]
	s_cbranch_execz .LBB77_159
; %bb.163:                              ;   in Loop: Header=BB77_161 Depth=2
	v_lshlrev_b16_e32 v10, 8, v10
	v_or_b32_e32 v10, 1, v10
	ds_write_b16 v3, v10 offset:3072
	s_branch .LBB77_159
.LBB77_164:                             ;   in Loop: Header=BB77_161 Depth=2
	v_add_co_u32_e32 v4, vcc, s23, v4
	v_addc_co_u32_e32 v5, vcc, 0, v5, vcc
	v_cmp_le_u64_e32 vcc, s[10:11], v[4:5]
	s_mov_b64 s[34:35], 0
	s_orn2_b64 s[26:27], vcc, exec
	s_branch .LBB77_160
.LBB77_165:                             ;   in Loop: Header=BB77_17 Depth=1
	s_or_b64 exec, exec, s[12:13]
	s_andn2_b64 s[10:11], s[28:29], exec
	s_and_b64 s[12:13], s[30:31], exec
	v_lshrrev_b32_sdwa v33, v31, v10 dst_sel:DWORD dst_unused:UNUSED_PAD src0_sel:DWORD src1_sel:WORD_0
	s_or_b64 s[28:29], s[10:11], s[12:13]
.LBB77_166:                             ;   in Loop: Header=BB77_17 Depth=1
	s_or_b64 exec, exec, s[6:7]
	s_mov_b64 s[6:7], 0
	s_mov_b64 s[84:85], -1
.LBB77_167:                             ;   in Loop: Header=BB77_17 Depth=1
	s_orn2_b64 s[10:11], s[28:29], exec
.LBB77_168:                             ;   in Loop: Header=BB77_17 Depth=1
	s_or_b64 exec, exec, s[86:87]
	s_mov_b64 s[12:13], 0
	s_and_saveexec_b64 s[86:87], s[10:11]
	s_cbranch_execz .LBB77_274
; %bb.169:                              ;   in Loop: Header=BB77_17 Depth=1
	v_mov_b32_e32 v4, 1
	s_xor_b64 s[10:11], s[46:47], -1
	v_mov_b32_e32 v2, 1
	v_mov_b32_e32 v5, 0
	s_mov_b64 s[28:29], 0
	s_and_saveexec_b64 s[12:13], s[10:11]
	s_cbranch_execz .LBB77_179
; %bb.170:                              ;   in Loop: Header=BB77_17 Depth=1
	v_cmp_le_u64_e32 vcc, v[8:9], v[6:7]
	s_and_saveexec_b64 s[10:11], vcc
	s_xor_b64 s[10:11], exec, s[10:11]
	s_cbranch_execz .LBB77_176
; %bb.171:                              ;   in Loop: Header=BB77_17 Depth=1
	ds_read_b64 v[4:5], v3 offset:5120
	v_and_b32_e32 v2, s42, v28
	v_lshl_or_b32 v28, 1, s1, v2
	v_or_b32_e32 v32, s2, v32
	s_waitcnt lgkmcnt(0)
	v_cmp_ne_u64_e32 vcc, 0, v[4:5]
	s_cbranch_vccnz .LBB77_175
; %bb.172:                              ;   in Loop: Header=BB77_17 Depth=1
	s_mov_b64 s[26:27], exec
	v_readlane_b32 s28, v55, 8
	v_readlane_b32 s29, v55, 9
	s_and_b64 s[28:29], s[26:27], s[28:29]
	s_mov_b64 exec, s[28:29]
; %bb.173:                              ;   in Loop: Header=BB77_17 Depth=1
	ds_write_b64 v3, v[6:7] offset:5128
; %bb.174:                              ;   in Loop: Header=BB77_17 Depth=1
	s_or_b64 exec, exec, s[26:27]
	s_waitcnt lgkmcnt(0)
	s_barrier
.LBB77_175:                             ;   in Loop: Header=BB77_17 Depth=1
                                        ; implicit-def: $vgpr4_vgpr5_vgpr6_vgpr7
.LBB77_176:                             ;   in Loop: Header=BB77_17 Depth=1
	s_or_saveexec_b64 s[10:11], s[10:11]
	s_mov_b64 s[28:29], 0
	v_mov_b32_e32 v2, 8
	s_xor_b64 exec, exec, s[10:11]
; %bb.177:                              ;   in Loop: Header=BB77_17 Depth=1
	v_sub_co_u32_e32 v8, vcc, v8, v6
	v_subb_co_u32_e32 v9, vcc, v9, v7, vcc
	v_mov_b32_e32 v2, 0
	s_mov_b64 s[28:29], exec
; %bb.178:                              ;   in Loop: Header=BB77_17 Depth=1
	s_or_b64 exec, exec, s[10:11]
	v_mov_b32_e32 v4, v8
	s_and_b64 s[28:29], s[28:29], exec
	v_mov_b32_e32 v5, v9
.LBB77_179:                             ;   in Loop: Header=BB77_17 Depth=1
	s_or_b64 exec, exec, s[12:13]
	s_mov_b64 s[10:11], -1
                                        ; implicit-def: $sgpr90_sgpr91
                                        ; implicit-def: $sgpr92_sgpr93
	s_and_saveexec_b64 s[88:89], s[28:29]
	s_cbranch_execz .LBB77_273
; %bb.180:                              ;   in Loop: Header=BB77_17 Depth=1
	s_cmp_eq_u64 s[82:83], 1
	v_cmp_eq_u64_e32 vcc, 1, v[4:5]
	s_cselect_b64 s[10:11], -1, 0
	s_and_b64 s[94:95], s[10:11], vcc
	s_mov_b64 s[10:11], -1
                                        ; implicit-def: $sgpr92_sgpr93
                                        ; implicit-def: $sgpr90_sgpr91
	s_and_saveexec_b64 s[46:47], s[94:95]
	s_cbranch_execz .LBB77_214
; %bb.181:                              ;   in Loop: Header=BB77_17 Depth=1
	ds_read_b64 v[6:7], v3 offset:5120
	s_waitcnt lgkmcnt(0)
	s_barrier
	v_readfirstlane_b32 s12, v6
	v_readfirstlane_b32 s13, v7
	s_and_saveexec_b64 s[10:11], s[14:15]
; %bb.182:                              ;   in Loop: Header=BB77_17 Depth=1
	ds_write_b8 v0, v3 offset:3072
; %bb.183:                              ;   in Loop: Header=BB77_17 Depth=1
	s_or_b64 exec, exec, s[10:11]
	v_and_b32_e32 v6, s42, v28
	v_lshl_or_b32 v28, 2, s1, v6
	v_or_b32_e32 v32, s2, v32
	s_mov_b64 s[90:91], -1
	s_mov_b64 s[92:93], 0
	s_cmp_eq_u64 s[12:13], 0
	s_mov_b64 s[28:29], 0
	s_mov_b64 s[30:31], -1
	s_waitcnt lgkmcnt(0)
	s_barrier
                                        ; implicit-def: $vgpr33
	s_cbranch_scc1 .LBB77_199
; %bb.184:                              ;   in Loop: Header=BB77_17 Depth=1
	v_readlane_b32 s10, v55, 28
	s_add_u32 s30, s12, s10
	v_readlane_b32 s10, v55, 29
	s_addc_u32 s29, s13, s10
	s_mov_b32 s28, s53
	s_cmp_lg_u64 s[28:29], 0
	s_cbranch_scc0 .LBB77_240
; %bb.185:                              ;   in Loop: Header=BB77_17 Depth=1
	v_cvt_f32_u32_e32 v6, s23
	s_sub_u32 s26, 0, s23
	s_subb_u32 s27, 0, 0
	v_mac_f32_e32 v6, 0, v30
	v_rcp_f32_e32 v6, v6
	v_mul_f32_e32 v6, 0x5f7ffffc, v6
	v_mul_f32_e32 v7, 0x2f800000, v6
	v_trunc_f32_e32 v7, v7
	v_mac_f32_e32 v6, 0xcf800000, v7
	v_cvt_u32_f32_e32 v7, v7
	v_cvt_u32_f32_e32 v6, v6
	v_readfirstlane_b32 s28, v7
	v_readfirstlane_b32 s10, v6
	s_mul_i32 s11, s26, s28
	s_mul_hi_u32 s34, s26, s10
	s_mul_i32 s31, s27, s10
	s_add_i32 s11, s34, s11
	s_mul_i32 s35, s26, s10
	s_add_i32 s11, s11, s31
	s_mul_hi_u32 s34, s10, s35
	s_mul_i32 s36, s10, s11
	s_mul_hi_u32 s31, s10, s11
	s_add_u32 s34, s34, s36
	s_addc_u32 s31, 0, s31
	s_mul_hi_u32 s37, s28, s35
	s_mul_i32 s35, s28, s35
	s_add_u32 s34, s34, s35
	s_mul_hi_u32 s36, s28, s11
	s_addc_u32 s31, s31, s37
	s_addc_u32 s34, s36, 0
	s_mul_i32 s11, s28, s11
	s_add_u32 s11, s31, s11
	s_addc_u32 s31, 0, s34
	s_add_u32 s34, s10, s11
	s_cselect_b64 s[10:11], -1, 0
	s_cmp_lg_u64 s[10:11], 0
	s_addc_u32 s28, s28, s31
	s_mul_i32 s10, s26, s28
	s_mul_hi_u32 s11, s26, s34
	s_add_i32 s10, s11, s10
	s_mul_i32 s27, s27, s34
	s_add_i32 s10, s10, s27
	s_mul_i32 s26, s26, s34
	s_mul_hi_u32 s27, s28, s26
	s_mul_i32 s31, s28, s26
	s_mul_i32 s36, s34, s10
	s_mul_hi_u32 s26, s34, s26
	s_mul_hi_u32 s35, s34, s10
	s_add_u32 s26, s26, s36
	s_addc_u32 s35, 0, s35
	s_add_u32 s26, s26, s31
	s_mul_hi_u32 s11, s28, s10
	s_addc_u32 s26, s35, s27
	s_addc_u32 s11, s11, 0
	s_mul_i32 s10, s28, s10
	s_add_u32 s10, s26, s10
	s_addc_u32 s26, 0, s11
	s_add_u32 s27, s34, s10
	s_cselect_b64 s[10:11], -1, 0
	s_cmp_lg_u64 s[10:11], 0
	s_addc_u32 s10, s28, s26
	s_mul_i32 s26, s30, s10
	s_mul_hi_u32 s28, s30, s27
	s_mul_hi_u32 s11, s30, s10
	s_add_u32 s26, s28, s26
	s_addc_u32 s11, 0, s11
	s_mul_hi_u32 s31, s29, s27
	s_mul_i32 s27, s29, s27
	s_add_u32 s26, s26, s27
	s_mul_hi_u32 s28, s29, s10
	s_addc_u32 s11, s11, s31
	s_addc_u32 s26, s28, 0
	s_mul_i32 s10, s29, s10
	s_add_u32 s10, s11, s10
	s_addc_u32 s11, 0, s26
	s_mul_i32 s11, s23, s11
	s_mul_hi_u32 s26, s23, s10
	s_add_i32 s26, s26, s11
	s_mul_i32 s10, s23, s10
	s_sub_u32 s27, s30, s10
	s_cselect_b64 s[10:11], -1, 0
	s_cmp_lg_u64 s[10:11], 0
	s_subb_u32 s26, s29, s26
	s_sub_u32 s28, s27, s23
	s_cselect_b64 s[10:11], -1, 0
	s_cmp_lg_u64 s[10:11], 0
	s_subb_u32 s31, s26, 0
	;; [unrolled: 4-line block ×3, first 2 shown]
	s_cmp_ge_u32 s28, s23
	s_cselect_b32 s11, -1, 0
	s_cmp_eq_u32 s31, 0
	s_cselect_b32 s11, s11, -1
	s_cmp_lg_u32 s11, 0
	s_cselect_b32 s10, s10, s31
	s_cselect_b32 s28, s34, s28
	s_cmp_ge_u32 s27, s23
	s_cselect_b32 s11, -1, 0
	s_cmp_eq_u32 s26, 0
	s_cselect_b32 s11, s11, -1
	s_cmp_lg_u32 s11, 0
	s_cselect_b32 s11, s10, s26
	s_cselect_b32 s10, s28, s27
	s_cbranch_execnz .LBB77_187
.LBB77_186:                             ;   in Loop: Header=BB77_17 Depth=1
	v_cvt_f32_u32_e32 v6, s23
	s_sub_i32 s10, 0, s23
	v_rcp_iflag_f32_e32 v6, v6
	v_mul_f32_e32 v6, 0x4f7ffffe, v6
	v_cvt_u32_f32_e32 v6, v6
	v_readfirstlane_b32 s11, v6
	s_mul_i32 s10, s10, s11
	s_mul_hi_u32 s10, s11, s10
	s_add_i32 s11, s11, s10
	s_mul_hi_u32 s10, s30, s11
	s_mul_i32 s10, s10, s23
	s_sub_i32 s10, s30, s10
	s_sub_i32 s11, s10, s23
	s_cmp_ge_u32 s10, s23
	s_cselect_b32 s10, s11, s10
	s_sub_i32 s11, s10, s23
	s_cmp_ge_u32 s10, s23
	s_cselect_b32 s52, s11, s10
	s_mov_b64 s[10:11], s[52:53]
.LBB77_187:                             ;   in Loop: Header=BB77_17 Depth=1
	s_sub_u32 s34, s30, s10
	s_subb_u32 s35, s29, s11
	v_cmp_gt_u64_e32 vcc, s[34:35], v[0:1]
	s_mov_b64 s[30:31], 0
	s_mov_b64 s[28:29], 0
                                        ; implicit-def: $vgpr33
	s_and_saveexec_b64 s[10:11], vcc
	s_cbranch_execz .LBB77_198
; %bb.188:                              ;   in Loop: Header=BB77_17 Depth=1
	v_mov_b32_e32 v7, v1
	v_mov_b32_e32 v8, v0
	;; [unrolled: 1-line block ×3, first 2 shown]
                                        ; implicit-def: $sgpr36_sgpr37
	s_branch .LBB77_191
.LBB77_189:                             ;   in Loop: Header=BB77_191 Depth=2
	s_or_b64 exec, exec, s[38:39]
	s_waitcnt lgkmcnt(0)
	s_barrier
	ds_read_u16 v9, v3 offset:3072
	s_mov_b64 s[26:27], -1
	s_waitcnt lgkmcnt(0)
	s_barrier
	v_cmp_ne_u32_sdwa s[38:39], v9, v3 src0_sel:BYTE_0 src1_sel:DWORD
	s_and_b64 vcc, exec, s[38:39]
	s_mov_b64 s[38:39], -1
	s_cbranch_vccz .LBB77_194
.LBB77_190:                             ;   in Loop: Header=BB77_191 Depth=2
	s_and_b64 s[26:27], exec, s[26:27]
	s_or_b64 s[28:29], s[26:27], s[28:29]
	s_andn2_b64 s[26:27], s[36:37], exec
	s_and_b64 s[36:37], s[38:39], exec
	s_or_b64 s[36:37], s[26:27], s[36:37]
	s_andn2_b64 exec, exec, s[28:29]
	s_cbranch_execz .LBB77_197
.LBB77_191:                             ;   Parent Loop BB77_17 Depth=1
                                        ; =>  This Inner Loop Header: Depth=2
	v_cmp_gt_u64_e32 vcc, s[12:13], v[6:7]
	s_and_saveexec_b64 s[38:39], vcc
	s_cbranch_execz .LBB77_189
; %bb.192:                              ;   in Loop: Header=BB77_191 Depth=2
	ds_read_u8 v9, v8
	s_waitcnt lgkmcnt(0)
	v_and_b32_e32 v10, v9, v32
	v_cmp_eq_u32_sdwa s[26:27], v10, v28 src0_sel:BYTE_0 src1_sel:DWORD
	s_and_b64 exec, exec, s[26:27]
	s_cbranch_execz .LBB77_189
; %bb.193:                              ;   in Loop: Header=BB77_191 Depth=2
	v_lshlrev_b16_e32 v9, 8, v9
	v_or_b32_e32 v9, 1, v9
	ds_write_b16 v3, v9 offset:3072
	s_branch .LBB77_189
.LBB77_194:                             ;   in Loop: Header=BB77_191 Depth=2
	v_add_co_u32_e32 v6, vcc, s23, v6
	v_addc_co_u32_e32 v7, vcc, 0, v7, vcc
	v_cmp_le_u64_e32 vcc, s[34:35], v[6:7]
	v_add_u32_e32 v8, s23, v8
	s_mov_b64 s[38:39], 0
	s_orn2_b64 s[26:27], vcc, exec
	s_branch .LBB77_190
.LBB77_195:                             ;   in Loop: Header=BB77_17 Depth=1
                                        ; implicit-def: $sgpr10_sgpr11
	s_branch .LBB77_137
.LBB77_196:                             ;   in Loop: Header=BB77_17 Depth=1
                                        ; implicit-def: $sgpr6_sgpr7
	s_branch .LBB77_156
.LBB77_197:                             ;   in Loop: Header=BB77_17 Depth=1
	s_or_b64 exec, exec, s[28:29]
	v_lshrrev_b32_sdwa v33, v31, v9 dst_sel:DWORD dst_unused:UNUSED_PAD src0_sel:DWORD src1_sel:WORD_0
	s_and_b64 s[28:29], s[36:37], exec
.LBB77_198:                             ;   in Loop: Header=BB77_17 Depth=1
	s_or_b64 exec, exec, s[10:11]
.LBB77_199:                             ;   in Loop: Header=BB77_17 Depth=1
	s_and_b64 vcc, exec, s[30:31]
	s_cbranch_vccz .LBB77_213
; %bb.200:                              ;   in Loop: Header=BB77_17 Depth=1
	s_mov_b32 s58, s53
	s_cmp_lg_u64 s[58:59], 0
	s_cbranch_scc0 .LBB77_241
; %bb.201:                              ;   in Loop: Header=BB77_17 Depth=1
	v_cvt_f32_u32_e32 v6, s23
	s_sub_u32 s12, 0, s23
	s_subb_u32 s13, 0, 0
	v_mac_f32_e32 v6, 0, v30
	v_rcp_f32_e32 v6, v6
	v_mul_f32_e32 v6, 0x5f7ffffc, v6
	v_mul_f32_e32 v7, 0x2f800000, v6
	v_trunc_f32_e32 v7, v7
	v_mac_f32_e32 v6, 0xcf800000, v7
	v_cvt_u32_f32_e32 v7, v7
	v_cvt_u32_f32_e32 v6, v6
	v_readfirstlane_b32 s26, v7
	v_readfirstlane_b32 s10, v6
	s_mul_i32 s11, s12, s26
	s_mul_hi_u32 s30, s12, s10
	s_mul_i32 s27, s13, s10
	s_add_i32 s11, s30, s11
	s_mul_i32 s31, s12, s10
	s_add_i32 s11, s11, s27
	s_mul_hi_u32 s30, s10, s31
	s_mul_i32 s34, s10, s11
	s_mul_hi_u32 s27, s10, s11
	s_add_u32 s30, s30, s34
	s_addc_u32 s27, 0, s27
	s_mul_hi_u32 s35, s26, s31
	s_mul_i32 s31, s26, s31
	s_add_u32 s30, s30, s31
	s_mul_hi_u32 s34, s26, s11
	s_addc_u32 s27, s27, s35
	s_addc_u32 s30, s34, 0
	s_mul_i32 s11, s26, s11
	s_add_u32 s11, s27, s11
	s_addc_u32 s27, 0, s30
	s_add_u32 s30, s10, s11
	s_cselect_b64 s[10:11], -1, 0
	s_cmp_lg_u64 s[10:11], 0
	s_addc_u32 s26, s26, s27
	s_mul_i32 s10, s12, s26
	s_mul_hi_u32 s11, s12, s30
	s_add_i32 s10, s11, s10
	s_mul_i32 s13, s13, s30
	s_add_i32 s10, s10, s13
	s_mul_i32 s12, s12, s30
	s_mul_hi_u32 s13, s26, s12
	s_mul_i32 s27, s26, s12
	s_mul_i32 s34, s30, s10
	s_mul_hi_u32 s12, s30, s12
	s_mul_hi_u32 s31, s30, s10
	s_add_u32 s12, s12, s34
	s_addc_u32 s31, 0, s31
	s_add_u32 s12, s12, s27
	s_mul_hi_u32 s11, s26, s10
	s_addc_u32 s12, s31, s13
	s_addc_u32 s11, s11, 0
	s_mul_i32 s10, s26, s10
	s_add_u32 s10, s12, s10
	s_addc_u32 s12, 0, s11
	s_add_u32 s13, s30, s10
	s_cselect_b64 s[10:11], -1, 0
	s_cmp_lg_u64 s[10:11], 0
	s_addc_u32 s10, s26, s12
	s_mul_i32 s12, s3, s10
	s_mul_hi_u32 s26, s3, s13
	s_mul_hi_u32 s11, s3, s10
	s_add_u32 s12, s26, s12
	s_addc_u32 s11, 0, s11
	s_mul_hi_u32 s27, s59, s13
	s_mul_i32 s13, s59, s13
	s_add_u32 s12, s12, s13
	s_mul_hi_u32 s26, s59, s10
	s_addc_u32 s11, s11, s27
	s_addc_u32 s12, s26, 0
	s_mul_i32 s10, s59, s10
	s_add_u32 s10, s11, s10
	s_addc_u32 s11, 0, s12
	s_mul_i32 s11, s23, s11
	s_mul_hi_u32 s12, s23, s10
	s_add_i32 s12, s12, s11
	s_mul_i32 s10, s23, s10
	s_sub_u32 s13, s3, s10
	s_cselect_b64 s[10:11], -1, 0
	s_cmp_lg_u64 s[10:11], 0
	s_subb_u32 s12, s59, s12
	s_sub_u32 s26, s13, s23
	s_cselect_b64 s[10:11], -1, 0
	s_cmp_lg_u64 s[10:11], 0
	s_subb_u32 s27, s12, 0
	;; [unrolled: 4-line block ×3, first 2 shown]
	s_cmp_ge_u32 s26, s23
	s_cselect_b32 s11, -1, 0
	s_cmp_eq_u32 s27, 0
	s_cselect_b32 s11, s11, -1
	s_cmp_lg_u32 s11, 0
	s_cselect_b32 s10, s10, s27
	s_cselect_b32 s26, s30, s26
	s_cmp_ge_u32 s13, s23
	s_cselect_b32 s11, -1, 0
	s_cmp_eq_u32 s12, 0
	s_cselect_b32 s11, s11, -1
	s_cmp_lg_u32 s11, 0
	s_cselect_b32 s11, s10, s12
	s_cselect_b32 s10, s26, s13
	s_cbranch_execnz .LBB77_203
.LBB77_202:                             ;   in Loop: Header=BB77_17 Depth=1
	v_cvt_f32_u32_e32 v6, s23
	s_sub_i32 s10, 0, s23
	v_rcp_iflag_f32_e32 v6, v6
	v_mul_f32_e32 v6, 0x4f7ffffe, v6
	v_cvt_u32_f32_e32 v6, v6
	v_readfirstlane_b32 s11, v6
	s_mul_i32 s10, s10, s11
	s_mul_hi_u32 s10, s11, s10
	s_add_i32 s11, s11, s10
	s_mul_hi_u32 s10, s3, s11
	s_mul_i32 s10, s10, s23
	s_sub_i32 s10, s3, s10
	s_sub_i32 s11, s10, s23
	s_cmp_ge_u32 s10, s23
	s_cselect_b32 s10, s11, s10
	s_sub_i32 s11, s10, s23
	s_cmp_ge_u32 s10, s23
	s_cselect_b32 s52, s11, s10
	s_mov_b64 s[10:11], s[52:53]
.LBB77_203:                             ;   in Loop: Header=BB77_17 Depth=1
	s_sub_u32 s12, s3, s10
	s_subb_u32 s13, s59, s11
	v_cmp_gt_u64_e32 vcc, s[12:13], v[0:1]
                                        ; implicit-def: $vgpr33
	s_and_saveexec_b64 s[10:11], vcc
	s_cbranch_execz .LBB77_212
; %bb.204:                              ;   in Loop: Header=BB77_17 Depth=1
	v_mov_b32_e32 v7, v1
	s_mov_b64 s[30:31], 0
	v_mov_b32_e32 v6, v0
                                        ; implicit-def: $sgpr34_sgpr35
	s_branch .LBB77_207
.LBB77_205:                             ;   in Loop: Header=BB77_207 Depth=2
	s_or_b64 exec, exec, s[36:37]
	s_waitcnt lgkmcnt(0)
	s_barrier
	ds_read_u16 v8, v3 offset:3072
	s_mov_b64 s[26:27], -1
	s_waitcnt lgkmcnt(0)
	s_barrier
	v_cmp_eq_u32_sdwa s[36:37], v8, v3 src0_sel:BYTE_0 src1_sel:DWORD
	s_and_b64 vcc, exec, s[36:37]
	s_mov_b64 s[36:37], -1
	s_cbranch_vccnz .LBB77_210
.LBB77_206:                             ;   in Loop: Header=BB77_207 Depth=2
	s_and_b64 s[26:27], exec, s[26:27]
	s_or_b64 s[30:31], s[26:27], s[30:31]
	s_andn2_b64 s[26:27], s[34:35], exec
	s_and_b64 s[34:35], s[36:37], exec
	s_or_b64 s[34:35], s[26:27], s[34:35]
	s_andn2_b64 exec, exec, s[30:31]
	s_cbranch_execz .LBB77_211
.LBB77_207:                             ;   Parent Loop BB77_17 Depth=1
                                        ; =>  This Inner Loop Header: Depth=2
	v_cmp_gt_u64_e32 vcc, s[24:25], v[6:7]
	s_and_saveexec_b64 s[36:37], vcc
	s_cbranch_execz .LBB77_205
; %bb.208:                              ;   in Loop: Header=BB77_207 Depth=2
	v_mov_b32_e32 v8, s50
	v_mov_b32_e32 v9, s51
	v_mad_u64_u32 v[8:9], s[26:27], v6, s40, v[8:9]
	v_mul_lo_u32 v10, v6, s41
	v_mul_lo_u32 v11, v7, s40
	v_add3_u32 v9, v11, v9, v10
	global_load_ubyte v8, v[8:9], off
	s_waitcnt vmcnt(0)
	v_and_b32_e32 v9, v8, v32
	v_cmp_eq_u32_sdwa s[26:27], v9, v28 src0_sel:BYTE_0 src1_sel:DWORD
	s_and_b64 exec, exec, s[26:27]
	s_cbranch_execz .LBB77_205
; %bb.209:                              ;   in Loop: Header=BB77_207 Depth=2
	v_lshlrev_b16_e32 v8, 8, v8
	v_or_b32_e32 v8, 1, v8
	ds_write_b16 v3, v8 offset:3072
	s_branch .LBB77_205
.LBB77_210:                             ;   in Loop: Header=BB77_207 Depth=2
	v_add_co_u32_e32 v6, vcc, s23, v6
	v_addc_co_u32_e32 v7, vcc, 0, v7, vcc
	v_cmp_le_u64_e32 vcc, s[12:13], v[6:7]
	s_mov_b64 s[36:37], 0
	s_orn2_b64 s[26:27], vcc, exec
	s_branch .LBB77_206
.LBB77_211:                             ;   in Loop: Header=BB77_17 Depth=1
	s_or_b64 exec, exec, s[30:31]
	s_andn2_b64 s[12:13], s[28:29], exec
	s_and_b64 s[26:27], s[34:35], exec
	v_lshrrev_b32_sdwa v33, v31, v8 dst_sel:DWORD dst_unused:UNUSED_PAD src0_sel:DWORD src1_sel:WORD_0
	s_or_b64 s[28:29], s[12:13], s[26:27]
.LBB77_212:                             ;   in Loop: Header=BB77_17 Depth=1
	s_or_b64 exec, exec, s[10:11]
	s_mov_b64 s[90:91], 0
	s_mov_b64 s[92:93], -1
.LBB77_213:                             ;   in Loop: Header=BB77_17 Depth=1
	s_orn2_b64 s[10:11], s[28:29], exec
.LBB77_214:                             ;   in Loop: Header=BB77_17 Depth=1
	s_or_b64 exec, exec, s[46:47]
	s_mov_b64 s[12:13], 0
	s_and_saveexec_b64 s[46:47], s[10:11]
	s_cbranch_execz .LBB77_272
; %bb.215:                              ;   in Loop: Header=BB77_17 Depth=1
	v_mov_b32_e32 v6, 1
	s_xor_b64 s[10:11], s[94:95], -1
	v_mov_b32_e32 v2, 1
	v_mov_b32_e32 v7, 0
	s_mov_b64 s[28:29], 0
	s_and_saveexec_b64 s[12:13], s[10:11]
	s_cbranch_execz .LBB77_224
; %bb.216:                              ;   in Loop: Header=BB77_17 Depth=1
	v_cmp_ge_u64_e32 vcc, s[82:83], v[4:5]
	s_and_saveexec_b64 s[10:11], vcc
	s_xor_b64 s[10:11], exec, s[10:11]
	s_cbranch_execz .LBB77_221
; %bb.217:                              ;   in Loop: Header=BB77_17 Depth=1
	ds_read_b64 v[6:7], v3 offset:5120
	v_and_b32_e32 v2, s42, v28
	v_lshl_or_b32 v28, 2, s1, v2
	v_or_b32_e32 v32, s2, v32
	s_waitcnt lgkmcnt(0)
	v_cmp_ne_u64_e32 vcc, 0, v[6:7]
	s_cbranch_vccnz .LBB77_221
; %bb.218:                              ;   in Loop: Header=BB77_17 Depth=1
	s_mov_b64 s[26:27], exec
	v_readlane_b32 s28, v55, 8
	v_readlane_b32 s29, v55, 9
	s_and_b64 s[28:29], s[26:27], s[28:29]
	s_mov_b64 exec, s[28:29]
; %bb.219:                              ;   in Loop: Header=BB77_17 Depth=1
	v_mov_b32_e32 v6, s82
	v_mov_b32_e32 v7, s83
	ds_write_b64 v3, v[6:7] offset:5128
; %bb.220:                              ;   in Loop: Header=BB77_17 Depth=1
	s_or_b64 exec, exec, s[26:27]
	s_waitcnt lgkmcnt(0)
	s_barrier
.LBB77_221:                             ;   in Loop: Header=BB77_17 Depth=1
	s_or_saveexec_b64 s[10:11], s[10:11]
	s_mov_b64 s[28:29], 0
	v_mov_b32_e32 v2, 8
	s_xor_b64 exec, exec, s[10:11]
; %bb.222:                              ;   in Loop: Header=BB77_17 Depth=1
	v_subrev_co_u32_e32 v4, vcc, s82, v4
	v_mov_b32_e32 v2, s83
	v_subb_co_u32_e32 v5, vcc, v5, v2, vcc
	v_mov_b32_e32 v2, 0
	s_mov_b64 s[28:29], exec
; %bb.223:                              ;   in Loop: Header=BB77_17 Depth=1
	s_or_b64 exec, exec, s[10:11]
	v_mov_b32_e32 v7, v5
	s_and_b64 s[28:29], s[28:29], exec
	v_mov_b32_e32 v6, v4
.LBB77_224:                             ;   in Loop: Header=BB77_17 Depth=1
	s_or_b64 exec, exec, s[12:13]
	s_mov_b64 s[10:11], -1
                                        ; implicit-def: $sgpr48_sgpr49
                                        ; implicit-def: $sgpr30_sgpr31
	s_and_saveexec_b64 s[82:83], s[28:29]
	s_cbranch_execz .LBB77_271
; %bb.225:                              ;   in Loop: Header=BB77_17 Depth=1
	s_cmp_eq_u64 s[16:17], 1
	v_cmp_eq_u64_e32 vcc, 1, v[6:7]
	s_cselect_b64 s[10:11], -1, 0
	s_and_b64 s[94:95], s[10:11], vcc
	s_mov_b64 s[10:11], -1
                                        ; implicit-def: $sgpr48_sgpr49
                                        ; implicit-def: $sgpr30_sgpr31
	s_and_saveexec_b64 s[28:29], s[94:95]
	s_cbranch_execz .LBB77_259
; %bb.226:                              ;   in Loop: Header=BB77_17 Depth=1
	ds_read_b64 v[4:5], v3 offset:5120
	s_waitcnt lgkmcnt(0)
	s_barrier
	v_readfirstlane_b32 s34, v4
	v_readfirstlane_b32 s35, v5
	s_and_saveexec_b64 s[10:11], s[14:15]
; %bb.227:                              ;   in Loop: Header=BB77_17 Depth=1
	ds_write_b8 v0, v3 offset:3072
; %bb.228:                              ;   in Loop: Header=BB77_17 Depth=1
	s_or_b64 exec, exec, s[10:11]
	v_or_b32_e32 v28, s2, v28
	v_or_b32_e32 v32, s2, v32
	s_mov_b64 s[30:31], -1
	s_mov_b64 s[48:49], 0
	s_cmp_eq_u64 s[34:35], 0
	s_mov_b64 s[12:13], 0
	s_mov_b64 s[10:11], -1
	s_waitcnt lgkmcnt(0)
	s_barrier
                                        ; implicit-def: $vgpr33
	s_cbranch_scc1 .LBB77_244
; %bb.229:                              ;   in Loop: Header=BB77_17 Depth=1
	v_readlane_b32 s10, v55, 28
	s_add_u32 s36, s34, s10
	v_readlane_b32 s10, v55, 29
	s_addc_u32 s13, s35, s10
	s_mov_b32 s12, s53
	s_cmp_lg_u64 s[12:13], 0
	s_cbranch_scc0 .LBB77_278
; %bb.230:                              ;   in Loop: Header=BB77_17 Depth=1
	v_cvt_f32_u32_e32 v4, s23
	s_sub_u32 s12, 0, s23
	s_subb_u32 s26, 0, 0
	v_mac_f32_e32 v4, 0, v30
	v_rcp_f32_e32 v4, v4
	v_mul_f32_e32 v4, 0x5f7ffffc, v4
	v_mul_f32_e32 v5, 0x2f800000, v4
	v_trunc_f32_e32 v5, v5
	v_mac_f32_e32 v4, 0xcf800000, v5
	v_cvt_u32_f32_e32 v5, v5
	v_cvt_u32_f32_e32 v4, v4
	v_readfirstlane_b32 s27, v5
	v_readfirstlane_b32 s10, v4
	s_mul_i32 s11, s12, s27
	s_mul_hi_u32 s38, s12, s10
	s_mul_i32 s37, s26, s10
	s_add_i32 s11, s38, s11
	s_mul_i32 s39, s12, s10
	s_add_i32 s11, s11, s37
	s_mul_hi_u32 s38, s10, s39
	s_mul_i32 s42, s10, s11
	s_mul_hi_u32 s37, s10, s11
	s_add_u32 s38, s38, s42
	s_addc_u32 s37, 0, s37
	s_mul_hi_u32 s43, s27, s39
	s_mul_i32 s39, s27, s39
	s_add_u32 s38, s38, s39
	s_mul_hi_u32 s42, s27, s11
	s_addc_u32 s37, s37, s43
	s_addc_u32 s38, s42, 0
	s_mul_i32 s11, s27, s11
	s_add_u32 s11, s37, s11
	s_addc_u32 s37, 0, s38
	s_add_u32 s38, s10, s11
	s_cselect_b64 s[10:11], -1, 0
	s_cmp_lg_u64 s[10:11], 0
	s_addc_u32 s27, s27, s37
	s_mul_i32 s10, s12, s27
	s_mul_hi_u32 s11, s12, s38
	s_add_i32 s10, s11, s10
	s_mul_i32 s26, s26, s38
	s_add_i32 s10, s10, s26
	s_mul_i32 s12, s12, s38
	s_mul_hi_u32 s26, s27, s12
	s_mul_i32 s37, s27, s12
	s_mul_i32 s42, s38, s10
	s_mul_hi_u32 s12, s38, s12
	s_mul_hi_u32 s39, s38, s10
	s_add_u32 s12, s12, s42
	s_addc_u32 s39, 0, s39
	s_add_u32 s12, s12, s37
	s_mul_hi_u32 s11, s27, s10
	s_addc_u32 s12, s39, s26
	s_addc_u32 s11, s11, 0
	s_mul_i32 s10, s27, s10
	s_add_u32 s10, s12, s10
	s_addc_u32 s12, 0, s11
	s_add_u32 s26, s38, s10
	s_cselect_b64 s[10:11], -1, 0
	s_cmp_lg_u64 s[10:11], 0
	s_addc_u32 s10, s27, s12
	s_mul_i32 s12, s36, s10
	s_mul_hi_u32 s27, s36, s26
	s_mul_hi_u32 s11, s36, s10
	s_add_u32 s12, s27, s12
	s_addc_u32 s11, 0, s11
	s_mul_hi_u32 s37, s13, s26
	s_mul_i32 s26, s13, s26
	s_add_u32 s12, s12, s26
	s_mul_hi_u32 s27, s13, s10
	s_addc_u32 s11, s11, s37
	s_addc_u32 s12, s27, 0
	s_mul_i32 s10, s13, s10
	s_add_u32 s10, s11, s10
	s_addc_u32 s11, 0, s12
	s_mul_i32 s11, s23, s11
	s_mul_hi_u32 s12, s23, s10
	s_add_i32 s12, s12, s11
	s_mul_i32 s10, s23, s10
	s_sub_u32 s26, s36, s10
	s_cselect_b64 s[10:11], -1, 0
	s_cmp_lg_u64 s[10:11], 0
	s_subb_u32 s12, s13, s12
	s_sub_u32 s27, s26, s23
	s_cselect_b64 s[10:11], -1, 0
	s_cmp_lg_u64 s[10:11], 0
	s_subb_u32 s37, s12, 0
	;; [unrolled: 4-line block ×3, first 2 shown]
	s_cmp_ge_u32 s27, s23
	s_cselect_b32 s11, -1, 0
	s_cmp_eq_u32 s37, 0
	s_cselect_b32 s11, s11, -1
	s_cmp_lg_u32 s11, 0
	s_cselect_b32 s10, s10, s37
	s_cselect_b32 s27, s38, s27
	s_cmp_ge_u32 s26, s23
	s_cselect_b32 s11, -1, 0
	s_cmp_eq_u32 s12, 0
	s_cselect_b32 s11, s11, -1
	s_cmp_lg_u32 s11, 0
	s_cselect_b32 s11, s10, s12
	s_cselect_b32 s10, s27, s26
	s_cbranch_execnz .LBB77_232
.LBB77_231:                             ;   in Loop: Header=BB77_17 Depth=1
	v_cvt_f32_u32_e32 v4, s23
	s_sub_i32 s10, 0, s23
	v_rcp_iflag_f32_e32 v4, v4
	v_mul_f32_e32 v4, 0x4f7ffffe, v4
	v_cvt_u32_f32_e32 v4, v4
	v_readfirstlane_b32 s11, v4
	s_mul_i32 s10, s10, s11
	s_mul_hi_u32 s10, s11, s10
	s_add_i32 s11, s11, s10
	s_mul_hi_u32 s10, s36, s11
	s_mul_i32 s10, s10, s23
	s_sub_i32 s10, s36, s10
	s_sub_i32 s11, s10, s23
	s_cmp_ge_u32 s10, s23
	s_cselect_b32 s10, s11, s10
	s_sub_i32 s11, s10, s23
	s_cmp_ge_u32 s10, s23
	s_cselect_b32 s52, s11, s10
	s_mov_b64 s[10:11], s[52:53]
.LBB77_232:                             ;   in Loop: Header=BB77_17 Depth=1
	s_sub_u32 s38, s36, s10
	s_subb_u32 s39, s13, s11
	v_cmp_gt_u64_e32 vcc, s[38:39], v[0:1]
	s_mov_b64 s[10:11], 0
	s_mov_b64 s[12:13], 0
                                        ; implicit-def: $vgpr33
	s_and_saveexec_b64 s[36:37], vcc
	s_cbranch_execz .LBB77_243
; %bb.233:                              ;   in Loop: Header=BB77_17 Depth=1
	v_mov_b32_e32 v5, v1
	v_mov_b32_e32 v8, v0
	;; [unrolled: 1-line block ×3, first 2 shown]
                                        ; implicit-def: $sgpr44_sgpr45
	s_branch .LBB77_236
.LBB77_234:                             ;   in Loop: Header=BB77_236 Depth=2
	s_or_b64 exec, exec, s[26:27]
	s_waitcnt lgkmcnt(0)
	s_barrier
	ds_read_u16 v9, v3 offset:3072
	s_mov_b64 s[26:27], -1
	s_waitcnt lgkmcnt(0)
	s_barrier
	v_cmp_ne_u32_sdwa s[42:43], v9, v3 src0_sel:BYTE_0 src1_sel:DWORD
	s_and_b64 vcc, exec, s[42:43]
	s_mov_b64 s[42:43], -1
	s_cbranch_vccz .LBB77_239
.LBB77_235:                             ;   in Loop: Header=BB77_236 Depth=2
	s_and_b64 s[26:27], exec, s[26:27]
	s_or_b64 s[12:13], s[26:27], s[12:13]
	s_andn2_b64 s[26:27], s[44:45], exec
	s_and_b64 s[42:43], s[42:43], exec
	s_or_b64 s[44:45], s[26:27], s[42:43]
	s_andn2_b64 exec, exec, s[12:13]
	s_cbranch_execz .LBB77_242
.LBB77_236:                             ;   Parent Loop BB77_17 Depth=1
                                        ; =>  This Inner Loop Header: Depth=2
	v_cmp_gt_u64_e32 vcc, s[34:35], v[4:5]
	s_and_saveexec_b64 s[26:27], vcc
	s_cbranch_execz .LBB77_234
; %bb.237:                              ;   in Loop: Header=BB77_236 Depth=2
	ds_read_u8 v9, v8
	s_waitcnt lgkmcnt(0)
	v_and_b32_e32 v10, v9, v32
	v_cmp_eq_u32_sdwa s[42:43], v10, v28 src0_sel:BYTE_0 src1_sel:DWORD
	s_and_b64 exec, exec, s[42:43]
	s_cbranch_execz .LBB77_234
; %bb.238:                              ;   in Loop: Header=BB77_236 Depth=2
	v_lshlrev_b16_e32 v9, 8, v9
	v_or_b32_e32 v9, 1, v9
	ds_write_b16 v3, v9 offset:3072
	s_branch .LBB77_234
.LBB77_239:                             ;   in Loop: Header=BB77_236 Depth=2
	v_add_co_u32_e32 v4, vcc, s23, v4
	v_addc_co_u32_e32 v5, vcc, 0, v5, vcc
	v_cmp_le_u64_e32 vcc, s[38:39], v[4:5]
	v_add_u32_e32 v8, s23, v8
	s_mov_b64 s[42:43], 0
	s_orn2_b64 s[26:27], vcc, exec
	s_branch .LBB77_235
.LBB77_240:                             ;   in Loop: Header=BB77_17 Depth=1
                                        ; implicit-def: $sgpr10_sgpr11
	s_branch .LBB77_186
.LBB77_241:                             ;   in Loop: Header=BB77_17 Depth=1
                                        ; implicit-def: $sgpr10_sgpr11
	s_branch .LBB77_202
.LBB77_242:                             ;   in Loop: Header=BB77_17 Depth=1
	s_or_b64 exec, exec, s[12:13]
	v_lshrrev_b32_sdwa v33, v31, v9 dst_sel:DWORD dst_unused:UNUSED_PAD src0_sel:DWORD src1_sel:WORD_0
	s_and_b64 s[12:13], s[44:45], exec
.LBB77_243:                             ;   in Loop: Header=BB77_17 Depth=1
	s_or_b64 exec, exec, s[36:37]
.LBB77_244:                             ;   in Loop: Header=BB77_17 Depth=1
	s_and_b64 vcc, exec, s[10:11]
	s_cbranch_vccz .LBB77_258
; %bb.245:                              ;   in Loop: Header=BB77_17 Depth=1
	s_mov_b32 s58, s53
	s_cmp_lg_u64 s[58:59], 0
	s_cbranch_scc0 .LBB77_279
; %bb.246:                              ;   in Loop: Header=BB77_17 Depth=1
	v_cvt_f32_u32_e32 v4, s23
	s_sub_u32 s26, 0, s23
	s_subb_u32 s27, 0, 0
	v_mac_f32_e32 v4, 0, v30
	v_rcp_f32_e32 v4, v4
	v_mul_f32_e32 v4, 0x5f7ffffc, v4
	v_mul_f32_e32 v5, 0x2f800000, v4
	v_trunc_f32_e32 v5, v5
	v_mac_f32_e32 v4, 0xcf800000, v5
	v_cvt_u32_f32_e32 v5, v5
	v_cvt_u32_f32_e32 v4, v4
	v_readfirstlane_b32 s30, v5
	v_readfirstlane_b32 s10, v4
	s_mul_i32 s11, s26, s30
	s_mul_hi_u32 s34, s26, s10
	s_mul_i32 s31, s27, s10
	s_add_i32 s11, s34, s11
	s_mul_i32 s35, s26, s10
	s_add_i32 s11, s11, s31
	s_mul_hi_u32 s34, s10, s35
	s_mul_i32 s36, s10, s11
	s_mul_hi_u32 s31, s10, s11
	s_add_u32 s34, s34, s36
	s_addc_u32 s31, 0, s31
	s_mul_hi_u32 s37, s30, s35
	s_mul_i32 s35, s30, s35
	s_add_u32 s34, s34, s35
	s_mul_hi_u32 s36, s30, s11
	s_addc_u32 s31, s31, s37
	s_addc_u32 s34, s36, 0
	s_mul_i32 s11, s30, s11
	s_add_u32 s11, s31, s11
	s_addc_u32 s31, 0, s34
	s_add_u32 s34, s10, s11
	s_cselect_b64 s[10:11], -1, 0
	s_cmp_lg_u64 s[10:11], 0
	s_addc_u32 s30, s30, s31
	s_mul_i32 s10, s26, s30
	s_mul_hi_u32 s11, s26, s34
	s_add_i32 s10, s11, s10
	s_mul_i32 s27, s27, s34
	s_add_i32 s10, s10, s27
	s_mul_i32 s26, s26, s34
	s_mul_hi_u32 s27, s30, s26
	s_mul_i32 s31, s30, s26
	s_mul_i32 s36, s34, s10
	s_mul_hi_u32 s26, s34, s26
	s_mul_hi_u32 s35, s34, s10
	s_add_u32 s26, s26, s36
	s_addc_u32 s35, 0, s35
	s_add_u32 s26, s26, s31
	s_mul_hi_u32 s11, s30, s10
	s_addc_u32 s26, s35, s27
	s_addc_u32 s11, s11, 0
	s_mul_i32 s10, s30, s10
	s_add_u32 s10, s26, s10
	s_addc_u32 s26, 0, s11
	s_add_u32 s27, s34, s10
	s_cselect_b64 s[10:11], -1, 0
	s_cmp_lg_u64 s[10:11], 0
	s_addc_u32 s10, s30, s26
	s_mul_i32 s26, s3, s10
	s_mul_hi_u32 s30, s3, s27
	s_mul_hi_u32 s11, s3, s10
	s_add_u32 s26, s30, s26
	s_addc_u32 s11, 0, s11
	s_mul_hi_u32 s31, s59, s27
	s_mul_i32 s27, s59, s27
	s_add_u32 s26, s26, s27
	s_mul_hi_u32 s30, s59, s10
	s_addc_u32 s11, s11, s31
	s_addc_u32 s26, s30, 0
	s_mul_i32 s10, s59, s10
	s_add_u32 s10, s11, s10
	s_addc_u32 s11, 0, s26
	s_mul_i32 s11, s23, s11
	s_mul_hi_u32 s26, s23, s10
	s_add_i32 s26, s26, s11
	s_mul_i32 s10, s23, s10
	s_sub_u32 s27, s3, s10
	s_cselect_b64 s[10:11], -1, 0
	s_cmp_lg_u64 s[10:11], 0
	s_subb_u32 s26, s59, s26
	s_sub_u32 s30, s27, s23
	s_cselect_b64 s[10:11], -1, 0
	s_cmp_lg_u64 s[10:11], 0
	s_subb_u32 s31, s26, 0
	s_sub_u32 s34, s30, s23
	s_cselect_b64 s[10:11], -1, 0
	s_cmp_lg_u64 s[10:11], 0
	s_subb_u32 s10, s31, 0
	s_cmp_ge_u32 s30, s23
	s_cselect_b32 s11, -1, 0
	s_cmp_eq_u32 s31, 0
	s_cselect_b32 s11, s11, -1
	s_cmp_lg_u32 s11, 0
	s_cselect_b32 s10, s10, s31
	s_cselect_b32 s30, s34, s30
	s_cmp_ge_u32 s27, s23
	s_cselect_b32 s11, -1, 0
	s_cmp_eq_u32 s26, 0
	s_cselect_b32 s11, s11, -1
	s_cmp_lg_u32 s11, 0
	s_cselect_b32 s11, s10, s26
	s_cselect_b32 s10, s30, s27
	s_cbranch_execnz .LBB77_248
.LBB77_247:                             ;   in Loop: Header=BB77_17 Depth=1
	v_cvt_f32_u32_e32 v4, s23
	s_sub_i32 s10, 0, s23
	v_rcp_iflag_f32_e32 v4, v4
	v_mul_f32_e32 v4, 0x4f7ffffe, v4
	v_cvt_u32_f32_e32 v4, v4
	v_readfirstlane_b32 s11, v4
	s_mul_i32 s10, s10, s11
	s_mul_hi_u32 s10, s11, s10
	s_add_i32 s11, s11, s10
	s_mul_hi_u32 s10, s3, s11
	s_mul_i32 s10, s10, s23
	s_sub_i32 s10, s3, s10
	s_sub_i32 s11, s10, s23
	s_cmp_ge_u32 s10, s23
	s_cselect_b32 s10, s11, s10
	s_sub_i32 s11, s10, s23
	s_cmp_ge_u32 s10, s23
	s_cselect_b32 s52, s11, s10
	s_mov_b64 s[10:11], s[52:53]
.LBB77_248:                             ;   in Loop: Header=BB77_17 Depth=1
	s_sub_u32 s30, s3, s10
	s_subb_u32 s31, s59, s11
	v_cmp_gt_u64_e32 vcc, s[30:31], v[0:1]
                                        ; implicit-def: $vgpr33
	s_and_saveexec_b64 s[10:11], vcc
	s_cbranch_execz .LBB77_257
; %bb.249:                              ;   in Loop: Header=BB77_17 Depth=1
	v_mov_b32_e32 v5, v1
	s_mov_b64 s[34:35], 0
	v_mov_b32_e32 v4, v0
                                        ; implicit-def: $sgpr36_sgpr37
	s_branch .LBB77_252
.LBB77_250:                             ;   in Loop: Header=BB77_252 Depth=2
	s_or_b64 exec, exec, s[38:39]
	s_waitcnt lgkmcnt(0)
	s_barrier
	ds_read_u16 v8, v3 offset:3072
	s_mov_b64 s[26:27], -1
	s_waitcnt lgkmcnt(0)
	s_barrier
	v_cmp_eq_u32_sdwa s[38:39], v8, v3 src0_sel:BYTE_0 src1_sel:DWORD
	s_and_b64 vcc, exec, s[38:39]
	s_mov_b64 s[38:39], -1
	s_cbranch_vccnz .LBB77_255
.LBB77_251:                             ;   in Loop: Header=BB77_252 Depth=2
	s_and_b64 s[26:27], exec, s[26:27]
	s_or_b64 s[34:35], s[26:27], s[34:35]
	s_andn2_b64 s[26:27], s[36:37], exec
	s_and_b64 s[36:37], s[38:39], exec
	s_or_b64 s[36:37], s[26:27], s[36:37]
	s_andn2_b64 exec, exec, s[34:35]
	s_cbranch_execz .LBB77_256
.LBB77_252:                             ;   Parent Loop BB77_17 Depth=1
                                        ; =>  This Inner Loop Header: Depth=2
	v_cmp_gt_u64_e32 vcc, s[24:25], v[4:5]
	s_and_saveexec_b64 s[38:39], vcc
	s_cbranch_execz .LBB77_250
; %bb.253:                              ;   in Loop: Header=BB77_252 Depth=2
	v_mov_b32_e32 v8, s50
	v_mov_b32_e32 v9, s51
	v_mad_u64_u32 v[8:9], s[26:27], v4, s40, v[8:9]
	v_mul_lo_u32 v10, v4, s41
	v_mul_lo_u32 v11, v5, s40
	v_add3_u32 v9, v11, v9, v10
	global_load_ubyte v8, v[8:9], off
	s_waitcnt vmcnt(0)
	v_and_b32_e32 v9, v8, v32
	v_cmp_eq_u32_sdwa s[26:27], v9, v28 src0_sel:BYTE_0 src1_sel:DWORD
	s_and_b64 exec, exec, s[26:27]
	s_cbranch_execz .LBB77_250
; %bb.254:                              ;   in Loop: Header=BB77_252 Depth=2
	v_lshlrev_b16_e32 v8, 8, v8
	v_or_b32_e32 v8, 1, v8
	ds_write_b16 v3, v8 offset:3072
	s_branch .LBB77_250
.LBB77_255:                             ;   in Loop: Header=BB77_252 Depth=2
	v_add_co_u32_e32 v4, vcc, s23, v4
	v_addc_co_u32_e32 v5, vcc, 0, v5, vcc
	v_cmp_le_u64_e32 vcc, s[30:31], v[4:5]
	s_mov_b64 s[38:39], 0
	s_orn2_b64 s[26:27], vcc, exec
	s_branch .LBB77_251
.LBB77_256:                             ;   in Loop: Header=BB77_17 Depth=1
	s_or_b64 exec, exec, s[34:35]
	s_andn2_b64 s[12:13], s[12:13], exec
	s_and_b64 s[26:27], s[36:37], exec
	v_lshrrev_b32_sdwa v33, v31, v8 dst_sel:DWORD dst_unused:UNUSED_PAD src0_sel:DWORD src1_sel:WORD_0
	s_or_b64 s[12:13], s[12:13], s[26:27]
.LBB77_257:                             ;   in Loop: Header=BB77_17 Depth=1
	s_or_b64 exec, exec, s[10:11]
	s_mov_b64 s[30:31], 0
	s_mov_b64 s[48:49], -1
.LBB77_258:                             ;   in Loop: Header=BB77_17 Depth=1
	s_orn2_b64 s[10:11], s[12:13], exec
.LBB77_259:                             ;   in Loop: Header=BB77_17 Depth=1
	s_or_b64 exec, exec, s[28:29]
	s_mov_b64 s[28:29], 0
	s_and_saveexec_b64 s[12:13], s[10:11]
	s_cbranch_execz .LBB77_270
; %bb.260:                              ;   in Loop: Header=BB77_17 Depth=1
	v_mov_b32_e32 v4, 1
	s_xor_b64 s[26:27], s[94:95], -1
	v_mov_b32_e32 v5, 0
	v_mov_b32_e32 v2, 1
	s_and_saveexec_b64 s[10:11], s[26:27]
	s_cbranch_execz .LBB77_269
; %bb.261:                              ;   in Loop: Header=BB77_17 Depth=1
	v_cmp_ge_u64_e32 vcc, s[16:17], v[6:7]
	s_and_saveexec_b64 s[26:27], vcc
	s_xor_b64 s[28:29], exec, s[26:27]
	s_cbranch_execz .LBB77_266
; %bb.262:                              ;   in Loop: Header=BB77_17 Depth=1
	ds_read_b64 v[4:5], v3 offset:5120
	v_or_b32_e32 v28, s2, v28
	v_or_b32_e32 v32, s2, v32
	s_waitcnt lgkmcnt(0)
	v_cmp_ne_u64_e32 vcc, 0, v[4:5]
	s_cbranch_vccnz .LBB77_266
; %bb.263:                              ;   in Loop: Header=BB77_17 Depth=1
	s_mov_b64 s[26:27], exec
	v_readlane_b32 s34, v55, 8
	v_readlane_b32 s35, v55, 9
	s_and_b64 s[34:35], s[26:27], s[34:35]
	s_mov_b64 exec, s[34:35]
; %bb.264:                              ;   in Loop: Header=BB77_17 Depth=1
	v_mov_b32_e32 v4, s16
	v_mov_b32_e32 v5, s17
	ds_write_b64 v3, v[4:5] offset:5128
; %bb.265:                              ;   in Loop: Header=BB77_17 Depth=1
	s_or_b64 exec, exec, s[26:27]
	s_waitcnt lgkmcnt(0)
	s_barrier
.LBB77_266:                             ;   in Loop: Header=BB77_17 Depth=1
	s_andn2_saveexec_b64 s[28:29], s[28:29]
; %bb.267:                              ;   in Loop: Header=BB77_17 Depth=1
	v_mov_b32_e32 v2, s17
	v_subrev_co_u32_e32 v6, vcc, s16, v6
	v_subb_co_u32_e32 v7, vcc, v7, v2, vcc
; %bb.268:                              ;   in Loop: Header=BB77_17 Depth=1
	s_or_b64 exec, exec, s[28:29]
	v_mov_b32_e32 v4, v6
	v_mov_b32_e32 v2, 8
	;; [unrolled: 1-line block ×3, first 2 shown]
.LBB77_269:                             ;   in Loop: Header=BB77_17 Depth=1
	s_or_b64 exec, exec, s[10:11]
	v_mov_b32_e32 v7, v5
	s_mov_b64 s[28:29], exec
	v_mov_b32_e32 v6, v4
.LBB77_270:                             ;   in Loop: Header=BB77_17 Depth=1
	s_or_b64 exec, exec, s[12:13]
	s_orn2_b64 s[10:11], s[28:29], exec
.LBB77_271:                             ;   in Loop: Header=BB77_17 Depth=1
	s_or_b64 exec, exec, s[82:83]
	s_andn2_b64 s[12:13], s[92:93], exec
	s_and_b64 s[16:17], s[48:49], exec
	s_or_b64 s[92:93], s[12:13], s[16:17]
	s_andn2_b64 s[12:13], s[90:91], exec
	s_and_b64 s[16:17], s[30:31], exec
	v_mov_b32_e32 v4, v6
	s_or_b64 s[90:91], s[12:13], s[16:17]
	s_and_b64 s[12:13], s[10:11], exec
	v_mov_b32_e32 v5, v7
.LBB77_272:                             ;   in Loop: Header=BB77_17 Depth=1
	s_or_b64 exec, exec, s[46:47]
	s_orn2_b64 s[10:11], s[12:13], exec
.LBB77_273:                             ;   in Loop: Header=BB77_17 Depth=1
	s_or_b64 exec, exec, s[88:89]
	s_andn2_b64 s[12:13], s[84:85], exec
	s_and_b64 s[16:17], s[92:93], exec
	s_or_b64 s[84:85], s[12:13], s[16:17]
	s_andn2_b64 s[6:7], s[6:7], exec
	s_and_b64 s[12:13], s[90:91], exec
	v_mov_b32_e32 v9, v5
	s_or_b64 s[6:7], s[6:7], s[12:13]
	s_and_b64 s[12:13], s[10:11], exec
	v_mov_b32_e32 v8, v4
.LBB77_274:                             ;   in Loop: Header=BB77_17 Depth=1
	s_or_b64 exec, exec, s[86:87]
	s_orn2_b64 s[10:11], s[12:13], exec
.LBB77_275:                             ;   in Loop: Header=BB77_17 Depth=1
	s_or_b64 exec, exec, s[80:81]
	s_mov_b64 s[12:13], 0
	s_and_saveexec_b64 s[16:17], s[10:11]
	s_xor_b64 s[10:11], exec, s[16:17]
	s_cbranch_execz .LBB77_15
; %bb.276:                              ;   in Loop: Header=BB77_17 Depth=1
	v_and_b32_e32 v2, 7, v2
	v_cmp_eq_u32_e32 vcc, 0, v2
	s_mov_b64 s[16:17], -1
	s_mov_b64 s[12:13], -1
	s_and_saveexec_b64 s[20:21], vcc
	s_cbranch_execz .LBB77_14
; %bb.277:                              ;   in Loop: Header=BB77_17 Depth=1
	s_xor_b32 s33, s33, 1
	s_add_i32 s2, s1, -2
	s_cmp_eq_u32 s1, 0
	s_cselect_b64 s[16:17], -1, 0
	s_xor_b64 s[12:13], exec, -1
	s_orn2_b64 s[16:17], s[16:17], exec
	s_mov_b32 s1, s2
	s_branch .LBB77_14
.LBB77_278:                             ;   in Loop: Header=BB77_17 Depth=1
                                        ; implicit-def: $sgpr10_sgpr11
	s_branch .LBB77_231
.LBB77_279:                             ;   in Loop: Header=BB77_17 Depth=1
                                        ; implicit-def: $sgpr10_sgpr11
	s_branch .LBB77_247
.LBB77_280:
	s_or_b64 exec, exec, s[66:67]
	s_xor_b64 s[8:9], s[72:73], -1
	s_xor_b64 s[0:1], s[68:69], -1
	;; [unrolled: 1-line block ×3, first 2 shown]
	s_mov_b64 s[4:5], 0
	s_and_saveexec_b64 s[2:3], s[0:1]
	s_xor_b64 s[0:1], exec, s[2:3]
	s_cbranch_execnz .LBB77_285
; %bb.281:
	s_andn2_saveexec_b64 s[0:1], s[0:1]
	s_cbranch_execnz .LBB77_298
.LBB77_282:
	s_or_b64 exec, exec, s[0:1]
	s_and_saveexec_b64 s[0:1], s[4:5]
.LBB77_283:
	; divergent unreachable
.LBB77_284:
	s_endpgm
.LBB77_285:
	s_and_saveexec_b64 s[2:3], s[8:9]
	s_xor_b64 s[4:5], exec, s[2:3]
	s_cbranch_execz .LBB77_296
; %bb.286:
	s_and_saveexec_b64 s[2:3], s[6:7]
	s_xor_b64 s[6:7], exec, s[2:3]
; %bb.287:
	v_mov_b32_e32 v33, v28
; %bb.288:
	s_or_b64 exec, exec, s[6:7]
	v_readlane_b32 s6, v55, 6
	v_readlane_b32 s2, v55, 4
	;; [unrolled: 1-line block ×4, first 2 shown]
	s_mov_b32 s8, s2
	s_mul_i32 s2, s2, s7
	s_mul_hi_u32 s3, s8, s6
	s_add_i32 s3, s3, s2
	s_mul_i32 s2, s8, s6
	v_readlane_b32 s18, v55, 22
	v_readlane_b32 s12, v55, 18
	s_sub_u32 s2, s18, s2
	v_readlane_b32 s14, v55, 20
	v_readlane_b32 s15, v55, 21
	s_subb_u32 s3, 0, s3
	s_mul_i32 s6, s2, s15
	s_mul_hi_u32 s7, s2, s14
	v_readlane_b32 s13, v55, 19
	s_add_i32 s6, s7, s6
	s_mul_i32 s3, s3, s14
	s_add_i32 s6, s6, s3
	s_mul_i32 s3, s8, s13
	s_mul_hi_u32 s7, s8, s12
	s_add_i32 s7, s7, s3
	s_mul_i32 s3, s8, s12
	v_readlane_b32 s8, v55, 12
	v_readlane_b32 s9, v55, 13
	s_add_u32 s3, s8, s3
	s_mul_i32 s2, s2, s14
	s_addc_u32 s7, s9, s7
	s_add_u32 s2, s3, s2
	s_addc_u32 s3, s7, s6
	v_mov_b32_e32 v2, 0
	v_readlane_b32 s19, v55, 23
	global_store_byte v2, v33, s[2:3]
	s_mov_b64 s[6:7], exec
	v_readlane_b32 s2, v55, 24
	v_readlane_b32 s3, v55, 25
	s_and_b64 s[2:3], s[6:7], s[2:3]
	s_mov_b64 exec, s[2:3]
	s_cbranch_execz .LBB77_295
; %bb.289:
	v_mov_b32_e32 v4, s50
	s_mov_b64 s[2:3], 0
	v_mov_b32_e32 v5, s51
                                        ; implicit-def: $sgpr8_sgpr9
                                        ; implicit-def: $sgpr12_sgpr13
                                        ; implicit-def: $sgpr10_sgpr11
	s_branch .LBB77_291
.LBB77_290:                             ;   in Loop: Header=BB77_291 Depth=1
	s_or_b64 exec, exec, s[14:15]
	s_and_b64 s[14:15], exec, s[12:13]
	s_or_b64 s[2:3], s[14:15], s[2:3]
	s_andn2_b64 s[8:9], s[8:9], exec
	s_and_b64 s[14:15], s[10:11], exec
	s_or_b64 s[8:9], s[8:9], s[14:15]
	s_andn2_b64 exec, exec, s[2:3]
	s_cbranch_execz .LBB77_293
.LBB77_291:                             ; =>This Inner Loop Header: Depth=1
	v_mov_b32_e32 v3, v1
	v_mov_b32_e32 v2, v0
	v_mad_u64_u32 v[0:1], s[14:15], v2, s40, v[4:5]
	v_mul_lo_u32 v6, v2, s41
	v_mul_lo_u32 v7, v3, s40
	s_or_b64 s[10:11], s[10:11], exec
	s_or_b64 s[12:13], s[12:13], exec
	v_add3_u32 v1, v7, v1, v6
	global_load_ubyte v0, v[0:1], off
	s_waitcnt vmcnt(0)
	v_cmp_ne_u16_sdwa s[16:17], v0, v33 src0_sel:DWORD src1_sel:BYTE_0
                                        ; implicit-def: $vgpr0_vgpr1
	s_and_saveexec_b64 s[14:15], s[16:17]
	s_cbranch_execz .LBB77_290
; %bb.292:                              ;   in Loop: Header=BB77_291 Depth=1
	v_add_co_u32_e32 v0, vcc, s23, v2
	v_addc_co_u32_e32 v1, vcc, 0, v3, vcc
	v_cmp_le_u64_e32 vcc, s[24:25], v[0:1]
	s_andn2_b64 s[12:13], s[12:13], exec
	s_and_b64 s[16:17], vcc, exec
	s_andn2_b64 s[10:11], s[10:11], exec
	s_or_b64 s[12:13], s[12:13], s[16:17]
	s_branch .LBB77_290
.LBB77_293:
	s_or_b64 exec, exec, s[2:3]
	s_and_saveexec_b64 s[2:3], s[8:9]
	s_xor_b64 s[2:3], exec, s[2:3]
	s_cbranch_execz .LBB77_295
; %bb.294:
	v_readlane_b32 s8, v55, 0
	v_readlane_b32 s2, v55, 2
	;; [unrolled: 1-line block ×4, first 2 shown]
	s_mov_b32 s10, s2
	s_mul_i32 s2, s2, s9
	s_mul_hi_u32 s3, s10, s8
	s_add_i32 s3, s3, s2
	s_mul_i32 s2, s10, s8
	v_readlane_b32 s12, v55, 14
	s_sub_u32 s2, s18, s2
	v_readlane_b32 s14, v55, 16
	v_readlane_b32 s15, v55, 17
	s_subb_u32 s3, 0, s3
	s_mul_i32 s8, s2, s15
	s_mul_hi_u32 s9, s2, s14
	v_readlane_b32 s13, v55, 15
	s_add_i32 s8, s9, s8
	s_mul_i32 s3, s3, s14
	s_add_i32 s3, s8, s3
	s_mul_i32 s8, s10, s13
	s_mul_hi_u32 s9, s10, s12
	s_add_i32 s9, s9, s8
	s_mul_i32 s8, s10, s12
	s_lshl_b64 s[8:9], s[8:9], 3
	v_readlane_b32 s10, v55, 10
	s_mul_i32 s2, s2, s14
	v_readlane_b32 s11, v55, 11
	s_add_u32 s8, s10, s8
	s_addc_u32 s9, s11, s9
	s_lshl_b64 s[2:3], s[2:3], 3
	s_add_u32 s2, s8, s2
	s_addc_u32 s3, s9, s3
	v_mov_b32_e32 v0, 0
	global_store_dwordx2 v0, v[2:3], s[2:3]
.LBB77_295:
	s_or_b64 exec, exec, s[6:7]
.LBB77_296:
	s_or_saveexec_b64 s[2:3], s[4:5]
	s_mov_b64 s[4:5], 0
	s_xor_b64 exec, exec, s[2:3]
	s_cbranch_execnz .LBB77_299
.LBB77_297:
	s_or_b64 exec, exec, s[2:3]
	s_and_b64 s[4:5], s[4:5], exec
	s_andn2_saveexec_b64 s[0:1], s[0:1]
	s_cbranch_execz .LBB77_282
.LBB77_298:
	s_or_b64 s[4:5], s[4:5], exec
	s_trap 2
	s_or_b64 exec, exec, s[0:1]
	s_and_saveexec_b64 s[0:1], s[4:5]
	s_cbranch_execnz .LBB77_283
	s_branch .LBB77_284
.LBB77_299:
	s_mov_b64 s[4:5], exec
	s_trap 2
	s_branch .LBB77_297
	.section	.rodata,"a",@progbits
	.p2align	6, 0x0
	.amdhsa_kernel _ZN2at6native12_GLOBAL__N_112gatherMedianIhmLi2EEEvNS_4cuda6detail10TensorInfoIT_T0_EENS5_IlS7_EENS5_IKS6_S7_EES7_S7_S7_b
		.amdhsa_group_segment_fixed_size 5152
		.amdhsa_private_segment_fixed_size 0
		.amdhsa_kernarg_size 1536
		.amdhsa_user_sgpr_count 6
		.amdhsa_user_sgpr_private_segment_buffer 1
		.amdhsa_user_sgpr_dispatch_ptr 0
		.amdhsa_user_sgpr_queue_ptr 0
		.amdhsa_user_sgpr_kernarg_segment_ptr 1
		.amdhsa_user_sgpr_dispatch_id 0
		.amdhsa_user_sgpr_flat_scratch_init 0
		.amdhsa_user_sgpr_private_segment_size 0
		.amdhsa_uses_dynamic_stack 0
		.amdhsa_system_sgpr_private_segment_wavefront_offset 0
		.amdhsa_system_sgpr_workgroup_id_x 1
		.amdhsa_system_sgpr_workgroup_id_y 1
		.amdhsa_system_sgpr_workgroup_id_z 1
		.amdhsa_system_sgpr_workgroup_info 0
		.amdhsa_system_vgpr_workitem_id 0
		.amdhsa_next_free_vgpr 56
		.amdhsa_next_free_sgpr 96
		.amdhsa_reserve_vcc 1
		.amdhsa_reserve_flat_scratch 0
		.amdhsa_float_round_mode_32 0
		.amdhsa_float_round_mode_16_64 0
		.amdhsa_float_denorm_mode_32 3
		.amdhsa_float_denorm_mode_16_64 3
		.amdhsa_dx10_clamp 1
		.amdhsa_ieee_mode 1
		.amdhsa_fp16_overflow 0
		.amdhsa_exception_fp_ieee_invalid_op 0
		.amdhsa_exception_fp_denorm_src 0
		.amdhsa_exception_fp_ieee_div_zero 0
		.amdhsa_exception_fp_ieee_overflow 0
		.amdhsa_exception_fp_ieee_underflow 0
		.amdhsa_exception_fp_ieee_inexact 0
		.amdhsa_exception_int_div_zero 0
	.end_amdhsa_kernel
	.section	.text._ZN2at6native12_GLOBAL__N_112gatherMedianIhmLi2EEEvNS_4cuda6detail10TensorInfoIT_T0_EENS5_IlS7_EENS5_IKS6_S7_EES7_S7_S7_b,"axG",@progbits,_ZN2at6native12_GLOBAL__N_112gatherMedianIhmLi2EEEvNS_4cuda6detail10TensorInfoIT_T0_EENS5_IlS7_EENS5_IKS6_S7_EES7_S7_S7_b,comdat
.Lfunc_end77:
	.size	_ZN2at6native12_GLOBAL__N_112gatherMedianIhmLi2EEEvNS_4cuda6detail10TensorInfoIT_T0_EENS5_IlS7_EENS5_IKS6_S7_EES7_S7_S7_b, .Lfunc_end77-_ZN2at6native12_GLOBAL__N_112gatherMedianIhmLi2EEEvNS_4cuda6detail10TensorInfoIT_T0_EENS5_IlS7_EENS5_IKS6_S7_EES7_S7_S7_b
                                        ; -- End function
	.set _ZN2at6native12_GLOBAL__N_112gatherMedianIhmLi2EEEvNS_4cuda6detail10TensorInfoIT_T0_EENS5_IlS7_EENS5_IKS6_S7_EES7_S7_S7_b.num_vgpr, 56
	.set _ZN2at6native12_GLOBAL__N_112gatherMedianIhmLi2EEEvNS_4cuda6detail10TensorInfoIT_T0_EENS5_IlS7_EENS5_IKS6_S7_EES7_S7_S7_b.num_agpr, 0
	.set _ZN2at6native12_GLOBAL__N_112gatherMedianIhmLi2EEEvNS_4cuda6detail10TensorInfoIT_T0_EENS5_IlS7_EENS5_IKS6_S7_EES7_S7_S7_b.numbered_sgpr, 96
	.set _ZN2at6native12_GLOBAL__N_112gatherMedianIhmLi2EEEvNS_4cuda6detail10TensorInfoIT_T0_EENS5_IlS7_EENS5_IKS6_S7_EES7_S7_S7_b.num_named_barrier, 0
	.set _ZN2at6native12_GLOBAL__N_112gatherMedianIhmLi2EEEvNS_4cuda6detail10TensorInfoIT_T0_EENS5_IlS7_EENS5_IKS6_S7_EES7_S7_S7_b.private_seg_size, 0
	.set _ZN2at6native12_GLOBAL__N_112gatherMedianIhmLi2EEEvNS_4cuda6detail10TensorInfoIT_T0_EENS5_IlS7_EENS5_IKS6_S7_EES7_S7_S7_b.uses_vcc, 1
	.set _ZN2at6native12_GLOBAL__N_112gatherMedianIhmLi2EEEvNS_4cuda6detail10TensorInfoIT_T0_EENS5_IlS7_EENS5_IKS6_S7_EES7_S7_S7_b.uses_flat_scratch, 0
	.set _ZN2at6native12_GLOBAL__N_112gatherMedianIhmLi2EEEvNS_4cuda6detail10TensorInfoIT_T0_EENS5_IlS7_EENS5_IKS6_S7_EES7_S7_S7_b.has_dyn_sized_stack, 0
	.set _ZN2at6native12_GLOBAL__N_112gatherMedianIhmLi2EEEvNS_4cuda6detail10TensorInfoIT_T0_EENS5_IlS7_EENS5_IKS6_S7_EES7_S7_S7_b.has_recursion, 0
	.set _ZN2at6native12_GLOBAL__N_112gatherMedianIhmLi2EEEvNS_4cuda6detail10TensorInfoIT_T0_EENS5_IlS7_EENS5_IKS6_S7_EES7_S7_S7_b.has_indirect_call, 0
	.section	.AMDGPU.csdata,"",@progbits
; Kernel info:
; codeLenInByte = 15500
; TotalNumSgprs: 100
; NumVgprs: 56
; ScratchSize: 0
; MemoryBound: 0
; FloatMode: 240
; IeeeMode: 1
; LDSByteSize: 5152 bytes/workgroup (compile time only)
; SGPRBlocks: 12
; VGPRBlocks: 13
; NumSGPRsForWavesPerEU: 100
; NumVGPRsForWavesPerEU: 56
; Occupancy: 4
; WaveLimiterHint : 1
; COMPUTE_PGM_RSRC2:SCRATCH_EN: 0
; COMPUTE_PGM_RSRC2:USER_SGPR: 6
; COMPUTE_PGM_RSRC2:TRAP_HANDLER: 0
; COMPUTE_PGM_RSRC2:TGID_X_EN: 1
; COMPUTE_PGM_RSRC2:TGID_Y_EN: 1
; COMPUTE_PGM_RSRC2:TGID_Z_EN: 1
; COMPUTE_PGM_RSRC2:TIDIG_COMP_CNT: 0
	.section	.text._ZN2at6native12_GLOBAL__N_112gatherMedianIhmLi3EEEvNS_4cuda6detail10TensorInfoIT_T0_EENS5_IlS7_EENS5_IKS6_S7_EES7_S7_S7_b,"axG",@progbits,_ZN2at6native12_GLOBAL__N_112gatherMedianIhmLi3EEEvNS_4cuda6detail10TensorInfoIT_T0_EENS5_IlS7_EENS5_IKS6_S7_EES7_S7_S7_b,comdat
	.globl	_ZN2at6native12_GLOBAL__N_112gatherMedianIhmLi3EEEvNS_4cuda6detail10TensorInfoIT_T0_EENS5_IlS7_EENS5_IKS6_S7_EES7_S7_S7_b ; -- Begin function _ZN2at6native12_GLOBAL__N_112gatherMedianIhmLi3EEEvNS_4cuda6detail10TensorInfoIT_T0_EENS5_IlS7_EENS5_IKS6_S7_EES7_S7_S7_b
	.p2align	8
	.type	_ZN2at6native12_GLOBAL__N_112gatherMedianIhmLi3EEEvNS_4cuda6detail10TensorInfoIT_T0_EENS5_IlS7_EENS5_IKS6_S7_EES7_S7_S7_b,@function
_ZN2at6native12_GLOBAL__N_112gatherMedianIhmLi3EEEvNS_4cuda6detail10TensorInfoIT_T0_EENS5_IlS7_EENS5_IKS6_S7_EES7_S7_S7_b: ; @_ZN2at6native12_GLOBAL__N_112gatherMedianIhmLi3EEEvNS_4cuda6detail10TensorInfoIT_T0_EENS5_IlS7_EENS5_IKS6_S7_EES7_S7_S7_b
; %bb.0:
	s_load_dwordx2 s[16:17], s[4:5], 0x500
	s_load_dwordx4 s[24:27], s[4:5], 0x4e0
	s_add_u32 s18, s4, 0x500
	s_addc_u32 s19, s5, 0
	s_mov_b32 s75, 0
	s_waitcnt lgkmcnt(0)
	s_mul_i32 s0, s17, s8
	s_add_i32 s0, s0, s7
	s_mul_i32 s0, s0, s16
	s_add_i32 s74, s0, s6
	v_mov_b32_e32 v1, s74
	v_mov_b32_e32 v2, s75
	v_cmp_le_u64_e32 vcc, s[26:27], v[1:2]
	s_cbranch_vccnz .LBB78_292
; %bb.1:
	s_load_dwordx4 s[20:23], s[4:5], 0x10
	s_mov_b64 s[28:29], 0
	s_mov_b64 s[26:27], 0
	s_waitcnt lgkmcnt(0)
	v_mov_b32_e32 v1, s22
	v_mov_b32_e32 v2, s23
	v_cmp_lt_u64_e32 vcc, s[74:75], v[1:2]
	s_cbranch_vccnz .LBB78_3
; %bb.2:
	v_cvt_f32_u32_e32 v1, s22
	s_sub_i32 s0, 0, s22
	s_mov_b32 s27, 0
	v_rcp_iflag_f32_e32 v1, v1
	v_mul_f32_e32 v1, 0x4f7ffffe, v1
	v_cvt_u32_f32_e32 v1, v1
	v_readfirstlane_b32 s1, v1
	s_mul_i32 s0, s0, s1
	s_mul_hi_u32 s0, s1, s0
	s_add_i32 s1, s1, s0
	s_mul_hi_u32 s0, s74, s1
	s_mul_i32 s2, s0, s22
	s_sub_i32 s2, s74, s2
	s_add_i32 s1, s0, 1
	s_sub_i32 s3, s2, s22
	s_cmp_ge_u32 s2, s22
	s_cselect_b32 s0, s1, s0
	s_cselect_b32 s2, s3, s2
	s_add_i32 s1, s0, 1
	s_cmp_ge_u32 s2, s22
	s_cselect_b32 s26, s1, s0
.LBB78_3:
	s_load_dwordx4 s[0:3], s[4:5], 0x1b0
	v_mov_b32_e32 v1, s20
	v_mov_b32_e32 v2, s21
                                        ; implicit-def: $vgpr46 : SGPR spill to VGPR lane
	v_cmp_lt_u64_e32 vcc, s[26:27], v[1:2]
	s_and_b64 vcc, exec, vcc
	s_waitcnt lgkmcnt(0)
	v_writelane_b32 v46, s0, 0
	v_writelane_b32 v46, s1, 1
	;; [unrolled: 1-line block ×4, first 2 shown]
	s_cbranch_vccnz .LBB78_5
; %bb.4:
	v_cvt_f32_u32_e32 v1, s20
	s_sub_i32 s0, 0, s20
	v_rcp_iflag_f32_e32 v1, v1
	v_mul_f32_e32 v1, 0x4f7ffffe, v1
	v_cvt_u32_f32_e32 v1, v1
	v_readfirstlane_b32 s1, v1
	s_mul_i32 s0, s0, s1
	s_mul_hi_u32 s0, s1, s0
	s_add_i32 s1, s1, s0
	s_mul_hi_u32 s0, s26, s1
	s_mul_i32 s2, s0, s20
	s_sub_i32 s2, s26, s2
	s_add_i32 s1, s0, 1
	s_sub_i32 s3, s2, s20
	s_cmp_ge_u32 s2, s20
	s_cselect_b32 s0, s1, s0
	s_cselect_b32 s2, s3, s2
	s_add_i32 s1, s0, 1
	s_cmp_ge_u32 s2, s20
	s_cselect_b32 s28, s1, s0
	s_load_dwordx4 s[0:3], s[4:5], 0x1b0
.LBB78_5:
	s_waitcnt lgkmcnt(0)
	v_mov_b32_e32 v1, s2
	v_mov_b32_e32 v2, s3
	v_cmp_lt_u64_e32 vcc, s[74:75], v[1:2]
	s_mov_b64 s[14:15], 0
	s_mov_b64 s[12:13], 0
	s_cbranch_vccnz .LBB78_7
; %bb.6:
	v_cvt_f32_u32_e32 v1, s2
	s_load_dwordx4 s[0:3], s[4:5], 0x1b0
	s_load_dwordx4 s[8:11], s[4:5], 0x1b0
	s_mov_b32 s13, 0
	v_rcp_iflag_f32_e32 v1, v1
	s_waitcnt lgkmcnt(0)
	s_sub_i32 s0, 0, s2
	v_mul_f32_e32 v1, 0x4f7ffffe, v1
	v_cvt_u32_f32_e32 v1, v1
	v_readfirstlane_b32 s1, v1
	s_mul_i32 s0, s0, s1
	s_mul_hi_u32 s0, s1, s0
	s_add_i32 s1, s1, s0
	s_mul_hi_u32 s0, s74, s1
	s_mul_i32 s2, s0, s10
	s_load_dwordx4 s[8:11], s[4:5], 0x1b0
	s_sub_i32 s2, s74, s2
	s_add_i32 s1, s0, 1
	s_waitcnt lgkmcnt(0)
	s_sub_i32 s3, s2, s10
	s_load_dwordx4 s[8:11], s[4:5], 0x1b0
	s_waitcnt lgkmcnt(0)
	s_cmp_ge_u32 s2, s10
	s_load_dwordx4 s[8:11], s[4:5], 0x1b0
	s_cselect_b32 s0, s1, s0
	s_cselect_b32 s2, s3, s2
	s_add_i32 s1, s0, 1
	s_waitcnt lgkmcnt(0)
	s_cmp_ge_u32 s2, s10
	s_cselect_b32 s12, s1, s0
	s_load_dwordx4 s[0:3], s[4:5], 0x1b0
.LBB78_7:
	v_writelane_b32 v46, s28, 4
	v_writelane_b32 v46, s29, 5
	;; [unrolled: 1-line block ×7, first 2 shown]
	s_load_dwordx4 s[8:11], s[4:5], 0x350
	s_waitcnt lgkmcnt(0)
	v_mov_b32_e32 v2, s1
	v_writelane_b32 v46, s23, 11
	v_mov_b32_e32 v1, s0
	v_writelane_b32 v46, s12, 12
	v_cmp_lt_u64_e32 vcc, s[12:13], v[1:2]
	v_writelane_b32 v46, s13, 13
	s_cbranch_vccnz .LBB78_9
; %bb.8:
	s_load_dwordx4 s[0:3], s[4:5], 0x1b0
	s_waitcnt lgkmcnt(0)
	s_mov_b64 s[14:15], s[2:3]
	s_mov_b64 s[12:13], s[0:1]
	v_cvt_f32_u32_e32 v1, s12
	s_sub_i32 s0, 0, s12
	v_readlane_b32 s14, v46, 12
	v_readlane_b32 s15, v46, 13
	v_rcp_iflag_f32_e32 v1, v1
	v_mul_f32_e32 v1, 0x4f7ffffe, v1
	v_cvt_u32_f32_e32 v1, v1
	v_readfirstlane_b32 s1, v1
	s_mul_i32 s0, s0, s1
	s_mul_hi_u32 s0, s1, s0
	s_add_i32 s1, s1, s0
	s_mul_hi_u32 s0, s14, s1
	s_mul_i32 s2, s0, s12
	s_sub_i32 s2, s14, s2
	s_add_i32 s1, s0, 1
	s_sub_i32 s3, s2, s12
	s_cmp_ge_u32 s2, s12
	s_cselect_b32 s0, s1, s0
	s_cselect_b32 s2, s3, s2
	s_add_i32 s1, s0, 1
	s_cmp_ge_u32 s2, s12
	s_cselect_b32 s14, s1, s0
.LBB78_9:
	s_load_dwordx2 s[52:53], s[4:5], 0x4f0
	v_mov_b32_e32 v1, s10
	v_mov_b32_e32 v2, s11
	v_cmp_lt_u64_e32 vcc, s[74:75], v[1:2]
	s_mov_b64 s[20:21], 0
	s_mov_b64 s[2:3], 0
	s_cbranch_vccnz .LBB78_11
; %bb.10:
	v_cvt_f32_u32_e32 v1, s10
	s_sub_i32 s0, 0, s10
	s_mov_b32 s3, 0
	v_rcp_iflag_f32_e32 v1, v1
	v_mul_f32_e32 v1, 0x4f7ffffe, v1
	v_cvt_u32_f32_e32 v1, v1
	v_readfirstlane_b32 s1, v1
	s_mul_i32 s0, s0, s1
	s_mul_hi_u32 s0, s1, s0
	s_add_i32 s1, s1, s0
	s_mul_hi_u32 s0, s74, s1
	s_mul_i32 s2, s0, s10
	s_sub_i32 s2, s74, s2
	s_add_i32 s1, s0, 1
	s_sub_i32 s7, s2, s10
	s_cmp_ge_u32 s2, s10
	s_cselect_b32 s0, s1, s0
	s_cselect_b32 s2, s7, s2
	s_add_i32 s1, s0, 1
	s_cmp_ge_u32 s2, s10
	s_cselect_b32 s2, s1, s0
.LBB78_11:
	v_mov_b32_e32 v1, s8
	v_mov_b32_e32 v2, s9
	v_cmp_lt_u64_e32 vcc, s[2:3], v[1:2]
	v_writelane_b32 v46, s14, 14
	v_writelane_b32 v46, s15, 15
	s_cbranch_vccnz .LBB78_13
; %bb.12:
	v_cvt_f32_u32_e32 v1, s8
	s_sub_i32 s0, 0, s8
	v_rcp_iflag_f32_e32 v1, v1
	v_mul_f32_e32 v1, 0x4f7ffffe, v1
	v_cvt_u32_f32_e32 v1, v1
	v_readfirstlane_b32 s1, v1
	s_mul_i32 s0, s0, s1
	s_mul_hi_u32 s0, s1, s0
	s_add_i32 s1, s1, s0
	s_mul_hi_u32 s0, s2, s1
	s_mul_i32 s7, s0, s8
	s_sub_i32 s7, s2, s7
	s_add_i32 s1, s0, 1
	s_sub_i32 s12, s7, s8
	s_cmp_ge_u32 s7, s8
	s_cselect_b32 s0, s1, s0
	s_cselect_b32 s7, s12, s7
	s_add_i32 s1, s0, 1
	s_cmp_ge_u32 s7, s8
	s_cselect_b32 s20, s1, s0
.LBB78_13:
	s_load_dwordx2 s[26:27], s[4:5], 0x420
	s_load_dwordx4 s[12:15], s[4:5], 0x410
	v_cmp_eq_u32_e64 s[0:1], 0, v0
	s_mov_b64 s[28:29], exec
	v_writelane_b32 v46, s0, 16
	v_writelane_b32 v46, s1, 17
	s_and_b64 s[0:1], s[28:29], s[0:1]
	s_mov_b64 exec, s[0:1]
; %bb.14:
	v_mov_b32_e32 v1, 0
	v_mov_b32_e32 v2, v1
	ds_write_b64 v1, v[1:2] offset:5136
; %bb.15:
	s_or_b64 exec, exec, s[28:29]
	s_load_dwordx2 s[22:23], s[4:5], 0x280
	s_load_dwordx4 s[28:31], s[4:5], 0x270
	v_mov_b32_e32 v1, 0
	s_load_dwordx2 s[34:35], s[4:5], 0x340
	s_load_dword s0, s[4:5], 0x4f8
	s_waitcnt lgkmcnt(0)
	v_writelane_b32 v46, s22, 18
	v_writelane_b32 v46, s23, 19
	;; [unrolled: 1-line block ×4, first 2 shown]
	s_load_dwordx2 s[22:23], s[4:5], 0xe0
	s_waitcnt lgkmcnt(0)
	s_barrier
	s_barrier
	ds_read_b64 v[1:2], v1 offset:5136
	v_writelane_b32 v46, s30, 22
	v_writelane_b32 v46, s31, 23
	s_load_dwordx4 s[28:31], s[4:5], 0xd0
	v_writelane_b32 v46, s22, 24
	v_writelane_b32 v46, s23, 25
	s_bitcmp1_b32 s0, 0
	s_waitcnt lgkmcnt(0)
	v_cmp_gt_i64_e32 vcc, 1, v[1:2]
	v_writelane_b32 v46, s28, 26
	s_cselect_b64 s[0:1], -1, 0
	v_writelane_b32 v46, s29, 27
	s_or_b64 s[0:1], s[0:1], vcc
	v_mov_b32_e32 v19, s24
	v_writelane_b32 v46, s30, 28
	s_andn2_b64 vcc, exec, s[0:1]
	v_mov_b32_e32 v20, s25
	v_writelane_b32 v46, s31, 29
	s_cbranch_vccnz .LBB78_17
; %bb.16:
	v_not_b32_e32 v1, v1
	v_not_b32_e32 v2, v2
	v_mov_b32_e32 v3, s25
	v_add_co_u32_e32 v1, vcc, s24, v1
	v_addc_co_u32_e32 v2, vcc, v3, v2, vcc
	v_lshrrev_b64 v[1:2], 1, v[1:2]
	v_add_co_u32_e32 v19, vcc, 1, v1
	v_addc_co_u32_e32 v20, vcc, 0, v2, vcc
.LBB78_17:
	s_load_dwordx2 s[0:1], s[4:5], 0x1a0
	s_waitcnt lgkmcnt(0)
	v_writelane_b32 v46, s0, 30
	v_writelane_b32 v46, s1, 31
	s_load_dwordx2 s[0:1], s[4:5], 0x0
	s_waitcnt lgkmcnt(0)
	v_writelane_b32 v46, s0, 32
	v_writelane_b32 v46, s1, 33
	s_mov_b64 s[4:5], exec
	v_readlane_b32 s0, v46, 16
	v_readlane_b32 s1, v46, 17
	s_and_b64 s[0:1], s[4:5], s[0:1]
	s_mov_b64 exec, s[0:1]
	s_cbranch_execz .LBB78_19
; %bb.18:
	v_mov_b32_e32 v1, 0
	v_mov_b32_e32 v3, s24
	;; [unrolled: 1-line block ×4, first 2 shown]
	ds_write_b32 v1, v1 offset:5144
	ds_write_b128 v1, v[1:4] offset:5120
.LBB78_19:
	s_or_b64 exec, exec, s[4:5]
	s_mul_i32 s0, s2, s11
	s_mul_hi_u32 s1, s2, s10
	s_add_i32 s1, s1, s0
	s_mul_i32 s0, s2, s10
	s_sub_u32 s0, s74, s0
	s_subb_u32 s1, 0, s1
	s_mul_i32 s4, s0, s27
	s_mul_hi_u32 s5, s0, s26
	s_add_i32 s4, s5, s4
	s_mul_i32 s1, s1, s26
	s_add_i32 s4, s4, s1
	s_mul_i32 s1, s20, s9
	s_mul_hi_u32 s5, s20, s8
	s_add_i32 s5, s5, s1
	s_mul_i32 s1, s20, s8
	s_sub_u32 s1, s2, s1
	s_subb_u32 s2, s3, s5
	s_mul_i32 s3, s1, s15
	s_mul_hi_u32 s5, s1, s14
	s_add_i32 s3, s5, s3
	s_mul_i32 s2, s2, s14
	s_add_i32 s3, s3, s2
	s_mul_i32 s2, s20, s13
	s_mul_hi_u32 s5, s20, s12
	s_add_i32 s5, s5, s2
	s_mul_i32 s2, s20, s12
	s_add_u32 s2, s34, s2
	s_mul_i32 s1, s1, s14
	s_addc_u32 s5, s35, s5
	s_add_u32 s1, s2, s1
	v_mov_b32_e32 v3, 0
	s_mul_i32 s0, s0, s26
	s_addc_u32 s2, s5, s3
	v_mov_b32_e32 v1, v3
	s_add_u32 s62, s1, s0
	v_cmp_gt_u64_e64 s[0:1], s[24:25], v[0:1]
	s_addc_u32 s63, s2, s4
	v_mov_b32_e32 v4, s62
	v_writelane_b32 v46, s0, 34
	v_mov_b32_e32 v5, s63
	v_writelane_b32 v46, s1, 35
	v_mad_u64_u32 v[12:13], s[0:1], s52, v0, v[4:5]
	v_mbcnt_lo_u32_b32 v2, -1, 0
	v_mbcnt_hi_u32_b32 v23, -1, v2
	v_mov_b32_e32 v2, v13
	v_mad_u64_u32 v[4:5], s[0:1], s53, v0, v[2:3]
	v_mov_b32_e32 v5, 0xc00
	v_mov_b32_e32 v6, 0
	v_cmp_gt_u64_e64 s[0:1], s[24:25], v[5:6]
	v_lshlrev_b32_e32 v2, 2, v23
	v_writelane_b32 v46, s0, 36
	s_waitcnt lgkmcnt(0)
	s_barrier
	v_writelane_b32 v46, s1, 37
	s_load_dword s0, s[18:19], 0xc
	v_and_b32_e32 v24, 0x100, v2
	v_lshrrev_b32_e32 v2, 1, v0
	v_and_b32_e32 v2, 0x1e0, v2
	v_cmp_gt_u32_e32 vcc, 64, v0
	v_cmp_gt_i32_e64 s[8:9], 4, v23
	v_mov_b32_e32 v13, v4
	v_lshlrev_b64 v[4:5], v23, -1
	v_or_b32_e32 v27, 0xc00, v2
	v_add_u32_e32 v2, 2, v0
	s_and_b64 s[66:67], vcc, s[8:9]
	v_cmp_gt_u64_e32 vcc, s[24:25], v[2:3]
	v_not_b32_e32 v26, v4
	v_mov_b32_e32 v4, s25
	v_not_b32_e32 v25, v5
	s_waitcnt lgkmcnt(0)
	s_and_b32 s23, s0, 0xffff
	s_bfe_u32 s0, s0, 0xa0006
	v_cndmask_b32_e32 v5, 0, v4, vcc
	v_mov_b32_e32 v4, s24
	s_cmp_gt_u32 s23, 63
	v_cndmask_b32_e32 v2, v2, v4, vcc
	v_not_b32_e32 v4, v0
	s_cselect_b64 s[68:69], -1, 0
	s_add_u32 s75, s23, -1
	v_add_co_u32_e32 v4, vcc, v2, v4
	s_addc_u32 s51, 0, -1
	v_addc_co_u32_e32 v5, vcc, -1, v5, vcc
	s_add_u32 s77, s75, s24
	v_cmp_lt_u64_e64 s[2:3], 3, v[4:5]
	s_addc_u32 s71, s51, s25
	s_cmp_lt_u32 s6, s16
	v_writelane_b32 v46, s2, 38
	v_and_b32_e32 v16, -4, v4
	v_mov_b32_e32 v17, v5
	s_cselect_b32 s1, 12, 18
	v_writelane_b32 v46, s3, 39
	v_cmp_ne_u64_e64 s[2:3], v[4:5], v[16:17]
	s_add_u32 s72, s18, s1
	s_addc_u32 s73, s19, 0
	v_writelane_b32 v46, s2, 40
	s_add_i32 s1, s0, -1
	v_writelane_b32 v46, s3, 41
	s_bfe_u32 s3, s23, 0x30006
	s_and_b32 s2, s1, 0xffff
	s_cmp_gt_u32 s2, 6
	s_cselect_b64 s[6:7], -1, 0
	v_writelane_b32 v46, s6, 42
	s_and_b32 s0, s0, 0x3f8
	v_writelane_b32 v46, s7, 43
	s_cmp_lg_u32 s3, 0
	v_writelane_b32 v46, s3, 44
	s_cselect_b64 s[2:3], -1, 0
	v_mov_b32_e32 v2, 0xc00
	s_mov_b32 s65, 0
	v_cmp_eq_u32_e64 s[4:5], 0, v23
	v_cmp_gt_u32_e64 s[14:15], 2, v0
	v_lshlrev_b32_e32 v14, 2, v0
	v_mov_b32_e32 v15, v3
	v_add_co_u32_e32 v18, vcc, v16, v0
	s_mov_b32 s36, s52
	s_mov_b32 s37, s53
	;; [unrolled: 1-line block ×7, first 2 shown]
	v_writelane_b32 v46, s2, 45
	v_lshl_or_b32 v29, v23, 3, v2
	s_mov_b64 s[78:79], 0
	s_mov_b32 s22, 0xc0c0004
	v_mov_b32_e32 v30, 0x4f800000
	v_mov_b32_e32 v31, 8
	;; [unrolled: 1-line block ×3, first 2 shown]
	s_mov_b32 s33, 0
	v_mov_b32_e32 v28, 0
	v_mov_b32_e32 v32, 0
	v_writelane_b32 v46, s3, 46
                                        ; implicit-def: $sgpr80_sgpr81
                                        ; implicit-def: $sgpr84_sgpr85
                                        ; implicit-def: $sgpr82_sgpr83
                                        ; implicit-def: $sgpr88_sgpr89
                                        ; implicit-def: $sgpr90_sgpr91
                                        ; implicit-def: $sgpr86_sgpr87
	s_branch .LBB78_23
.LBB78_20:                              ;   in Loop: Header=BB78_23 Depth=1
	s_or_b64 exec, exec, s[16:17]
	s_and_b64 s[10:11], s[10:11], exec
	s_andn2_b64 s[56:57], s[56:57], exec
	s_andn2_b64 s[6:7], s[6:7], exec
	s_orn2_b64 s[20:21], s[12:13], exec
.LBB78_21:                              ;   in Loop: Header=BB78_23 Depth=1
	s_or_b64 exec, exec, s[2:3]
	s_andn2_b64 s[2:3], s[86:87], exec
	s_and_b64 s[10:11], s[10:11], exec
	s_or_b64 s[86:87], s[2:3], s[10:11]
	s_andn2_b64 s[2:3], s[90:91], exec
	s_and_b64 s[10:11], s[56:57], exec
	s_or_b64 s[90:91], s[2:3], s[10:11]
	;; [unrolled: 3-line block ×3, first 2 shown]
	s_orn2_b64 s[6:7], s[20:21], exec
.LBB78_22:                              ;   in Loop: Header=BB78_23 Depth=1
	s_or_b64 exec, exec, s[18:19]
	s_and_b64 s[2:3], exec, s[6:7]
	s_or_b64 s[78:79], s[2:3], s[78:79]
	s_andn2_b64 s[2:3], s[82:83], exec
	s_and_b64 s[6:7], s[86:87], exec
	s_or_b64 s[82:83], s[2:3], s[6:7]
	s_andn2_b64 s[2:3], s[84:85], exec
	s_and_b64 s[6:7], s[90:91], exec
	;; [unrolled: 3-line block ×3, first 2 shown]
	v_mov_b32_e32 v20, v9
	s_or_b64 s[80:81], s[2:3], s[6:7]
	v_mov_b32_e32 v19, v8
	s_andn2_b64 exec, exec, s[78:79]
	s_cbranch_execz .LBB78_288
.LBB78_23:                              ; =>This Loop Header: Depth=1
                                        ;     Child Loop BB78_28 Depth 2
                                        ;     Child Loop BB78_42 Depth 2
                                        ;     Child Loop BB78_46 Depth 2
                                        ;     Child Loop BB78_81 Depth 2
                                        ;     Child Loop BB78_85 Depth 2
                                        ;     Child Loop BB78_70 Depth 2
                                        ;     Child Loop BB78_75 Depth 2
                                        ;     Child Loop BB78_63 Depth 2
                                        ;     Child Loop BB78_92 Depth 2
                                        ;     Child Loop BB78_105 Depth 2
                                        ;     Child Loop BB78_119 Depth 2
                                        ;     Child Loop BB78_148 Depth 2
                                        ;     Child Loop BB78_167 Depth 2
                                        ;     Child Loop BB78_197 Depth 2
                                        ;     Child Loop BB78_213 Depth 2
                                        ;     Child Loop BB78_242 Depth 2
                                        ;     Child Loop BB78_262 Depth 2
	ds_read_b128 v[4:7], v3 offset:5120
	s_waitcnt lgkmcnt(0)
	v_readfirstlane_b32 s93, v5
	v_readfirstlane_b32 s92, v4
	s_cmp_lg_u64 s[92:93], 0
	s_cbranch_scc1 .LBB78_55
; %bb.24:                               ;   in Loop: Header=BB78_23 Depth=1
	v_readlane_b32 s2, v46, 36
	v_readlane_b32 s3, v46, 37
	s_and_b64 vcc, exec, s[2:3]
	s_cbranch_vccz .LBB78_36
; %bb.25:                               ;   in Loop: Header=BB78_23 Depth=1
	s_mov_b64 s[2:3], 0xc01
	v_cmp_gt_u64_e32 vcc, s[2:3], v[6:7]
	s_mov_b64 s[10:11], 0
	s_mov_b64 s[2:3], 0
	s_cbranch_vccz .LBB78_37
; %bb.26:                               ;   in Loop: Header=BB78_23 Depth=1
	global_load_ubyte v6, v[12:13], off
	global_load_ushort v2, v3, s[72:73]
	v_mov_b32_e32 v5, v1
	s_mov_b64 s[12:13], 0
	v_mov_b32_e32 v4, v0
	s_branch .LBB78_28
.LBB78_27:                              ;   in Loop: Header=BB78_28 Depth=2
	s_or_b64 exec, exec, s[6:7]
	s_waitcnt vmcnt(0)
	v_mov_b32_e32 v6, v7
	s_andn2_b64 exec, exec, s[12:13]
	s_cbranch_execz .LBB78_153
.LBB78_28:                              ;   Parent Loop BB78_23 Depth=1
                                        ; =>  This Inner Loop Header: Depth=2
	s_waitcnt vmcnt(0)
	v_add_co_u32_sdwa v4, vcc, v4, v2 dst_sel:DWORD dst_unused:UNUSED_PAD src0_sel:DWORD src1_sel:WORD_0
	v_addc_co_u32_e32 v5, vcc, 0, v5, vcc
	v_cmp_gt_u64_e64 s[6:7], s[24:25], v[4:5]
	v_cmp_le_u64_e32 vcc, s[24:25], v[4:5]
	s_waitcnt lgkmcnt(0)
	v_mov_b32_e32 v8, 0
	v_mov_b32_e32 v7, 0
	s_and_saveexec_b64 s[2:3], s[6:7]
	s_cbranch_execz .LBB78_30
; %bb.29:                               ;   in Loop: Header=BB78_28 Depth=2
	v_mov_b32_e32 v9, s62
	v_mov_b32_e32 v10, s63
	v_mad_u64_u32 v[9:10], s[6:7], v4, s52, v[9:10]
	v_mul_lo_u32 v7, v4, s53
	v_mul_lo_u32 v11, v5, s52
	v_add3_u32 v10, v11, v10, v7
	global_load_ubyte v7, v[9:10], off
.LBB78_30:                              ;   in Loop: Header=BB78_28 Depth=2
	s_or_b64 exec, exec, s[2:3]
	v_and_b32_e32 v9, v6, v32
	v_cmp_eq_u32_sdwa s[2:3], v9, v28 src0_sel:BYTE_0 src1_sel:DWORD
	s_cmp_lg_u64 s[2:3], 0
	s_cselect_b64 s[6:7], -1, 0
	s_and_b64 s[6:7], s[4:5], s[6:7]
	s_and_saveexec_b64 s[16:17], s[6:7]
	s_cbranch_execz .LBB78_34
; %bb.31:                               ;   in Loop: Header=BB78_28 Depth=2
	s_mov_b64 s[20:21], exec
	v_mbcnt_lo_u32_b32 v8, s20, 0
	v_mbcnt_hi_u32_b32 v8, s21, v8
	s_bcnt1_i32_b64 s26, s[2:3]
	v_cmp_eq_u32_e64 s[6:7], 0, v8
                                        ; implicit-def: $vgpr9
	s_and_saveexec_b64 s[18:19], s[6:7]
; %bb.32:                               ;   in Loop: Header=BB78_28 Depth=2
	s_bcnt1_i32_b64 s6, s[20:21]
	s_mul_i32 s6, s26, s6
	v_mov_b32_e32 v9, s6
	ds_add_rtn_u32 v9, v3, v9 offset:5144
; %bb.33:                               ;   in Loop: Header=BB78_28 Depth=2
	s_or_b64 exec, exec, s[18:19]
	s_waitcnt lgkmcnt(0)
	v_readfirstlane_b32 s6, v9
	v_mov_b32_e32 v9, s6
	v_mad_u32_u24 v8, s26, v8, v9
.LBB78_34:                              ;   in Loop: Header=BB78_28 Depth=2
	s_or_b64 exec, exec, s[16:17]
	ds_bpermute_b32 v8, v24, v8
	s_and_b64 s[6:7], exec, vcc
	s_or_b64 s[12:13], s[6:7], s[12:13]
	s_and_saveexec_b64 s[6:7], s[2:3]
	s_cbranch_execz .LBB78_27
; %bb.35:                               ;   in Loop: Header=BB78_28 Depth=2
	v_and_b32_e32 v10, s2, v26
	v_and_b32_e32 v9, s3, v25
	v_bcnt_u32_b32 v10, v10, 0
	v_bcnt_u32_b32 v9, v9, v10
	s_waitcnt lgkmcnt(0)
	v_add_u32_e32 v8, v8, v9
	ds_write_b8 v8, v6
	s_branch .LBB78_27
.LBB78_36:                              ;   in Loop: Header=BB78_23 Depth=1
	s_mov_b64 s[10:11], -1
	s_mov_b64 s[2:3], 0
.LBB78_37:                              ;   in Loop: Header=BB78_23 Depth=1
	s_and_b64 vcc, exec, s[10:11]
	s_cbranch_vccz .LBB78_53
.LBB78_38:                              ;   in Loop: Header=BB78_23 Depth=1
	s_mov_b64 s[10:11], exec
	v_readlane_b32 s2, v46, 34
	v_readlane_b32 s3, v46, 35
	s_and_b64 s[2:3], s[10:11], s[2:3]
	s_mov_b64 exec, s[2:3]
	s_cbranch_execz .LBB78_50
; %bb.39:                               ;   in Loop: Header=BB78_23 Depth=1
	global_load_ushort v2, v3, s[72:73]
	global_load_ubyte v34, v[12:13], off
	v_mov_b32_e32 v4, v0
	s_waitcnt vmcnt(1)
	v_readfirstlane_b32 s2, v2
	v_add_u32_sdwa v2, v2, v0 dst_sel:DWORD dst_unused:UNUSED_PAD src0_sel:WORD_0 src1_sel:DWORD
	v_cmp_gt_u64_e32 vcc, s[24:25], v[2:3]
	s_and_saveexec_b64 s[12:13], vcc
	s_cbranch_execz .LBB78_49
; %bb.40:                               ;   in Loop: Header=BB78_23 Depth=1
	s_and_b32 s18, s2, 0xffff
	s_cmp_eq_u32 s18, 1
	v_readlane_b32 s6, v46, 38
                                        ; implicit-def: $vgpr4_vgpr5
	s_cselect_b64 s[2:3], -1, 0
	v_readlane_b32 s7, v46, 39
	v_mov_b32_e32 v8, v1
	v_mov_b32_e32 v6, v3
	s_and_b64 s[2:3], s[6:7], s[2:3]
	s_mov_b64 s[16:17], -1
	v_mov_b32_e32 v7, v0
	v_mov_b32_e32 v5, v2
	s_and_saveexec_b64 s[6:7], s[2:3]
	s_cbranch_execz .LBB78_44
; %bb.41:                               ;   in Loop: Header=BB78_23 Depth=1
	v_add_co_u32_e32 v8, vcc, 3, v2
	v_addc_co_u32_e64 v9, s[2:3], 0, 0, vcc
	v_add_co_u32_e32 v6, vcc, 2, v2
	v_addc_co_u32_e64 v7, s[2:3], 0, 0, vcc
	;; [unrolled: 2-line block ×3, first 2 shown]
	v_mov_b32_e32 v22, v17
	v_mov_b32_e32 v11, v9
	s_waitcnt vmcnt(0)
	v_lshlrev_b32_e32 v36, 24, v34
	s_mov_b64 s[16:17], 0
	v_mov_b32_e32 v21, v16
	v_mov_b32_e32 v35, v0
	;; [unrolled: 1-line block ×9, first 2 shown]
.LBB78_42:                              ;   Parent Loop BB78_23 Depth=1
                                        ; =>  This Inner Loop Header: Depth=2
	v_mul_lo_u32 v34, v9, s38
	v_mul_lo_u32 v39, v8, s39
	v_mad_u64_u32 v[37:38], s[2:3], v8, s38, 0
	v_mul_lo_u32 v40, v7, s36
	v_mul_lo_u32 v41, v6, s37
	v_add3_u32 v34, v38, v39, v34
	v_mad_u64_u32 v[38:39], s[2:3], v6, s36, 0
	v_mul_lo_u32 v43, v4, s53
	v_mul_lo_u32 v45, v11, s8
	v_add3_u32 v42, v39, v41, v40
	v_mul_lo_u32 v41, v5, s52
	v_mad_u64_u32 v[39:40], s[2:3], v4, s52, 0
	v_add3_u32 v40, v40, v43, v41
	v_add_co_u32_e32 v39, vcc, s62, v39
	v_mov_b32_e32 v41, s63
	v_addc_co_u32_e32 v40, vcc, v41, v40, vcc
	v_add_co_u32_e32 v41, vcc, s62, v38
	v_mov_b32_e32 v38, s63
	v_addc_co_u32_e32 v42, vcc, v38, v42, vcc
	v_mov_b32_e32 v43, s62
	v_add_co_u32_e32 v37, vcc, s62, v37
	v_mov_b32_e32 v44, s63
	v_addc_co_u32_e32 v38, vcc, v38, v34, vcc
	v_mad_u64_u32 v[43:44], s[2:3], v10, s8, v[43:44]
	v_mul_lo_u32 v34, v10, s9
	v_add_co_u32_e32 v10, vcc, 4, v10
	v_addc_co_u32_e32 v11, vcc, 0, v11, vcc
	v_add3_u32 v44, v45, v44, v34
	global_load_ubyte v34, v[43:44], off
	s_nop 0
	global_load_ubyte v41, v[41:42], off
	s_nop 0
	global_load_ubyte v39, v[39:40], off
	v_add_co_u32_e32 v8, vcc, 4, v8
	global_load_ubyte v37, v[37:38], off
	v_addc_co_u32_e32 v9, vcc, 0, v9, vcc
	v_add_co_u32_e32 v6, vcc, 4, v6
	v_addc_co_u32_e32 v7, vcc, 0, v7, vcc
	v_add_co_u32_e32 v4, vcc, 4, v4
	v_addc_co_u32_e32 v5, vcc, 0, v5, vcc
	v_add_co_u32_e32 v21, vcc, -4, v21
	s_mov_b32 s2, 0xc0c0007
	v_addc_co_u32_e32 v22, vcc, -1, v22, vcc
	v_cmp_eq_u64_e32 vcc, 0, v[21:22]
	s_or_b64 s[16:17], vcc, s[16:17]
	s_waitcnt vmcnt(1)
	v_perm_b32 v40, v39, v41, s22
	v_perm_b32 v36, v36, v39, s2
	s_waitcnt vmcnt(0)
	v_perm_b32 v38, v37, v34, s22
	v_perm_b32 v37, v41, v37, s22
	v_lshl_or_b32 v38, v38, 16, v40
	v_lshl_or_b32 v36, v37, 16, v36
	ds_write_b32 v35, v36
	v_add_u32_e32 v35, 4, v35
	v_mov_b32_e32 v36, v38
	s_andn2_b64 exec, exec, s[16:17]
	s_cbranch_execnz .LBB78_42
; %bb.43:                               ;   in Loop: Header=BB78_23 Depth=1
	s_or_b64 exec, exec, s[16:17]
	v_readlane_b32 s2, v46, 40
	v_add_co_u32_e32 v5, vcc, v2, v16
	v_readlane_b32 s3, v46, 41
	v_addc_co_u32_e32 v6, vcc, 0, v17, vcc
	v_add_co_u32_e32 v4, vcc, -1, v5
	s_orn2_b64 s[16:17], s[2:3], exec
	v_mov_b32_e32 v7, v18
	v_mov_b32_e32 v8, v19
.LBB78_44:                              ;   in Loop: Header=BB78_23 Depth=1
	s_or_b64 exec, exec, s[6:7]
	s_and_saveexec_b64 s[2:3], s[16:17]
	s_cbranch_execz .LBB78_48
; %bb.45:                               ;   in Loop: Header=BB78_23 Depth=1
	s_mov_b64 s[16:17], 0
	s_sub_u32 s19, 0, s18
.LBB78_46:                              ;   Parent Loop BB78_23 Depth=1
                                        ; =>  This Inner Loop Header: Depth=2
	v_mov_b32_e32 v9, v6
	v_mov_b32_e32 v8, v5
	;; [unrolled: 1-line block ×4, first 2 shown]
	v_mad_u64_u32 v[4:5], s[6:7], v8, s52, v[4:5]
	v_mul_lo_u32 v2, v8, s53
	v_mul_lo_u32 v6, v9, s52
	s_waitcnt vmcnt(0)
	ds_write_b8 v7, v34
	v_add3_u32 v5, v6, v5, v2
	global_load_ubyte v2, v[4:5], off
	v_add_co_u32_e32 v5, vcc, s18, v8
	v_addc_co_u32_e32 v6, vcc, 0, v9, vcc
	v_cmp_le_u64_e32 vcc, s[24:25], v[5:6]
	v_mov_b32_e32 v7, v8
	v_add_co_u32_e64 v4, s[6:7], s19, v5
	s_or_b64 s[16:17], vcc, s[16:17]
	v_mov_b32_e32 v8, v9
	s_waitcnt vmcnt(0)
	v_mov_b32_e32 v34, v2
	s_andn2_b64 exec, exec, s[16:17]
	s_cbranch_execnz .LBB78_46
; %bb.47:                               ;   in Loop: Header=BB78_23 Depth=1
	s_or_b64 exec, exec, s[16:17]
	v_mov_b32_e32 v34, v2
.LBB78_48:                              ;   in Loop: Header=BB78_23 Depth=1
	s_or_b64 exec, exec, s[2:3]
.LBB78_49:                              ;   in Loop: Header=BB78_23 Depth=1
	s_or_b64 exec, exec, s[12:13]
	s_waitcnt vmcnt(0)
	ds_write_b8 v4, v34
.LBB78_50:                              ;   in Loop: Header=BB78_23 Depth=1
	s_or_b64 exec, exec, s[10:11]
	s_waitcnt lgkmcnt(0)
	s_barrier
	s_mov_b64 s[2:3], exec
	v_readlane_b32 s6, v46, 16
	v_readlane_b32 s7, v46, 17
	s_and_b64 s[6:7], s[2:3], s[6:7]
	s_mov_b64 exec, s[6:7]
; %bb.51:                               ;   in Loop: Header=BB78_23 Depth=1
	v_mov_b32_e32 v4, s24
	v_mov_b32_e32 v5, s25
	ds_write_b64 v3, v[4:5] offset:5120
; %bb.52:                               ;   in Loop: Header=BB78_23 Depth=1
	s_or_b64 exec, exec, s[2:3]
	s_mov_b64 s[2:3], -1
	s_waitcnt lgkmcnt(0)
	s_barrier
.LBB78_53:                              ;   in Loop: Header=BB78_23 Depth=1
	s_mov_b64 s[92:93], 0
	s_and_b64 vcc, exec, s[2:3]
	s_cbranch_vccz .LBB78_55
; %bb.54:                               ;   in Loop: Header=BB78_23 Depth=1
	ds_read_b64 v[4:5], v3 offset:5120
	s_waitcnt lgkmcnt(0)
	v_readfirstlane_b32 s92, v4
.LBB78_55:                              ;   in Loop: Header=BB78_23 Depth=1
	s_cmp_lt_i32 s92, 1
	s_mov_b64 s[2:3], -1
                                        ; implicit-def: $vgpr10_vgpr11
                                        ; implicit-def: $vgpr6_vgpr7
	s_cbranch_scc1 .LBB78_65
; %bb.56:                               ;   in Loop: Header=BB78_23 Depth=1
	s_and_b64 vcc, exec, s[2:3]
	s_cbranch_vccnz .LBB78_79
.LBB78_57:                              ;   in Loop: Header=BB78_23 Depth=1
	s_lshl_b32 s10, s33, 6
	s_and_saveexec_b64 s[2:3], s[4:5]
	s_cbranch_execz .LBB78_59
.LBB78_58:                              ;   in Loop: Header=BB78_23 Depth=1
	v_lshl_add_u32 v2, s10, 3, v27
	ds_write_b128 v2, v[4:7]
	ds_write_b128 v2, v[8:11] offset:16
.LBB78_59:                              ;   in Loop: Header=BB78_23 Depth=1
	s_or_b64 exec, exec, s[2:3]
	s_waitcnt lgkmcnt(0)
	s_barrier
	s_and_saveexec_b64 s[6:7], s[66:67]
	s_cbranch_execz .LBB78_94
; %bb.60:                               ;   in Loop: Header=BB78_23 Depth=1
	v_mov_b32_e32 v4, 0
	v_mov_b32_e32 v5, 0
	s_andn2_b64 vcc, exec, s[68:69]
	s_cbranch_vccnz .LBB78_93
; %bb.61:                               ;   in Loop: Header=BB78_23 Depth=1
	v_readlane_b32 s2, v46, 42
	v_readlane_b32 s3, v46, 43
	s_andn2_b64 vcc, exec, s[2:3]
	s_cbranch_vccnz .LBB78_89
; %bb.62:                               ;   in Loop: Header=BB78_23 Depth=1
	v_mov_b32_e32 v4, 0
	v_lshl_add_u32 v2, s33, 9, v29
	v_mov_b32_e32 v5, 0
	s_mov_b32 s2, 0
.LBB78_63:                              ;   Parent Loop BB78_23 Depth=1
                                        ; =>  This Inner Loop Header: Depth=2
	ds_read2_b64 v[6:9], v2 offset1:4
	s_add_i32 s2, s2, 8
	s_cmp_eq_u32 s0, s2
	s_waitcnt lgkmcnt(0)
	v_add_co_u32_e32 v4, vcc, v6, v4
	v_addc_co_u32_e32 v5, vcc, v7, v5, vcc
	v_add_co_u32_e32 v8, vcc, v8, v4
	v_addc_co_u32_e32 v9, vcc, v9, v5, vcc
	ds_read2_b64 v[4:7], v2 offset0:8 offset1:12
	s_waitcnt lgkmcnt(0)
	v_add_co_u32_e32 v4, vcc, v4, v8
	v_addc_co_u32_e32 v5, vcc, v5, v9, vcc
	v_add_co_u32_e32 v8, vcc, v6, v4
	v_addc_co_u32_e32 v9, vcc, v7, v5, vcc
	ds_read2_b64 v[4:7], v2 offset0:16 offset1:20
	;; [unrolled: 6-line block ×3, first 2 shown]
	v_add_u32_e32 v2, 0x100, v2
	s_waitcnt lgkmcnt(0)
	v_add_co_u32_e32 v4, vcc, v4, v8
	v_addc_co_u32_e32 v5, vcc, v5, v9, vcc
	v_add_co_u32_e32 v4, vcc, v6, v4
	v_addc_co_u32_e32 v5, vcc, v7, v5, vcc
	s_cbranch_scc0 .LBB78_63
; %bb.64:                               ;   in Loop: Header=BB78_23 Depth=1
	s_mov_b32 s2, s0
	s_branch .LBB78_90
.LBB78_65:                              ;   in Loop: Header=BB78_23 Depth=1
	global_load_ushort v2, v3, s[72:73]
	s_mov_b32 s2, s65
	s_waitcnt vmcnt(0)
	v_readfirstlane_b32 s3, v2
	s_and_b32 s3, 0xffff, s3
	s_lshl_b32 s10, s3, 2
	s_mov_b32 s3, s25
	s_cmp_lg_u64 s[2:3], 0
	s_cbranch_scc0 .LBB78_88
; %bb.66:                               ;   in Loop: Header=BB78_23 Depth=1
	v_cvt_f32_u32_e32 v4, s10
	s_sub_u32 s6, 0, s10
	s_subb_u32 s7, 0, 0
	v_mac_f32_e32 v4, 0, v30
	v_rcp_f32_e32 v4, v4
	v_mul_f32_e32 v4, 0x5f7ffffc, v4
	v_mul_f32_e32 v5, 0x2f800000, v4
	v_trunc_f32_e32 v5, v5
	v_mac_f32_e32 v4, 0xcf800000, v5
	v_cvt_u32_f32_e32 v5, v5
	v_cvt_u32_f32_e32 v4, v4
	v_readfirstlane_b32 s11, v5
	v_readfirstlane_b32 s2, v4
	s_mul_i32 s3, s6, s11
	s_mul_hi_u32 s13, s6, s2
	s_mul_i32 s12, s7, s2
	s_add_i32 s3, s13, s3
	s_mul_i32 s16, s6, s2
	s_add_i32 s3, s3, s12
	s_mul_hi_u32 s13, s2, s16
	s_mul_i32 s17, s2, s3
	s_mul_hi_u32 s12, s2, s3
	s_add_u32 s13, s13, s17
	s_addc_u32 s12, 0, s12
	s_mul_hi_u32 s18, s11, s16
	s_mul_i32 s16, s11, s16
	s_add_u32 s13, s13, s16
	s_mul_hi_u32 s17, s11, s3
	s_addc_u32 s12, s12, s18
	s_addc_u32 s13, s17, 0
	s_mul_i32 s3, s11, s3
	s_add_u32 s3, s12, s3
	s_addc_u32 s12, 0, s13
	s_add_u32 s13, s2, s3
	s_cselect_b64 s[2:3], -1, 0
	s_cmp_lg_u64 s[2:3], 0
	s_addc_u32 s11, s11, s12
	s_mul_i32 s2, s6, s11
	s_mul_hi_u32 s3, s6, s13
	s_add_i32 s2, s3, s2
	s_mul_i32 s7, s7, s13
	s_add_i32 s2, s2, s7
	s_mul_i32 s6, s6, s13
	s_mul_hi_u32 s7, s11, s6
	s_mul_i32 s12, s11, s6
	s_mul_i32 s17, s13, s2
	s_mul_hi_u32 s6, s13, s6
	s_mul_hi_u32 s16, s13, s2
	s_add_u32 s6, s6, s17
	s_addc_u32 s16, 0, s16
	s_add_u32 s6, s6, s12
	s_mul_hi_u32 s3, s11, s2
	s_addc_u32 s6, s16, s7
	s_addc_u32 s3, s3, 0
	s_mul_i32 s2, s11, s2
	s_add_u32 s2, s6, s2
	s_addc_u32 s6, 0, s3
	s_add_u32 s7, s13, s2
	s_cselect_b64 s[2:3], -1, 0
	s_cmp_lg_u64 s[2:3], 0
	s_addc_u32 s2, s11, s6
	s_mul_i32 s6, s24, s2
	s_mul_hi_u32 s11, s24, s7
	s_mul_hi_u32 s3, s24, s2
	s_add_u32 s6, s11, s6
	s_addc_u32 s3, 0, s3
	s_mul_hi_u32 s12, s25, s7
	s_mul_i32 s7, s25, s7
	s_add_u32 s6, s6, s7
	s_mul_hi_u32 s11, s25, s2
	s_addc_u32 s3, s3, s12
	s_addc_u32 s6, s11, 0
	s_mul_i32 s2, s25, s2
	s_add_u32 s2, s3, s2
	s_addc_u32 s3, 0, s6
	s_mul_i32 s3, s10, s3
	s_mul_hi_u32 s6, s10, s2
	s_add_i32 s6, s6, s3
	s_mul_i32 s2, s10, s2
	s_sub_u32 s7, s24, s2
	s_cselect_b64 s[2:3], -1, 0
	s_cmp_lg_u64 s[2:3], 0
	s_subb_u32 s6, s25, s6
	s_sub_u32 s11, s7, s10
	s_cselect_b64 s[2:3], -1, 0
	s_cmp_lg_u64 s[2:3], 0
	s_subb_u32 s12, s6, 0
	;; [unrolled: 4-line block ×3, first 2 shown]
	s_cmp_ge_u32 s11, s10
	s_cselect_b32 s3, -1, 0
	s_cmp_eq_u32 s12, 0
	s_cselect_b32 s3, s3, -1
	s_cmp_lg_u32 s3, 0
	s_cselect_b32 s2, s2, s12
	s_cselect_b32 s11, s13, s11
	s_cmp_ge_u32 s7, s10
	s_cselect_b32 s3, -1, 0
	s_cmp_eq_u32 s6, 0
	s_cselect_b32 s3, s3, -1
	s_cmp_lg_u32 s3, 0
	s_cselect_b32 s3, s2, s6
	s_cselect_b32 s2, s11, s7
	s_cbranch_execnz .LBB78_68
.LBB78_67:                              ;   in Loop: Header=BB78_23 Depth=1
	v_cvt_f32_u32_e32 v4, s10
	s_sub_i32 s2, 0, s10
	v_rcp_iflag_f32_e32 v4, v4
	v_mul_f32_e32 v4, 0x4f7ffffe, v4
	v_cvt_u32_f32_e32 v4, v4
	v_readfirstlane_b32 s3, v4
	s_mul_i32 s2, s2, s3
	s_mul_hi_u32 s2, s3, s2
	s_add_i32 s3, s3, s2
	s_mul_hi_u32 s2, s24, s3
	s_mul_i32 s2, s2, s10
	s_sub_i32 s2, s24, s2
	s_sub_i32 s3, s2, s10
	s_cmp_ge_u32 s2, s10
	s_cselect_b32 s2, s3, s2
	s_sub_i32 s3, s2, s10
	s_cmp_ge_u32 s2, s10
	s_cselect_b32 s64, s3, s2
	s_mov_b64 s[2:3], s[64:65]
.LBB78_68:                              ;   in Loop: Header=BB78_23 Depth=1
	s_sub_u32 s40, s24, s2
	s_subb_u32 s41, s25, s3
	v_cmp_gt_u64_e32 vcc, s[40:41], v[14:15]
	v_mov_b32_e32 v4, 0
	v_mov_b32_e32 v6, 0
	;; [unrolled: 1-line block ×8, first 2 shown]
	s_and_saveexec_b64 s[42:43], vcc
	s_cbranch_execz .LBB78_72
; %bb.69:                               ;   in Loop: Header=BB78_23 Depth=1
	v_mov_b32_e32 v22, v15
	s_mov_b64 s[54:55], 0
	s_mov_b64 s[56:57], 0
	;; [unrolled: 1-line block ×5, first 2 shown]
	v_mov_b32_e32 v21, v14
.LBB78_70:                              ;   Parent Loop BB78_23 Depth=1
                                        ; =>  This Inner Loop Header: Depth=2
	v_mov_b32_e32 v4, s62
	v_mov_b32_e32 v5, s63
	v_mad_u64_u32 v[4:5], s[2:3], v21, s52, v[4:5]
	v_mul_lo_u32 v6, v21, s53
	v_mul_lo_u32 v7, v22, s52
	v_mov_b32_e32 v8, s53
	v_mov_b32_e32 v9, s53
	v_add3_u32 v5, v7, v5, v6
	global_load_ubyte v6, v[4:5], off
	v_add_co_u32_e32 v4, vcc, s52, v4
	v_mov_b32_e32 v7, s53
	v_addc_co_u32_e32 v5, vcc, v5, v7, vcc
	global_load_ubyte v7, v[4:5], off
	v_add_co_u32_e32 v4, vcc, s52, v4
	v_addc_co_u32_e32 v5, vcc, v5, v8, vcc
	global_load_ubyte v8, v[4:5], off
	v_add_co_u32_e32 v4, vcc, s52, v4
	v_addc_co_u32_e32 v5, vcc, v5, v9, vcc
	global_load_ubyte v4, v[4:5], off
	s_waitcnt vmcnt(3)
	v_and_b32_e32 v5, v32, v6
	v_cmp_eq_u32_e32 vcc, v5, v28
	s_waitcnt vmcnt(2)
	v_and_b32_e32 v5, v32, v7
	v_cmp_eq_u32_e64 s[6:7], v5, v28
	s_waitcnt vmcnt(1)
	v_and_b32_e32 v5, v32, v8
	v_cmp_eq_u32_e64 s[16:17], v5, v28
	;; [unrolled: 3-line block ×3, first 2 shown]
	v_bfe_u32 v5, v6, s1, 2
	v_bfe_u32 v6, v7, s1, 2
	v_cmp_eq_u32_e64 s[20:21], 0, v5
	v_bfe_u32 v7, v8, s1, 2
	s_and_b64 s[2:3], vcc, s[20:21]
	v_cmp_eq_u32_e64 s[20:21], 0, v6
	v_bfe_u32 v4, v4, s1, 2
	s_and_b64 s[26:27], s[6:7], s[20:21]
	v_cmp_eq_u32_e64 s[20:21], 0, v7
	s_and_b64 s[28:29], s[16:17], s[20:21]
	v_cmp_eq_u32_e64 s[20:21], 0, v4
	v_cndmask_b32_e64 v8, 0, 1, s[2:3]
	s_and_b64 s[30:31], s[18:19], s[20:21]
	v_cmp_ne_u32_e64 s[20:21], 0, v8
	v_cndmask_b32_e64 v8, 0, 1, s[26:27]
	s_bcnt1_i32_b64 s2, s[20:21]
	v_cmp_ne_u32_e64 s[20:21], 0, v8
	v_cndmask_b32_e64 v8, 0, 1, s[28:29]
	s_bcnt1_i32_b64 s3, s[20:21]
	;; [unrolled: 3-line block ×3, first 2 shown]
	v_cmp_ne_u32_e64 s[20:21], 0, v8
	s_bcnt1_i32_b64 s20, s[20:21]
	s_add_u32 s2, s2, s12
	s_addc_u32 s12, 0, s13
	s_add_u32 s2, s2, s3
	s_addc_u32 s3, s12, 0
	;; [unrolled: 2-line block ×3, first 2 shown]
	s_add_u32 s12, s2, s20
	v_cmp_eq_u32_e64 s[20:21], 1, v5
	s_addc_u32 s13, s3, 0
	s_and_b64 s[2:3], vcc, s[20:21]
	v_cmp_eq_u32_e64 s[20:21], 1, v6
	s_and_b64 s[26:27], s[6:7], s[20:21]
	v_cmp_eq_u32_e64 s[20:21], 1, v7
	s_and_b64 s[28:29], s[16:17], s[20:21]
	v_cmp_eq_u32_e64 s[20:21], 1, v4
	v_cndmask_b32_e64 v8, 0, 1, s[2:3]
	s_and_b64 s[30:31], s[18:19], s[20:21]
	v_cmp_ne_u32_e64 s[20:21], 0, v8
	v_cndmask_b32_e64 v8, 0, 1, s[26:27]
	s_bcnt1_i32_b64 s2, s[20:21]
	v_cmp_ne_u32_e64 s[20:21], 0, v8
	v_cndmask_b32_e64 v8, 0, 1, s[28:29]
	s_bcnt1_i32_b64 s3, s[20:21]
	;; [unrolled: 3-line block ×3, first 2 shown]
	v_cmp_ne_u32_e64 s[20:21], 0, v8
	s_bcnt1_i32_b64 s20, s[20:21]
	s_add_u32 s2, s2, s94
	s_addc_u32 s21, 0, s95
	s_add_u32 s2, s2, s3
	s_addc_u32 s3, s21, 0
	s_add_u32 s2, s2, s11
	s_addc_u32 s3, s3, 0
	s_add_u32 s94, s2, s20
	v_cmp_eq_u32_e64 s[20:21], 2, v5
	s_addc_u32 s95, s3, 0
	s_and_b64 s[2:3], vcc, s[20:21]
	v_cmp_eq_u32_e64 s[20:21], 2, v6
	s_and_b64 s[26:27], s[6:7], s[20:21]
	v_cmp_eq_u32_e64 s[20:21], 2, v7
	s_and_b64 s[28:29], s[16:17], s[20:21]
	v_cmp_eq_u32_e64 s[20:21], 2, v4
	v_cndmask_b32_e64 v8, 0, 1, s[2:3]
	s_and_b64 s[30:31], s[18:19], s[20:21]
	v_cmp_ne_u32_e64 s[20:21], 0, v8
	v_cndmask_b32_e64 v8, 0, 1, s[26:27]
	s_bcnt1_i32_b64 s2, s[20:21]
	v_cmp_ne_u32_e64 s[20:21], 0, v8
	v_cndmask_b32_e64 v8, 0, 1, s[28:29]
	s_bcnt1_i32_b64 s3, s[20:21]
	;; [unrolled: 3-line block ×3, first 2 shown]
	v_cmp_ne_u32_e64 s[20:21], 0, v8
	s_bcnt1_i32_b64 s20, s[20:21]
	s_add_u32 s2, s2, s60
	s_addc_u32 s21, 0, s61
	s_add_u32 s2, s2, s3
	s_addc_u32 s3, s21, 0
	;; [unrolled: 2-line block ×3, first 2 shown]
	s_add_u32 s60, s2, s20
	v_cmp_eq_u32_e64 s[20:21], 3, v5
	s_addc_u32 s61, s3, 0
	s_and_b64 s[2:3], vcc, s[20:21]
	v_cmp_eq_u32_e32 vcc, 3, v6
	s_and_b64 s[6:7], s[6:7], vcc
	v_cmp_eq_u32_e32 vcc, 3, v7
	s_and_b64 s[16:17], s[16:17], vcc
	v_cmp_eq_u32_e32 vcc, 3, v4
	v_cndmask_b32_e64 v4, 0, 1, s[2:3]
	s_and_b64 s[18:19], s[18:19], vcc
	v_cmp_ne_u32_e32 vcc, 0, v4
	v_cndmask_b32_e64 v4, 0, 1, s[6:7]
	s_bcnt1_i32_b64 s2, vcc
	v_cmp_ne_u32_e32 vcc, 0, v4
	v_cndmask_b32_e64 v4, 0, 1, s[16:17]
	s_bcnt1_i32_b64 s3, vcc
	;; [unrolled: 3-line block ×3, first 2 shown]
	v_cmp_ne_u32_e32 vcc, 0, v4
	s_bcnt1_i32_b64 s7, vcc
	s_add_u32 s2, s2, s56
	s_addc_u32 s11, 0, s57
	s_add_u32 s2, s2, s3
	s_addc_u32 s3, s11, 0
	s_add_u32 s2, s2, s6
	v_add_co_u32_e32 v21, vcc, s10, v21
	s_addc_u32 s3, s3, 0
	v_addc_co_u32_e32 v22, vcc, 0, v22, vcc
	s_add_u32 s56, s2, s7
	v_cmp_le_u64_e32 vcc, s[40:41], v[21:22]
	s_addc_u32 s57, s3, 0
	v_mov_b32_e32 v4, s12
	v_mov_b32_e32 v6, s94
	;; [unrolled: 1-line block ×4, first 2 shown]
	s_or_b64 s[54:55], vcc, s[54:55]
	v_mov_b32_e32 v5, s13
	v_mov_b32_e32 v7, s95
	;; [unrolled: 1-line block ×4, first 2 shown]
	s_andn2_b64 exec, exec, s[54:55]
	s_cbranch_execnz .LBB78_70
; %bb.71:                               ;   in Loop: Header=BB78_23 Depth=1
	s_or_b64 exec, exec, s[54:55]
.LBB78_72:                              ;   in Loop: Header=BB78_23 Depth=1
	s_or_b64 exec, exec, s[42:43]
	v_mov_b32_e32 v22, s41
	v_add_co_u32_e32 v21, vcc, s40, v0
	v_addc_co_u32_e32 v22, vcc, 0, v22, vcc
	v_cmp_gt_u64_e32 vcc, s[24:25], v[21:22]
	s_and_saveexec_b64 s[10:11], vcc
	s_cbranch_execz .LBB78_78
; %bb.73:                               ;   in Loop: Header=BB78_23 Depth=1
	v_mov_b32_e32 v34, s62
	v_mov_b32_e32 v35, s63
	v_mad_u64_u32 v[34:35], s[2:3], v21, s52, v[34:35]
	v_mul_lo_u32 v36, v21, s53
	v_mul_lo_u32 v37, v22, s52
	s_mov_b64 s[12:13], 0
	v_add3_u32 v35, v37, v35, v36
	global_load_ubyte v35, v[34:35], off
	s_branch .LBB78_75
.LBB78_74:                              ;   in Loop: Header=BB78_75 Depth=2
	s_or_b64 exec, exec, s[2:3]
	s_waitcnt vmcnt(0)
	v_and_b32_e32 v35, 0xff, v35
	s_and_b64 s[2:3], exec, vcc
	v_and_b32_e32 v36, v32, v35
	v_bfe_u32 v35, v35, s1, 2
	s_or_b64 s[12:13], s[2:3], s[12:13]
	v_cmp_eq_u32_e32 vcc, v36, v28
	v_cmp_eq_u32_e64 s[6:7], 0, v35
	s_and_b64 s[2:3], vcc, s[6:7]
	v_cndmask_b32_e64 v36, 0, 1, s[2:3]
	v_cmp_ne_u32_e64 s[6:7], 0, v36
	s_bcnt1_i32_b64 s2, s[6:7]
	v_add_co_u32_e64 v4, s[6:7], s2, v4
	v_addc_co_u32_e64 v5, s[6:7], 0, v5, s[6:7]
	v_cmp_eq_u32_e64 s[6:7], 1, v35
	s_and_b64 s[2:3], vcc, s[6:7]
	v_cndmask_b32_e64 v36, 0, 1, s[2:3]
	v_cmp_ne_u32_e64 s[6:7], 0, v36
	s_bcnt1_i32_b64 s2, s[6:7]
	v_add_co_u32_e64 v6, s[6:7], s2, v6
	v_addc_co_u32_e64 v7, s[6:7], 0, v7, s[6:7]
	;; [unrolled: 7-line block ×3, first 2 shown]
	v_cmp_eq_u32_e64 s[6:7], 3, v35
	s_and_b64 s[2:3], vcc, s[6:7]
	v_cndmask_b32_e64 v35, 0, 1, s[2:3]
	v_cmp_ne_u32_e32 vcc, 0, v35
	s_bcnt1_i32_b64 s2, vcc
	v_add_co_u32_e32 v10, vcc, s2, v10
	v_addc_co_u32_e32 v11, vcc, 0, v11, vcc
	v_mov_b32_e32 v35, v34
	s_andn2_b64 exec, exec, s[12:13]
	s_cbranch_execz .LBB78_77
.LBB78_75:                              ;   Parent Loop BB78_23 Depth=1
                                        ; =>  This Inner Loop Header: Depth=2
	v_add_co_u32_sdwa v21, vcc, v21, v2 dst_sel:DWORD dst_unused:UNUSED_PAD src0_sel:DWORD src1_sel:WORD_0
	v_addc_co_u32_e32 v22, vcc, 0, v22, vcc
	v_cmp_gt_u64_e64 s[6:7], s[24:25], v[21:22]
	v_cmp_le_u64_e32 vcc, s[24:25], v[21:22]
	v_mov_b32_e32 v34, 0
	s_and_saveexec_b64 s[2:3], s[6:7]
	s_cbranch_execz .LBB78_74
; %bb.76:                               ;   in Loop: Header=BB78_75 Depth=2
	v_mov_b32_e32 v36, s62
	v_mov_b32_e32 v37, s63
	v_mad_u64_u32 v[36:37], s[6:7], v21, s52, v[36:37]
	v_mul_lo_u32 v34, v21, s53
	v_mul_lo_u32 v38, v22, s52
	v_add3_u32 v37, v38, v37, v34
	global_load_ubyte v34, v[36:37], off
	s_branch .LBB78_74
.LBB78_77:                              ;   in Loop: Header=BB78_23 Depth=1
	s_or_b64 exec, exec, s[12:13]
.LBB78_78:                              ;   in Loop: Header=BB78_23 Depth=1
	s_or_b64 exec, exec, s[10:11]
	s_branch .LBB78_57
.LBB78_79:                              ;   in Loop: Header=BB78_23 Depth=1
	global_load_ushort v2, v3, s[72:73]
	v_mov_b32_e32 v8, 0
	v_mov_b32_e32 v9, 0
	s_waitcnt vmcnt(0)
	v_readfirstlane_b32 s2, v2
	s_and_b32 s2, 0xffff, s2
	s_lshl_b32 s3, s2, 2
	v_cvt_f32_u32_e32 v4, s3
	s_sub_i32 s6, 0, s3
	v_rcp_iflag_f32_e32 v6, v4
	v_mov_b32_e32 v4, 0
	v_mov_b32_e32 v5, 0
	v_mul_f32_e32 v6, 0x4f7ffffe, v6
	v_cvt_u32_f32_e32 v10, v6
	v_mov_b32_e32 v6, 0
	v_mov_b32_e32 v7, 0
	v_readfirstlane_b32 s7, v10
	s_mul_i32 s6, s6, s7
	s_mul_hi_u32 s6, s7, s6
	s_add_i32 s7, s7, s6
	s_mul_hi_u32 s6, s92, s7
	s_mul_i32 s7, s6, s3
	s_sub_i32 s7, s92, s7
	s_add_i32 s10, s6, 1
	s_sub_i32 s11, s7, s3
	s_cmp_ge_u32 s7, s3
	s_cselect_b32 s6, s10, s6
	s_cselect_b32 s7, s11, s7
	s_add_i32 s10, s6, 1
	s_cmp_ge_u32 s7, s3
	s_cselect_b32 s6, s10, s6
	s_mul_hi_u32 s13, s2, s6
	s_mul_i32 s12, s2, s6
	s_lshl_b64 s[40:41], s[12:13], 2
	v_cmp_gt_u64_e32 vcc, s[40:41], v[14:15]
	v_mov_b32_e32 v10, 0
	v_mov_b32_e32 v11, 0
	s_and_saveexec_b64 s[42:43], vcc
	s_cbranch_execz .LBB78_83
; %bb.80:                               ;   in Loop: Header=BB78_23 Depth=1
	v_mov_b32_e32 v22, v15
	s_mov_b64 s[54:55], 0
	v_mov_b32_e32 v34, v14
	s_mov_b64 s[56:57], 0
	s_mov_b64 s[60:61], 0
	;; [unrolled: 1-line block ×4, first 2 shown]
	v_mov_b32_e32 v21, v14
.LBB78_81:                              ;   Parent Loop BB78_23 Depth=1
                                        ; =>  This Inner Loop Header: Depth=2
	ds_read_b32 v4, v34
	v_add_u32_e32 v34, s3, v34
	s_waitcnt lgkmcnt(0)
	v_and_b32_e32 v6, 0xff, v4
	v_bfe_u32 v7, v4, 8, 8
	v_and_b32_e32 v8, v32, v6
	v_bfe_u32 v6, v6, s1, 2
	v_lshrrev_b32_e32 v5, 24, v4
	v_bfe_u32 v4, v4, 16, 8
	v_cmp_eq_u32_e32 vcc, v8, v28
	v_and_b32_e32 v8, v32, v7
	v_bfe_u32 v7, v7, s1, 2
	v_cmp_eq_u32_e64 s[20:21], 0, v6
	v_cmp_eq_u32_e64 s[6:7], v8, v28
	v_and_b32_e32 v8, v32, v4
	v_bfe_u32 v4, v4, s1, 2
	s_and_b64 s[10:11], vcc, s[20:21]
	v_cmp_eq_u32_e64 s[20:21], 0, v7
	v_cmp_eq_u32_e64 s[16:17], v8, v28
	v_and_b32_e32 v8, v32, v5
	v_bfe_u32 v5, v5, s1, 2
	s_and_b64 s[26:27], s[6:7], s[20:21]
	v_cmp_eq_u32_e64 s[20:21], 0, v4
	v_cmp_eq_u32_e64 s[18:19], v8, v28
	s_and_b64 s[28:29], s[16:17], s[20:21]
	v_cmp_eq_u32_e64 s[20:21], 0, v5
	v_cndmask_b32_e64 v8, 0, 1, s[10:11]
	s_and_b64 s[30:31], s[18:19], s[20:21]
	v_cmp_ne_u32_e64 s[20:21], 0, v8
	v_cndmask_b32_e64 v8, 0, 1, s[26:27]
	s_bcnt1_i32_b64 s10, s[20:21]
	v_cmp_ne_u32_e64 s[20:21], 0, v8
	v_cndmask_b32_e64 v8, 0, 1, s[28:29]
	s_bcnt1_i32_b64 s11, s[20:21]
	;; [unrolled: 3-line block ×3, first 2 shown]
	v_cmp_ne_u32_e64 s[20:21], 0, v8
	s_bcnt1_i32_b64 s20, s[20:21]
	s_add_u32 s10, s10, s34
	s_addc_u32 s21, 0, s35
	s_add_u32 s10, s10, s11
	s_addc_u32 s11, s21, 0
	;; [unrolled: 2-line block ×3, first 2 shown]
	s_add_u32 s34, s10, s20
	v_cmp_eq_u32_e64 s[20:21], 1, v6
	s_addc_u32 s35, s11, 0
	s_and_b64 s[10:11], vcc, s[20:21]
	v_cmp_eq_u32_e64 s[20:21], 1, v7
	s_and_b64 s[26:27], s[6:7], s[20:21]
	v_cmp_eq_u32_e64 s[20:21], 1, v4
	s_and_b64 s[28:29], s[16:17], s[20:21]
	v_cmp_eq_u32_e64 s[20:21], 1, v5
	v_cndmask_b32_e64 v8, 0, 1, s[10:11]
	s_and_b64 s[30:31], s[18:19], s[20:21]
	v_cmp_ne_u32_e64 s[20:21], 0, v8
	v_cndmask_b32_e64 v8, 0, 1, s[26:27]
	s_bcnt1_i32_b64 s10, s[20:21]
	v_cmp_ne_u32_e64 s[20:21], 0, v8
	v_cndmask_b32_e64 v8, 0, 1, s[28:29]
	s_bcnt1_i32_b64 s11, s[20:21]
	;; [unrolled: 3-line block ×3, first 2 shown]
	v_cmp_ne_u32_e64 s[20:21], 0, v8
	s_bcnt1_i32_b64 s20, s[20:21]
	s_add_u32 s10, s10, s94
	s_addc_u32 s21, 0, s95
	s_add_u32 s10, s10, s11
	s_addc_u32 s11, s21, 0
	;; [unrolled: 2-line block ×3, first 2 shown]
	s_add_u32 s94, s10, s20
	v_cmp_eq_u32_e64 s[20:21], 2, v6
	s_addc_u32 s95, s11, 0
	s_and_b64 s[10:11], vcc, s[20:21]
	v_cmp_eq_u32_e64 s[20:21], 2, v7
	s_and_b64 s[26:27], s[6:7], s[20:21]
	v_cmp_eq_u32_e64 s[20:21], 2, v4
	s_and_b64 s[28:29], s[16:17], s[20:21]
	v_cmp_eq_u32_e64 s[20:21], 2, v5
	v_cndmask_b32_e64 v8, 0, 1, s[10:11]
	s_and_b64 s[30:31], s[18:19], s[20:21]
	v_cmp_ne_u32_e64 s[20:21], 0, v8
	v_cndmask_b32_e64 v8, 0, 1, s[26:27]
	s_bcnt1_i32_b64 s10, s[20:21]
	v_cmp_ne_u32_e64 s[20:21], 0, v8
	v_cndmask_b32_e64 v8, 0, 1, s[28:29]
	s_bcnt1_i32_b64 s11, s[20:21]
	;; [unrolled: 3-line block ×3, first 2 shown]
	v_cmp_ne_u32_e64 s[20:21], 0, v8
	s_bcnt1_i32_b64 s20, s[20:21]
	s_add_u32 s10, s10, s60
	s_addc_u32 s21, 0, s61
	s_add_u32 s10, s10, s11
	s_addc_u32 s11, s21, 0
	;; [unrolled: 2-line block ×3, first 2 shown]
	s_add_u32 s60, s10, s20
	v_cmp_eq_u32_e64 s[20:21], 3, v6
	s_addc_u32 s61, s11, 0
	s_and_b64 s[10:11], vcc, s[20:21]
	v_cmp_eq_u32_e32 vcc, 3, v7
	s_and_b64 s[6:7], s[6:7], vcc
	v_cmp_eq_u32_e32 vcc, 3, v4
	s_and_b64 s[16:17], s[16:17], vcc
	v_cmp_eq_u32_e32 vcc, 3, v5
	v_cndmask_b32_e64 v4, 0, 1, s[10:11]
	s_and_b64 s[18:19], s[18:19], vcc
	v_cmp_ne_u32_e32 vcc, 0, v4
	v_cndmask_b32_e64 v4, 0, 1, s[6:7]
	s_bcnt1_i32_b64 s10, vcc
	v_cmp_ne_u32_e32 vcc, 0, v4
	v_cndmask_b32_e64 v4, 0, 1, s[16:17]
	s_bcnt1_i32_b64 s6, vcc
	v_cmp_ne_u32_e32 vcc, 0, v4
	v_cndmask_b32_e64 v4, 0, 1, s[18:19]
	s_bcnt1_i32_b64 s7, vcc
	v_cmp_ne_u32_e32 vcc, 0, v4
	s_bcnt1_i32_b64 s11, vcc
	s_add_u32 s10, s10, s56
	s_addc_u32 s13, 0, s57
	s_add_u32 s6, s10, s6
	s_addc_u32 s10, s13, 0
	s_add_u32 s6, s6, s7
	v_add_co_u32_e32 v21, vcc, s3, v21
	s_addc_u32 s7, s10, 0
	v_addc_co_u32_e32 v22, vcc, 0, v22, vcc
	s_add_u32 s56, s6, s11
	v_cmp_le_u64_e32 vcc, s[40:41], v[21:22]
	s_addc_u32 s57, s7, 0
	v_mov_b32_e32 v4, s34
	v_mov_b32_e32 v6, s94
	;; [unrolled: 1-line block ×4, first 2 shown]
	s_or_b64 s[54:55], vcc, s[54:55]
	v_mov_b32_e32 v5, s35
	v_mov_b32_e32 v7, s95
	;; [unrolled: 1-line block ×4, first 2 shown]
	s_andn2_b64 exec, exec, s[54:55]
	s_cbranch_execnz .LBB78_81
; %bb.82:                               ;   in Loop: Header=BB78_23 Depth=1
	s_or_b64 exec, exec, s[54:55]
.LBB78_83:                              ;   in Loop: Header=BB78_23 Depth=1
	s_or_b64 exec, exec, s[42:43]
	v_mov_b32_e32 v22, s41
	v_add_co_u32_e32 v21, vcc, s40, v0
	s_and_b32 s64, s92, 0x7fffffff
	v_addc_co_u32_e32 v22, vcc, 0, v22, vcc
	v_cmp_gt_u64_e32 vcc, s[64:65], v[21:22]
	s_and_saveexec_b64 s[10:11], vcc
	s_cbranch_execz .LBB78_87
; %bb.84:                               ;   in Loop: Header=BB78_23 Depth=1
	v_lshl_add_u32 v34, s12, 2, v0
	s_mov_b64 s[12:13], 0
.LBB78_85:                              ;   Parent Loop BB78_23 Depth=1
                                        ; =>  This Inner Loop Header: Depth=2
	ds_read_u8 v35, v34
	v_add_u32_e32 v34, s2, v34
	s_waitcnt lgkmcnt(0)
	v_and_b32_e32 v36, v32, v35
	v_bfe_u32 v35, v35, s1, 2
	v_cmp_eq_u32_e32 vcc, v36, v28
	v_cmp_eq_u32_e64 s[6:7], 0, v35
	s_and_b64 s[6:7], vcc, s[6:7]
	v_cndmask_b32_e64 v36, 0, 1, s[6:7]
	v_cmp_ne_u32_e64 s[6:7], 0, v36
	s_bcnt1_i32_b64 s3, s[6:7]
	v_add_co_u32_e64 v4, s[6:7], s3, v4
	v_addc_co_u32_e64 v5, s[6:7], 0, v5, s[6:7]
	v_cmp_eq_u32_e64 s[6:7], 1, v35
	s_and_b64 s[6:7], vcc, s[6:7]
	v_cndmask_b32_e64 v36, 0, 1, s[6:7]
	v_cmp_ne_u32_e64 s[6:7], 0, v36
	s_bcnt1_i32_b64 s3, s[6:7]
	v_add_co_u32_e64 v6, s[6:7], s3, v6
	v_addc_co_u32_e64 v7, s[6:7], 0, v7, s[6:7]
	;; [unrolled: 7-line block ×3, first 2 shown]
	v_cmp_eq_u32_e64 s[6:7], 3, v35
	s_and_b64 s[6:7], vcc, s[6:7]
	v_cndmask_b32_e64 v35, 0, 1, s[6:7]
	v_cmp_ne_u32_e32 vcc, 0, v35
	s_bcnt1_i32_b64 s3, vcc
	v_add_co_u32_e32 v10, vcc, s3, v10
	v_addc_co_u32_e32 v11, vcc, 0, v11, vcc
	v_add_co_u32_sdwa v21, vcc, v21, v2 dst_sel:DWORD dst_unused:UNUSED_PAD src0_sel:DWORD src1_sel:WORD_0
	v_addc_co_u32_e32 v22, vcc, 0, v22, vcc
	v_cmp_le_u64_e32 vcc, s[64:65], v[21:22]
	s_or_b64 s[12:13], vcc, s[12:13]
	s_andn2_b64 exec, exec, s[12:13]
	s_cbranch_execnz .LBB78_85
; %bb.86:                               ;   in Loop: Header=BB78_23 Depth=1
	s_or_b64 exec, exec, s[12:13]
.LBB78_87:                              ;   in Loop: Header=BB78_23 Depth=1
	s_or_b64 exec, exec, s[10:11]
	s_lshl_b32 s10, s33, 6
	s_and_saveexec_b64 s[2:3], s[4:5]
	s_cbranch_execnz .LBB78_58
	s_branch .LBB78_59
.LBB78_88:                              ;   in Loop: Header=BB78_23 Depth=1
                                        ; implicit-def: $sgpr2_sgpr3
	s_branch .LBB78_67
.LBB78_89:                              ;   in Loop: Header=BB78_23 Depth=1
	v_mov_b32_e32 v4, 0
	v_mov_b32_e32 v5, 0
	s_mov_b32 s2, 0
.LBB78_90:                              ;   in Loop: Header=BB78_23 Depth=1
	v_readlane_b32 s12, v46, 45
	v_readlane_b32 s13, v46, 46
	s_andn2_b64 vcc, exec, s[12:13]
	s_cbranch_vccnz .LBB78_93
; %bb.91:                               ;   in Loop: Header=BB78_23 Depth=1
	s_lshl_b32 s3, s33, 9
	s_lshl_b32 s2, s2, 5
	s_add_i32 s3, s3, s2
	v_add_u32_e32 v2, s3, v29
	v_readlane_b32 s2, v46, 44
.LBB78_92:                              ;   Parent Loop BB78_23 Depth=1
                                        ; =>  This Inner Loop Header: Depth=2
	ds_read_b64 v[6:7], v2
	s_add_i32 s2, s2, -1
	v_add_u32_e32 v2, 32, v2
	s_cmp_lg_u32 s2, 0
	s_waitcnt lgkmcnt(0)
	v_add_co_u32_e32 v4, vcc, v6, v4
	v_addc_co_u32_e32 v5, vcc, v7, v5, vcc
	s_cbranch_scc1 .LBB78_92
.LBB78_93:                              ;   in Loop: Header=BB78_23 Depth=1
	v_add_lshl_u32 v2, s10, v23, 3
	ds_write_b64 v2, v[4:5] offset:3072
.LBB78_94:                              ;   in Loop: Header=BB78_23 Depth=1
	s_or_b64 exec, exec, s[6:7]
	s_lshl_b32 s2, s10, 3
	v_mov_b32_e32 v2, s2
	s_waitcnt lgkmcnt(0)
	s_barrier
	ds_read_b128 v[8:11], v2 offset:3088
	ds_read_b128 v[4:7], v2 offset:3072
	v_cmp_eq_u64_e64 s[6:7], 1, v[19:20]
	s_lshl_b32 s76, 3, s1
	s_not_b32 s50, s76
	s_waitcnt lgkmcnt(1)
	v_readfirstlane_b32 s94, v8
	s_waitcnt lgkmcnt(0)
	v_cmp_eq_u64_e32 vcc, 1, v[4:5]
	v_readfirstlane_b32 s95, v9
	v_readfirstlane_b32 s16, v10
	;; [unrolled: 1-line block ×3, first 2 shown]
	s_and_b64 s[12:13], vcc, s[6:7]
	s_mov_b64 s[6:7], -1
	s_mov_b64 s[2:3], -1
                                        ; implicit-def: $sgpr20_sgpr21
                                        ; implicit-def: $sgpr10_sgpr11
	s_and_saveexec_b64 s[18:19], s[12:13]
	s_cbranch_execz .LBB78_126
; %bb.95:                               ;   in Loop: Header=BB78_23 Depth=1
	ds_read_b64 v[8:9], v3 offset:5120
	s_waitcnt lgkmcnt(0)
	s_barrier
	v_readfirstlane_b32 s40, v8
	v_readfirstlane_b32 s41, v9
	s_and_saveexec_b64 s[2:3], s[14:15]
; %bb.96:                               ;   in Loop: Header=BB78_23 Depth=1
	ds_write_b8 v0, v3 offset:3072
; %bb.97:                               ;   in Loop: Header=BB78_23 Depth=1
	s_or_b64 exec, exec, s[2:3]
	v_and_b32_e32 v28, s50, v28
	v_or_b32_e32 v32, s76, v32
	s_mov_b64 s[10:11], -1
	s_mov_b64 s[20:21], 0
	s_cmp_eq_u64 s[40:41], 0
	s_mov_b64 s[34:35], 0
	s_mov_b64 s[26:27], -1
	s_waitcnt lgkmcnt(0)
	s_barrier
                                        ; implicit-def: $vgpr33
	s_cbranch_scc1 .LBB78_111
; %bb.98:                               ;   in Loop: Header=BB78_23 Depth=1
	s_add_u32 s28, s40, s75
	s_addc_u32 s35, s41, s51
	s_mov_b32 s34, s65
	s_cmp_lg_u64 s[34:35], 0
	s_cbranch_scc0 .LBB78_152
; %bb.99:                               ;   in Loop: Header=BB78_23 Depth=1
	v_cvt_f32_u32_e32 v2, s23
	s_sub_u32 s26, 0, s23
	s_subb_u32 s27, 0, 0
	v_mac_f32_e32 v2, 0, v30
	v_rcp_f32_e32 v2, v2
	v_mul_f32_e32 v2, 0x5f7ffffc, v2
	v_mul_f32_e32 v8, 0x2f800000, v2
	v_trunc_f32_e32 v8, v8
	v_mac_f32_e32 v2, 0xcf800000, v8
	v_cvt_u32_f32_e32 v8, v8
	v_cvt_u32_f32_e32 v2, v2
	v_readfirstlane_b32 s29, v8
	v_readfirstlane_b32 s2, v2
	s_mul_i32 s3, s26, s29
	s_mul_hi_u32 s31, s26, s2
	s_mul_i32 s30, s27, s2
	s_add_i32 s3, s31, s3
	s_mul_i32 s34, s26, s2
	s_add_i32 s3, s3, s30
	s_mul_hi_u32 s31, s2, s34
	s_mul_i32 s42, s2, s3
	s_mul_hi_u32 s30, s2, s3
	s_add_u32 s31, s31, s42
	s_addc_u32 s30, 0, s30
	s_mul_hi_u32 s43, s29, s34
	s_mul_i32 s34, s29, s34
	s_add_u32 s31, s31, s34
	s_mul_hi_u32 s42, s29, s3
	s_addc_u32 s30, s30, s43
	s_addc_u32 s31, s42, 0
	s_mul_i32 s3, s29, s3
	s_add_u32 s3, s30, s3
	s_addc_u32 s30, 0, s31
	s_add_u32 s31, s2, s3
	s_cselect_b64 s[2:3], -1, 0
	s_cmp_lg_u64 s[2:3], 0
	s_addc_u32 s29, s29, s30
	s_mul_i32 s2, s26, s29
	s_mul_hi_u32 s3, s26, s31
	s_add_i32 s2, s3, s2
	s_mul_i32 s27, s27, s31
	s_add_i32 s2, s2, s27
	s_mul_i32 s26, s26, s31
	s_mul_hi_u32 s27, s29, s26
	s_mul_i32 s30, s29, s26
	s_mul_i32 s42, s31, s2
	s_mul_hi_u32 s26, s31, s26
	s_mul_hi_u32 s34, s31, s2
	s_add_u32 s26, s26, s42
	s_addc_u32 s34, 0, s34
	s_add_u32 s26, s26, s30
	s_mul_hi_u32 s3, s29, s2
	s_addc_u32 s26, s34, s27
	s_addc_u32 s3, s3, 0
	s_mul_i32 s2, s29, s2
	s_add_u32 s2, s26, s2
	s_addc_u32 s26, 0, s3
	s_add_u32 s27, s31, s2
	s_cselect_b64 s[2:3], -1, 0
	s_cmp_lg_u64 s[2:3], 0
	s_addc_u32 s2, s29, s26
	s_mul_i32 s26, s28, s2
	s_mul_hi_u32 s29, s28, s27
	s_mul_hi_u32 s3, s28, s2
	s_add_u32 s26, s29, s26
	s_addc_u32 s3, 0, s3
	s_mul_hi_u32 s30, s35, s27
	s_mul_i32 s27, s35, s27
	s_add_u32 s26, s26, s27
	s_mul_hi_u32 s29, s35, s2
	s_addc_u32 s3, s3, s30
	s_addc_u32 s26, s29, 0
	s_mul_i32 s2, s35, s2
	s_add_u32 s2, s3, s2
	s_addc_u32 s3, 0, s26
	s_mul_i32 s3, s23, s3
	s_mul_hi_u32 s26, s23, s2
	s_add_i32 s26, s26, s3
	s_mul_i32 s2, s23, s2
	s_sub_u32 s27, s28, s2
	s_cselect_b64 s[2:3], -1, 0
	s_cmp_lg_u64 s[2:3], 0
	s_subb_u32 s26, s35, s26
	s_sub_u32 s29, s27, s23
	s_cselect_b64 s[2:3], -1, 0
	s_cmp_lg_u64 s[2:3], 0
	s_subb_u32 s30, s26, 0
	;; [unrolled: 4-line block ×3, first 2 shown]
	s_cmp_ge_u32 s29, s23
	s_cselect_b32 s3, -1, 0
	s_cmp_eq_u32 s30, 0
	s_cselect_b32 s3, s3, -1
	s_cmp_lg_u32 s3, 0
	s_cselect_b32 s2, s2, s30
	s_cselect_b32 s29, s31, s29
	s_cmp_ge_u32 s27, s23
	s_cselect_b32 s3, -1, 0
	s_cmp_eq_u32 s26, 0
	s_cselect_b32 s3, s3, -1
	s_cmp_lg_u32 s3, 0
	s_cselect_b32 s3, s2, s26
	s_cselect_b32 s2, s29, s27
	s_cbranch_execnz .LBB78_101
.LBB78_100:                             ;   in Loop: Header=BB78_23 Depth=1
	v_cvt_f32_u32_e32 v2, s23
	s_sub_i32 s2, 0, s23
	v_rcp_iflag_f32_e32 v2, v2
	v_mul_f32_e32 v2, 0x4f7ffffe, v2
	v_cvt_u32_f32_e32 v2, v2
	v_readfirstlane_b32 s3, v2
	s_mul_i32 s2, s2, s3
	s_mul_hi_u32 s2, s3, s2
	s_add_i32 s3, s3, s2
	s_mul_hi_u32 s2, s28, s3
	s_mul_i32 s2, s2, s23
	s_sub_i32 s2, s28, s2
	s_sub_i32 s3, s2, s23
	s_cmp_ge_u32 s2, s23
	s_cselect_b32 s2, s3, s2
	s_sub_i32 s3, s2, s23
	s_cmp_ge_u32 s2, s23
	s_cselect_b32 s64, s3, s2
	s_mov_b64 s[2:3], s[64:65]
.LBB78_101:                             ;   in Loop: Header=BB78_23 Depth=1
	s_sub_u32 s2, s28, s2
	s_subb_u32 s3, s35, s3
	v_cmp_gt_u64_e32 vcc, s[2:3], v[0:1]
	s_mov_b64 s[26:27], 0
	s_mov_b64 s[34:35], 0
                                        ; implicit-def: $vgpr33
	s_and_saveexec_b64 s[42:43], vcc
	s_cbranch_execz .LBB78_110
; %bb.102:                              ;   in Loop: Header=BB78_23 Depth=1
	v_mov_b32_e32 v9, v1
	v_mov_b32_e32 v2, v0
	;; [unrolled: 1-line block ×3, first 2 shown]
                                        ; implicit-def: $sgpr28_sgpr29
	s_branch .LBB78_105
.LBB78_103:                             ;   in Loop: Header=BB78_105 Depth=2
	s_or_b64 exec, exec, s[30:31]
	s_waitcnt lgkmcnt(0)
	s_barrier
	ds_read_u16 v10, v3 offset:3072
	s_mov_b64 s[30:31], -1
	s_waitcnt lgkmcnt(0)
	s_barrier
	v_cmp_ne_u32_sdwa s[44:45], v10, v3 src0_sel:BYTE_0 src1_sel:DWORD
	s_and_b64 vcc, exec, s[44:45]
	s_mov_b64 s[44:45], -1
	s_cbranch_vccz .LBB78_108
.LBB78_104:                             ;   in Loop: Header=BB78_105 Depth=2
	s_and_b64 s[30:31], exec, s[30:31]
	s_or_b64 s[34:35], s[30:31], s[34:35]
	s_andn2_b64 s[28:29], s[28:29], exec
	s_and_b64 s[30:31], s[44:45], exec
	s_or_b64 s[28:29], s[28:29], s[30:31]
	s_andn2_b64 exec, exec, s[34:35]
	s_cbranch_execz .LBB78_109
.LBB78_105:                             ;   Parent Loop BB78_23 Depth=1
                                        ; =>  This Inner Loop Header: Depth=2
	v_cmp_gt_u64_e32 vcc, s[40:41], v[8:9]
	s_and_saveexec_b64 s[30:31], vcc
	s_cbranch_execz .LBB78_103
; %bb.106:                              ;   in Loop: Header=BB78_105 Depth=2
	ds_read_u8 v10, v2
	s_waitcnt lgkmcnt(0)
	v_and_b32_e32 v11, v10, v32
	v_cmp_eq_u32_sdwa s[44:45], v11, v28 src0_sel:BYTE_0 src1_sel:DWORD
	s_and_b64 exec, exec, s[44:45]
	s_cbranch_execz .LBB78_103
; %bb.107:                              ;   in Loop: Header=BB78_105 Depth=2
	v_lshlrev_b16_e32 v10, 8, v10
	v_or_b32_e32 v10, 1, v10
	ds_write_b16 v3, v10 offset:3072
	s_branch .LBB78_103
.LBB78_108:                             ;   in Loop: Header=BB78_105 Depth=2
	v_add_co_u32_e32 v8, vcc, s23, v8
	v_addc_co_u32_e32 v9, vcc, 0, v9, vcc
	v_cmp_le_u64_e32 vcc, s[2:3], v[8:9]
	v_add_u32_e32 v2, s23, v2
	s_mov_b64 s[44:45], 0
	s_orn2_b64 s[30:31], vcc, exec
	s_branch .LBB78_104
.LBB78_109:                             ;   in Loop: Header=BB78_23 Depth=1
	s_or_b64 exec, exec, s[34:35]
	v_lshrrev_b32_sdwa v33, v31, v10 dst_sel:DWORD dst_unused:UNUSED_PAD src0_sel:DWORD src1_sel:WORD_0
	s_and_b64 s[34:35], s[28:29], exec
.LBB78_110:                             ;   in Loop: Header=BB78_23 Depth=1
	s_or_b64 exec, exec, s[42:43]
.LBB78_111:                             ;   in Loop: Header=BB78_23 Depth=1
	s_and_b64 vcc, exec, s[26:27]
	s_cbranch_vccz .LBB78_125
; %bb.112:                              ;   in Loop: Header=BB78_23 Depth=1
	s_mov_b32 s70, s65
	s_cmp_lg_u64 s[70:71], 0
	s_cbranch_scc0 .LBB78_156
; %bb.113:                              ;   in Loop: Header=BB78_23 Depth=1
	v_cvt_f32_u32_e32 v2, s23
	s_sub_u32 s10, 0, s23
	s_subb_u32 s11, 0, 0
	v_mac_f32_e32 v2, 0, v30
	v_rcp_f32_e32 v2, v2
	v_mul_f32_e32 v2, 0x5f7ffffc, v2
	v_mul_f32_e32 v8, 0x2f800000, v2
	v_trunc_f32_e32 v8, v8
	v_mac_f32_e32 v2, 0xcf800000, v8
	v_cvt_u32_f32_e32 v8, v8
	v_cvt_u32_f32_e32 v2, v2
	v_readfirstlane_b32 s20, v8
	v_readfirstlane_b32 s2, v2
	s_mul_i32 s3, s10, s20
	s_mul_hi_u32 s26, s10, s2
	s_mul_i32 s21, s11, s2
	s_add_i32 s3, s26, s3
	s_mul_i32 s27, s10, s2
	s_add_i32 s3, s3, s21
	s_mul_hi_u32 s26, s2, s27
	s_mul_i32 s28, s2, s3
	s_mul_hi_u32 s21, s2, s3
	s_add_u32 s26, s26, s28
	s_addc_u32 s21, 0, s21
	s_mul_hi_u32 s29, s20, s27
	s_mul_i32 s27, s20, s27
	s_add_u32 s26, s26, s27
	s_mul_hi_u32 s28, s20, s3
	s_addc_u32 s21, s21, s29
	s_addc_u32 s26, s28, 0
	s_mul_i32 s3, s20, s3
	s_add_u32 s3, s21, s3
	s_addc_u32 s21, 0, s26
	s_add_u32 s26, s2, s3
	s_cselect_b64 s[2:3], -1, 0
	s_cmp_lg_u64 s[2:3], 0
	s_addc_u32 s20, s20, s21
	s_mul_i32 s2, s10, s20
	s_mul_hi_u32 s3, s10, s26
	s_add_i32 s2, s3, s2
	s_mul_i32 s11, s11, s26
	s_add_i32 s2, s2, s11
	s_mul_i32 s10, s10, s26
	s_mul_hi_u32 s11, s20, s10
	s_mul_i32 s21, s20, s10
	s_mul_i32 s28, s26, s2
	s_mul_hi_u32 s10, s26, s10
	s_mul_hi_u32 s27, s26, s2
	s_add_u32 s10, s10, s28
	s_addc_u32 s27, 0, s27
	s_add_u32 s10, s10, s21
	s_mul_hi_u32 s3, s20, s2
	s_addc_u32 s10, s27, s11
	s_addc_u32 s3, s3, 0
	s_mul_i32 s2, s20, s2
	s_add_u32 s2, s10, s2
	s_addc_u32 s10, 0, s3
	s_add_u32 s11, s26, s2
	s_cselect_b64 s[2:3], -1, 0
	s_cmp_lg_u64 s[2:3], 0
	s_addc_u32 s2, s20, s10
	s_mul_i32 s10, s77, s2
	s_mul_hi_u32 s20, s77, s11
	s_mul_hi_u32 s3, s77, s2
	s_add_u32 s10, s20, s10
	s_addc_u32 s3, 0, s3
	s_mul_hi_u32 s21, s71, s11
	s_mul_i32 s11, s71, s11
	s_add_u32 s10, s10, s11
	s_mul_hi_u32 s20, s71, s2
	s_addc_u32 s3, s3, s21
	s_addc_u32 s10, s20, 0
	s_mul_i32 s2, s71, s2
	s_add_u32 s2, s3, s2
	s_addc_u32 s3, 0, s10
	s_mul_i32 s3, s23, s3
	s_mul_hi_u32 s10, s23, s2
	s_add_i32 s10, s10, s3
	s_mul_i32 s2, s23, s2
	s_sub_u32 s11, s77, s2
	s_cselect_b64 s[2:3], -1, 0
	s_cmp_lg_u64 s[2:3], 0
	s_subb_u32 s10, s71, s10
	s_sub_u32 s20, s11, s23
	s_cselect_b64 s[2:3], -1, 0
	s_cmp_lg_u64 s[2:3], 0
	s_subb_u32 s21, s10, 0
	;; [unrolled: 4-line block ×3, first 2 shown]
	s_cmp_ge_u32 s20, s23
	s_cselect_b32 s3, -1, 0
	s_cmp_eq_u32 s21, 0
	s_cselect_b32 s3, s3, -1
	s_cmp_lg_u32 s3, 0
	s_cselect_b32 s2, s2, s21
	s_cselect_b32 s20, s26, s20
	s_cmp_ge_u32 s11, s23
	s_cselect_b32 s3, -1, 0
	s_cmp_eq_u32 s10, 0
	s_cselect_b32 s3, s3, -1
	s_cmp_lg_u32 s3, 0
	s_cselect_b32 s3, s2, s10
	s_cselect_b32 s2, s20, s11
	s_cbranch_execnz .LBB78_115
.LBB78_114:                             ;   in Loop: Header=BB78_23 Depth=1
	v_cvt_f32_u32_e32 v2, s23
	s_sub_i32 s2, 0, s23
	v_rcp_iflag_f32_e32 v2, v2
	v_mul_f32_e32 v2, 0x4f7ffffe, v2
	v_cvt_u32_f32_e32 v2, v2
	v_readfirstlane_b32 s3, v2
	s_mul_i32 s2, s2, s3
	s_mul_hi_u32 s2, s3, s2
	s_add_i32 s3, s3, s2
	s_mul_hi_u32 s2, s77, s3
	s_mul_i32 s2, s2, s23
	s_sub_i32 s2, s77, s2
	s_sub_i32 s3, s2, s23
	s_cmp_ge_u32 s2, s23
	s_cselect_b32 s2, s3, s2
	s_sub_i32 s3, s2, s23
	s_cmp_ge_u32 s2, s23
	s_cselect_b32 s64, s3, s2
	s_mov_b64 s[2:3], s[64:65]
.LBB78_115:                             ;   in Loop: Header=BB78_23 Depth=1
	s_sub_u32 s2, s77, s2
	s_subb_u32 s3, s71, s3
	v_cmp_gt_u64_e32 vcc, s[2:3], v[0:1]
                                        ; implicit-def: $vgpr33
	s_and_saveexec_b64 s[10:11], vcc
	s_cbranch_execz .LBB78_124
; %bb.116:                              ;   in Loop: Header=BB78_23 Depth=1
	v_mov_b32_e32 v9, v1
	s_mov_b64 s[20:21], 0
	v_mov_b32_e32 v8, v0
                                        ; implicit-def: $sgpr26_sgpr27
	s_branch .LBB78_119
.LBB78_117:                             ;   in Loop: Header=BB78_119 Depth=2
	s_or_b64 exec, exec, s[28:29]
	s_waitcnt lgkmcnt(0)
	s_barrier
	ds_read_u16 v2, v3 offset:3072
	s_mov_b64 s[28:29], -1
	s_waitcnt lgkmcnt(0)
	s_barrier
	v_cmp_ne_u32_sdwa s[30:31], v2, v3 src0_sel:BYTE_0 src1_sel:DWORD
	s_and_b64 vcc, exec, s[30:31]
	s_mov_b64 s[30:31], -1
	s_cbranch_vccz .LBB78_122
.LBB78_118:                             ;   in Loop: Header=BB78_119 Depth=2
	s_and_b64 s[28:29], exec, s[28:29]
	s_or_b64 s[20:21], s[28:29], s[20:21]
	s_andn2_b64 s[26:27], s[26:27], exec
	s_and_b64 s[28:29], s[30:31], exec
	s_or_b64 s[26:27], s[26:27], s[28:29]
	s_andn2_b64 exec, exec, s[20:21]
	s_cbranch_execz .LBB78_123
.LBB78_119:                             ;   Parent Loop BB78_23 Depth=1
                                        ; =>  This Inner Loop Header: Depth=2
	v_cmp_gt_u64_e32 vcc, s[24:25], v[8:9]
	s_and_saveexec_b64 s[28:29], vcc
	s_cbranch_execz .LBB78_117
; %bb.120:                              ;   in Loop: Header=BB78_119 Depth=2
	v_mov_b32_e32 v10, s62
	v_mov_b32_e32 v11, s63
	v_mad_u64_u32 v[10:11], s[30:31], v8, s52, v[10:11]
	v_mul_lo_u32 v2, v8, s53
	v_mul_lo_u32 v21, v9, s52
	v_add3_u32 v11, v21, v11, v2
	global_load_ubyte v2, v[10:11], off
	s_waitcnt vmcnt(0)
	v_and_b32_e32 v10, v2, v32
	v_cmp_eq_u32_sdwa s[30:31], v10, v28 src0_sel:BYTE_0 src1_sel:DWORD
	s_and_b64 exec, exec, s[30:31]
	s_cbranch_execz .LBB78_117
; %bb.121:                              ;   in Loop: Header=BB78_119 Depth=2
	v_lshlrev_b16_e32 v2, 8, v2
	v_or_b32_e32 v2, 1, v2
	ds_write_b16 v3, v2 offset:3072
	s_branch .LBB78_117
.LBB78_122:                             ;   in Loop: Header=BB78_119 Depth=2
	v_add_co_u32_e32 v8, vcc, s23, v8
	v_addc_co_u32_e32 v9, vcc, 0, v9, vcc
	v_cmp_le_u64_e32 vcc, s[2:3], v[8:9]
	s_mov_b64 s[30:31], 0
	s_orn2_b64 s[28:29], vcc, exec
	s_branch .LBB78_118
.LBB78_123:                             ;   in Loop: Header=BB78_23 Depth=1
	s_or_b64 exec, exec, s[20:21]
	s_andn2_b64 s[2:3], s[34:35], exec
	s_and_b64 s[20:21], s[26:27], exec
	v_lshrrev_b32_sdwa v33, v31, v2 dst_sel:DWORD dst_unused:UNUSED_PAD src0_sel:DWORD src1_sel:WORD_0
	s_or_b64 s[34:35], s[2:3], s[20:21]
.LBB78_124:                             ;   in Loop: Header=BB78_23 Depth=1
	s_or_b64 exec, exec, s[10:11]
	s_mov_b64 s[10:11], 0
	s_mov_b64 s[20:21], -1
.LBB78_125:                             ;   in Loop: Header=BB78_23 Depth=1
	s_orn2_b64 s[2:3], s[34:35], exec
.LBB78_126:                             ;   in Loop: Header=BB78_23 Depth=1
	s_or_b64 exec, exec, s[18:19]
	s_andn2_b64 s[18:19], s[90:91], exec
	s_and_b64 s[20:21], s[20:21], exec
	s_or_b64 s[90:91], s[18:19], s[20:21]
	s_andn2_b64 s[18:19], s[88:89], exec
	s_and_b64 s[10:11], s[10:11], exec
	s_andn2_b64 s[86:87], s[86:87], exec
	s_or_b64 s[88:89], s[18:19], s[10:11]
                                        ; implicit-def: $vgpr8_vgpr9
	s_and_saveexec_b64 s[18:19], s[2:3]
	s_cbranch_execz .LBB78_22
; %bb.127:                              ;   in Loop: Header=BB78_23 Depth=1
	v_mov_b32_e32 v8, 1
	s_xor_b64 s[2:3], s[12:13], -1
	v_mov_b32_e32 v2, 1
	v_mov_b32_e32 v9, 0
	s_mov_b64 s[10:11], 0
	s_and_saveexec_b64 s[6:7], s[2:3]
	s_cbranch_execz .LBB78_136
; %bb.128:                              ;   in Loop: Header=BB78_23 Depth=1
	v_cmp_le_u64_e32 vcc, v[19:20], v[4:5]
	s_and_saveexec_b64 s[2:3], vcc
	s_xor_b64 s[2:3], exec, s[2:3]
	s_cbranch_execz .LBB78_133
; %bb.129:                              ;   in Loop: Header=BB78_23 Depth=1
	ds_read_b64 v[8:9], v3 offset:5120
	v_and_b32_e32 v28, s50, v28
	v_or_b32_e32 v32, s76, v32
	s_waitcnt lgkmcnt(0)
	v_cmp_ne_u64_e32 vcc, 0, v[8:9]
	s_cbranch_vccnz .LBB78_133
; %bb.130:                              ;   in Loop: Header=BB78_23 Depth=1
	s_mov_b64 s[10:11], exec
	v_readlane_b32 s12, v46, 16
	v_readlane_b32 s13, v46, 17
	s_and_b64 s[12:13], s[10:11], s[12:13]
	s_mov_b64 exec, s[12:13]
; %bb.131:                              ;   in Loop: Header=BB78_23 Depth=1
	ds_write_b64 v3, v[4:5] offset:5128
; %bb.132:                              ;   in Loop: Header=BB78_23 Depth=1
	s_or_b64 exec, exec, s[10:11]
	s_waitcnt lgkmcnt(0)
	s_barrier
.LBB78_133:                             ;   in Loop: Header=BB78_23 Depth=1
	s_or_saveexec_b64 s[2:3], s[2:3]
	s_mov_b64 s[10:11], 0
	v_mov_b32_e32 v2, 8
	s_xor_b64 exec, exec, s[2:3]
; %bb.134:                              ;   in Loop: Header=BB78_23 Depth=1
	v_sub_co_u32_e32 v19, vcc, v19, v4
	v_subb_co_u32_e32 v20, vcc, v20, v5, vcc
	v_mov_b32_e32 v2, 0
	s_mov_b64 s[10:11], exec
; %bb.135:                              ;   in Loop: Header=BB78_23 Depth=1
	s_or_b64 exec, exec, s[2:3]
	v_mov_b32_e32 v8, v19
	s_and_b64 s[10:11], s[10:11], exec
	v_mov_b32_e32 v9, v20
.LBB78_136:                             ;   in Loop: Header=BB78_23 Depth=1
	s_or_b64 exec, exec, s[6:7]
	s_mov_b64 s[20:21], -1
	s_mov_b64 s[2:3], -1
                                        ; implicit-def: $sgpr6_sgpr7
                                        ; implicit-def: $sgpr56_sgpr57
	s_and_saveexec_b64 s[12:13], s[10:11]
	s_xor_b64 s[92:93], exec, s[12:13]
	s_cbranch_execz .LBB78_285
; %bb.137:                              ;   in Loop: Header=BB78_23 Depth=1
	v_cmp_eq_u64_e32 vcc, 1, v[6:7]
	v_cmp_eq_u64_e64 s[6:7], 1, v[8:9]
                                        ; implicit-def: $sgpr56_sgpr57
	s_and_b64 s[12:13], vcc, s[6:7]
                                        ; implicit-def: $sgpr6_sgpr7
	s_and_saveexec_b64 s[34:35], s[12:13]
	s_cbranch_execz .LBB78_174
; %bb.138:                              ;   in Loop: Header=BB78_23 Depth=1
	ds_read_b64 v[4:5], v3 offset:5120
	s_waitcnt lgkmcnt(0)
	s_barrier
	v_readfirstlane_b32 s40, v4
	v_readfirstlane_b32 s41, v5
	s_and_saveexec_b64 s[2:3], s[14:15]
; %bb.139:                              ;   in Loop: Header=BB78_23 Depth=1
	ds_write_b8 v0, v3 offset:3072
; %bb.140:                              ;   in Loop: Header=BB78_23 Depth=1
	s_or_b64 exec, exec, s[2:3]
	v_and_b32_e32 v4, s50, v28
	v_lshl_or_b32 v28, 1, s1, v4
	v_or_b32_e32 v32, s76, v32
	s_mov_b64 s[6:7], -1
	s_mov_b64 s[56:57], 0
	s_cmp_eq_u64 s[40:41], 0
	s_mov_b64 s[10:11], 0
	s_mov_b64 s[42:43], -1
	s_waitcnt lgkmcnt(0)
	s_barrier
                                        ; implicit-def: $vgpr33
	s_cbranch_scc1 .LBB78_159
; %bb.141:                              ;   in Loop: Header=BB78_23 Depth=1
	s_add_u32 s28, s40, s75
	s_addc_u32 s11, s41, s51
	s_mov_b32 s10, s65
	s_cmp_lg_u64 s[10:11], 0
	s_cbranch_scc0 .LBB78_201
; %bb.142:                              ;   in Loop: Header=BB78_23 Depth=1
	v_cvt_f32_u32_e32 v4, s23
	s_sub_u32 s10, 0, s23
	s_subb_u32 s26, 0, 0
	v_mac_f32_e32 v4, 0, v30
	v_rcp_f32_e32 v4, v4
	v_mul_f32_e32 v4, 0x5f7ffffc, v4
	v_mul_f32_e32 v5, 0x2f800000, v4
	v_trunc_f32_e32 v5, v5
	v_mac_f32_e32 v4, 0xcf800000, v5
	v_cvt_u32_f32_e32 v5, v5
	v_cvt_u32_f32_e32 v4, v4
	v_readfirstlane_b32 s27, v5
	v_readfirstlane_b32 s2, v4
	s_mul_i32 s3, s10, s27
	s_mul_hi_u32 s30, s10, s2
	s_mul_i32 s29, s26, s2
	s_add_i32 s3, s30, s3
	s_mul_i32 s31, s10, s2
	s_add_i32 s3, s3, s29
	s_mul_hi_u32 s30, s2, s31
	s_mul_i32 s42, s2, s3
	s_mul_hi_u32 s29, s2, s3
	s_add_u32 s30, s30, s42
	s_addc_u32 s29, 0, s29
	s_mul_hi_u32 s43, s27, s31
	s_mul_i32 s31, s27, s31
	s_add_u32 s30, s30, s31
	s_mul_hi_u32 s42, s27, s3
	s_addc_u32 s29, s29, s43
	s_addc_u32 s30, s42, 0
	s_mul_i32 s3, s27, s3
	s_add_u32 s3, s29, s3
	s_addc_u32 s29, 0, s30
	s_add_u32 s30, s2, s3
	s_cselect_b64 s[2:3], -1, 0
	s_cmp_lg_u64 s[2:3], 0
	s_addc_u32 s27, s27, s29
	s_mul_i32 s2, s10, s27
	s_mul_hi_u32 s3, s10, s30
	s_add_i32 s2, s3, s2
	s_mul_i32 s26, s26, s30
	s_add_i32 s2, s2, s26
	s_mul_i32 s10, s10, s30
	s_mul_hi_u32 s26, s27, s10
	s_mul_i32 s29, s27, s10
	s_mul_i32 s42, s30, s2
	s_mul_hi_u32 s10, s30, s10
	s_mul_hi_u32 s31, s30, s2
	s_add_u32 s10, s10, s42
	s_addc_u32 s31, 0, s31
	s_add_u32 s10, s10, s29
	s_mul_hi_u32 s3, s27, s2
	s_addc_u32 s10, s31, s26
	s_addc_u32 s3, s3, 0
	s_mul_i32 s2, s27, s2
	s_add_u32 s2, s10, s2
	s_addc_u32 s10, 0, s3
	s_add_u32 s26, s30, s2
	s_cselect_b64 s[2:3], -1, 0
	s_cmp_lg_u64 s[2:3], 0
	s_addc_u32 s2, s27, s10
	s_mul_i32 s10, s28, s2
	s_mul_hi_u32 s27, s28, s26
	s_mul_hi_u32 s3, s28, s2
	s_add_u32 s10, s27, s10
	s_addc_u32 s3, 0, s3
	s_mul_hi_u32 s29, s11, s26
	s_mul_i32 s26, s11, s26
	s_add_u32 s10, s10, s26
	s_mul_hi_u32 s27, s11, s2
	s_addc_u32 s3, s3, s29
	s_addc_u32 s10, s27, 0
	s_mul_i32 s2, s11, s2
	s_add_u32 s2, s3, s2
	s_addc_u32 s3, 0, s10
	s_mul_i32 s3, s23, s3
	s_mul_hi_u32 s10, s23, s2
	s_add_i32 s10, s10, s3
	s_mul_i32 s2, s23, s2
	s_sub_u32 s26, s28, s2
	s_cselect_b64 s[2:3], -1, 0
	s_cmp_lg_u64 s[2:3], 0
	s_subb_u32 s10, s11, s10
	s_sub_u32 s27, s26, s23
	s_cselect_b64 s[2:3], -1, 0
	s_cmp_lg_u64 s[2:3], 0
	s_subb_u32 s29, s10, 0
	;; [unrolled: 4-line block ×3, first 2 shown]
	s_cmp_ge_u32 s27, s23
	s_cselect_b32 s3, -1, 0
	s_cmp_eq_u32 s29, 0
	s_cselect_b32 s3, s3, -1
	s_cmp_lg_u32 s3, 0
	s_cselect_b32 s2, s2, s29
	s_cselect_b32 s27, s30, s27
	s_cmp_ge_u32 s26, s23
	s_cselect_b32 s3, -1, 0
	s_cmp_eq_u32 s10, 0
	s_cselect_b32 s3, s3, -1
	s_cmp_lg_u32 s3, 0
	s_cselect_b32 s3, s2, s10
	s_cselect_b32 s2, s27, s26
	s_cbranch_execnz .LBB78_144
.LBB78_143:                             ;   in Loop: Header=BB78_23 Depth=1
	v_cvt_f32_u32_e32 v4, s23
	s_sub_i32 s2, 0, s23
	v_rcp_iflag_f32_e32 v4, v4
	v_mul_f32_e32 v4, 0x4f7ffffe, v4
	v_cvt_u32_f32_e32 v4, v4
	v_readfirstlane_b32 s3, v4
	s_mul_i32 s2, s2, s3
	s_mul_hi_u32 s2, s3, s2
	s_add_i32 s3, s3, s2
	s_mul_hi_u32 s2, s28, s3
	s_mul_i32 s2, s2, s23
	s_sub_i32 s2, s28, s2
	s_sub_i32 s3, s2, s23
	s_cmp_ge_u32 s2, s23
	s_cselect_b32 s2, s3, s2
	s_sub_i32 s3, s2, s23
	s_cmp_ge_u32 s2, s23
	s_cselect_b32 s64, s3, s2
	s_mov_b64 s[2:3], s[64:65]
.LBB78_144:                             ;   in Loop: Header=BB78_23 Depth=1
	s_sub_u32 s44, s28, s2
	s_subb_u32 s45, s11, s3
	v_cmp_gt_u64_e32 vcc, s[44:45], v[0:1]
	s_mov_b64 s[42:43], 0
	s_mov_b64 s[10:11], 0
                                        ; implicit-def: $vgpr33
	s_and_saveexec_b64 s[26:27], vcc
	s_cbranch_execz .LBB78_158
; %bb.145:                              ;   in Loop: Header=BB78_23 Depth=1
	v_mov_b32_e32 v5, v1
	s_mov_b64 s[2:3], 0
	v_mov_b32_e32 v10, v0
	v_mov_b32_e32 v4, v0
                                        ; implicit-def: $sgpr10_sgpr11
	s_branch .LBB78_148
.LBB78_146:                             ;   in Loop: Header=BB78_148 Depth=2
	s_or_b64 exec, exec, s[28:29]
	s_waitcnt lgkmcnt(0)
	s_barrier
	ds_read_u16 v11, v3 offset:3072
	s_mov_b64 s[28:29], -1
	s_waitcnt lgkmcnt(0)
	s_barrier
	v_cmp_ne_u32_sdwa s[30:31], v11, v3 src0_sel:BYTE_0 src1_sel:DWORD
	s_and_b64 vcc, exec, s[30:31]
	s_mov_b64 s[30:31], -1
	s_cbranch_vccz .LBB78_151
.LBB78_147:                             ;   in Loop: Header=BB78_148 Depth=2
	s_and_b64 s[28:29], exec, s[28:29]
	s_or_b64 s[2:3], s[28:29], s[2:3]
	s_andn2_b64 s[10:11], s[10:11], exec
	s_and_b64 s[28:29], s[30:31], exec
	s_or_b64 s[10:11], s[10:11], s[28:29]
	s_andn2_b64 exec, exec, s[2:3]
	s_cbranch_execz .LBB78_157
.LBB78_148:                             ;   Parent Loop BB78_23 Depth=1
                                        ; =>  This Inner Loop Header: Depth=2
	v_cmp_gt_u64_e32 vcc, s[40:41], v[4:5]
	s_and_saveexec_b64 s[28:29], vcc
	s_cbranch_execz .LBB78_146
; %bb.149:                              ;   in Loop: Header=BB78_148 Depth=2
	ds_read_u8 v11, v10
	s_waitcnt lgkmcnt(0)
	v_and_b32_e32 v19, v11, v32
	v_cmp_eq_u32_sdwa s[30:31], v19, v28 src0_sel:BYTE_0 src1_sel:DWORD
	s_and_b64 exec, exec, s[30:31]
	s_cbranch_execz .LBB78_146
; %bb.150:                              ;   in Loop: Header=BB78_148 Depth=2
	v_lshlrev_b16_e32 v11, 8, v11
	v_or_b32_e32 v11, 1, v11
	ds_write_b16 v3, v11 offset:3072
	s_branch .LBB78_146
.LBB78_151:                             ;   in Loop: Header=BB78_148 Depth=2
	v_add_co_u32_e32 v4, vcc, s23, v4
	v_addc_co_u32_e32 v5, vcc, 0, v5, vcc
	v_cmp_le_u64_e32 vcc, s[44:45], v[4:5]
	v_add_u32_e32 v10, s23, v10
	s_mov_b64 s[30:31], 0
	s_orn2_b64 s[28:29], vcc, exec
	s_branch .LBB78_147
.LBB78_152:                             ;   in Loop: Header=BB78_23 Depth=1
                                        ; implicit-def: $sgpr2_sgpr3
	s_andn2_b64 vcc, exec, s[26:27]
	s_cbranch_vccz .LBB78_100
	s_branch .LBB78_101
.LBB78_153:                             ;   in Loop: Header=BB78_23 Depth=1
	s_or_b64 exec, exec, s[12:13]
	s_waitcnt lgkmcnt(0)
	s_barrier
	s_mov_b64 s[2:3], exec
	v_readlane_b32 s6, v46, 16
	v_readlane_b32 s7, v46, 17
	s_and_b64 s[6:7], s[2:3], s[6:7]
	s_mov_b64 exec, s[6:7]
	s_cbranch_execz .LBB78_155
; %bb.154:                              ;   in Loop: Header=BB78_23 Depth=1
	ds_read_b32 v4, v3 offset:5144
	s_waitcnt lgkmcnt(0)
	v_ashrrev_i32_e32 v5, 31, v4
	ds_write_b64 v3, v[4:5] offset:5120
.LBB78_155:                             ;   in Loop: Header=BB78_23 Depth=1
	s_or_b64 exec, exec, s[2:3]
	s_waitcnt lgkmcnt(0)
	s_barrier
	s_mov_b64 s[2:3], -1
	s_and_b64 vcc, exec, s[10:11]
	s_cbranch_vccnz .LBB78_38
	s_branch .LBB78_53
.LBB78_156:                             ;   in Loop: Header=BB78_23 Depth=1
                                        ; implicit-def: $sgpr2_sgpr3
	s_branch .LBB78_114
.LBB78_157:                             ;   in Loop: Header=BB78_23 Depth=1
	s_or_b64 exec, exec, s[2:3]
	v_lshrrev_b32_sdwa v33, v31, v11 dst_sel:DWORD dst_unused:UNUSED_PAD src0_sel:DWORD src1_sel:WORD_0
	s_and_b64 s[10:11], s[10:11], exec
.LBB78_158:                             ;   in Loop: Header=BB78_23 Depth=1
	s_or_b64 exec, exec, s[26:27]
.LBB78_159:                             ;   in Loop: Header=BB78_23 Depth=1
	s_and_b64 vcc, exec, s[42:43]
	s_cbranch_vccz .LBB78_173
; %bb.160:                              ;   in Loop: Header=BB78_23 Depth=1
	s_mov_b32 s70, s65
	s_cmp_lg_u64 s[70:71], 0
	s_cbranch_scc0 .LBB78_202
; %bb.161:                              ;   in Loop: Header=BB78_23 Depth=1
	v_cvt_f32_u32_e32 v4, s23
	s_sub_u32 s6, 0, s23
	s_subb_u32 s7, 0, 0
	v_mac_f32_e32 v4, 0, v30
	v_rcp_f32_e32 v4, v4
	v_mul_f32_e32 v4, 0x5f7ffffc, v4
	v_mul_f32_e32 v5, 0x2f800000, v4
	v_trunc_f32_e32 v5, v5
	v_mac_f32_e32 v4, 0xcf800000, v5
	v_cvt_u32_f32_e32 v5, v5
	v_cvt_u32_f32_e32 v4, v4
	v_readfirstlane_b32 s26, v5
	v_readfirstlane_b32 s2, v4
	s_mul_i32 s3, s6, s26
	s_mul_hi_u32 s28, s6, s2
	s_mul_i32 s27, s7, s2
	s_add_i32 s3, s28, s3
	s_mul_i32 s29, s6, s2
	s_add_i32 s3, s3, s27
	s_mul_hi_u32 s28, s2, s29
	s_mul_i32 s30, s2, s3
	s_mul_hi_u32 s27, s2, s3
	s_add_u32 s28, s28, s30
	s_addc_u32 s27, 0, s27
	s_mul_hi_u32 s31, s26, s29
	s_mul_i32 s29, s26, s29
	s_add_u32 s28, s28, s29
	s_mul_hi_u32 s30, s26, s3
	s_addc_u32 s27, s27, s31
	s_addc_u32 s28, s30, 0
	s_mul_i32 s3, s26, s3
	s_add_u32 s3, s27, s3
	s_addc_u32 s27, 0, s28
	s_add_u32 s28, s2, s3
	s_cselect_b64 s[2:3], -1, 0
	s_cmp_lg_u64 s[2:3], 0
	s_addc_u32 s26, s26, s27
	s_mul_i32 s2, s6, s26
	s_mul_hi_u32 s3, s6, s28
	s_add_i32 s2, s3, s2
	s_mul_i32 s7, s7, s28
	s_add_i32 s2, s2, s7
	s_mul_i32 s6, s6, s28
	s_mul_hi_u32 s7, s26, s6
	s_mul_i32 s27, s26, s6
	s_mul_i32 s30, s28, s2
	s_mul_hi_u32 s6, s28, s6
	s_mul_hi_u32 s29, s28, s2
	s_add_u32 s6, s6, s30
	s_addc_u32 s29, 0, s29
	s_add_u32 s6, s6, s27
	s_mul_hi_u32 s3, s26, s2
	s_addc_u32 s6, s29, s7
	s_addc_u32 s3, s3, 0
	s_mul_i32 s2, s26, s2
	s_add_u32 s2, s6, s2
	s_addc_u32 s6, 0, s3
	s_add_u32 s7, s28, s2
	s_cselect_b64 s[2:3], -1, 0
	s_cmp_lg_u64 s[2:3], 0
	s_addc_u32 s2, s26, s6
	s_mul_i32 s6, s77, s2
	s_mul_hi_u32 s26, s77, s7
	s_mul_hi_u32 s3, s77, s2
	s_add_u32 s6, s26, s6
	s_addc_u32 s3, 0, s3
	s_mul_hi_u32 s27, s71, s7
	s_mul_i32 s7, s71, s7
	s_add_u32 s6, s6, s7
	s_mul_hi_u32 s26, s71, s2
	s_addc_u32 s3, s3, s27
	s_addc_u32 s6, s26, 0
	s_mul_i32 s2, s71, s2
	s_add_u32 s2, s3, s2
	s_addc_u32 s3, 0, s6
	s_mul_i32 s3, s23, s3
	s_mul_hi_u32 s6, s23, s2
	s_add_i32 s6, s6, s3
	s_mul_i32 s2, s23, s2
	s_sub_u32 s7, s77, s2
	s_cselect_b64 s[2:3], -1, 0
	s_cmp_lg_u64 s[2:3], 0
	s_subb_u32 s6, s71, s6
	s_sub_u32 s26, s7, s23
	s_cselect_b64 s[2:3], -1, 0
	s_cmp_lg_u64 s[2:3], 0
	s_subb_u32 s27, s6, 0
	;; [unrolled: 4-line block ×3, first 2 shown]
	s_cmp_ge_u32 s26, s23
	s_cselect_b32 s3, -1, 0
	s_cmp_eq_u32 s27, 0
	s_cselect_b32 s3, s3, -1
	s_cmp_lg_u32 s3, 0
	s_cselect_b32 s2, s2, s27
	s_cselect_b32 s26, s28, s26
	s_cmp_ge_u32 s7, s23
	s_cselect_b32 s3, -1, 0
	s_cmp_eq_u32 s6, 0
	s_cselect_b32 s3, s3, -1
	s_cmp_lg_u32 s3, 0
	s_cselect_b32 s3, s2, s6
	s_cselect_b32 s2, s26, s7
	s_cbranch_execnz .LBB78_163
.LBB78_162:                             ;   in Loop: Header=BB78_23 Depth=1
	v_cvt_f32_u32_e32 v4, s23
	s_sub_i32 s2, 0, s23
	v_rcp_iflag_f32_e32 v4, v4
	v_mul_f32_e32 v4, 0x4f7ffffe, v4
	v_cvt_u32_f32_e32 v4, v4
	v_readfirstlane_b32 s3, v4
	s_mul_i32 s2, s2, s3
	s_mul_hi_u32 s2, s3, s2
	s_add_i32 s3, s3, s2
	s_mul_hi_u32 s2, s77, s3
	s_mul_i32 s2, s2, s23
	s_sub_i32 s2, s77, s2
	s_sub_i32 s3, s2, s23
	s_cmp_ge_u32 s2, s23
	s_cselect_b32 s2, s3, s2
	s_sub_i32 s3, s2, s23
	s_cmp_ge_u32 s2, s23
	s_cselect_b32 s64, s3, s2
	s_mov_b64 s[2:3], s[64:65]
.LBB78_163:                             ;   in Loop: Header=BB78_23 Depth=1
	s_sub_u32 s2, s77, s2
	s_subb_u32 s3, s71, s3
	v_cmp_gt_u64_e32 vcc, s[2:3], v[0:1]
                                        ; implicit-def: $vgpr33
	s_and_saveexec_b64 s[6:7], vcc
	s_cbranch_execz .LBB78_172
; %bb.164:                              ;   in Loop: Header=BB78_23 Depth=1
	v_mov_b32_e32 v5, v1
	s_mov_b64 s[26:27], 0
	v_mov_b32_e32 v4, v0
                                        ; implicit-def: $sgpr40_sgpr41
	s_branch .LBB78_167
.LBB78_165:                             ;   in Loop: Header=BB78_167 Depth=2
	s_or_b64 exec, exec, s[28:29]
	s_waitcnt lgkmcnt(0)
	s_barrier
	ds_read_u16 v10, v3 offset:3072
	s_mov_b64 s[28:29], -1
	s_waitcnt lgkmcnt(0)
	s_barrier
	v_cmp_eq_u32_sdwa s[30:31], v10, v3 src0_sel:BYTE_0 src1_sel:DWORD
	s_and_b64 vcc, exec, s[30:31]
	s_mov_b64 s[30:31], -1
	s_cbranch_vccnz .LBB78_170
.LBB78_166:                             ;   in Loop: Header=BB78_167 Depth=2
	s_and_b64 s[28:29], exec, s[28:29]
	s_or_b64 s[26:27], s[28:29], s[26:27]
	s_andn2_b64 s[28:29], s[40:41], exec
	s_and_b64 s[30:31], s[30:31], exec
	s_or_b64 s[40:41], s[28:29], s[30:31]
	s_andn2_b64 exec, exec, s[26:27]
	s_cbranch_execz .LBB78_171
.LBB78_167:                             ;   Parent Loop BB78_23 Depth=1
                                        ; =>  This Inner Loop Header: Depth=2
	v_cmp_gt_u64_e32 vcc, s[24:25], v[4:5]
	s_and_saveexec_b64 s[28:29], vcc
	s_cbranch_execz .LBB78_165
; %bb.168:                              ;   in Loop: Header=BB78_167 Depth=2
	v_mov_b32_e32 v10, s62
	v_mov_b32_e32 v11, s63
	v_mad_u64_u32 v[10:11], s[30:31], v4, s52, v[10:11]
	v_mul_lo_u32 v19, v4, s53
	v_mul_lo_u32 v20, v5, s52
	v_add3_u32 v11, v20, v11, v19
	global_load_ubyte v10, v[10:11], off
	s_waitcnt vmcnt(0)
	v_and_b32_e32 v11, v10, v32
	v_cmp_eq_u32_sdwa s[30:31], v11, v28 src0_sel:BYTE_0 src1_sel:DWORD
	s_and_b64 exec, exec, s[30:31]
	s_cbranch_execz .LBB78_165
; %bb.169:                              ;   in Loop: Header=BB78_167 Depth=2
	v_lshlrev_b16_e32 v10, 8, v10
	v_or_b32_e32 v10, 1, v10
	ds_write_b16 v3, v10 offset:3072
	s_branch .LBB78_165
.LBB78_170:                             ;   in Loop: Header=BB78_167 Depth=2
	v_add_co_u32_e32 v4, vcc, s23, v4
	v_addc_co_u32_e32 v5, vcc, 0, v5, vcc
	v_cmp_le_u64_e32 vcc, s[2:3], v[4:5]
	s_mov_b64 s[30:31], 0
	s_orn2_b64 s[28:29], vcc, exec
	s_branch .LBB78_166
.LBB78_171:                             ;   in Loop: Header=BB78_23 Depth=1
	s_or_b64 exec, exec, s[26:27]
	s_andn2_b64 s[2:3], s[10:11], exec
	s_and_b64 s[10:11], s[40:41], exec
	v_lshrrev_b32_sdwa v33, v31, v10 dst_sel:DWORD dst_unused:UNUSED_PAD src0_sel:DWORD src1_sel:WORD_0
	s_or_b64 s[10:11], s[2:3], s[10:11]
.LBB78_172:                             ;   in Loop: Header=BB78_23 Depth=1
	s_or_b64 exec, exec, s[6:7]
	s_mov_b64 s[6:7], 0
	s_mov_b64 s[56:57], -1
.LBB78_173:                             ;   in Loop: Header=BB78_23 Depth=1
	s_orn2_b64 s[2:3], s[10:11], exec
.LBB78_174:                             ;   in Loop: Header=BB78_23 Depth=1
	s_or_b64 exec, exec, s[34:35]
	s_mov_b64 s[10:11], 0
	s_and_saveexec_b64 s[54:55], s[2:3]
	s_cbranch_execz .LBB78_284
; %bb.175:                              ;   in Loop: Header=BB78_23 Depth=1
	v_mov_b32_e32 v4, 1
	s_xor_b64 s[2:3], s[12:13], -1
	v_mov_b32_e32 v2, 1
	v_mov_b32_e32 v5, 0
	s_mov_b64 s[12:13], 0
	s_and_saveexec_b64 s[10:11], s[2:3]
	s_cbranch_execz .LBB78_185
; %bb.176:                              ;   in Loop: Header=BB78_23 Depth=1
	v_cmp_le_u64_e32 vcc, v[8:9], v[6:7]
	s_and_saveexec_b64 s[2:3], vcc
	s_xor_b64 s[2:3], exec, s[2:3]
	s_cbranch_execz .LBB78_182
; %bb.177:                              ;   in Loop: Header=BB78_23 Depth=1
	ds_read_b64 v[4:5], v3 offset:5120
	v_and_b32_e32 v2, s50, v28
	v_lshl_or_b32 v28, 1, s1, v2
	v_or_b32_e32 v32, s76, v32
	s_waitcnt lgkmcnt(0)
	v_cmp_ne_u64_e32 vcc, 0, v[4:5]
	s_cbranch_vccnz .LBB78_181
; %bb.178:                              ;   in Loop: Header=BB78_23 Depth=1
	s_mov_b64 s[12:13], exec
	v_readlane_b32 s26, v46, 16
	v_readlane_b32 s27, v46, 17
	s_and_b64 s[26:27], s[12:13], s[26:27]
	s_mov_b64 exec, s[26:27]
; %bb.179:                              ;   in Loop: Header=BB78_23 Depth=1
	ds_write_b64 v3, v[6:7] offset:5128
; %bb.180:                              ;   in Loop: Header=BB78_23 Depth=1
	s_or_b64 exec, exec, s[12:13]
	s_waitcnt lgkmcnt(0)
	s_barrier
.LBB78_181:                             ;   in Loop: Header=BB78_23 Depth=1
                                        ; implicit-def: $vgpr4_vgpr5_vgpr6_vgpr7
.LBB78_182:                             ;   in Loop: Header=BB78_23 Depth=1
	s_or_saveexec_b64 s[2:3], s[2:3]
	s_mov_b64 s[12:13], 0
	v_mov_b32_e32 v2, 8
	s_xor_b64 exec, exec, s[2:3]
; %bb.183:                              ;   in Loop: Header=BB78_23 Depth=1
	v_sub_co_u32_e32 v8, vcc, v8, v6
	v_subb_co_u32_e32 v9, vcc, v9, v7, vcc
	v_mov_b32_e32 v2, 0
	s_mov_b64 s[12:13], exec
; %bb.184:                              ;   in Loop: Header=BB78_23 Depth=1
	s_or_b64 exec, exec, s[2:3]
	v_mov_b32_e32 v4, v8
	s_and_b64 s[12:13], s[12:13], exec
	v_mov_b32_e32 v5, v9
.LBB78_185:                             ;   in Loop: Header=BB78_23 Depth=1
	s_or_b64 exec, exec, s[10:11]
	s_mov_b64 s[2:3], -1
                                        ; implicit-def: $sgpr42_sgpr43
                                        ; implicit-def: $sgpr60_sgpr61
	s_and_saveexec_b64 s[40:41], s[12:13]
	s_cbranch_execz .LBB78_283
; %bb.186:                              ;   in Loop: Header=BB78_23 Depth=1
	s_cmp_eq_u64 s[94:95], 1
	v_cmp_eq_u64_e32 vcc, 1, v[4:5]
	s_cselect_b64 s[2:3], -1, 0
	s_and_b64 s[34:35], s[2:3], vcc
	s_mov_b64 s[2:3], -1
                                        ; implicit-def: $sgpr60_sgpr61
                                        ; implicit-def: $sgpr42_sgpr43
	s_and_saveexec_b64 s[12:13], s[34:35]
	s_cbranch_execz .LBB78_220
; %bb.187:                              ;   in Loop: Header=BB78_23 Depth=1
	ds_read_b64 v[6:7], v3 offset:5120
	s_waitcnt lgkmcnt(0)
	s_barrier
	v_readfirstlane_b32 s44, v6
	v_readfirstlane_b32 s45, v7
	s_and_saveexec_b64 s[2:3], s[14:15]
; %bb.188:                              ;   in Loop: Header=BB78_23 Depth=1
	ds_write_b8 v0, v3 offset:3072
; %bb.189:                              ;   in Loop: Header=BB78_23 Depth=1
	s_or_b64 exec, exec, s[2:3]
	v_and_b32_e32 v6, s50, v28
	v_lshl_or_b32 v28, 2, s1, v6
	v_or_b32_e32 v32, s76, v32
	s_mov_b64 s[42:43], -1
	s_mov_b64 s[60:61], 0
	s_cmp_eq_u64 s[44:45], 0
	s_mov_b64 s[10:11], 0
	s_mov_b64 s[46:47], -1
	s_waitcnt lgkmcnt(0)
	s_barrier
                                        ; implicit-def: $vgpr33
	s_cbranch_scc1 .LBB78_205
; %bb.190:                              ;   in Loop: Header=BB78_23 Depth=1
	s_add_u32 s28, s44, s75
	s_addc_u32 s11, s45, s51
	s_mov_b32 s10, s65
	s_cmp_lg_u64 s[10:11], 0
	s_cbranch_scc0 .LBB78_246
; %bb.191:                              ;   in Loop: Header=BB78_23 Depth=1
	v_cvt_f32_u32_e32 v6, s23
	s_sub_u32 s10, 0, s23
	s_subb_u32 s26, 0, 0
	v_mac_f32_e32 v6, 0, v30
	v_rcp_f32_e32 v6, v6
	v_mul_f32_e32 v6, 0x5f7ffffc, v6
	v_mul_f32_e32 v7, 0x2f800000, v6
	v_trunc_f32_e32 v7, v7
	v_mac_f32_e32 v6, 0xcf800000, v7
	v_cvt_u32_f32_e32 v7, v7
	v_cvt_u32_f32_e32 v6, v6
	v_readfirstlane_b32 s27, v7
	v_readfirstlane_b32 s2, v6
	s_mul_i32 s3, s10, s27
	s_mul_hi_u32 s30, s10, s2
	s_mul_i32 s29, s26, s2
	s_add_i32 s3, s30, s3
	s_mul_i32 s31, s10, s2
	s_add_i32 s3, s3, s29
	s_mul_hi_u32 s30, s2, s31
	s_mul_i32 s46, s2, s3
	s_mul_hi_u32 s29, s2, s3
	s_add_u32 s30, s30, s46
	s_addc_u32 s29, 0, s29
	s_mul_hi_u32 s47, s27, s31
	s_mul_i32 s31, s27, s31
	s_add_u32 s30, s30, s31
	s_mul_hi_u32 s46, s27, s3
	s_addc_u32 s29, s29, s47
	s_addc_u32 s30, s46, 0
	s_mul_i32 s3, s27, s3
	s_add_u32 s3, s29, s3
	s_addc_u32 s29, 0, s30
	s_add_u32 s30, s2, s3
	s_cselect_b64 s[2:3], -1, 0
	s_cmp_lg_u64 s[2:3], 0
	s_addc_u32 s27, s27, s29
	s_mul_i32 s2, s10, s27
	s_mul_hi_u32 s3, s10, s30
	s_add_i32 s2, s3, s2
	s_mul_i32 s26, s26, s30
	s_add_i32 s2, s2, s26
	s_mul_i32 s10, s10, s30
	s_mul_hi_u32 s26, s27, s10
	s_mul_i32 s29, s27, s10
	s_mul_i32 s46, s30, s2
	s_mul_hi_u32 s10, s30, s10
	s_mul_hi_u32 s31, s30, s2
	s_add_u32 s10, s10, s46
	s_addc_u32 s31, 0, s31
	s_add_u32 s10, s10, s29
	s_mul_hi_u32 s3, s27, s2
	s_addc_u32 s10, s31, s26
	s_addc_u32 s3, s3, 0
	s_mul_i32 s2, s27, s2
	s_add_u32 s2, s10, s2
	s_addc_u32 s10, 0, s3
	s_add_u32 s26, s30, s2
	s_cselect_b64 s[2:3], -1, 0
	s_cmp_lg_u64 s[2:3], 0
	s_addc_u32 s2, s27, s10
	s_mul_i32 s10, s28, s2
	s_mul_hi_u32 s27, s28, s26
	s_mul_hi_u32 s3, s28, s2
	s_add_u32 s10, s27, s10
	s_addc_u32 s3, 0, s3
	s_mul_hi_u32 s29, s11, s26
	s_mul_i32 s26, s11, s26
	s_add_u32 s10, s10, s26
	s_mul_hi_u32 s27, s11, s2
	s_addc_u32 s3, s3, s29
	s_addc_u32 s10, s27, 0
	s_mul_i32 s2, s11, s2
	s_add_u32 s2, s3, s2
	s_addc_u32 s3, 0, s10
	s_mul_i32 s3, s23, s3
	s_mul_hi_u32 s10, s23, s2
	s_add_i32 s10, s10, s3
	s_mul_i32 s2, s23, s2
	s_sub_u32 s26, s28, s2
	s_cselect_b64 s[2:3], -1, 0
	s_cmp_lg_u64 s[2:3], 0
	s_subb_u32 s10, s11, s10
	s_sub_u32 s27, s26, s23
	s_cselect_b64 s[2:3], -1, 0
	s_cmp_lg_u64 s[2:3], 0
	s_subb_u32 s29, s10, 0
	;; [unrolled: 4-line block ×3, first 2 shown]
	s_cmp_ge_u32 s27, s23
	s_cselect_b32 s3, -1, 0
	s_cmp_eq_u32 s29, 0
	s_cselect_b32 s3, s3, -1
	s_cmp_lg_u32 s3, 0
	s_cselect_b32 s2, s2, s29
	s_cselect_b32 s27, s30, s27
	s_cmp_ge_u32 s26, s23
	s_cselect_b32 s3, -1, 0
	s_cmp_eq_u32 s10, 0
	s_cselect_b32 s3, s3, -1
	s_cmp_lg_u32 s3, 0
	s_cselect_b32 s3, s2, s10
	s_cselect_b32 s2, s27, s26
	s_cbranch_execnz .LBB78_193
.LBB78_192:                             ;   in Loop: Header=BB78_23 Depth=1
	v_cvt_f32_u32_e32 v6, s23
	s_sub_i32 s2, 0, s23
	v_rcp_iflag_f32_e32 v6, v6
	v_mul_f32_e32 v6, 0x4f7ffffe, v6
	v_cvt_u32_f32_e32 v6, v6
	v_readfirstlane_b32 s3, v6
	s_mul_i32 s2, s2, s3
	s_mul_hi_u32 s2, s3, s2
	s_add_i32 s3, s3, s2
	s_mul_hi_u32 s2, s28, s3
	s_mul_i32 s2, s2, s23
	s_sub_i32 s2, s28, s2
	s_sub_i32 s3, s2, s23
	s_cmp_ge_u32 s2, s23
	s_cselect_b32 s2, s3, s2
	s_sub_i32 s3, s2, s23
	s_cmp_ge_u32 s2, s23
	s_cselect_b32 s64, s3, s2
	s_mov_b64 s[2:3], s[64:65]
.LBB78_193:                             ;   in Loop: Header=BB78_23 Depth=1
	s_sub_u32 s48, s28, s2
	s_subb_u32 s49, s11, s3
	v_cmp_gt_u64_e32 vcc, s[48:49], v[0:1]
	s_mov_b64 s[46:47], 0
	s_mov_b64 s[10:11], 0
                                        ; implicit-def: $vgpr33
	s_and_saveexec_b64 s[26:27], vcc
	s_cbranch_execz .LBB78_204
; %bb.194:                              ;   in Loop: Header=BB78_23 Depth=1
	v_mov_b32_e32 v7, v1
	s_mov_b64 s[2:3], 0
	v_mov_b32_e32 v8, v0
	v_mov_b32_e32 v6, v0
                                        ; implicit-def: $sgpr10_sgpr11
	s_branch .LBB78_197
.LBB78_195:                             ;   in Loop: Header=BB78_197 Depth=2
	s_or_b64 exec, exec, s[28:29]
	s_waitcnt lgkmcnt(0)
	s_barrier
	ds_read_u16 v9, v3 offset:3072
	s_mov_b64 s[28:29], -1
	s_waitcnt lgkmcnt(0)
	s_barrier
	v_cmp_ne_u32_sdwa s[30:31], v9, v3 src0_sel:BYTE_0 src1_sel:DWORD
	s_and_b64 vcc, exec, s[30:31]
	s_mov_b64 s[30:31], -1
	s_cbranch_vccz .LBB78_200
.LBB78_196:                             ;   in Loop: Header=BB78_197 Depth=2
	s_and_b64 s[28:29], exec, s[28:29]
	s_or_b64 s[2:3], s[28:29], s[2:3]
	s_andn2_b64 s[10:11], s[10:11], exec
	s_and_b64 s[28:29], s[30:31], exec
	s_or_b64 s[10:11], s[10:11], s[28:29]
	s_andn2_b64 exec, exec, s[2:3]
	s_cbranch_execz .LBB78_203
.LBB78_197:                             ;   Parent Loop BB78_23 Depth=1
                                        ; =>  This Inner Loop Header: Depth=2
	v_cmp_gt_u64_e32 vcc, s[44:45], v[6:7]
	s_and_saveexec_b64 s[28:29], vcc
	s_cbranch_execz .LBB78_195
; %bb.198:                              ;   in Loop: Header=BB78_197 Depth=2
	ds_read_u8 v9, v8
	s_waitcnt lgkmcnt(0)
	v_and_b32_e32 v10, v9, v32
	v_cmp_eq_u32_sdwa s[30:31], v10, v28 src0_sel:BYTE_0 src1_sel:DWORD
	s_and_b64 exec, exec, s[30:31]
	s_cbranch_execz .LBB78_195
; %bb.199:                              ;   in Loop: Header=BB78_197 Depth=2
	v_lshlrev_b16_e32 v9, 8, v9
	v_or_b32_e32 v9, 1, v9
	ds_write_b16 v3, v9 offset:3072
	s_branch .LBB78_195
.LBB78_200:                             ;   in Loop: Header=BB78_197 Depth=2
	v_add_co_u32_e32 v6, vcc, s23, v6
	v_addc_co_u32_e32 v7, vcc, 0, v7, vcc
	v_cmp_le_u64_e32 vcc, s[48:49], v[6:7]
	v_add_u32_e32 v8, s23, v8
	s_mov_b64 s[30:31], 0
	s_orn2_b64 s[28:29], vcc, exec
	s_branch .LBB78_196
.LBB78_201:                             ;   in Loop: Header=BB78_23 Depth=1
                                        ; implicit-def: $sgpr2_sgpr3
	s_branch .LBB78_143
.LBB78_202:                             ;   in Loop: Header=BB78_23 Depth=1
                                        ; implicit-def: $sgpr2_sgpr3
	s_branch .LBB78_162
.LBB78_203:                             ;   in Loop: Header=BB78_23 Depth=1
	s_or_b64 exec, exec, s[2:3]
	v_lshrrev_b32_sdwa v33, v31, v9 dst_sel:DWORD dst_unused:UNUSED_PAD src0_sel:DWORD src1_sel:WORD_0
	s_and_b64 s[10:11], s[10:11], exec
.LBB78_204:                             ;   in Loop: Header=BB78_23 Depth=1
	s_or_b64 exec, exec, s[26:27]
.LBB78_205:                             ;   in Loop: Header=BB78_23 Depth=1
	s_and_b64 vcc, exec, s[46:47]
	s_cbranch_vccz .LBB78_219
; %bb.206:                              ;   in Loop: Header=BB78_23 Depth=1
	s_mov_b32 s70, s65
	s_cmp_lg_u64 s[70:71], 0
	s_cbranch_scc0 .LBB78_247
; %bb.207:                              ;   in Loop: Header=BB78_23 Depth=1
	v_cvt_f32_u32_e32 v6, s23
	s_sub_u32 s26, 0, s23
	s_subb_u32 s27, 0, 0
	v_mac_f32_e32 v6, 0, v30
	v_rcp_f32_e32 v6, v6
	v_mul_f32_e32 v6, 0x5f7ffffc, v6
	v_mul_f32_e32 v7, 0x2f800000, v6
	v_trunc_f32_e32 v7, v7
	v_mac_f32_e32 v6, 0xcf800000, v7
	v_cvt_u32_f32_e32 v7, v7
	v_cvt_u32_f32_e32 v6, v6
	v_readfirstlane_b32 s28, v7
	v_readfirstlane_b32 s2, v6
	s_mul_i32 s3, s26, s28
	s_mul_hi_u32 s30, s26, s2
	s_mul_i32 s29, s27, s2
	s_add_i32 s3, s30, s3
	s_mul_i32 s31, s26, s2
	s_add_i32 s3, s3, s29
	s_mul_hi_u32 s30, s2, s31
	s_mul_i32 s42, s2, s3
	s_mul_hi_u32 s29, s2, s3
	s_add_u32 s30, s30, s42
	s_addc_u32 s29, 0, s29
	s_mul_hi_u32 s43, s28, s31
	s_mul_i32 s31, s28, s31
	s_add_u32 s30, s30, s31
	s_mul_hi_u32 s42, s28, s3
	s_addc_u32 s29, s29, s43
	s_addc_u32 s30, s42, 0
	s_mul_i32 s3, s28, s3
	s_add_u32 s3, s29, s3
	s_addc_u32 s29, 0, s30
	s_add_u32 s30, s2, s3
	s_cselect_b64 s[2:3], -1, 0
	s_cmp_lg_u64 s[2:3], 0
	s_addc_u32 s28, s28, s29
	s_mul_i32 s2, s26, s28
	s_mul_hi_u32 s3, s26, s30
	s_add_i32 s2, s3, s2
	s_mul_i32 s27, s27, s30
	s_add_i32 s2, s2, s27
	s_mul_i32 s26, s26, s30
	s_mul_hi_u32 s27, s28, s26
	s_mul_i32 s29, s28, s26
	s_mul_i32 s42, s30, s2
	s_mul_hi_u32 s26, s30, s26
	s_mul_hi_u32 s31, s30, s2
	s_add_u32 s26, s26, s42
	s_addc_u32 s31, 0, s31
	s_add_u32 s26, s26, s29
	s_mul_hi_u32 s3, s28, s2
	s_addc_u32 s26, s31, s27
	s_addc_u32 s3, s3, 0
	s_mul_i32 s2, s28, s2
	s_add_u32 s2, s26, s2
	s_addc_u32 s26, 0, s3
	s_add_u32 s27, s30, s2
	s_cselect_b64 s[2:3], -1, 0
	s_cmp_lg_u64 s[2:3], 0
	s_addc_u32 s2, s28, s26
	s_mul_i32 s26, s77, s2
	s_mul_hi_u32 s28, s77, s27
	s_mul_hi_u32 s3, s77, s2
	s_add_u32 s26, s28, s26
	s_addc_u32 s3, 0, s3
	s_mul_hi_u32 s29, s71, s27
	s_mul_i32 s27, s71, s27
	s_add_u32 s26, s26, s27
	s_mul_hi_u32 s28, s71, s2
	s_addc_u32 s3, s3, s29
	s_addc_u32 s26, s28, 0
	s_mul_i32 s2, s71, s2
	s_add_u32 s2, s3, s2
	s_addc_u32 s3, 0, s26
	s_mul_i32 s3, s23, s3
	s_mul_hi_u32 s26, s23, s2
	s_add_i32 s26, s26, s3
	s_mul_i32 s2, s23, s2
	s_sub_u32 s27, s77, s2
	s_cselect_b64 s[2:3], -1, 0
	s_cmp_lg_u64 s[2:3], 0
	s_subb_u32 s26, s71, s26
	s_sub_u32 s28, s27, s23
	s_cselect_b64 s[2:3], -1, 0
	s_cmp_lg_u64 s[2:3], 0
	s_subb_u32 s29, s26, 0
	s_sub_u32 s30, s28, s23
	s_cselect_b64 s[2:3], -1, 0
	s_cmp_lg_u64 s[2:3], 0
	s_subb_u32 s2, s29, 0
	s_cmp_ge_u32 s28, s23
	s_cselect_b32 s3, -1, 0
	s_cmp_eq_u32 s29, 0
	s_cselect_b32 s3, s3, -1
	s_cmp_lg_u32 s3, 0
	s_cselect_b32 s2, s2, s29
	s_cselect_b32 s28, s30, s28
	s_cmp_ge_u32 s27, s23
	s_cselect_b32 s3, -1, 0
	s_cmp_eq_u32 s26, 0
	s_cselect_b32 s3, s3, -1
	s_cmp_lg_u32 s3, 0
	s_cselect_b32 s3, s2, s26
	s_cselect_b32 s2, s28, s27
	s_cbranch_execnz .LBB78_209
.LBB78_208:                             ;   in Loop: Header=BB78_23 Depth=1
	v_cvt_f32_u32_e32 v6, s23
	s_sub_i32 s2, 0, s23
	v_rcp_iflag_f32_e32 v6, v6
	v_mul_f32_e32 v6, 0x4f7ffffe, v6
	v_cvt_u32_f32_e32 v6, v6
	v_readfirstlane_b32 s3, v6
	s_mul_i32 s2, s2, s3
	s_mul_hi_u32 s2, s3, s2
	s_add_i32 s3, s3, s2
	s_mul_hi_u32 s2, s77, s3
	s_mul_i32 s2, s2, s23
	s_sub_i32 s2, s77, s2
	s_sub_i32 s3, s2, s23
	s_cmp_ge_u32 s2, s23
	s_cselect_b32 s2, s3, s2
	s_sub_i32 s3, s2, s23
	s_cmp_ge_u32 s2, s23
	s_cselect_b32 s64, s3, s2
	s_mov_b64 s[2:3], s[64:65]
.LBB78_209:                             ;   in Loop: Header=BB78_23 Depth=1
	s_sub_u32 s2, s77, s2
	s_subb_u32 s3, s71, s3
	v_cmp_gt_u64_e32 vcc, s[2:3], v[0:1]
                                        ; implicit-def: $vgpr33
	s_and_saveexec_b64 s[26:27], vcc
	s_cbranch_execz .LBB78_218
; %bb.210:                              ;   in Loop: Header=BB78_23 Depth=1
	v_mov_b32_e32 v7, v1
	s_mov_b64 s[42:43], 0
	v_mov_b32_e32 v6, v0
                                        ; implicit-def: $sgpr44_sgpr45
	s_branch .LBB78_213
.LBB78_211:                             ;   in Loop: Header=BB78_213 Depth=2
	s_or_b64 exec, exec, s[28:29]
	s_waitcnt lgkmcnt(0)
	s_barrier
	ds_read_u16 v8, v3 offset:3072
	s_mov_b64 s[28:29], -1
	s_waitcnt lgkmcnt(0)
	s_barrier
	v_cmp_eq_u32_sdwa s[30:31], v8, v3 src0_sel:BYTE_0 src1_sel:DWORD
	s_and_b64 vcc, exec, s[30:31]
	s_mov_b64 s[30:31], -1
	s_cbranch_vccnz .LBB78_216
.LBB78_212:                             ;   in Loop: Header=BB78_213 Depth=2
	s_and_b64 s[28:29], exec, s[28:29]
	s_or_b64 s[42:43], s[28:29], s[42:43]
	s_andn2_b64 s[28:29], s[44:45], exec
	s_and_b64 s[30:31], s[30:31], exec
	s_or_b64 s[44:45], s[28:29], s[30:31]
	s_andn2_b64 exec, exec, s[42:43]
	s_cbranch_execz .LBB78_217
.LBB78_213:                             ;   Parent Loop BB78_23 Depth=1
                                        ; =>  This Inner Loop Header: Depth=2
	v_cmp_gt_u64_e32 vcc, s[24:25], v[6:7]
	s_and_saveexec_b64 s[28:29], vcc
	s_cbranch_execz .LBB78_211
; %bb.214:                              ;   in Loop: Header=BB78_213 Depth=2
	v_mov_b32_e32 v8, s62
	v_mov_b32_e32 v9, s63
	v_mad_u64_u32 v[8:9], s[30:31], v6, s52, v[8:9]
	v_mul_lo_u32 v10, v6, s53
	v_mul_lo_u32 v11, v7, s52
	v_add3_u32 v9, v11, v9, v10
	global_load_ubyte v8, v[8:9], off
	s_waitcnt vmcnt(0)
	v_and_b32_e32 v9, v8, v32
	v_cmp_eq_u32_sdwa s[30:31], v9, v28 src0_sel:BYTE_0 src1_sel:DWORD
	s_and_b64 exec, exec, s[30:31]
	s_cbranch_execz .LBB78_211
; %bb.215:                              ;   in Loop: Header=BB78_213 Depth=2
	v_lshlrev_b16_e32 v8, 8, v8
	v_or_b32_e32 v8, 1, v8
	ds_write_b16 v3, v8 offset:3072
	s_branch .LBB78_211
.LBB78_216:                             ;   in Loop: Header=BB78_213 Depth=2
	v_add_co_u32_e32 v6, vcc, s23, v6
	v_addc_co_u32_e32 v7, vcc, 0, v7, vcc
	v_cmp_le_u64_e32 vcc, s[2:3], v[6:7]
	s_mov_b64 s[30:31], 0
	s_orn2_b64 s[28:29], vcc, exec
	s_branch .LBB78_212
.LBB78_217:                             ;   in Loop: Header=BB78_23 Depth=1
	s_or_b64 exec, exec, s[42:43]
	s_andn2_b64 s[2:3], s[10:11], exec
	s_and_b64 s[10:11], s[44:45], exec
	v_lshrrev_b32_sdwa v33, v31, v8 dst_sel:DWORD dst_unused:UNUSED_PAD src0_sel:DWORD src1_sel:WORD_0
	s_or_b64 s[10:11], s[2:3], s[10:11]
.LBB78_218:                             ;   in Loop: Header=BB78_23 Depth=1
	s_or_b64 exec, exec, s[26:27]
	s_mov_b64 s[42:43], 0
	s_mov_b64 s[60:61], -1
.LBB78_219:                             ;   in Loop: Header=BB78_23 Depth=1
	s_orn2_b64 s[2:3], s[10:11], exec
.LBB78_220:                             ;   in Loop: Header=BB78_23 Depth=1
	s_or_b64 exec, exec, s[12:13]
	s_mov_b64 s[10:11], 0
	s_and_saveexec_b64 s[12:13], s[2:3]
	s_cbranch_execz .LBB78_282
; %bb.221:                              ;   in Loop: Header=BB78_23 Depth=1
	v_mov_b32_e32 v6, 1
	s_xor_b64 s[2:3], s[34:35], -1
	v_mov_b32_e32 v2, 1
	v_mov_b32_e32 v7, 0
	s_mov_b64 s[26:27], 0
	s_and_saveexec_b64 s[10:11], s[2:3]
	s_cbranch_execz .LBB78_230
; %bb.222:                              ;   in Loop: Header=BB78_23 Depth=1
	v_cmp_ge_u64_e32 vcc, s[94:95], v[4:5]
	s_and_saveexec_b64 s[2:3], vcc
	s_xor_b64 s[2:3], exec, s[2:3]
	s_cbranch_execz .LBB78_227
; %bb.223:                              ;   in Loop: Header=BB78_23 Depth=1
	ds_read_b64 v[6:7], v3 offset:5120
	v_and_b32_e32 v2, s50, v28
	v_lshl_or_b32 v28, 2, s1, v2
	v_or_b32_e32 v32, s76, v32
	s_waitcnt lgkmcnt(0)
	v_cmp_ne_u64_e32 vcc, 0, v[6:7]
	s_cbranch_vccnz .LBB78_227
; %bb.224:                              ;   in Loop: Header=BB78_23 Depth=1
	s_mov_b64 s[26:27], exec
	v_readlane_b32 s28, v46, 16
	v_readlane_b32 s29, v46, 17
	s_and_b64 s[28:29], s[26:27], s[28:29]
	s_mov_b64 exec, s[28:29]
; %bb.225:                              ;   in Loop: Header=BB78_23 Depth=1
	v_mov_b32_e32 v6, s94
	v_mov_b32_e32 v7, s95
	ds_write_b64 v3, v[6:7] offset:5128
; %bb.226:                              ;   in Loop: Header=BB78_23 Depth=1
	s_or_b64 exec, exec, s[26:27]
	s_waitcnt lgkmcnt(0)
	s_barrier
.LBB78_227:                             ;   in Loop: Header=BB78_23 Depth=1
	s_or_saveexec_b64 s[2:3], s[2:3]
	s_mov_b64 s[26:27], 0
	v_mov_b32_e32 v2, 8
	s_xor_b64 exec, exec, s[2:3]
; %bb.228:                              ;   in Loop: Header=BB78_23 Depth=1
	v_subrev_co_u32_e32 v4, vcc, s94, v4
	v_mov_b32_e32 v2, s95
	v_subb_co_u32_e32 v5, vcc, v5, v2, vcc
	v_mov_b32_e32 v2, 0
	s_mov_b64 s[26:27], exec
; %bb.229:                              ;   in Loop: Header=BB78_23 Depth=1
	s_or_b64 exec, exec, s[2:3]
	v_mov_b32_e32 v7, v5
	s_and_b64 s[26:27], s[26:27], exec
	v_mov_b32_e32 v6, v4
.LBB78_230:                             ;   in Loop: Header=BB78_23 Depth=1
	s_or_b64 exec, exec, s[10:11]
	s_mov_b64 s[2:3], -1
                                        ; implicit-def: $sgpr44_sgpr45
                                        ; implicit-def: $sgpr10_sgpr11
	s_and_saveexec_b64 s[34:35], s[26:27]
	s_cbranch_execz .LBB78_281
; %bb.231:                              ;   in Loop: Header=BB78_23 Depth=1
	s_cmp_eq_u64 s[16:17], 1
	v_cmp_eq_u64_e32 vcc, 1, v[6:7]
	s_cselect_b64 s[2:3], -1, 0
	s_and_b64 s[48:49], s[2:3], vcc
	s_mov_b64 s[2:3], -1
                                        ; implicit-def: $sgpr44_sgpr45
                                        ; implicit-def: $sgpr10_sgpr11
	s_and_saveexec_b64 s[58:59], s[48:49]
	s_cbranch_execz .LBB78_269
; %bb.232:                              ;   in Loop: Header=BB78_23 Depth=1
	ds_read_b64 v[4:5], v3 offset:5120
	v_writelane_b32 v46, s48, 47
	s_mov_b32 s94, s51
	v_writelane_b32 v46, s49, 48
	s_waitcnt lgkmcnt(0)
	v_readfirstlane_b32 s50, v4
	v_readfirstlane_b32 s51, v5
	s_barrier
	s_and_saveexec_b64 s[2:3], s[14:15]
; %bb.233:                              ;   in Loop: Header=BB78_23 Depth=1
	ds_write_b8 v0, v3 offset:3072
; %bb.234:                              ;   in Loop: Header=BB78_23 Depth=1
	s_or_b64 exec, exec, s[2:3]
	v_or_b32_e32 v28, s76, v28
	v_or_b32_e32 v32, s76, v32
	s_mov_b64 s[10:11], -1
	s_mov_b64 s[44:45], 0
	s_cmp_eq_u64 s[50:51], 0
	s_mov_b64 s[46:47], 0
	s_mov_b64 s[26:27], -1
	s_waitcnt lgkmcnt(0)
	s_barrier
                                        ; implicit-def: $vgpr33
	s_cbranch_scc1 .LBB78_250
; %bb.235:                              ;   in Loop: Header=BB78_23 Depth=1
	s_add_u32 s28, s50, s75
	s_addc_u32 s47, s51, s94
	s_mov_b32 s46, s65
	s_cmp_lg_u64 s[46:47], 0
	s_cbranch_scc0 .LBB78_254
; %bb.236:                              ;   in Loop: Header=BB78_23 Depth=1
	v_cvt_f32_u32_e32 v4, s23
	s_sub_u32 s26, 0, s23
	s_subb_u32 s27, 0, 0
	v_mac_f32_e32 v4, 0, v30
	v_rcp_f32_e32 v4, v4
	v_mul_f32_e32 v4, 0x5f7ffffc, v4
	v_mul_f32_e32 v5, 0x2f800000, v4
	v_trunc_f32_e32 v5, v5
	v_mac_f32_e32 v4, 0xcf800000, v5
	v_cvt_u32_f32_e32 v5, v5
	v_cvt_u32_f32_e32 v4, v4
	v_readfirstlane_b32 s29, v5
	v_readfirstlane_b32 s2, v4
	s_mul_i32 s3, s26, s29
	s_mul_hi_u32 s31, s26, s2
	s_mul_i32 s30, s27, s2
	s_add_i32 s3, s31, s3
	s_mul_i32 s46, s26, s2
	s_add_i32 s3, s3, s30
	s_mul_hi_u32 s31, s2, s46
	s_mul_i32 s48, s2, s3
	s_mul_hi_u32 s30, s2, s3
	s_add_u32 s31, s31, s48
	s_addc_u32 s30, 0, s30
	s_mul_hi_u32 s49, s29, s46
	s_mul_i32 s46, s29, s46
	s_add_u32 s31, s31, s46
	s_mul_hi_u32 s48, s29, s3
	s_addc_u32 s30, s30, s49
	s_addc_u32 s31, s48, 0
	s_mul_i32 s3, s29, s3
	s_add_u32 s3, s30, s3
	s_addc_u32 s30, 0, s31
	s_add_u32 s31, s2, s3
	s_cselect_b64 s[2:3], -1, 0
	s_cmp_lg_u64 s[2:3], 0
	s_addc_u32 s29, s29, s30
	s_mul_i32 s2, s26, s29
	s_mul_hi_u32 s3, s26, s31
	s_add_i32 s2, s3, s2
	s_mul_i32 s27, s27, s31
	s_add_i32 s2, s2, s27
	s_mul_i32 s26, s26, s31
	s_mul_hi_u32 s27, s29, s26
	s_mul_i32 s30, s29, s26
	s_mul_i32 s48, s31, s2
	s_mul_hi_u32 s26, s31, s26
	s_mul_hi_u32 s46, s31, s2
	s_add_u32 s26, s26, s48
	s_addc_u32 s46, 0, s46
	s_add_u32 s26, s26, s30
	s_mul_hi_u32 s3, s29, s2
	s_addc_u32 s26, s46, s27
	s_addc_u32 s3, s3, 0
	s_mul_i32 s2, s29, s2
	s_add_u32 s2, s26, s2
	s_addc_u32 s26, 0, s3
	s_add_u32 s27, s31, s2
	s_cselect_b64 s[2:3], -1, 0
	s_cmp_lg_u64 s[2:3], 0
	s_addc_u32 s2, s29, s26
	s_mul_i32 s26, s28, s2
	s_mul_hi_u32 s29, s28, s27
	s_mul_hi_u32 s3, s28, s2
	s_add_u32 s26, s29, s26
	s_addc_u32 s3, 0, s3
	s_mul_hi_u32 s30, s47, s27
	s_mul_i32 s27, s47, s27
	s_add_u32 s26, s26, s27
	s_mul_hi_u32 s29, s47, s2
	s_addc_u32 s3, s3, s30
	s_addc_u32 s26, s29, 0
	s_mul_i32 s2, s47, s2
	s_add_u32 s2, s3, s2
	s_addc_u32 s3, 0, s26
	s_mul_i32 s3, s23, s3
	s_mul_hi_u32 s26, s23, s2
	s_add_i32 s26, s26, s3
	s_mul_i32 s2, s23, s2
	s_sub_u32 s27, s28, s2
	s_cselect_b64 s[2:3], -1, 0
	s_cmp_lg_u64 s[2:3], 0
	s_subb_u32 s26, s47, s26
	s_sub_u32 s29, s27, s23
	s_cselect_b64 s[2:3], -1, 0
	s_cmp_lg_u64 s[2:3], 0
	s_subb_u32 s30, s26, 0
	;; [unrolled: 4-line block ×3, first 2 shown]
	s_cmp_ge_u32 s29, s23
	s_cselect_b32 s3, -1, 0
	s_cmp_eq_u32 s30, 0
	s_cselect_b32 s3, s3, -1
	s_cmp_lg_u32 s3, 0
	s_cselect_b32 s2, s2, s30
	s_cselect_b32 s29, s31, s29
	s_cmp_ge_u32 s27, s23
	s_cselect_b32 s3, -1, 0
	s_cmp_eq_u32 s26, 0
	s_cselect_b32 s3, s3, -1
	s_cmp_lg_u32 s3, 0
	s_cselect_b32 s3, s2, s26
	s_cselect_b32 s2, s29, s27
	s_cbranch_execnz .LBB78_238
.LBB78_237:                             ;   in Loop: Header=BB78_23 Depth=1
	v_cvt_f32_u32_e32 v4, s23
	s_sub_i32 s2, 0, s23
	v_rcp_iflag_f32_e32 v4, v4
	v_mul_f32_e32 v4, 0x4f7ffffe, v4
	v_cvt_u32_f32_e32 v4, v4
	v_readfirstlane_b32 s3, v4
	s_mul_i32 s2, s2, s3
	s_mul_hi_u32 s2, s3, s2
	s_add_i32 s3, s3, s2
	s_mul_hi_u32 s2, s28, s3
	s_mul_i32 s2, s2, s23
	s_sub_i32 s2, s28, s2
	s_sub_i32 s3, s2, s23
	s_cmp_ge_u32 s2, s23
	s_cselect_b32 s2, s3, s2
	s_sub_i32 s3, s2, s23
	s_cmp_ge_u32 s2, s23
	s_cselect_b32 s64, s3, s2
	s_mov_b64 s[2:3], s[64:65]
.LBB78_238:                             ;   in Loop: Header=BB78_23 Depth=1
	s_sub_u32 s2, s28, s2
	s_subb_u32 s3, s47, s3
	v_cmp_gt_u64_e32 vcc, s[2:3], v[0:1]
	s_mov_b64 s[26:27], 0
	s_mov_b64 s[46:47], 0
                                        ; implicit-def: $vgpr33
	s_and_saveexec_b64 s[48:49], vcc
	s_cbranch_execz .LBB78_249
; %bb.239:                              ;   in Loop: Header=BB78_23 Depth=1
	v_mov_b32_e32 v5, v1
	s_mov_b32 s70, s75
	s_mov_b32 s64, s74
	v_mov_b32_e32 v8, v0
	v_mov_b32_e32 v4, v0
                                        ; implicit-def: $sgpr28_sgpr29
	s_branch .LBB78_242
.LBB78_240:                             ;   in Loop: Header=BB78_242 Depth=2
	s_or_b64 exec, exec, s[30:31]
	s_waitcnt lgkmcnt(0)
	s_barrier
	ds_read_u16 v9, v3 offset:3072
	s_mov_b64 s[30:31], -1
	s_waitcnt lgkmcnt(0)
	s_barrier
	v_cmp_ne_u32_sdwa s[74:75], v9, v3 src0_sel:BYTE_0 src1_sel:DWORD
	s_and_b64 vcc, exec, s[74:75]
	s_mov_b64 s[74:75], -1
	s_cbranch_vccz .LBB78_245
.LBB78_241:                             ;   in Loop: Header=BB78_242 Depth=2
	s_and_b64 s[30:31], exec, s[30:31]
	s_or_b64 s[46:47], s[30:31], s[46:47]
	s_andn2_b64 s[28:29], s[28:29], exec
	s_and_b64 s[30:31], s[74:75], exec
	s_or_b64 s[28:29], s[28:29], s[30:31]
	s_andn2_b64 exec, exec, s[46:47]
	s_cbranch_execz .LBB78_248
.LBB78_242:                             ;   Parent Loop BB78_23 Depth=1
                                        ; =>  This Inner Loop Header: Depth=2
	v_cmp_gt_u64_e32 vcc, s[50:51], v[4:5]
	s_and_saveexec_b64 s[30:31], vcc
	s_cbranch_execz .LBB78_240
; %bb.243:                              ;   in Loop: Header=BB78_242 Depth=2
	ds_read_u8 v9, v8
	s_waitcnt lgkmcnt(0)
	v_and_b32_e32 v10, v9, v32
	v_cmp_eq_u32_sdwa s[74:75], v10, v28 src0_sel:BYTE_0 src1_sel:DWORD
	s_and_b64 exec, exec, s[74:75]
	s_cbranch_execz .LBB78_240
; %bb.244:                              ;   in Loop: Header=BB78_242 Depth=2
	v_lshlrev_b16_e32 v9, 8, v9
	v_or_b32_e32 v9, 1, v9
	ds_write_b16 v3, v9 offset:3072
	s_branch .LBB78_240
.LBB78_245:                             ;   in Loop: Header=BB78_242 Depth=2
	v_add_co_u32_e32 v4, vcc, s23, v4
	v_addc_co_u32_e32 v5, vcc, 0, v5, vcc
	v_cmp_le_u64_e32 vcc, s[2:3], v[4:5]
	v_add_u32_e32 v8, s23, v8
	s_mov_b64 s[74:75], 0
	s_orn2_b64 s[30:31], vcc, exec
	s_branch .LBB78_241
.LBB78_246:                             ;   in Loop: Header=BB78_23 Depth=1
                                        ; implicit-def: $sgpr2_sgpr3
	s_branch .LBB78_192
.LBB78_247:                             ;   in Loop: Header=BB78_23 Depth=1
                                        ; implicit-def: $sgpr2_sgpr3
	s_branch .LBB78_208
.LBB78_248:                             ;   in Loop: Header=BB78_23 Depth=1
	s_or_b64 exec, exec, s[46:47]
	v_lshrrev_b32_sdwa v33, v31, v9 dst_sel:DWORD dst_unused:UNUSED_PAD src0_sel:DWORD src1_sel:WORD_0
	s_and_b64 s[46:47], s[28:29], exec
	s_mov_b32 s74, s64
	s_mov_b32 s75, s70
.LBB78_249:                             ;   in Loop: Header=BB78_23 Depth=1
	s_or_b64 exec, exec, s[48:49]
.LBB78_250:                             ;   in Loop: Header=BB78_23 Depth=1
	s_and_b64 vcc, exec, s[26:27]
	s_cbranch_vccz .LBB78_253
; %bb.251:                              ;   in Loop: Header=BB78_23 Depth=1
	s_mov_b32 s70, s65
	s_cmp_lg_u64 s[70:71], 0
	s_mov_b32 s51, s94
	s_cbranch_scc0 .LBB78_255
; %bb.252:                              ;   in Loop: Header=BB78_23 Depth=1
	v_cvt_f32_u32_e32 v4, s23
	s_sub_u32 s10, 0, s23
	s_subb_u32 s11, 0, 0
	v_mac_f32_e32 v4, 0, v30
	v_rcp_f32_e32 v4, v4
	v_mul_f32_e32 v4, 0x5f7ffffc, v4
	v_mul_f32_e32 v5, 0x2f800000, v4
	v_trunc_f32_e32 v5, v5
	v_mac_f32_e32 v4, 0xcf800000, v5
	v_cvt_u32_f32_e32 v5, v5
	v_cvt_u32_f32_e32 v4, v4
	v_readfirstlane_b32 s26, v5
	v_readfirstlane_b32 s2, v4
	s_mul_i32 s3, s10, s26
	s_mul_hi_u32 s28, s10, s2
	s_mul_i32 s27, s11, s2
	s_add_i32 s3, s28, s3
	s_mul_i32 s29, s10, s2
	s_add_i32 s3, s3, s27
	s_mul_hi_u32 s28, s2, s29
	s_mul_i32 s30, s2, s3
	s_mul_hi_u32 s27, s2, s3
	s_add_u32 s28, s28, s30
	s_addc_u32 s27, 0, s27
	s_mul_hi_u32 s31, s26, s29
	s_mul_i32 s29, s26, s29
	s_add_u32 s28, s28, s29
	s_mul_hi_u32 s30, s26, s3
	s_addc_u32 s27, s27, s31
	s_addc_u32 s28, s30, 0
	s_mul_i32 s3, s26, s3
	s_add_u32 s3, s27, s3
	s_addc_u32 s27, 0, s28
	s_add_u32 s28, s2, s3
	s_cselect_b64 s[2:3], -1, 0
	s_cmp_lg_u64 s[2:3], 0
	s_addc_u32 s26, s26, s27
	s_mul_i32 s2, s10, s26
	s_mul_hi_u32 s3, s10, s28
	s_add_i32 s2, s3, s2
	s_mul_i32 s11, s11, s28
	s_add_i32 s2, s2, s11
	s_mul_i32 s10, s10, s28
	s_mul_hi_u32 s11, s26, s10
	s_mul_i32 s27, s26, s10
	s_mul_i32 s30, s28, s2
	s_mul_hi_u32 s10, s28, s10
	s_mul_hi_u32 s29, s28, s2
	s_add_u32 s10, s10, s30
	s_addc_u32 s29, 0, s29
	s_add_u32 s10, s10, s27
	s_mul_hi_u32 s3, s26, s2
	s_addc_u32 s10, s29, s11
	s_addc_u32 s3, s3, 0
	s_mul_i32 s2, s26, s2
	s_add_u32 s2, s10, s2
	s_addc_u32 s10, 0, s3
	s_add_u32 s11, s28, s2
	s_cselect_b64 s[2:3], -1, 0
	s_cmp_lg_u64 s[2:3], 0
	s_addc_u32 s2, s26, s10
	s_mul_i32 s10, s77, s2
	s_mul_hi_u32 s26, s77, s11
	s_mul_hi_u32 s3, s77, s2
	s_add_u32 s10, s26, s10
	s_addc_u32 s3, 0, s3
	s_mul_hi_u32 s27, s71, s11
	s_mul_i32 s11, s71, s11
	s_add_u32 s10, s10, s11
	s_mul_hi_u32 s26, s71, s2
	s_addc_u32 s3, s3, s27
	s_addc_u32 s10, s26, 0
	s_mul_i32 s2, s71, s2
	s_add_u32 s2, s3, s2
	s_addc_u32 s3, 0, s10
	s_mul_i32 s3, s23, s3
	s_mul_hi_u32 s10, s23, s2
	s_add_i32 s10, s10, s3
	s_mul_i32 s2, s23, s2
	s_sub_u32 s11, s77, s2
	s_cselect_b64 s[2:3], -1, 0
	s_cmp_lg_u64 s[2:3], 0
	s_subb_u32 s10, s71, s10
	s_sub_u32 s26, s11, s23
	s_cselect_b64 s[2:3], -1, 0
	s_cmp_lg_u64 s[2:3], 0
	s_subb_u32 s27, s10, 0
	;; [unrolled: 4-line block ×3, first 2 shown]
	s_cmp_ge_u32 s26, s23
	s_cselect_b32 s3, -1, 0
	s_cmp_eq_u32 s27, 0
	s_cselect_b32 s3, s3, -1
	s_cmp_lg_u32 s3, 0
	s_cselect_b32 s2, s2, s27
	s_cselect_b32 s26, s28, s26
	s_cmp_ge_u32 s11, s23
	s_cselect_b32 s3, -1, 0
	s_cmp_eq_u32 s10, 0
	s_cselect_b32 s3, s3, -1
	s_cmp_lg_u32 s3, 0
	s_cselect_b32 s3, s2, s10
	s_cselect_b32 s2, s26, s11
	s_mov_b64 s[10:11], 0
	s_branch .LBB78_256
.LBB78_253:                             ;   in Loop: Header=BB78_23 Depth=1
	v_readlane_b32 s48, v46, 47
	s_mov_b32 s51, s94
	v_readlane_b32 s49, v46, 48
	s_branch .LBB78_268
.LBB78_254:                             ;   in Loop: Header=BB78_23 Depth=1
                                        ; implicit-def: $sgpr2_sgpr3
	s_andn2_b64 vcc, exec, s[26:27]
	s_cbranch_vccz .LBB78_237
	s_branch .LBB78_238
.LBB78_255:                             ;   in Loop: Header=BB78_23 Depth=1
	s_mov_b64 s[10:11], -1
                                        ; implicit-def: $sgpr2_sgpr3
.LBB78_256:                             ;   in Loop: Header=BB78_23 Depth=1
	v_readlane_b32 s48, v46, 47
	v_readlane_b32 s49, v46, 48
	s_andn2_b64 vcc, exec, s[10:11]
	s_cbranch_vccnz .LBB78_258
; %bb.257:                              ;   in Loop: Header=BB78_23 Depth=1
	v_cvt_f32_u32_e32 v4, s23
	s_sub_i32 s2, 0, s23
	v_rcp_iflag_f32_e32 v4, v4
	v_mul_f32_e32 v4, 0x4f7ffffe, v4
	v_cvt_u32_f32_e32 v4, v4
	v_readfirstlane_b32 s3, v4
	s_mul_i32 s2, s2, s3
	s_mul_hi_u32 s2, s3, s2
	s_add_i32 s3, s3, s2
	s_mul_hi_u32 s2, s77, s3
	s_mul_i32 s2, s2, s23
	s_sub_i32 s2, s77, s2
	s_sub_i32 s3, s2, s23
	s_cmp_ge_u32 s2, s23
	s_cselect_b32 s2, s3, s2
	s_sub_i32 s3, s2, s23
	s_cmp_ge_u32 s2, s23
	s_cselect_b32 s64, s3, s2
	s_mov_b64 s[2:3], s[64:65]
.LBB78_258:                             ;   in Loop: Header=BB78_23 Depth=1
	s_sub_u32 s2, s77, s2
	s_subb_u32 s3, s71, s3
	v_cmp_gt_u64_e32 vcc, s[2:3], v[0:1]
                                        ; implicit-def: $vgpr33
	s_and_saveexec_b64 s[10:11], vcc
	s_cbranch_execz .LBB78_267
; %bb.259:                              ;   in Loop: Header=BB78_23 Depth=1
	v_mov_b32_e32 v5, v1
	s_mov_b64 s[26:27], 0
	v_mov_b32_e32 v4, v0
                                        ; implicit-def: $sgpr44_sgpr45
	s_branch .LBB78_262
.LBB78_260:                             ;   in Loop: Header=BB78_262 Depth=2
	s_or_b64 exec, exec, s[28:29]
	s_waitcnt lgkmcnt(0)
	s_barrier
	ds_read_u16 v8, v3 offset:3072
	s_mov_b64 s[28:29], -1
	s_waitcnt lgkmcnt(0)
	s_barrier
	v_cmp_eq_u32_sdwa s[30:31], v8, v3 src0_sel:BYTE_0 src1_sel:DWORD
	s_and_b64 vcc, exec, s[30:31]
	s_mov_b64 s[30:31], -1
	s_cbranch_vccnz .LBB78_265
.LBB78_261:                             ;   in Loop: Header=BB78_262 Depth=2
	s_and_b64 s[28:29], exec, s[28:29]
	s_or_b64 s[26:27], s[28:29], s[26:27]
	s_andn2_b64 s[28:29], s[44:45], exec
	s_and_b64 s[30:31], s[30:31], exec
	s_or_b64 s[44:45], s[28:29], s[30:31]
	s_andn2_b64 exec, exec, s[26:27]
	s_cbranch_execz .LBB78_266
.LBB78_262:                             ;   Parent Loop BB78_23 Depth=1
                                        ; =>  This Inner Loop Header: Depth=2
	v_cmp_gt_u64_e32 vcc, s[24:25], v[4:5]
	s_and_saveexec_b64 s[28:29], vcc
	s_cbranch_execz .LBB78_260
; %bb.263:                              ;   in Loop: Header=BB78_262 Depth=2
	v_mov_b32_e32 v8, s62
	v_mov_b32_e32 v9, s63
	v_mad_u64_u32 v[8:9], s[30:31], v4, s52, v[8:9]
	v_mul_lo_u32 v10, v4, s53
	v_mul_lo_u32 v11, v5, s52
	v_add3_u32 v9, v11, v9, v10
	global_load_ubyte v8, v[8:9], off
	s_waitcnt vmcnt(0)
	v_and_b32_e32 v9, v8, v32
	v_cmp_eq_u32_sdwa s[30:31], v9, v28 src0_sel:BYTE_0 src1_sel:DWORD
	s_and_b64 exec, exec, s[30:31]
	s_cbranch_execz .LBB78_260
; %bb.264:                              ;   in Loop: Header=BB78_262 Depth=2
	v_lshlrev_b16_e32 v8, 8, v8
	v_or_b32_e32 v8, 1, v8
	ds_write_b16 v3, v8 offset:3072
	s_branch .LBB78_260
.LBB78_265:                             ;   in Loop: Header=BB78_262 Depth=2
	v_add_co_u32_e32 v4, vcc, s23, v4
	v_addc_co_u32_e32 v5, vcc, 0, v5, vcc
	v_cmp_le_u64_e32 vcc, s[2:3], v[4:5]
	s_mov_b64 s[30:31], 0
	s_orn2_b64 s[28:29], vcc, exec
	s_branch .LBB78_261
.LBB78_266:                             ;   in Loop: Header=BB78_23 Depth=1
	s_or_b64 exec, exec, s[26:27]
	s_andn2_b64 s[2:3], s[46:47], exec
	s_and_b64 s[26:27], s[44:45], exec
	v_lshrrev_b32_sdwa v33, v31, v8 dst_sel:DWORD dst_unused:UNUSED_PAD src0_sel:DWORD src1_sel:WORD_0
	s_or_b64 s[46:47], s[2:3], s[26:27]
.LBB78_267:                             ;   in Loop: Header=BB78_23 Depth=1
	s_or_b64 exec, exec, s[10:11]
	s_mov_b64 s[10:11], 0
	s_mov_b64 s[44:45], -1
.LBB78_268:                             ;   in Loop: Header=BB78_23 Depth=1
	s_orn2_b64 s[2:3], s[46:47], exec
.LBB78_269:                             ;   in Loop: Header=BB78_23 Depth=1
	s_or_b64 exec, exec, s[58:59]
	s_mov_b64 s[26:27], 0
	s_and_saveexec_b64 s[46:47], s[2:3]
	s_cbranch_execz .LBB78_280
; %bb.270:                              ;   in Loop: Header=BB78_23 Depth=1
	v_mov_b32_e32 v4, 1
	s_xor_b64 s[2:3], s[48:49], -1
	v_mov_b32_e32 v5, 0
	v_mov_b32_e32 v2, 1
	s_and_saveexec_b64 s[26:27], s[2:3]
	s_cbranch_execz .LBB78_279
; %bb.271:                              ;   in Loop: Header=BB78_23 Depth=1
	v_cmp_ge_u64_e32 vcc, s[16:17], v[6:7]
	s_and_saveexec_b64 s[2:3], vcc
	s_xor_b64 s[2:3], exec, s[2:3]
	s_cbranch_execz .LBB78_276
; %bb.272:                              ;   in Loop: Header=BB78_23 Depth=1
	ds_read_b64 v[4:5], v3 offset:5120
	v_or_b32_e32 v28, s76, v28
	v_or_b32_e32 v32, s76, v32
	s_waitcnt lgkmcnt(0)
	v_cmp_ne_u64_e32 vcc, 0, v[4:5]
	s_cbranch_vccnz .LBB78_276
; %bb.273:                              ;   in Loop: Header=BB78_23 Depth=1
	s_mov_b64 s[28:29], exec
	v_readlane_b32 s30, v46, 16
	v_readlane_b32 s31, v46, 17
	s_and_b64 s[30:31], s[28:29], s[30:31]
	s_mov_b64 exec, s[30:31]
; %bb.274:                              ;   in Loop: Header=BB78_23 Depth=1
	v_mov_b32_e32 v4, s16
	v_mov_b32_e32 v5, s17
	ds_write_b64 v3, v[4:5] offset:5128
; %bb.275:                              ;   in Loop: Header=BB78_23 Depth=1
	s_or_b64 exec, exec, s[28:29]
	s_waitcnt lgkmcnt(0)
	s_barrier
.LBB78_276:                             ;   in Loop: Header=BB78_23 Depth=1
	s_andn2_saveexec_b64 s[2:3], s[2:3]
; %bb.277:                              ;   in Loop: Header=BB78_23 Depth=1
	v_mov_b32_e32 v2, s17
	v_subrev_co_u32_e32 v6, vcc, s16, v6
	v_subb_co_u32_e32 v7, vcc, v7, v2, vcc
; %bb.278:                              ;   in Loop: Header=BB78_23 Depth=1
	s_or_b64 exec, exec, s[2:3]
	v_mov_b32_e32 v4, v6
	v_mov_b32_e32 v2, 8
	;; [unrolled: 1-line block ×3, first 2 shown]
.LBB78_279:                             ;   in Loop: Header=BB78_23 Depth=1
	s_or_b64 exec, exec, s[26:27]
	v_mov_b32_e32 v7, v5
	s_mov_b64 s[26:27], exec
	v_mov_b32_e32 v6, v4
.LBB78_280:                             ;   in Loop: Header=BB78_23 Depth=1
	s_or_b64 exec, exec, s[46:47]
	s_orn2_b64 s[2:3], s[26:27], exec
.LBB78_281:                             ;   in Loop: Header=BB78_23 Depth=1
	s_or_b64 exec, exec, s[34:35]
	s_andn2_b64 s[16:17], s[60:61], exec
	s_and_b64 s[26:27], s[44:45], exec
	s_or_b64 s[60:61], s[16:17], s[26:27]
	s_andn2_b64 s[16:17], s[42:43], exec
	s_and_b64 s[10:11], s[10:11], exec
	v_mov_b32_e32 v4, v6
	s_or_b64 s[42:43], s[16:17], s[10:11]
	s_and_b64 s[10:11], s[2:3], exec
	v_mov_b32_e32 v5, v7
.LBB78_282:                             ;   in Loop: Header=BB78_23 Depth=1
	s_or_b64 exec, exec, s[12:13]
	s_orn2_b64 s[2:3], s[10:11], exec
.LBB78_283:                             ;   in Loop: Header=BB78_23 Depth=1
	s_or_b64 exec, exec, s[40:41]
	s_andn2_b64 s[10:11], s[56:57], exec
	s_and_b64 s[12:13], s[60:61], exec
	s_or_b64 s[56:57], s[10:11], s[12:13]
	s_andn2_b64 s[6:7], s[6:7], exec
	s_and_b64 s[10:11], s[42:43], exec
	v_mov_b32_e32 v9, v5
	s_or_b64 s[6:7], s[6:7], s[10:11]
	s_and_b64 s[10:11], s[2:3], exec
	v_mov_b32_e32 v8, v4
.LBB78_284:                             ;   in Loop: Header=BB78_23 Depth=1
	s_or_b64 exec, exec, s[54:55]
	s_orn2_b64 s[2:3], s[10:11], exec
.LBB78_285:                             ;   in Loop: Header=BB78_23 Depth=1
	s_or_b64 exec, exec, s[92:93]
	s_mov_b64 s[10:11], 0
	s_and_saveexec_b64 s[12:13], s[2:3]
	s_xor_b64 s[2:3], exec, s[12:13]
	s_cbranch_execz .LBB78_21
; %bb.286:                              ;   in Loop: Header=BB78_23 Depth=1
	v_and_b32_e32 v2, 7, v2
	v_cmp_eq_u32_e32 vcc, 0, v2
	s_mov_b64 s[12:13], -1
	s_mov_b64 s[10:11], -1
	s_and_saveexec_b64 s[16:17], vcc
	s_cbranch_execz .LBB78_20
; %bb.287:                              ;   in Loop: Header=BB78_23 Depth=1
	s_xor_b32 s33, s33, 1
	s_add_i32 s20, s1, -2
	s_cmp_eq_u32 s1, 0
	s_cselect_b64 s[12:13], -1, 0
	s_xor_b64 s[10:11], exec, -1
	s_orn2_b64 s[12:13], s[12:13], exec
	s_mov_b32 s1, s20
	s_branch .LBB78_20
.LBB78_288:
	s_or_b64 exec, exec, s[78:79]
	s_xor_b64 s[4:5], s[84:85], -1
	s_xor_b64 s[0:1], s[80:81], -1
	s_xor_b64 s[6:7], s[82:83], -1
	s_mov_b64 s[2:3], 0
	s_and_saveexec_b64 s[8:9], s[0:1]
	s_xor_b64 s[0:1], exec, s[8:9]
	s_cbranch_execnz .LBB78_293
; %bb.289:
	s_andn2_saveexec_b64 s[0:1], s[0:1]
	s_cbranch_execnz .LBB78_306
.LBB78_290:
	s_or_b64 exec, exec, s[0:1]
	s_and_saveexec_b64 s[0:1], s[2:3]
.LBB78_291:
	; divergent unreachable
.LBB78_292:
	s_endpgm
.LBB78_293:
	s_and_saveexec_b64 s[2:3], s[4:5]
	s_xor_b64 s[4:5], exec, s[2:3]
	s_cbranch_execz .LBB78_304
; %bb.294:
	s_and_saveexec_b64 s[2:3], s[6:7]
	s_xor_b64 s[2:3], exec, s[2:3]
; %bb.295:
	v_mov_b32_e32 v33, v28
; %bb.296:
	s_or_b64 exec, exec, s[2:3]
	v_readlane_b32 s8, v46, 8
	v_readlane_b32 s2, v46, 4
	;; [unrolled: 1-line block ×4, first 2 shown]
	s_mov_b32 s14, s2
	s_mul_i32 s2, s2, s9
	s_mul_hi_u32 s3, s14, s8
	s_add_i32 s3, s3, s2
	s_mul_i32 s2, s14, s8
	v_readlane_b32 s12, v46, 6
	v_readlane_b32 s16, v46, 26
	;; [unrolled: 1-line block ×3, first 2 shown]
	s_sub_u32 s2, s12, s2
	v_readlane_b32 s18, v46, 28
	v_readlane_b32 s19, v46, 29
	s_subb_u32 s3, s13, s3
	s_mul_i32 s6, s2, s19
	s_mul_hi_u32 s7, s2, s18
	v_readlane_b32 s10, v46, 10
	v_readlane_b32 s11, v46, 11
	;; [unrolled: 1-line block ×3, first 2 shown]
	s_add_i32 s6, s7, s6
	s_mul_i32 s3, s3, s18
	s_add_i32 s6, s6, s3
	s_mul_i32 s3, s14, s17
	s_mul_hi_u32 s7, s14, s16
	s_mul_i32 s8, s12, s11
	s_mul_hi_u32 s9, s12, s10
	s_add_i32 s7, s7, s3
	s_add_i32 s9, s9, s8
	s_mul_i32 s8, s12, s10
	v_readlane_b32 s12, v46, 24
	s_sub_u32 s8, s74, s8
	v_readlane_b32 s13, v46, 25
	s_subb_u32 s9, 0, s9
	s_mul_i32 s10, s8, s13
	s_mul_hi_u32 s11, s8, s12
	s_add_i32 s10, s11, s10
	s_mul_i32 s9, s9, s12
	s_mul_i32 s3, s14, s16
	s_add_i32 s10, s10, s9
	s_mul_i32 s8, s8, s12
	v_readlane_b32 s12, v46, 32
	v_readlane_b32 s13, v46, 33
	s_add_u32 s3, s12, s3
	s_mul_i32 s2, s2, s18
	s_addc_u32 s7, s13, s7
	s_add_u32 s2, s3, s2
	s_addc_u32 s3, s7, s6
	s_add_u32 s2, s2, s8
	s_addc_u32 s3, s3, s10
	v_mov_b32_e32 v2, 0
	global_store_byte v2, v33, s[2:3]
	s_mov_b64 s[6:7], exec
	v_readlane_b32 s2, v46, 34
	v_readlane_b32 s3, v46, 35
	s_and_b64 s[2:3], s[6:7], s[2:3]
	s_mov_b64 exec, s[2:3]
	s_cbranch_execz .LBB78_303
; %bb.297:
	v_mov_b32_e32 v4, s62
	s_mov_b64 s[2:3], 0
	v_mov_b32_e32 v5, s63
                                        ; implicit-def: $sgpr8_sgpr9
                                        ; implicit-def: $sgpr12_sgpr13
                                        ; implicit-def: $sgpr10_sgpr11
	s_branch .LBB78_299
.LBB78_298:                             ;   in Loop: Header=BB78_299 Depth=1
	s_or_b64 exec, exec, s[14:15]
	s_and_b64 s[14:15], exec, s[12:13]
	s_or_b64 s[2:3], s[14:15], s[2:3]
	s_andn2_b64 s[8:9], s[8:9], exec
	s_and_b64 s[14:15], s[10:11], exec
	s_or_b64 s[8:9], s[8:9], s[14:15]
	s_andn2_b64 exec, exec, s[2:3]
	s_cbranch_execz .LBB78_301
.LBB78_299:                             ; =>This Inner Loop Header: Depth=1
	v_mov_b32_e32 v3, v1
	v_mov_b32_e32 v2, v0
	v_mad_u64_u32 v[0:1], s[14:15], v2, s52, v[4:5]
	v_mul_lo_u32 v6, v2, s53
	v_mul_lo_u32 v7, v3, s52
	s_or_b64 s[10:11], s[10:11], exec
	s_or_b64 s[12:13], s[12:13], exec
	v_add3_u32 v1, v7, v1, v6
	global_load_ubyte v0, v[0:1], off
	s_waitcnt vmcnt(0)
	v_cmp_ne_u16_sdwa s[16:17], v0, v33 src0_sel:DWORD src1_sel:BYTE_0
                                        ; implicit-def: $vgpr0_vgpr1
	s_and_saveexec_b64 s[14:15], s[16:17]
	s_cbranch_execz .LBB78_298
; %bb.300:                              ;   in Loop: Header=BB78_299 Depth=1
	v_add_co_u32_e32 v0, vcc, s23, v2
	v_addc_co_u32_e32 v1, vcc, 0, v3, vcc
	v_cmp_le_u64_e32 vcc, s[24:25], v[0:1]
	s_andn2_b64 s[12:13], s[12:13], exec
	s_and_b64 s[16:17], vcc, exec
	s_andn2_b64 s[10:11], s[10:11], exec
	s_or_b64 s[12:13], s[12:13], s[16:17]
	s_branch .LBB78_298
.LBB78_301:
	s_or_b64 exec, exec, s[2:3]
	s_and_saveexec_b64 s[2:3], s[8:9]
	s_xor_b64 s[2:3], exec, s[2:3]
	s_cbranch_execz .LBB78_303
; %bb.302:
	v_readlane_b32 s12, v46, 0
	v_readlane_b32 s2, v46, 14
	;; [unrolled: 1-line block ×4, first 2 shown]
	s_mov_b32 s10, s2
	s_mul_i32 s2, s2, s13
	s_mul_hi_u32 s3, s10, s12
	s_add_i32 s3, s3, s2
	s_mul_i32 s2, s10, s12
	v_readlane_b32 s12, v46, 12
	v_readlane_b32 s16, v46, 20
	;; [unrolled: 1-line block ×3, first 2 shown]
	s_sub_u32 s2, s12, s2
	v_readlane_b32 s18, v46, 22
	v_readlane_b32 s19, v46, 23
	s_subb_u32 s3, s13, s3
	s_mul_i32 s8, s2, s19
	s_mul_hi_u32 s9, s2, s18
	v_readlane_b32 s17, v46, 21
	s_add_i32 s8, s9, s8
	s_mul_i32 s3, s3, s18
	v_readlane_b32 s14, v46, 2
	v_readlane_b32 s15, v46, 3
	s_add_i32 s3, s8, s3
	s_mul_i32 s8, s10, s17
	s_mul_hi_u32 s9, s10, s16
	s_add_i32 s9, s9, s8
	s_mul_i32 s8, s10, s16
	s_mul_i32 s10, s12, s15
	s_mul_hi_u32 s11, s12, s14
	s_add_i32 s11, s11, s10
	s_mul_i32 s10, s12, s14
	v_readlane_b32 s14, v46, 18
	s_sub_u32 s10, s74, s10
	v_readlane_b32 s15, v46, 19
	s_subb_u32 s11, 0, s11
	s_mul_i32 s12, s10, s15
	s_mul_hi_u32 s13, s10, s14
	s_add_i32 s12, s13, s12
	s_mul_i32 s11, s11, s14
	s_add_i32 s11, s12, s11
	s_lshl_b64 s[8:9], s[8:9], 3
	v_readlane_b32 s12, v46, 30
	s_mul_i32 s2, s2, s18
	v_readlane_b32 s13, v46, 31
	s_add_u32 s8, s12, s8
	s_addc_u32 s9, s13, s9
	s_lshl_b64 s[2:3], s[2:3], 3
	s_mul_i32 s10, s10, s14
	s_add_u32 s8, s8, s2
	s_addc_u32 s9, s9, s3
	s_lshl_b64 s[2:3], s[10:11], 3
	s_add_u32 s2, s8, s2
	s_addc_u32 s3, s9, s3
	v_mov_b32_e32 v0, 0
	global_store_dwordx2 v0, v[2:3], s[2:3]
.LBB78_303:
	s_or_b64 exec, exec, s[6:7]
.LBB78_304:
	s_or_saveexec_b64 s[2:3], s[4:5]
	s_mov_b64 s[4:5], 0
	s_xor_b64 exec, exec, s[2:3]
	s_cbranch_execnz .LBB78_307
.LBB78_305:
	s_or_b64 exec, exec, s[2:3]
	s_and_b64 s[2:3], s[4:5], exec
	s_andn2_saveexec_b64 s[0:1], s[0:1]
	s_cbranch_execz .LBB78_290
.LBB78_306:
	s_or_b64 s[2:3], s[2:3], exec
	s_trap 2
	s_or_b64 exec, exec, s[0:1]
	s_and_saveexec_b64 s[0:1], s[2:3]
	s_cbranch_execnz .LBB78_291
	s_branch .LBB78_292
.LBB78_307:
	s_mov_b64 s[4:5], exec
	s_trap 2
	s_branch .LBB78_305
	.section	.rodata,"a",@progbits
	.p2align	6, 0x0
	.amdhsa_kernel _ZN2at6native12_GLOBAL__N_112gatherMedianIhmLi3EEEvNS_4cuda6detail10TensorInfoIT_T0_EENS5_IlS7_EENS5_IKS6_S7_EES7_S7_S7_b
		.amdhsa_group_segment_fixed_size 5152
		.amdhsa_private_segment_fixed_size 0
		.amdhsa_kernarg_size 1536
		.amdhsa_user_sgpr_count 6
		.amdhsa_user_sgpr_private_segment_buffer 1
		.amdhsa_user_sgpr_dispatch_ptr 0
		.amdhsa_user_sgpr_queue_ptr 0
		.amdhsa_user_sgpr_kernarg_segment_ptr 1
		.amdhsa_user_sgpr_dispatch_id 0
		.amdhsa_user_sgpr_flat_scratch_init 0
		.amdhsa_user_sgpr_private_segment_size 0
		.amdhsa_uses_dynamic_stack 0
		.amdhsa_system_sgpr_private_segment_wavefront_offset 0
		.amdhsa_system_sgpr_workgroup_id_x 1
		.amdhsa_system_sgpr_workgroup_id_y 1
		.amdhsa_system_sgpr_workgroup_id_z 1
		.amdhsa_system_sgpr_workgroup_info 0
		.amdhsa_system_vgpr_workitem_id 0
		.amdhsa_next_free_vgpr 47
		.amdhsa_next_free_sgpr 96
		.amdhsa_reserve_vcc 1
		.amdhsa_reserve_flat_scratch 0
		.amdhsa_float_round_mode_32 0
		.amdhsa_float_round_mode_16_64 0
		.amdhsa_float_denorm_mode_32 3
		.amdhsa_float_denorm_mode_16_64 3
		.amdhsa_dx10_clamp 1
		.amdhsa_ieee_mode 1
		.amdhsa_fp16_overflow 0
		.amdhsa_exception_fp_ieee_invalid_op 0
		.amdhsa_exception_fp_denorm_src 0
		.amdhsa_exception_fp_ieee_div_zero 0
		.amdhsa_exception_fp_ieee_overflow 0
		.amdhsa_exception_fp_ieee_underflow 0
		.amdhsa_exception_fp_ieee_inexact 0
		.amdhsa_exception_int_div_zero 0
	.end_amdhsa_kernel
	.section	.text._ZN2at6native12_GLOBAL__N_112gatherMedianIhmLi3EEEvNS_4cuda6detail10TensorInfoIT_T0_EENS5_IlS7_EENS5_IKS6_S7_EES7_S7_S7_b,"axG",@progbits,_ZN2at6native12_GLOBAL__N_112gatherMedianIhmLi3EEEvNS_4cuda6detail10TensorInfoIT_T0_EENS5_IlS7_EENS5_IKS6_S7_EES7_S7_S7_b,comdat
.Lfunc_end78:
	.size	_ZN2at6native12_GLOBAL__N_112gatherMedianIhmLi3EEEvNS_4cuda6detail10TensorInfoIT_T0_EENS5_IlS7_EENS5_IKS6_S7_EES7_S7_S7_b, .Lfunc_end78-_ZN2at6native12_GLOBAL__N_112gatherMedianIhmLi3EEEvNS_4cuda6detail10TensorInfoIT_T0_EENS5_IlS7_EENS5_IKS6_S7_EES7_S7_S7_b
                                        ; -- End function
	.set _ZN2at6native12_GLOBAL__N_112gatherMedianIhmLi3EEEvNS_4cuda6detail10TensorInfoIT_T0_EENS5_IlS7_EENS5_IKS6_S7_EES7_S7_S7_b.num_vgpr, 47
	.set _ZN2at6native12_GLOBAL__N_112gatherMedianIhmLi3EEEvNS_4cuda6detail10TensorInfoIT_T0_EENS5_IlS7_EENS5_IKS6_S7_EES7_S7_S7_b.num_agpr, 0
	.set _ZN2at6native12_GLOBAL__N_112gatherMedianIhmLi3EEEvNS_4cuda6detail10TensorInfoIT_T0_EENS5_IlS7_EENS5_IKS6_S7_EES7_S7_S7_b.numbered_sgpr, 96
	.set _ZN2at6native12_GLOBAL__N_112gatherMedianIhmLi3EEEvNS_4cuda6detail10TensorInfoIT_T0_EENS5_IlS7_EENS5_IKS6_S7_EES7_S7_S7_b.num_named_barrier, 0
	.set _ZN2at6native12_GLOBAL__N_112gatherMedianIhmLi3EEEvNS_4cuda6detail10TensorInfoIT_T0_EENS5_IlS7_EENS5_IKS6_S7_EES7_S7_S7_b.private_seg_size, 0
	.set _ZN2at6native12_GLOBAL__N_112gatherMedianIhmLi3EEEvNS_4cuda6detail10TensorInfoIT_T0_EENS5_IlS7_EENS5_IKS6_S7_EES7_S7_S7_b.uses_vcc, 1
	.set _ZN2at6native12_GLOBAL__N_112gatherMedianIhmLi3EEEvNS_4cuda6detail10TensorInfoIT_T0_EENS5_IlS7_EENS5_IKS6_S7_EES7_S7_S7_b.uses_flat_scratch, 0
	.set _ZN2at6native12_GLOBAL__N_112gatherMedianIhmLi3EEEvNS_4cuda6detail10TensorInfoIT_T0_EENS5_IlS7_EENS5_IKS6_S7_EES7_S7_S7_b.has_dyn_sized_stack, 0
	.set _ZN2at6native12_GLOBAL__N_112gatherMedianIhmLi3EEEvNS_4cuda6detail10TensorInfoIT_T0_EENS5_IlS7_EENS5_IKS6_S7_EES7_S7_S7_b.has_recursion, 0
	.set _ZN2at6native12_GLOBAL__N_112gatherMedianIhmLi3EEEvNS_4cuda6detail10TensorInfoIT_T0_EENS5_IlS7_EENS5_IKS6_S7_EES7_S7_S7_b.has_indirect_call, 0
	.section	.AMDGPU.csdata,"",@progbits
; Kernel info:
; codeLenInByte = 16272
; TotalNumSgprs: 100
; NumVgprs: 47
; ScratchSize: 0
; MemoryBound: 0
; FloatMode: 240
; IeeeMode: 1
; LDSByteSize: 5152 bytes/workgroup (compile time only)
; SGPRBlocks: 12
; VGPRBlocks: 11
; NumSGPRsForWavesPerEU: 100
; NumVGPRsForWavesPerEU: 47
; Occupancy: 5
; WaveLimiterHint : 1
; COMPUTE_PGM_RSRC2:SCRATCH_EN: 0
; COMPUTE_PGM_RSRC2:USER_SGPR: 6
; COMPUTE_PGM_RSRC2:TRAP_HANDLER: 0
; COMPUTE_PGM_RSRC2:TGID_X_EN: 1
; COMPUTE_PGM_RSRC2:TGID_Y_EN: 1
; COMPUTE_PGM_RSRC2:TGID_Z_EN: 1
; COMPUTE_PGM_RSRC2:TIDIG_COMP_CNT: 0
	.section	.text._ZN2at6native12_GLOBAL__N_112gatherMedianIhmLin1EEEvNS_4cuda6detail10TensorInfoIT_T0_EENS5_IlS7_EENS5_IKS6_S7_EES7_S7_S7_b,"axG",@progbits,_ZN2at6native12_GLOBAL__N_112gatherMedianIhmLin1EEEvNS_4cuda6detail10TensorInfoIT_T0_EENS5_IlS7_EENS5_IKS6_S7_EES7_S7_S7_b,comdat
	.globl	_ZN2at6native12_GLOBAL__N_112gatherMedianIhmLin1EEEvNS_4cuda6detail10TensorInfoIT_T0_EENS5_IlS7_EENS5_IKS6_S7_EES7_S7_S7_b ; -- Begin function _ZN2at6native12_GLOBAL__N_112gatherMedianIhmLin1EEEvNS_4cuda6detail10TensorInfoIT_T0_EENS5_IlS7_EENS5_IKS6_S7_EES7_S7_S7_b
	.p2align	8
	.type	_ZN2at6native12_GLOBAL__N_112gatherMedianIhmLin1EEEvNS_4cuda6detail10TensorInfoIT_T0_EENS5_IlS7_EENS5_IKS6_S7_EES7_S7_S7_b,@function
_ZN2at6native12_GLOBAL__N_112gatherMedianIhmLin1EEEvNS_4cuda6detail10TensorInfoIT_T0_EENS5_IlS7_EENS5_IKS6_S7_EES7_S7_S7_b: ; @_ZN2at6native12_GLOBAL__N_112gatherMedianIhmLin1EEEvNS_4cuda6detail10TensorInfoIT_T0_EENS5_IlS7_EENS5_IKS6_S7_EES7_S7_S7_b
; %bb.0:
	s_load_dwordx2 s[10:11], s[4:5], 0x500
	s_load_dwordx4 s[24:27], s[4:5], 0x4e0
	s_add_u32 s12, s4, 0x500
	s_addc_u32 s13, s5, 0
	s_mov_b32 s1, 0
	s_waitcnt lgkmcnt(0)
	s_mul_i32 s0, s11, s8
	s_add_i32 s0, s0, s7
	s_mul_i32 s0, s0, s10
	s_add_i32 s0, s0, s6
	v_mov_b32_e32 v2, s1
	v_mov_b32_e32 v1, s0
	v_cmp_le_u64_e32 vcc, s[26:27], v[1:2]
	s_cbranch_vccnz .LBB79_307
; %bb.1:
	s_load_dword s2, s[4:5], 0x198
	s_load_dwordx2 s[26:27], s[4:5], 0x4f0
	s_mov_b64 s[22:23], 0
	s_mov_b64 s[30:31], s[0:1]
	s_waitcnt lgkmcnt(0)
	s_cmp_lt_i32 s2, 2
	s_cbranch_scc1 .LBB79_9
; %bb.2:
	s_add_i32 s7, s2, 1
	s_add_i32 s8, s2, -1
	s_mov_b32 s2, 0
	s_mov_b32 s9, s2
	s_lshl_b64 s[8:9], s[8:9], 3
	s_add_u32 s3, s4, s8
	s_addc_u32 s9, s5, s9
	s_add_u32 s8, s3, 8
	s_addc_u32 s9, s9, 0
	s_mov_b64 s[14:15], s[0:1]
.LBB79_3:                               ; =>This Inner Loop Header: Depth=1
	s_load_dwordx2 s[16:17], s[8:9], 0x0
	s_waitcnt lgkmcnt(0)
	s_or_b64 s[18:19], s[14:15], s[16:17]
	s_mov_b32 s3, s19
	s_cmp_lg_u64 s[2:3], 0
	s_cbranch_scc0 .LBB79_8
; %bb.4:                                ;   in Loop: Header=BB79_3 Depth=1
	v_cvt_f32_u32_e32 v1, s16
	v_cvt_f32_u32_e32 v2, s17
	s_sub_u32 s3, 0, s16
	s_subb_u32 s11, 0, s17
	v_mac_f32_e32 v1, 0x4f800000, v2
	v_rcp_f32_e32 v1, v1
	v_mul_f32_e32 v1, 0x5f7ffffc, v1
	v_mul_f32_e32 v2, 0x2f800000, v1
	v_trunc_f32_e32 v2, v2
	v_mac_f32_e32 v1, 0xcf800000, v2
	v_cvt_u32_f32_e32 v2, v2
	v_cvt_u32_f32_e32 v1, v1
	v_readfirstlane_b32 s20, v2
	v_readfirstlane_b32 s18, v1
	s_mul_i32 s19, s3, s20
	s_mul_hi_u32 s28, s3, s18
	s_mul_i32 s21, s11, s18
	s_add_i32 s19, s28, s19
	s_mul_i32 s29, s3, s18
	s_add_i32 s19, s19, s21
	s_mul_i32 s28, s18, s19
	s_mul_hi_u32 s30, s18, s29
	s_mul_hi_u32 s21, s18, s19
	s_add_u32 s28, s30, s28
	s_addc_u32 s21, 0, s21
	s_mul_hi_u32 s31, s20, s29
	s_mul_i32 s29, s20, s29
	s_add_u32 s28, s28, s29
	s_mul_hi_u32 s30, s20, s19
	s_addc_u32 s21, s21, s31
	s_addc_u32 s28, s30, 0
	s_mul_i32 s19, s20, s19
	s_add_u32 s19, s21, s19
	s_addc_u32 s21, 0, s28
	s_add_u32 s28, s18, s19
	s_cselect_b64 s[18:19], -1, 0
	s_cmp_lg_u64 s[18:19], 0
	s_addc_u32 s20, s20, s21
	s_mul_i32 s18, s3, s20
	s_mul_hi_u32 s19, s3, s28
	s_add_i32 s18, s19, s18
	s_mul_i32 s11, s11, s28
	s_add_i32 s18, s18, s11
	s_mul_i32 s3, s3, s28
	s_mul_hi_u32 s19, s20, s3
	s_mul_i32 s21, s20, s3
	s_mul_i32 s30, s28, s18
	s_mul_hi_u32 s3, s28, s3
	s_mul_hi_u32 s29, s28, s18
	s_add_u32 s3, s3, s30
	s_addc_u32 s29, 0, s29
	s_add_u32 s3, s3, s21
	s_mul_hi_u32 s11, s20, s18
	s_addc_u32 s3, s29, s19
	s_addc_u32 s11, s11, 0
	s_mul_i32 s18, s20, s18
	s_add_u32 s3, s3, s18
	s_addc_u32 s11, 0, s11
	s_add_u32 s3, s28, s3
	s_cselect_b64 s[18:19], -1, 0
	s_cmp_lg_u64 s[18:19], 0
	s_addc_u32 s11, s20, s11
	s_mul_i32 s19, s14, s11
	s_mul_hi_u32 s20, s14, s3
	s_mul_hi_u32 s18, s14, s11
	s_add_u32 s19, s20, s19
	s_addc_u32 s18, 0, s18
	s_mul_hi_u32 s21, s15, s3
	s_mul_i32 s3, s15, s3
	s_add_u32 s3, s19, s3
	s_mul_hi_u32 s20, s15, s11
	s_addc_u32 s3, s18, s21
	s_addc_u32 s18, s20, 0
	s_mul_i32 s11, s15, s11
	s_add_u32 s3, s3, s11
	s_addc_u32 s11, 0, s18
	s_mul_i32 s18, s16, s11
	s_mul_hi_u32 s19, s16, s3
	s_add_i32 s18, s19, s18
	s_mul_i32 s19, s17, s3
	s_add_i32 s28, s18, s19
	s_sub_i32 s20, s15, s28
	s_mul_i32 s18, s16, s3
	s_sub_u32 s29, s14, s18
	s_cselect_b64 s[18:19], -1, 0
	s_cmp_lg_u64 s[18:19], 0
	s_subb_u32 s30, s20, s17
	s_sub_u32 s31, s29, s16
	s_cselect_b64 s[20:21], -1, 0
	s_cmp_lg_u64 s[20:21], 0
	s_subb_u32 s20, s30, 0
	s_cmp_ge_u32 s20, s17
	s_cselect_b32 s21, -1, 0
	s_cmp_ge_u32 s31, s16
	s_cselect_b32 s30, -1, 0
	s_cmp_eq_u32 s20, s17
	s_cselect_b32 s20, s30, s21
	s_add_u32 s21, s3, 1
	s_addc_u32 s30, s11, 0
	s_add_u32 s31, s3, 2
	s_addc_u32 s33, s11, 0
	s_cmp_lg_u32 s20, 0
	s_cselect_b32 s20, s31, s21
	s_cselect_b32 s21, s33, s30
	s_cmp_lg_u64 s[18:19], 0
	s_subb_u32 s18, s15, s28
	s_cmp_ge_u32 s18, s17
	s_cselect_b32 s19, -1, 0
	s_cmp_ge_u32 s29, s16
	s_cselect_b32 s28, -1, 0
	s_cmp_eq_u32 s18, s17
	s_cselect_b32 s18, s28, s19
	s_cmp_lg_u32 s18, 0
	s_cselect_b32 s31, s21, s11
	s_cselect_b32 s30, s20, s3
	s_cbranch_execnz .LBB79_6
.LBB79_5:                               ;   in Loop: Header=BB79_3 Depth=1
	v_cvt_f32_u32_e32 v1, s16
	s_sub_i32 s3, 0, s16
	s_mov_b32 s31, s2
	v_rcp_iflag_f32_e32 v1, v1
	v_mul_f32_e32 v1, 0x4f7ffffe, v1
	v_cvt_u32_f32_e32 v1, v1
	v_readfirstlane_b32 s11, v1
	s_mul_i32 s3, s3, s11
	s_mul_hi_u32 s3, s11, s3
	s_add_i32 s11, s11, s3
	s_mul_hi_u32 s3, s14, s11
	s_mul_i32 s18, s3, s16
	s_sub_i32 s18, s14, s18
	s_add_i32 s11, s3, 1
	s_sub_i32 s19, s18, s16
	s_cmp_ge_u32 s18, s16
	s_cselect_b32 s3, s11, s3
	s_cselect_b32 s18, s19, s18
	s_add_i32 s11, s3, 1
	s_cmp_ge_u32 s18, s16
	s_cselect_b32 s30, s11, s3
.LBB79_6:                               ;   in Loop: Header=BB79_3 Depth=1
	s_mul_i32 s3, s30, s17
	s_mul_hi_u32 s11, s30, s16
	s_load_dwordx2 s[18:19], s[8:9], 0xc8
	s_add_i32 s3, s11, s3
	s_mul_i32 s11, s31, s16
	s_add_i32 s3, s3, s11
	s_mul_i32 s11, s30, s16
	s_sub_u32 s11, s14, s11
	s_subb_u32 s3, s15, s3
	s_waitcnt lgkmcnt(0)
	s_mul_i32 s3, s18, s3
	s_mul_hi_u32 s14, s18, s11
	s_add_i32 s3, s14, s3
	s_mul_i32 s14, s19, s11
	s_add_i32 s3, s3, s14
	s_mul_i32 s11, s18, s11
	s_add_u32 s22, s11, s22
	s_addc_u32 s23, s3, s23
	s_add_i32 s7, s7, -1
	s_add_u32 s8, s8, -8
	s_addc_u32 s9, s9, -1
	s_cmp_gt_u32 s7, 2
	s_cbranch_scc0 .LBB79_9
; %bb.7:                                ;   in Loop: Header=BB79_3 Depth=1
	s_mov_b64 s[14:15], s[30:31]
	s_branch .LBB79_3
.LBB79_8:                               ;   in Loop: Header=BB79_3 Depth=1
                                        ; implicit-def: $sgpr30_sgpr31
	s_branch .LBB79_5
.LBB79_9:
	s_load_dword s8, s[4:5], 0x338
	s_load_dwordx2 s[2:3], s[4:5], 0xd0
                                        ; implicit-def: $vgpr56 : SGPR spill to VGPR lane
	s_mov_b64 s[28:29], 0
	s_mov_b64 s[36:37], s[0:1]
	s_waitcnt lgkmcnt(0)
	v_writelane_b32 v56, s2, 0
	v_writelane_b32 v56, s3, 1
	s_add_u32 s2, s4, 0x1a0
	s_addc_u32 s3, s5, 0
	s_cmp_lt_i32 s8, 2
	s_cbranch_scc1 .LBB79_17
; %bb.10:
	s_add_i32 s7, s8, 1
	s_add_i32 s14, s8, -1
	s_mov_b32 s8, 0
	s_mov_b32 s15, s8
	s_lshl_b64 s[14:15], s[14:15], 3
	s_add_u32 s9, s2, s14
	s_addc_u32 s11, s3, s15
	s_add_u32 s14, s9, 8
	s_addc_u32 s15, s11, 0
	s_mov_b64 s[16:17], s[0:1]
.LBB79_11:                              ; =>This Inner Loop Header: Depth=1
	s_load_dwordx2 s[18:19], s[14:15], 0x0
	s_waitcnt lgkmcnt(0)
	s_or_b64 s[20:21], s[16:17], s[18:19]
	s_mov_b32 s9, s21
	s_cmp_lg_u64 s[8:9], 0
	s_cbranch_scc0 .LBB79_16
; %bb.12:                               ;   in Loop: Header=BB79_11 Depth=1
	v_cvt_f32_u32_e32 v1, s18
	v_cvt_f32_u32_e32 v2, s19
	s_sub_u32 s9, 0, s18
	s_subb_u32 s11, 0, s19
	v_mac_f32_e32 v1, 0x4f800000, v2
	v_rcp_f32_e32 v1, v1
	v_mul_f32_e32 v1, 0x5f7ffffc, v1
	v_mul_f32_e32 v2, 0x2f800000, v1
	v_trunc_f32_e32 v2, v2
	v_mac_f32_e32 v1, 0xcf800000, v2
	v_cvt_u32_f32_e32 v2, v2
	v_cvt_u32_f32_e32 v1, v1
	v_readfirstlane_b32 s33, v2
	v_readfirstlane_b32 s20, v1
	s_mul_i32 s21, s9, s33
	s_mul_hi_u32 s35, s9, s20
	s_mul_i32 s34, s11, s20
	s_add_i32 s21, s35, s21
	s_mul_i32 s36, s9, s20
	s_add_i32 s21, s21, s34
	s_mul_i32 s35, s20, s21
	s_mul_hi_u32 s37, s20, s36
	s_mul_hi_u32 s34, s20, s21
	s_add_u32 s35, s37, s35
	s_addc_u32 s34, 0, s34
	s_mul_hi_u32 s38, s33, s36
	s_mul_i32 s36, s33, s36
	s_add_u32 s35, s35, s36
	s_mul_hi_u32 s37, s33, s21
	s_addc_u32 s34, s34, s38
	s_addc_u32 s35, s37, 0
	s_mul_i32 s21, s33, s21
	s_add_u32 s21, s34, s21
	s_addc_u32 s34, 0, s35
	s_add_u32 s35, s20, s21
	s_cselect_b64 s[20:21], -1, 0
	s_cmp_lg_u64 s[20:21], 0
	s_addc_u32 s33, s33, s34
	s_mul_i32 s20, s9, s33
	s_mul_hi_u32 s21, s9, s35
	s_add_i32 s20, s21, s20
	s_mul_i32 s11, s11, s35
	s_add_i32 s20, s20, s11
	s_mul_i32 s9, s9, s35
	s_mul_hi_u32 s21, s33, s9
	s_mul_i32 s34, s33, s9
	s_mul_i32 s37, s35, s20
	s_mul_hi_u32 s9, s35, s9
	s_mul_hi_u32 s36, s35, s20
	s_add_u32 s9, s9, s37
	s_addc_u32 s36, 0, s36
	s_add_u32 s9, s9, s34
	s_mul_hi_u32 s11, s33, s20
	s_addc_u32 s9, s36, s21
	s_addc_u32 s11, s11, 0
	s_mul_i32 s20, s33, s20
	s_add_u32 s9, s9, s20
	s_addc_u32 s11, 0, s11
	s_add_u32 s9, s35, s9
	s_cselect_b64 s[20:21], -1, 0
	s_cmp_lg_u64 s[20:21], 0
	s_addc_u32 s11, s33, s11
	s_mul_i32 s21, s16, s11
	s_mul_hi_u32 s33, s16, s9
	s_mul_hi_u32 s20, s16, s11
	s_add_u32 s21, s33, s21
	s_addc_u32 s20, 0, s20
	s_mul_hi_u32 s34, s17, s9
	s_mul_i32 s9, s17, s9
	s_add_u32 s9, s21, s9
	s_mul_hi_u32 s33, s17, s11
	s_addc_u32 s9, s20, s34
	s_addc_u32 s20, s33, 0
	s_mul_i32 s11, s17, s11
	s_add_u32 s9, s9, s11
	s_addc_u32 s11, 0, s20
	s_mul_i32 s20, s18, s11
	s_mul_hi_u32 s21, s18, s9
	s_add_i32 s20, s21, s20
	s_mul_i32 s21, s19, s9
	s_add_i32 s33, s20, s21
	s_sub_i32 s34, s17, s33
	s_mul_i32 s20, s18, s9
	s_sub_u32 s36, s16, s20
	s_cselect_b64 s[20:21], -1, 0
	s_cmp_lg_u64 s[20:21], 0
	s_subb_u32 s37, s34, s19
	s_sub_u32 s38, s36, s18
	s_cselect_b64 s[34:35], -1, 0
	s_cmp_lg_u64 s[34:35], 0
	s_subb_u32 s34, s37, 0
	s_cmp_ge_u32 s34, s19
	s_cselect_b32 s35, -1, 0
	s_cmp_ge_u32 s38, s18
	s_cselect_b32 s37, -1, 0
	s_cmp_eq_u32 s34, s19
	s_cselect_b32 s34, s37, s35
	s_add_u32 s35, s9, 1
	s_addc_u32 s37, s11, 0
	s_add_u32 s38, s9, 2
	s_addc_u32 s39, s11, 0
	s_cmp_lg_u32 s34, 0
	s_cselect_b32 s34, s38, s35
	s_cselect_b32 s35, s39, s37
	s_cmp_lg_u64 s[20:21], 0
	s_subb_u32 s20, s17, s33
	s_cmp_ge_u32 s20, s19
	s_cselect_b32 s21, -1, 0
	s_cmp_ge_u32 s36, s18
	s_cselect_b32 s33, -1, 0
	s_cmp_eq_u32 s20, s19
	s_cselect_b32 s20, s33, s21
	s_cmp_lg_u32 s20, 0
	s_cselect_b32 s37, s35, s11
	s_cselect_b32 s36, s34, s9
	s_cbranch_execnz .LBB79_14
.LBB79_13:                              ;   in Loop: Header=BB79_11 Depth=1
	v_cvt_f32_u32_e32 v1, s18
	s_sub_i32 s9, 0, s18
	s_mov_b32 s37, s8
	v_rcp_iflag_f32_e32 v1, v1
	v_mul_f32_e32 v1, 0x4f7ffffe, v1
	v_cvt_u32_f32_e32 v1, v1
	v_readfirstlane_b32 s11, v1
	s_mul_i32 s9, s9, s11
	s_mul_hi_u32 s9, s11, s9
	s_add_i32 s11, s11, s9
	s_mul_hi_u32 s9, s16, s11
	s_mul_i32 s20, s9, s18
	s_sub_i32 s20, s16, s20
	s_add_i32 s11, s9, 1
	s_sub_i32 s21, s20, s18
	s_cmp_ge_u32 s20, s18
	s_cselect_b32 s9, s11, s9
	s_cselect_b32 s20, s21, s20
	s_add_i32 s11, s9, 1
	s_cmp_ge_u32 s20, s18
	s_cselect_b32 s36, s11, s9
.LBB79_14:                              ;   in Loop: Header=BB79_11 Depth=1
	s_mul_i32 s9, s36, s19
	s_mul_hi_u32 s11, s36, s18
	s_load_dwordx2 s[20:21], s[14:15], 0xc8
	s_add_i32 s9, s11, s9
	s_mul_i32 s11, s37, s18
	s_add_i32 s9, s9, s11
	s_mul_i32 s11, s36, s18
	s_sub_u32 s11, s16, s11
	s_subb_u32 s9, s17, s9
	s_waitcnt lgkmcnt(0)
	s_mul_i32 s9, s20, s9
	s_mul_hi_u32 s16, s20, s11
	s_add_i32 s9, s16, s9
	s_mul_i32 s16, s21, s11
	s_add_i32 s9, s9, s16
	s_mul_i32 s11, s20, s11
	s_add_u32 s28, s11, s28
	s_addc_u32 s29, s9, s29
	s_add_i32 s7, s7, -1
	s_add_u32 s14, s14, -8
	s_addc_u32 s15, s15, -1
	s_cmp_gt_u32 s7, 2
	s_cbranch_scc0 .LBB79_17
; %bb.15:                               ;   in Loop: Header=BB79_11 Depth=1
	s_mov_b64 s[16:17], s[36:37]
	s_branch .LBB79_11
.LBB79_16:                              ;   in Loop: Header=BB79_11 Depth=1
                                        ; implicit-def: $sgpr36_sgpr37
	s_branch .LBB79_13
.LBB79_17:
	s_load_dword s14, s[4:5], 0x4d8
	s_load_dwordx2 s[8:9], s[2:3], 0xd0
                                        ; kill: killed $sgpr2 killed $sgpr3
	s_add_u32 s3, s4, 0x340
	s_addc_u32 s11, s5, 0
	s_waitcnt lgkmcnt(0)
	s_cmp_lt_i32 s14, 2
	v_writelane_b32 v56, s8, 2
	v_writelane_b32 v56, s9, 3
	s_mov_b64 s[8:9], 0
	s_cbranch_scc1 .LBB79_25
; %bb.18:
	s_mov_b32 s2, 0
	s_add_i32 s8, s14, -1
	s_mov_b32 s9, s2
	s_add_i32 s7, s14, 1
	s_lshl_b64 s[8:9], s[8:9], 3
	s_add_u32 s3, s3, s8
	s_addc_u32 s8, s11, s9
	s_add_u32 s14, s3, 8
	s_addc_u32 s15, s8, 0
	s_mov_b64 s[8:9], 0
.LBB79_19:                              ; =>This Inner Loop Header: Depth=1
	s_load_dwordx2 s[16:17], s[14:15], 0x0
	s_waitcnt lgkmcnt(0)
	s_or_b64 s[18:19], s[0:1], s[16:17]
	s_mov_b32 s3, s19
	s_cmp_lg_u64 s[2:3], 0
	s_cbranch_scc0 .LBB79_24
; %bb.20:                               ;   in Loop: Header=BB79_19 Depth=1
	v_cvt_f32_u32_e32 v1, s16
	v_cvt_f32_u32_e32 v2, s17
	s_sub_u32 s3, 0, s16
	s_subb_u32 s11, 0, s17
	v_mac_f32_e32 v1, 0x4f800000, v2
	v_rcp_f32_e32 v1, v1
	v_mul_f32_e32 v1, 0x5f7ffffc, v1
	v_mul_f32_e32 v2, 0x2f800000, v1
	v_trunc_f32_e32 v2, v2
	v_mac_f32_e32 v1, 0xcf800000, v2
	v_cvt_u32_f32_e32 v2, v2
	v_cvt_u32_f32_e32 v1, v1
	v_readfirstlane_b32 s20, v2
	v_readfirstlane_b32 s18, v1
	s_mul_i32 s19, s3, s20
	s_mul_hi_u32 s33, s3, s18
	s_mul_i32 s21, s11, s18
	s_add_i32 s19, s33, s19
	s_mul_i32 s34, s3, s18
	s_add_i32 s19, s19, s21
	s_mul_i32 s33, s18, s19
	s_mul_hi_u32 s35, s18, s34
	s_mul_hi_u32 s21, s18, s19
	s_add_u32 s33, s35, s33
	s_addc_u32 s21, 0, s21
	s_mul_hi_u32 s38, s20, s34
	s_mul_i32 s34, s20, s34
	s_add_u32 s33, s33, s34
	s_mul_hi_u32 s35, s20, s19
	s_addc_u32 s21, s21, s38
	s_addc_u32 s33, s35, 0
	s_mul_i32 s19, s20, s19
	s_add_u32 s19, s21, s19
	s_addc_u32 s21, 0, s33
	s_add_u32 s33, s18, s19
	s_cselect_b64 s[18:19], -1, 0
	s_cmp_lg_u64 s[18:19], 0
	s_addc_u32 s20, s20, s21
	s_mul_i32 s18, s3, s20
	s_mul_hi_u32 s19, s3, s33
	s_add_i32 s18, s19, s18
	s_mul_i32 s11, s11, s33
	s_add_i32 s18, s18, s11
	s_mul_i32 s3, s3, s33
	s_mul_hi_u32 s19, s20, s3
	s_mul_i32 s21, s20, s3
	s_mul_i32 s35, s33, s18
	s_mul_hi_u32 s3, s33, s3
	s_mul_hi_u32 s34, s33, s18
	s_add_u32 s3, s3, s35
	s_addc_u32 s34, 0, s34
	s_add_u32 s3, s3, s21
	s_mul_hi_u32 s11, s20, s18
	s_addc_u32 s3, s34, s19
	s_addc_u32 s11, s11, 0
	s_mul_i32 s18, s20, s18
	s_add_u32 s3, s3, s18
	s_addc_u32 s11, 0, s11
	s_add_u32 s3, s33, s3
	s_cselect_b64 s[18:19], -1, 0
	s_cmp_lg_u64 s[18:19], 0
	s_addc_u32 s11, s20, s11
	s_mul_i32 s19, s0, s11
	s_mul_hi_u32 s20, s0, s3
	s_mul_hi_u32 s18, s0, s11
	s_add_u32 s19, s20, s19
	s_addc_u32 s18, 0, s18
	s_mul_hi_u32 s21, s1, s3
	s_mul_i32 s3, s1, s3
	s_add_u32 s3, s19, s3
	s_mul_hi_u32 s20, s1, s11
	s_addc_u32 s3, s18, s21
	s_addc_u32 s18, s20, 0
	s_mul_i32 s11, s1, s11
	s_add_u32 s3, s3, s11
	s_addc_u32 s11, 0, s18
	s_mul_i32 s18, s16, s11
	s_mul_hi_u32 s19, s16, s3
	s_add_i32 s18, s19, s18
	s_mul_i32 s19, s17, s3
	s_add_i32 s33, s18, s19
	s_sub_i32 s20, s1, s33
	s_mul_i32 s18, s16, s3
	s_sub_u32 s34, s0, s18
	s_cselect_b64 s[18:19], -1, 0
	s_cmp_lg_u64 s[18:19], 0
	s_subb_u32 s35, s20, s17
	s_sub_u32 s38, s34, s16
	s_cselect_b64 s[20:21], -1, 0
	s_cmp_lg_u64 s[20:21], 0
	s_subb_u32 s20, s35, 0
	s_cmp_ge_u32 s20, s17
	s_cselect_b32 s21, -1, 0
	s_cmp_ge_u32 s38, s16
	s_cselect_b32 s35, -1, 0
	s_cmp_eq_u32 s20, s17
	s_cselect_b32 s20, s35, s21
	s_add_u32 s21, s3, 1
	s_addc_u32 s35, s11, 0
	s_add_u32 s38, s3, 2
	s_addc_u32 s39, s11, 0
	s_cmp_lg_u32 s20, 0
	s_cselect_b32 s20, s38, s21
	s_cselect_b32 s21, s39, s35
	s_cmp_lg_u64 s[18:19], 0
	s_subb_u32 s18, s1, s33
	s_cmp_ge_u32 s18, s17
	s_cselect_b32 s19, -1, 0
	s_cmp_ge_u32 s34, s16
	s_cselect_b32 s33, -1, 0
	s_cmp_eq_u32 s18, s17
	s_cselect_b32 s18, s33, s19
	s_cmp_lg_u32 s18, 0
	s_cselect_b32 s19, s21, s11
	s_cselect_b32 s18, s20, s3
	s_cbranch_execnz .LBB79_22
.LBB79_21:                              ;   in Loop: Header=BB79_19 Depth=1
	v_cvt_f32_u32_e32 v1, s16
	s_sub_i32 s3, 0, s16
	v_rcp_iflag_f32_e32 v1, v1
	v_mul_f32_e32 v1, 0x4f7ffffe, v1
	v_cvt_u32_f32_e32 v1, v1
	v_readfirstlane_b32 s11, v1
	s_mul_i32 s3, s3, s11
	s_mul_hi_u32 s3, s11, s3
	s_add_i32 s11, s11, s3
	s_mul_hi_u32 s3, s0, s11
	s_mul_i32 s18, s3, s16
	s_sub_i32 s18, s0, s18
	s_add_i32 s11, s3, 1
	s_sub_i32 s19, s18, s16
	s_cmp_ge_u32 s18, s16
	s_cselect_b32 s3, s11, s3
	s_cselect_b32 s18, s19, s18
	s_add_i32 s11, s3, 1
	s_cmp_ge_u32 s18, s16
	s_cselect_b32 s18, s11, s3
	s_mov_b32 s19, s2
.LBB79_22:                              ;   in Loop: Header=BB79_19 Depth=1
	s_mul_i32 s3, s18, s17
	s_mul_hi_u32 s11, s18, s16
	s_load_dwordx2 s[20:21], s[14:15], 0xc8
	s_add_i32 s3, s11, s3
	s_mul_i32 s11, s19, s16
	s_add_i32 s3, s3, s11
	s_mul_i32 s11, s18, s16
	s_sub_u32 s0, s0, s11
	s_subb_u32 s1, s1, s3
	s_waitcnt lgkmcnt(0)
	s_mul_i32 s1, s20, s1
	s_mul_hi_u32 s3, s20, s0
	s_add_i32 s1, s3, s1
	s_mul_i32 s3, s21, s0
	s_add_i32 s1, s1, s3
	s_mul_i32 s0, s20, s0
	s_add_u32 s8, s0, s8
	s_addc_u32 s9, s1, s9
	s_add_i32 s7, s7, -1
	s_add_u32 s14, s14, -8
	s_addc_u32 s15, s15, -1
	s_cmp_gt_u32 s7, 2
	s_cbranch_scc0 .LBB79_26
; %bb.23:                               ;   in Loop: Header=BB79_19 Depth=1
	s_mov_b64 s[0:1], s[18:19]
	s_branch .LBB79_19
.LBB79_24:                              ;   in Loop: Header=BB79_19 Depth=1
                                        ; implicit-def: $sgpr18_sgpr19
	s_branch .LBB79_21
.LBB79_25:
	s_mov_b64 s[18:19], s[0:1]
.LBB79_26:
	v_cmp_eq_u32_e64 s[56:57], 0, v0
	s_and_saveexec_b64 s[2:3], s[56:57]
; %bb.27:
	v_mov_b32_e32 v1, 0
	v_mov_b32_e32 v2, v1
	ds_write_b64 v1, v[1:2] offset:5136
; %bb.28:
	s_or_b64 exec, exec, s[2:3]
	v_mov_b32_e32 v1, 0
	s_load_dword s0, s[4:5], 0x4f8
	s_waitcnt lgkmcnt(0)
	s_barrier
	s_barrier
	ds_read_b64 v[1:2], v1 offset:5136
	s_load_dwordx2 s[2:3], s[4:5], 0x410
	s_load_dwordx2 s[14:15], s[4:5], 0x340
	s_bitcmp1_b32 s0, 0
	s_cselect_b64 s[0:1], -1, 0
	v_mov_b32_e32 v27, s25
	s_waitcnt lgkmcnt(0)
	v_cmp_gt_i64_e32 vcc, 1, v[1:2]
	v_mov_b32_e32 v26, s24
	s_or_b64 s[0:1], s[0:1], vcc
	s_andn2_b64 vcc, exec, s[0:1]
	s_cbranch_vccnz .LBB79_30
; %bb.29:
	v_not_b32_e32 v1, v1
	v_not_b32_e32 v2, v2
	v_mov_b32_e32 v3, s25
	v_add_co_u32_e32 v1, vcc, s24, v1
	v_addc_co_u32_e32 v2, vcc, v3, v2, vcc
	v_lshrrev_b64 v[1:2], 1, v[1:2]
	v_add_co_u32_e32 v26, vcc, 1, v1
	v_addc_co_u32_e32 v27, vcc, 0, v2, vcc
.LBB79_30:
	s_load_dwordx2 s[0:1], s[4:5], 0x0
                                        ; kill: killed $sgpr4 killed $sgpr5
	s_waitcnt lgkmcnt(0)
	v_writelane_b32 v56, s0, 4
	v_writelane_b32 v56, s1, 5
	s_load_dwordx2 s[0:1], s[4:5], 0x1a0
	s_waitcnt lgkmcnt(0)
	v_writelane_b32 v56, s0, 6
	v_writelane_b32 v56, s1, 7
	s_and_saveexec_b64 s[4:5], s[56:57]
	s_cbranch_execz .LBB79_32
; %bb.31:
	v_mov_b32_e32 v1, 0
	v_mov_b32_e32 v3, s24
	;; [unrolled: 1-line block ×4, first 2 shown]
	ds_write_b32 v1, v1 offset:5144
	ds_write_b128 v1, v[1:4] offset:5120
.LBB79_32:
	s_or_b64 exec, exec, s[4:5]
	s_mul_i32 s0, s2, s19
	s_mul_hi_u32 s1, s2, s18
	s_add_i32 s0, s1, s0
	s_mul_i32 s1, s3, s18
	s_add_i32 s4, s0, s1
	s_mul_i32 s5, s2, s18
	s_add_u32 s0, s14, s5
	s_addc_u32 s1, s15, s4
	s_add_u32 s44, s0, s8
	s_addc_u32 s45, s1, s9
	v_mad_u64_u32 v[4:5], s[0:1], s26, v0, 0
	v_mbcnt_lo_u32_b32 v1, -1, 0
	v_mbcnt_hi_u32_b32 v32, -1, v1
	v_mov_b32_e32 v1, v5
	v_cmp_gt_u32_e32 vcc, 64, v0
	v_cmp_gt_i32_e64 s[2:3], 4, v32
	v_mad_u64_u32 v[1:2], s[0:1], s27, v0, v[1:2]
	v_mov_b32_e32 v5, 0xc00
	s_and_b64 s[0:1], vcc, s[2:3]
	v_mov_b32_e32 v6, 0
	v_writelane_b32 v56, s0, 8
	v_writelane_b32 v56, s1, 9
	v_cmp_gt_u64_e64 s[0:1], s[24:25], v[5:6]
	s_waitcnt lgkmcnt(0)
	v_writelane_b32 v56, s0, 10
	s_barrier
	v_writelane_b32 v56, s1, 11
	s_load_dword s0, s[12:13], 0xc
	v_mov_b32_e32 v2, s45
	v_add_co_u32_e32 v14, vcc, s44, v4
	v_mov_b32_e32 v3, 0
	s_waitcnt lgkmcnt(0)
	s_and_b32 s33, s0, 0xffff
	s_bfe_u32 s1, s0, 0xa0006
	s_cmp_gt_u32 s33, 63
	s_cselect_b64 s[2:3], -1, 0
	v_writelane_b32 v56, s2, 12
	s_add_u32 s0, s33, -1
	v_writelane_b32 v56, s3, 13
	s_addc_u32 s2, 0, -1
	v_addc_co_u32_e32 v15, vcc, v2, v1, vcc
	v_writelane_b32 v56, s0, 14
	s_add_u32 s0, s0, s24
	v_add_u32_e32 v2, 2, v0
	s_addc_u32 s51, s2, s25
	v_cmp_gt_u64_e32 vcc, s[24:25], v[2:3]
	s_cmp_lt_u32 s6, s10
	v_mov_b32_e32 v6, s25
	v_writelane_b32 v56, s2, 15
	s_cselect_b32 s2, 12, 18
	v_cndmask_b32_e32 v7, 0, v6, vcc
	v_mov_b32_e32 v6, s24
	s_add_u32 s2, s12, s2
	v_cndmask_b32_e32 v2, v2, v6, vcc
	v_not_b32_e32 v6, v0
	s_addc_u32 s3, s13, 0
	v_add_co_u32_e32 v6, vcc, v2, v6
	v_writelane_b32 v56, s2, 16
	v_addc_co_u32_e32 v7, vcc, -1, v7, vcc
	v_writelane_b32 v56, s3, 17
	v_cmp_lt_u64_e64 s[2:3], 3, v[6:7]
	v_and_b32_e32 v18, -4, v6
	v_writelane_b32 v56, s2, 18
	v_mov_b32_e32 v19, v7
	v_writelane_b32 v56, s3, 19
	v_cmp_ne_u64_e64 s[2:3], v[6:7], v[18:19]
	v_lshlrev_b32_e32 v16, 2, v0
	v_writelane_b32 v56, s2, 20
	v_writelane_b32 v56, s3, 21
	s_add_i32 s2, s1, -1
	s_bfe_u32 s3, s33, 0x30006
	s_and_b32 s2, s2, 0xffff
	s_cmp_gt_u32 s2, 6
	s_cselect_b64 s[6:7], -1, 0
	v_writelane_b32 v56, s6, 22
	s_and_b32 s1, s1, 0x3f8
	v_writelane_b32 v56, s7, 23
	s_cmp_lg_u32 s3, 0
	v_writelane_b32 v56, s3, 24
	s_cselect_b64 s[2:3], -1, 0
	v_writelane_b32 v56, s2, 25
	v_or_b32_e32 v6, 3, v16
	v_writelane_b32 v56, s3, 26
	v_mad_u64_u32 v[20:21], s[2:3], s26, v6, 0
	s_add_u32 s5, s8, s5
	s_addc_u32 s2, s9, s4
	s_add_u32 s4, s14, s5
	v_or_b32_e32 v11, 2, v16
	s_addc_u32 s5, s15, s2
	v_mov_b32_e32 v2, v21
	v_mad_u64_u32 v[21:22], s[2:3], s26, v11, 0
	v_mov_b32_e32 v9, s26
	v_mad_u64_u32 v[6:7], s[2:3], s27, v6, v[2:3]
	v_mov_b32_e32 v2, s5
	v_writelane_b32 v56, s4, 27
	v_add_co_u32_e32 v12, vcc, s4, v4
	v_mov_b32_e32 v10, s27
	v_mov_b32_e32 v5, v1
	v_addc_co_u32_e32 v13, vcc, v2, v1, vcc
	v_mov_b32_e32 v1, v22
	v_mad_u64_u32 v[22:23], s[2:3], s26, v16, v[9:10]
	v_mad_u64_u32 v[1:2], s[2:3], s27, v11, v[1:2]
	v_lshlrev_b64 v[7:8], v32, -1
	v_mov_b32_e32 v2, v23
	v_not_b32_e32 v33, v8
	v_mad_u64_u32 v[8:9], s[2:3], s27, v16, v[2:3]
	v_mov_b32_e32 v36, v1
	v_mov_b32_e32 v1, v3
	v_cmp_gt_u64_e64 s[2:3], s[24:25], v[0:1]
	v_writelane_b32 v56, s5, 28
	v_writelane_b32 v56, s2, 29
	;; [unrolled: 1-line block ×3, first 2 shown]
	v_cmp_gt_u32_e64 s[2:3], 2, v0
	v_writelane_b32 v56, s2, 31
	v_writelane_b32 v56, s3, 32
	v_lshlrev_b32_e32 v2, 2, v32
	s_lshl_b64 s[2:3], s[26:27], 2
	v_and_b32_e32 v38, 0x100, v2
	v_lshrrev_b32_e32 v2, 1, v0
	v_writelane_b32 v56, s2, 33
	v_and_b32_e32 v2, 0x1e0, v2
	s_mov_b32 s53, s27
	v_writelane_b32 v56, s3, 34
	v_or_b32_e32 v39, 0xc00, v2
	s_mov_b32 s50, s27
	v_lshlrev_b64 v[23:24], 2, v[4:5]
	v_mov_b32_e32 v2, 0xc00
	s_mul_i32 s2, s27, s33
	s_mul_hi_u32 s3, s26, s33
	v_writelane_b32 v56, s53, 35
	v_not_b32_e32 v34, v7
	v_mov_b32_e32 v35, v6
	v_mov_b32_e32 v37, v8
	s_mov_b32 s61, 0
	v_cmp_eq_u32_e64 s[10:11], 0, v32
	v_mov_b32_e32 v17, v3
	s_mov_b32 s12, s26
	s_mov_b32 s13, s26
	s_mov_b32 s62, s26
	s_mov_b32 s60, s27
	s_mov_b32 s63, 6
	v_lshl_or_b32 v40, v32, 3, v2
	s_add_i32 s48, s3, s2
	s_mul_i32 s49, s26, s33
	s_mov_b64 s[64:65], 0
	s_mov_b32 s47, 0
	v_mov_b32_e32 v42, 0x4f800000
	v_mov_b32_e32 v43, 8
	;; [unrolled: 1-line block ×5, first 2 shown]
	v_add_co_u32_e32 v25, vcc, v18, v0
	v_writelane_b32 v56, s50, 36
                                        ; implicit-def: $sgpr66_sgpr67
                                        ; implicit-def: $sgpr70_sgpr71
                                        ; implicit-def: $sgpr68_sgpr69
                                        ; implicit-def: $sgpr74_sgpr75
                                        ; implicit-def: $sgpr76_sgpr77
                                        ; implicit-def: $sgpr72_sgpr73
	v_writelane_b32 v56, s60, 37
	s_branch .LBB79_36
.LBB79_33:                              ;   in Loop: Header=BB79_36 Depth=1
	s_or_b64 exec, exec, s[16:17]
	s_and_b64 s[6:7], s[6:7], exec
	s_andn2_b64 s[82:83], s[82:83], exec
	s_andn2_b64 s[14:15], s[14:15], exec
	s_orn2_b64 s[20:21], s[8:9], exec
.LBB79_34:                              ;   in Loop: Header=BB79_36 Depth=1
	s_or_b64 exec, exec, s[4:5]
	s_andn2_b64 s[2:3], s[72:73], exec
	s_and_b64 s[4:5], s[6:7], exec
	s_or_b64 s[72:73], s[2:3], s[4:5]
	s_andn2_b64 s[2:3], s[76:77], exec
	s_and_b64 s[4:5], s[82:83], exec
	s_or_b64 s[76:77], s[2:3], s[4:5]
	;; [unrolled: 3-line block ×3, first 2 shown]
	s_orn2_b64 s[14:15], s[20:21], exec
.LBB79_35:                              ;   in Loop: Header=BB79_36 Depth=1
	s_or_b64 exec, exec, s[18:19]
	s_and_b64 s[2:3], exec, s[14:15]
	s_or_b64 s[64:65], s[2:3], s[64:65]
	s_andn2_b64 s[2:3], s[68:69], exec
	s_and_b64 s[4:5], s[72:73], exec
	s_or_b64 s[68:69], s[2:3], s[4:5]
	s_andn2_b64 s[2:3], s[70:71], exec
	s_and_b64 s[4:5], s[76:77], exec
	;; [unrolled: 3-line block ×3, first 2 shown]
	v_mov_b32_e32 v27, v9
	s_or_b64 s[66:67], s[2:3], s[4:5]
	v_mov_b32_e32 v26, v8
	s_andn2_b64 exec, exec, s[64:65]
	s_cbranch_execz .LBB79_303
.LBB79_36:                              ; =>This Loop Header: Depth=1
                                        ;     Child Loop BB79_41 Depth 2
                                        ;     Child Loop BB79_55 Depth 2
	;; [unrolled: 1-line block ×17, first 2 shown]
	ds_read_b128 v[4:7], v3 offset:5120
	s_waitcnt lgkmcnt(0)
	v_readfirstlane_b32 s79, v5
	v_readfirstlane_b32 s78, v4
	s_cmp_lg_u64 s[78:79], 0
	s_cbranch_scc1 .LBB79_68
; %bb.37:                               ;   in Loop: Header=BB79_36 Depth=1
	v_readlane_b32 s2, v56, 10
	v_readlane_b32 s3, v56, 11
	s_and_b64 vcc, exec, s[2:3]
	s_cbranch_vccz .LBB79_49
; %bb.38:                               ;   in Loop: Header=BB79_36 Depth=1
	s_mov_b64 s[2:3], 0xc01
	v_cmp_gt_u64_e32 vcc, s[2:3], v[6:7]
	s_mov_b64 s[6:7], 0
	s_mov_b64 s[4:5], 0
	s_cbranch_vccz .LBB79_50
; %bb.39:                               ;   in Loop: Header=BB79_36 Depth=1
	v_readlane_b32 s2, v56, 16
	v_readlane_b32 s3, v56, 17
	s_nop 4
	global_load_ushort v6, v3, s[2:3]
	global_load_ubyte v2, v[14:15], off
	v_readlane_b32 s2, v56, 27
	v_readlane_b32 s3, v56, 28
	v_mov_b32_e32 v5, s3
	v_mov_b32_e32 v4, s2
	s_mov_b64 s[16:17], 0
	s_waitcnt vmcnt(1)
	v_and_b32_e32 v8, 0xffff, v6
	v_readfirstlane_b32 s4, v6
	v_add_co_u32_e32 v6, vcc, v0, v8
	v_addc_co_u32_e64 v7, s[2:3], 0, 0, vcc
	v_mul_lo_u32 v7, s26, v7
	v_mul_lo_u32 v9, s27, v6
	v_mad_u64_u32 v[4:5], s[2:3], s26, v6, v[4:5]
	s_and_b32 s4, 0xffff, s4
	s_mul_i32 s2, s27, s4
	s_mul_hi_u32 s3, s26, s4
	v_add3_u32 v5, v9, v5, v7
	v_mov_b32_e32 v7, v1
	s_mul_i32 s20, s26, s4
	s_add_i32 s21, s3, s2
	v_mov_b32_e32 v6, v0
	s_branch .LBB79_41
.LBB79_40:                              ;   in Loop: Header=BB79_41 Depth=2
	s_or_b64 exec, exec, s[2:3]
	v_mov_b32_e32 v2, s21
	v_add_co_u32_e32 v4, vcc, s20, v4
	v_addc_co_u32_e32 v5, vcc, v5, v2, vcc
	v_mov_b32_e32 v2, v9
	s_andn2_b64 exec, exec, s[16:17]
	s_cbranch_execz .LBB79_128
.LBB79_41:                              ;   Parent Loop BB79_36 Depth=1
                                        ; =>  This Inner Loop Header: Depth=2
	v_add_co_u32_e32 v6, vcc, v6, v8
	v_addc_co_u32_e32 v7, vcc, 0, v7, vcc
	v_cmp_gt_u64_e64 s[14:15], s[24:25], v[6:7]
	v_cmp_le_u64_e32 vcc, s[24:25], v[6:7]
	s_waitcnt lgkmcnt(0)
	v_mov_b32_e32 v10, 0
	v_mov_b32_e32 v9, 0
	s_and_saveexec_b64 s[2:3], s[14:15]
	s_cbranch_execz .LBB79_43
; %bb.42:                               ;   in Loop: Header=BB79_41 Depth=2
	global_load_ubyte v9, v[4:5], off
.LBB79_43:                              ;   in Loop: Header=BB79_41 Depth=2
	s_or_b64 exec, exec, s[2:3]
	s_waitcnt vmcnt(0)
	v_and_b32_e32 v11, v2, v44
	v_cmp_eq_u32_sdwa s[4:5], v11, v41 src0_sel:BYTE_0 src1_sel:DWORD
	s_cmp_lg_u64 s[4:5], 0
	s_cselect_b64 s[2:3], -1, 0
	s_and_b64 s[2:3], s[10:11], s[2:3]
	s_and_saveexec_b64 s[8:9], s[2:3]
	s_cbranch_execz .LBB79_47
; %bb.44:                               ;   in Loop: Header=BB79_41 Depth=2
	s_mov_b64 s[18:19], exec
	v_mbcnt_lo_u32_b32 v10, s18, 0
	v_mbcnt_hi_u32_b32 v10, s19, v10
	s_bcnt1_i32_b64 s34, s[4:5]
	v_cmp_eq_u32_e64 s[14:15], 0, v10
                                        ; implicit-def: $vgpr11
	s_and_saveexec_b64 s[2:3], s[14:15]
; %bb.45:                               ;   in Loop: Header=BB79_41 Depth=2
	s_bcnt1_i32_b64 s14, s[18:19]
	s_mul_i32 s14, s34, s14
	v_mov_b32_e32 v11, s14
	ds_add_rtn_u32 v11, v3, v11 offset:5144
; %bb.46:                               ;   in Loop: Header=BB79_41 Depth=2
	s_or_b64 exec, exec, s[2:3]
	s_waitcnt lgkmcnt(0)
	v_readfirstlane_b32 s2, v11
	v_mov_b32_e32 v11, s2
	v_mad_u32_u24 v10, s34, v10, v11
.LBB79_47:                              ;   in Loop: Header=BB79_41 Depth=2
	s_or_b64 exec, exec, s[8:9]
	ds_bpermute_b32 v10, v38, v10
	s_and_b64 s[2:3], exec, vcc
	s_or_b64 s[16:17], s[2:3], s[16:17]
	s_and_saveexec_b64 s[2:3], s[4:5]
	s_cbranch_execz .LBB79_40
; %bb.48:                               ;   in Loop: Header=BB79_41 Depth=2
	v_and_b32_e32 v28, s4, v34
	v_and_b32_e32 v11, s5, v33
	v_bcnt_u32_b32 v28, v28, 0
	v_bcnt_u32_b32 v11, v11, v28
	s_waitcnt lgkmcnt(0)
	v_add_u32_e32 v10, v10, v11
	ds_write_b8 v10, v2
	s_branch .LBB79_40
.LBB79_49:                              ;   in Loop: Header=BB79_36 Depth=1
	s_mov_b64 s[6:7], -1
	s_mov_b64 s[4:5], 0
.LBB79_50:                              ;   in Loop: Header=BB79_36 Depth=1
	s_and_b64 vcc, exec, s[6:7]
	s_cbranch_vccz .LBB79_66
.LBB79_51:                              ;   in Loop: Header=BB79_36 Depth=1
	s_mov_b64 s[16:17], exec
	v_readlane_b32 s2, v56, 29
	v_readlane_b32 s3, v56, 30
	s_and_b64 s[2:3], s[16:17], s[2:3]
	s_mov_b64 exec, s[2:3]
	s_cbranch_execz .LBB79_63
; %bb.52:                               ;   in Loop: Header=BB79_36 Depth=1
	v_readlane_b32 s2, v56, 16
	v_readlane_b32 s3, v56, 17
	s_nop 4
	global_load_ushort v2, v3, s[2:3]
	global_load_ubyte v30, v[14:15], off
	v_mov_b32_e32 v10, v0
	s_waitcnt vmcnt(1)
	v_readfirstlane_b32 s2, v2
	v_add_u32_sdwa v2, v2, v0 dst_sel:DWORD dst_unused:UNUSED_PAD src0_sel:WORD_0 src1_sel:DWORD
	v_cmp_gt_u64_e32 vcc, s[24:25], v[2:3]
	s_and_saveexec_b64 s[18:19], vcc
	s_cbranch_execz .LBB79_62
; %bb.53:                               ;   in Loop: Header=BB79_36 Depth=1
	s_and_b32 s2, s2, 0xffff
	s_cmp_eq_u32 s2, 1
	v_readlane_b32 s6, v56, 18
	s_cselect_b64 s[4:5], -1, 0
	v_readlane_b32 s7, v56, 19
	v_mov_b32_e32 v9, v1
	v_mov_b32_e32 v5, v3
	s_and_b64 s[8:9], s[6:7], s[4:5]
	s_mov_b64 s[4:5], -1
	v_mov_b32_e32 v8, v0
	v_mov_b32_e32 v4, v2
                                        ; implicit-def: $vgpr10_vgpr11
	s_and_saveexec_b64 s[6:7], s[8:9]
	s_cbranch_execz .LBB79_57
; %bb.54:                               ;   in Loop: Header=BB79_36 Depth=1
	v_add_co_u32_e32 v8, vcc, 3, v2
	v_addc_co_u32_e64 v9, s[4:5], 0, 0, vcc
	v_add_co_u32_e32 v6, vcc, 2, v2
	v_addc_co_u32_e64 v7, s[4:5], 0, 0, vcc
	;; [unrolled: 2-line block ×3, first 2 shown]
	v_mov_b32_e32 v29, v19
	v_mov_b32_e32 v11, v9
	s_waitcnt vmcnt(0)
	v_lshlrev_b32_e32 v46, 24, v30
	s_mov_b64 s[14:15], 0
	v_mov_b32_e32 v28, v18
	v_mov_b32_e32 v31, v0
	;; [unrolled: 1-line block ×9, first 2 shown]
	s_mov_b32 s8, 0xc0c0004
.LBB79_55:                              ;   Parent Loop BB79_36 Depth=1
                                        ; =>  This Inner Loop Header: Depth=2
	v_mul_lo_u32 v30, v9, s13
	v_mul_lo_u32 v49, v8, s50
	v_mad_u64_u32 v[47:48], s[4:5], v8, s13, 0
	v_mul_lo_u32 v50, v7, s12
	v_mul_lo_u32 v51, v6, s53
	v_add3_u32 v30, v48, v49, v30
	v_mad_u64_u32 v[48:49], s[4:5], v6, s12, 0
	v_mul_lo_u32 v53, v4, s27
	v_mul_lo_u32 v55, v11, s62
	v_add3_u32 v52, v49, v51, v50
	v_mul_lo_u32 v51, v5, s26
	v_mad_u64_u32 v[49:50], s[4:5], v4, s26, 0
	s_mov_b32 s3, 0xc0c0007
	v_add3_u32 v50, v50, v53, v51
	v_add_co_u32_e32 v49, vcc, s44, v49
	v_mov_b32_e32 v53, s45
	v_addc_co_u32_e32 v50, vcc, v53, v50, vcc
	v_add_co_u32_e32 v51, vcc, s44, v48
	v_addc_co_u32_e32 v52, vcc, v53, v52, vcc
	v_add_co_u32_e32 v47, vcc, s44, v47
	v_addc_co_u32_e32 v48, vcc, v53, v30, vcc
	v_mov_b32_e32 v54, s45
	v_mov_b32_e32 v53, s44
	v_mad_u64_u32 v[53:54], s[4:5], v10, s62, v[53:54]
	v_mul_lo_u32 v30, v10, s60
	v_add_co_u32_e32 v10, vcc, 4, v10
	v_addc_co_u32_e32 v11, vcc, 0, v11, vcc
	v_add3_u32 v54, v55, v54, v30
	global_load_ubyte v30, v[53:54], off
	s_nop 0
	global_load_ubyte v51, v[51:52], off
	s_nop 0
	global_load_ubyte v49, v[49:50], off
	v_add_co_u32_e32 v8, vcc, 4, v8
	global_load_ubyte v47, v[47:48], off
	v_addc_co_u32_e32 v9, vcc, 0, v9, vcc
	v_add_co_u32_e32 v6, vcc, 4, v6
	v_addc_co_u32_e32 v7, vcc, 0, v7, vcc
	v_add_co_u32_e32 v4, vcc, 4, v4
	v_addc_co_u32_e32 v5, vcc, 0, v5, vcc
	v_add_co_u32_e32 v28, vcc, -4, v28
	v_addc_co_u32_e32 v29, vcc, -1, v29, vcc
	v_cmp_eq_u64_e32 vcc, 0, v[28:29]
	s_or_b64 s[14:15], vcc, s[14:15]
	s_waitcnt vmcnt(1)
	v_perm_b32 v50, v49, v51, s8
	v_perm_b32 v46, v46, v49, s3
	s_waitcnt vmcnt(0)
	v_perm_b32 v48, v47, v30, s8
	v_perm_b32 v47, v51, v47, s8
	v_lshl_or_b32 v48, v48, 16, v50
	v_lshl_or_b32 v46, v47, 16, v46
	ds_write_b32 v31, v46
	v_add_u32_e32 v31, 4, v31
	v_mov_b32_e32 v46, v48
	s_andn2_b64 exec, exec, s[14:15]
	s_cbranch_execnz .LBB79_55
; %bb.56:                               ;   in Loop: Header=BB79_36 Depth=1
	s_or_b64 exec, exec, s[14:15]
	v_readlane_b32 s4, v56, 20
	v_add_co_u32_e32 v4, vcc, v2, v18
	v_readlane_b32 s5, v56, 21
	v_addc_co_u32_e32 v5, vcc, 0, v19, vcc
	v_add_co_u32_e32 v10, vcc, -1, v4
	s_orn2_b64 s[4:5], s[4:5], exec
	v_mov_b32_e32 v8, v25
	v_mov_b32_e32 v9, v26
.LBB79_57:                              ;   in Loop: Header=BB79_36 Depth=1
	s_or_b64 exec, exec, s[6:7]
	s_and_saveexec_b64 s[6:7], s[4:5]
	s_cbranch_execz .LBB79_61
; %bb.58:                               ;   in Loop: Header=BB79_36 Depth=1
	v_readlane_b32 s4, v56, 27
	v_readlane_b32 s5, v56, 28
	v_mov_b32_e32 v7, s5
	v_mov_b32_e32 v6, s4
	v_mad_u64_u32 v[6:7], s[4:5], s26, v4, v[6:7]
	v_mul_lo_u32 v2, s26, v5
	v_mul_lo_u32 v9, s27, v4
	s_mul_i32 s8, s27, s2
	s_mul_hi_u32 s9, s26, s2
	s_mov_b64 s[4:5], 0
	s_sub_u32 s3, 0, s2
	v_add3_u32 v7, v9, v7, v2
	s_add_i32 s8, s9, s8
	s_mul_i32 s9, s26, s2
.LBB79_59:                              ;   Parent Loop BB79_36 Depth=1
                                        ; =>  This Inner Loop Header: Depth=2
	global_load_ubyte v2, v[6:7], off
	v_mov_b32_e32 v10, v5
	v_mov_b32_e32 v9, v4
	s_waitcnt vmcnt(1)
	ds_write_b8 v8, v30
	v_mov_b32_e32 v8, s8
	v_add_co_u32_e32 v6, vcc, s9, v6
	v_add_co_u32_e64 v4, s[14:15], s2, v9
	v_addc_co_u32_e64 v5, s[14:15], 0, v10, s[14:15]
	v_addc_co_u32_e32 v7, vcc, v7, v8, vcc
	v_cmp_le_u64_e32 vcc, s[24:25], v[4:5]
	v_mov_b32_e32 v8, v9
	v_mov_b32_e32 v9, v10
	v_add_co_u32_e64 v10, s[14:15], s3, v4
	s_or_b64 s[4:5], vcc, s[4:5]
	s_waitcnt vmcnt(0)
	v_mov_b32_e32 v30, v2
	s_andn2_b64 exec, exec, s[4:5]
	s_cbranch_execnz .LBB79_59
; %bb.60:                               ;   in Loop: Header=BB79_36 Depth=1
	s_or_b64 exec, exec, s[4:5]
	v_mov_b32_e32 v30, v2
.LBB79_61:                              ;   in Loop: Header=BB79_36 Depth=1
	s_or_b64 exec, exec, s[6:7]
.LBB79_62:                              ;   in Loop: Header=BB79_36 Depth=1
	s_or_b64 exec, exec, s[18:19]
	s_waitcnt vmcnt(0)
	ds_write_b8 v10, v30
.LBB79_63:                              ;   in Loop: Header=BB79_36 Depth=1
	s_or_b64 exec, exec, s[16:17]
	s_waitcnt lgkmcnt(0)
	s_barrier
	s_and_saveexec_b64 s[2:3], s[56:57]
; %bb.64:                               ;   in Loop: Header=BB79_36 Depth=1
	v_mov_b32_e32 v4, s24
	v_mov_b32_e32 v5, s25
	ds_write_b64 v3, v[4:5] offset:5120
; %bb.65:                               ;   in Loop: Header=BB79_36 Depth=1
	s_or_b64 exec, exec, s[2:3]
	s_waitcnt lgkmcnt(0)
	s_barrier
	s_mov_b64 s[4:5], -1
.LBB79_66:                              ;   in Loop: Header=BB79_36 Depth=1
	s_mov_b64 s[78:79], 0
	s_and_b64 vcc, exec, s[4:5]
	s_cbranch_vccz .LBB79_68
; %bb.67:                               ;   in Loop: Header=BB79_36 Depth=1
	ds_read_b64 v[4:5], v3 offset:5120
	s_waitcnt lgkmcnt(0)
	v_readfirstlane_b32 s78, v4
.LBB79_68:                              ;   in Loop: Header=BB79_36 Depth=1
	s_cmp_lt_i32 s78, 1
	s_mov_b64 s[4:5], -1
                                        ; implicit-def: $vgpr10_vgpr11
                                        ; implicit-def: $vgpr6_vgpr7
	s_cbranch_scc1 .LBB79_78
; %bb.69:                               ;   in Loop: Header=BB79_36 Depth=1
	s_and_b64 vcc, exec, s[4:5]
	s_cbranch_vccnz .LBB79_92
.LBB79_70:                              ;   in Loop: Header=BB79_36 Depth=1
	s_lshl_b32 s2, s47, 6
	s_and_saveexec_b64 s[4:5], s[10:11]
	s_cbranch_execz .LBB79_72
.LBB79_71:                              ;   in Loop: Header=BB79_36 Depth=1
	v_lshl_add_u32 v2, s2, 3, v39
	ds_write_b128 v2, v[4:7]
	ds_write_b128 v2, v[8:11] offset:16
.LBB79_72:                              ;   in Loop: Header=BB79_36 Depth=1
	s_or_b64 exec, exec, s[4:5]
	s_waitcnt lgkmcnt(0)
	s_barrier
	s_mov_b64 s[6:7], exec
	v_readlane_b32 s4, v56, 8
	v_readlane_b32 s5, v56, 9
	s_and_b64 s[4:5], s[6:7], s[4:5]
	s_mov_b64 exec, s[4:5]
	s_cbranch_execz .LBB79_107
; %bb.73:                               ;   in Loop: Header=BB79_36 Depth=1
	v_readlane_b32 s4, v56, 12
	v_mov_b32_e32 v4, 0
	v_readlane_b32 s5, v56, 13
	v_mov_b32_e32 v5, 0
	s_andn2_b64 vcc, exec, s[4:5]
	s_cbranch_vccnz .LBB79_106
; %bb.74:                               ;   in Loop: Header=BB79_36 Depth=1
	v_readlane_b32 s4, v56, 22
	v_readlane_b32 s5, v56, 23
	s_andn2_b64 vcc, exec, s[4:5]
	s_cbranch_vccnz .LBB79_102
; %bb.75:                               ;   in Loop: Header=BB79_36 Depth=1
	v_mov_b32_e32 v4, 0
	v_lshl_add_u32 v2, s47, 9, v40
	v_mov_b32_e32 v5, 0
	s_mov_b32 s3, 0
.LBB79_76:                              ;   Parent Loop BB79_36 Depth=1
                                        ; =>  This Inner Loop Header: Depth=2
	ds_read2_b64 v[6:9], v2 offset1:4
	ds_read2_b64 v[28:31], v2 offset0:8 offset1:12
	ds_read2_b64 v[46:49], v2 offset0:16 offset1:20
	;; [unrolled: 1-line block ×3, first 2 shown]
	s_add_i32 s3, s3, 8
	s_waitcnt lgkmcnt(3)
	v_add_co_u32_e32 v4, vcc, v6, v4
	v_addc_co_u32_e32 v5, vcc, v7, v5, vcc
	v_add_co_u32_e32 v4, vcc, v8, v4
	v_addc_co_u32_e32 v5, vcc, v9, v5, vcc
	s_waitcnt lgkmcnt(2)
	v_add_co_u32_e32 v4, vcc, v28, v4
	v_addc_co_u32_e32 v5, vcc, v29, v5, vcc
	v_add_co_u32_e32 v4, vcc, v30, v4
	v_addc_co_u32_e32 v5, vcc, v31, v5, vcc
	;; [unrolled: 5-line block ×3, first 2 shown]
	s_waitcnt lgkmcnt(0)
	v_add_co_u32_e32 v4, vcc, v50, v4
	v_addc_co_u32_e32 v5, vcc, v51, v5, vcc
	v_add_co_u32_e32 v4, vcc, v52, v4
	v_add_u32_e32 v2, 0x100, v2
	s_cmp_eq_u32 s1, s3
	v_addc_co_u32_e32 v5, vcc, v53, v5, vcc
	s_cbranch_scc0 .LBB79_76
; %bb.77:                               ;   in Loop: Header=BB79_36 Depth=1
	s_mov_b32 s3, s1
	s_branch .LBB79_103
.LBB79_78:                              ;   in Loop: Header=BB79_36 Depth=1
	v_readlane_b32 s2, v56, 16
	v_readlane_b32 s3, v56, 17
	s_nop 4
	global_load_ushort v2, v3, s[2:3]
	s_mov_b32 s2, s61
	s_waitcnt vmcnt(0)
	v_readfirstlane_b32 s3, v2
	s_and_b32 s3, 0xffff, s3
	s_lshl_b32 s6, s3, 2
	s_mov_b32 s3, s25
	s_cmp_lg_u64 s[2:3], 0
	s_cbranch_scc0 .LBB79_101
; %bb.79:                               ;   in Loop: Header=BB79_36 Depth=1
	v_cvt_f32_u32_e32 v4, s6
	s_sub_u32 s4, 0, s6
	s_subb_u32 s5, 0, 0
	v_mac_f32_e32 v4, 0, v42
	v_rcp_f32_e32 v4, v4
	v_mul_f32_e32 v4, 0x5f7ffffc, v4
	v_mul_f32_e32 v5, 0x2f800000, v4
	v_trunc_f32_e32 v5, v5
	v_mac_f32_e32 v4, 0xcf800000, v5
	v_cvt_u32_f32_e32 v5, v5
	v_cvt_u32_f32_e32 v4, v4
	v_readfirstlane_b32 s7, v5
	v_readfirstlane_b32 s2, v4
	s_mul_i32 s3, s4, s7
	s_mul_hi_u32 s9, s4, s2
	s_mul_i32 s8, s5, s2
	s_add_i32 s3, s9, s3
	s_mul_i32 s14, s4, s2
	s_add_i32 s3, s3, s8
	s_mul_hi_u32 s9, s2, s14
	s_mul_i32 s15, s2, s3
	s_mul_hi_u32 s8, s2, s3
	s_add_u32 s9, s9, s15
	s_addc_u32 s8, 0, s8
	s_mul_hi_u32 s16, s7, s14
	s_mul_i32 s14, s7, s14
	s_add_u32 s9, s9, s14
	s_mul_hi_u32 s15, s7, s3
	s_addc_u32 s8, s8, s16
	s_addc_u32 s9, s15, 0
	s_mul_i32 s3, s7, s3
	s_add_u32 s3, s8, s3
	s_addc_u32 s8, 0, s9
	s_add_u32 s9, s2, s3
	s_cselect_b64 s[2:3], -1, 0
	s_cmp_lg_u64 s[2:3], 0
	s_addc_u32 s7, s7, s8
	s_mul_i32 s2, s4, s7
	s_mul_hi_u32 s3, s4, s9
	s_add_i32 s2, s3, s2
	s_mul_i32 s5, s5, s9
	s_add_i32 s2, s2, s5
	s_mul_i32 s4, s4, s9
	s_mul_hi_u32 s5, s7, s4
	s_mul_i32 s8, s7, s4
	s_mul_i32 s15, s9, s2
	s_mul_hi_u32 s4, s9, s4
	s_mul_hi_u32 s14, s9, s2
	s_add_u32 s4, s4, s15
	s_addc_u32 s14, 0, s14
	s_add_u32 s4, s4, s8
	s_mul_hi_u32 s3, s7, s2
	s_addc_u32 s4, s14, s5
	s_addc_u32 s3, s3, 0
	s_mul_i32 s2, s7, s2
	s_add_u32 s2, s4, s2
	s_addc_u32 s4, 0, s3
	s_add_u32 s5, s9, s2
	s_cselect_b64 s[2:3], -1, 0
	s_cmp_lg_u64 s[2:3], 0
	s_addc_u32 s2, s7, s4
	s_mul_i32 s4, s24, s2
	s_mul_hi_u32 s7, s24, s5
	s_mul_hi_u32 s3, s24, s2
	s_add_u32 s4, s7, s4
	s_addc_u32 s3, 0, s3
	s_mul_hi_u32 s8, s25, s5
	s_mul_i32 s5, s25, s5
	s_add_u32 s4, s4, s5
	s_mul_hi_u32 s7, s25, s2
	s_addc_u32 s3, s3, s8
	s_addc_u32 s4, s7, 0
	s_mul_i32 s2, s25, s2
	s_add_u32 s2, s3, s2
	s_addc_u32 s3, 0, s4
	s_mul_i32 s3, s6, s3
	s_mul_hi_u32 s4, s6, s2
	s_add_i32 s4, s4, s3
	s_mul_i32 s2, s6, s2
	s_sub_u32 s7, s24, s2
	s_cselect_b64 s[2:3], -1, 0
	s_cmp_lg_u64 s[2:3], 0
	s_subb_u32 s4, s25, s4
	s_sub_u32 s5, s7, s6
	s_cselect_b64 s[2:3], -1, 0
	s_cmp_lg_u64 s[2:3], 0
	s_subb_u32 s8, s4, 0
	;; [unrolled: 4-line block ×3, first 2 shown]
	s_cmp_ge_u32 s5, s6
	s_cselect_b32 s3, -1, 0
	s_cmp_eq_u32 s8, 0
	s_cselect_b32 s3, s3, -1
	s_cmp_lg_u32 s3, 0
	s_cselect_b32 s2, s2, s8
	s_cselect_b32 s3, s9, s5
	s_cmp_ge_u32 s7, s6
	s_cselect_b32 s5, -1, 0
	s_cmp_eq_u32 s4, 0
	s_cselect_b32 s5, s5, -1
	s_cmp_lg_u32 s5, 0
	s_cselect_b32 s5, s2, s4
	s_cselect_b32 s4, s3, s7
	s_cbranch_execnz .LBB79_81
.LBB79_80:                              ;   in Loop: Header=BB79_36 Depth=1
	v_cvt_f32_u32_e32 v4, s6
	s_sub_i32 s2, 0, s6
	v_rcp_iflag_f32_e32 v4, v4
	v_mul_f32_e32 v4, 0x4f7ffffe, v4
	v_cvt_u32_f32_e32 v4, v4
	v_readfirstlane_b32 s3, v4
	s_mul_i32 s2, s2, s3
	s_mul_hi_u32 s2, s3, s2
	s_add_i32 s3, s3, s2
	s_mul_hi_u32 s2, s24, s3
	s_mul_i32 s2, s2, s6
	s_sub_i32 s2, s24, s2
	s_sub_i32 s3, s2, s6
	s_cmp_ge_u32 s2, s6
	s_cselect_b32 s2, s3, s2
	s_sub_i32 s3, s2, s6
	s_cmp_ge_u32 s2, s6
	s_cselect_b32 s60, s3, s2
	s_mov_b64 s[4:5], s[60:61]
	v_readlane_b32 s60, v56, 37
.LBB79_81:                              ;   in Loop: Header=BB79_36 Depth=1
	s_sub_u32 s80, s24, s4
	s_subb_u32 s81, s25, s5
	v_cmp_gt_u64_e32 vcc, s[80:81], v[16:17]
	v_mov_b32_e32 v4, 0
	v_mov_b32_e32 v6, 0
	;; [unrolled: 1-line block ×8, first 2 shown]
	v_and_b32_e32 v2, 0xffff, v2
	s_and_saveexec_b64 s[82:83], vcc
	s_cbranch_execz .LBB79_85
; %bb.82:                               ;   in Loop: Header=BB79_36 Depth=1
	v_readlane_b32 s2, v56, 33
	v_readlane_b32 s3, v56, 34
	v_mul_lo_u32 v4, s3, v2
	v_mul_hi_u32 v5, s2, v2
	v_mul_lo_u32 v46, s2, v2
	v_mov_b32_e32 v28, s44
	v_mov_b32_e32 v31, v17
	s_mov_b64 s[84:85], 0
	v_add_u32_e32 v47, v5, v4
	v_mov_b32_e32 v29, s45
	s_mov_b64 s[86:87], 0
	s_mov_b64 s[88:89], 0
	;; [unrolled: 1-line block ×4, first 2 shown]
	v_mov_b32_e32 v30, v16
.LBB79_83:                              ;   Parent Loop BB79_36 Depth=1
                                        ; =>  This Inner Loop Header: Depth=2
	v_add_co_u32_e32 v4, vcc, v28, v23
	v_addc_co_u32_e32 v5, vcc, v29, v24, vcc
	global_load_ubyte v6, v[4:5], off
	v_add_co_u32_e32 v4, vcc, v28, v22
	v_addc_co_u32_e32 v5, vcc, v29, v37, vcc
	global_load_ubyte v7, v[4:5], off
	;; [unrolled: 3-line block ×4, first 2 shown]
	s_waitcnt vmcnt(3)
	v_and_b32_e32 v5, v44, v6
	v_cmp_eq_u32_e32 vcc, v5, v41
	s_waitcnt vmcnt(2)
	v_and_b32_e32 v5, v44, v7
	v_cmp_eq_u32_e64 s[14:15], v5, v41
	s_waitcnt vmcnt(1)
	v_and_b32_e32 v5, v44, v8
	v_cmp_eq_u32_e64 s[16:17], v5, v41
	;; [unrolled: 3-line block ×3, first 2 shown]
	v_bfe_u32 v5, v6, s63, 2
	v_bfe_u32 v6, v7, s63, 2
	v_cmp_eq_u32_e64 s[20:21], 0, v5
	v_bfe_u32 v7, v8, s63, 2
	s_and_b64 s[2:3], vcc, s[20:21]
	v_cmp_eq_u32_e64 s[20:21], 0, v6
	v_bfe_u32 v4, v4, s63, 2
	s_and_b64 s[4:5], s[14:15], s[20:21]
	v_cmp_eq_u32_e64 s[20:21], 0, v7
	s_and_b64 s[8:9], s[16:17], s[20:21]
	v_cmp_eq_u32_e64 s[20:21], 0, v4
	v_cndmask_b32_e64 v8, 0, 1, s[2:3]
	s_and_b64 s[34:35], s[18:19], s[20:21]
	v_cmp_ne_u32_e64 s[20:21], 0, v8
	v_cndmask_b32_e64 v8, 0, 1, s[4:5]
	s_bcnt1_i32_b64 s2, s[20:21]
	v_cmp_ne_u32_e64 s[20:21], 0, v8
	v_cndmask_b32_e64 v8, 0, 1, s[8:9]
	s_bcnt1_i32_b64 s3, s[20:21]
	;; [unrolled: 3-line block ×3, first 2 shown]
	v_cmp_ne_u32_e64 s[20:21], 0, v8
	s_bcnt1_i32_b64 s5, s[20:21]
	s_add_u32 s2, s2, s92
	s_addc_u32 s7, 0, s93
	s_add_u32 s2, s2, s3
	s_addc_u32 s3, s7, 0
	;; [unrolled: 2-line block ×3, first 2 shown]
	s_add_u32 s92, s2, s5
	v_cmp_eq_u32_e64 s[20:21], 1, v5
	s_addc_u32 s93, s3, 0
	s_and_b64 s[2:3], vcc, s[20:21]
	v_cmp_eq_u32_e64 s[20:21], 1, v6
	s_and_b64 s[4:5], s[14:15], s[20:21]
	v_cmp_eq_u32_e64 s[20:21], 1, v7
	s_and_b64 s[8:9], s[16:17], s[20:21]
	v_cmp_eq_u32_e64 s[20:21], 1, v4
	v_cndmask_b32_e64 v8, 0, 1, s[2:3]
	s_and_b64 s[34:35], s[18:19], s[20:21]
	v_cmp_ne_u32_e64 s[20:21], 0, v8
	v_cndmask_b32_e64 v8, 0, 1, s[4:5]
	s_bcnt1_i32_b64 s2, s[20:21]
	v_cmp_ne_u32_e64 s[20:21], 0, v8
	v_cndmask_b32_e64 v8, 0, 1, s[8:9]
	s_bcnt1_i32_b64 s3, s[20:21]
	;; [unrolled: 3-line block ×3, first 2 shown]
	v_cmp_ne_u32_e64 s[20:21], 0, v8
	s_bcnt1_i32_b64 s5, s[20:21]
	s_add_u32 s2, s2, s90
	s_addc_u32 s7, 0, s91
	s_add_u32 s2, s2, s3
	s_addc_u32 s3, s7, 0
	;; [unrolled: 2-line block ×3, first 2 shown]
	s_add_u32 s90, s2, s5
	v_cmp_eq_u32_e64 s[20:21], 2, v5
	s_addc_u32 s91, s3, 0
	s_and_b64 s[2:3], vcc, s[20:21]
	v_cmp_eq_u32_e64 s[20:21], 2, v6
	s_and_b64 s[4:5], s[14:15], s[20:21]
	v_cmp_eq_u32_e64 s[20:21], 2, v7
	s_and_b64 s[8:9], s[16:17], s[20:21]
	v_cmp_eq_u32_e64 s[20:21], 2, v4
	v_cndmask_b32_e64 v8, 0, 1, s[2:3]
	s_and_b64 s[34:35], s[18:19], s[20:21]
	v_cmp_ne_u32_e64 s[20:21], 0, v8
	v_cndmask_b32_e64 v8, 0, 1, s[4:5]
	s_bcnt1_i32_b64 s2, s[20:21]
	v_cmp_ne_u32_e64 s[20:21], 0, v8
	v_cndmask_b32_e64 v8, 0, 1, s[8:9]
	s_bcnt1_i32_b64 s3, s[20:21]
	;; [unrolled: 3-line block ×3, first 2 shown]
	v_cmp_ne_u32_e64 s[20:21], 0, v8
	s_bcnt1_i32_b64 s5, s[20:21]
	s_add_u32 s2, s2, s88
	s_addc_u32 s7, 0, s89
	s_add_u32 s2, s2, s3
	s_addc_u32 s3, s7, 0
	;; [unrolled: 2-line block ×3, first 2 shown]
	s_add_u32 s88, s2, s5
	v_cmp_eq_u32_e64 s[20:21], 3, v5
	s_addc_u32 s89, s3, 0
	s_and_b64 s[2:3], vcc, s[20:21]
	v_cmp_eq_u32_e32 vcc, 3, v6
	s_and_b64 s[4:5], s[14:15], vcc
	v_cmp_eq_u32_e32 vcc, 3, v7
	s_and_b64 s[8:9], s[16:17], vcc
	v_cmp_eq_u32_e32 vcc, 3, v4
	v_cndmask_b32_e64 v4, 0, 1, s[2:3]
	s_and_b64 s[14:15], s[18:19], vcc
	v_cmp_ne_u32_e32 vcc, 0, v4
	v_cndmask_b32_e64 v4, 0, 1, s[4:5]
	s_bcnt1_i32_b64 s2, vcc
	v_cmp_ne_u32_e32 vcc, 0, v4
	v_cndmask_b32_e64 v4, 0, 1, s[8:9]
	s_bcnt1_i32_b64 s3, vcc
	;; [unrolled: 3-line block ×3, first 2 shown]
	v_cmp_ne_u32_e32 vcc, 0, v4
	s_bcnt1_i32_b64 s5, vcc
	s_add_u32 s2, s2, s86
	s_addc_u32 s7, 0, s87
	s_add_u32 s2, s2, s3
	v_add_co_u32_e32 v30, vcc, s6, v30
	s_addc_u32 s3, s7, 0
	v_addc_co_u32_e32 v31, vcc, 0, v31, vcc
	s_add_u32 s2, s2, s4
	v_add_co_u32_e32 v28, vcc, v28, v46
	s_addc_u32 s3, s3, 0
	v_addc_co_u32_e32 v29, vcc, v29, v47, vcc
	s_add_u32 s86, s2, s5
	v_cmp_le_u64_e32 vcc, s[80:81], v[30:31]
	s_addc_u32 s87, s3, 0
	v_mov_b32_e32 v4, s92
	v_mov_b32_e32 v6, s90
	;; [unrolled: 1-line block ×4, first 2 shown]
	s_or_b64 s[84:85], vcc, s[84:85]
	v_mov_b32_e32 v5, s93
	v_mov_b32_e32 v7, s91
	;; [unrolled: 1-line block ×4, first 2 shown]
	s_andn2_b64 exec, exec, s[84:85]
	s_cbranch_execnz .LBB79_83
; %bb.84:                               ;   in Loop: Header=BB79_36 Depth=1
	s_or_b64 exec, exec, s[84:85]
.LBB79_85:                              ;   in Loop: Header=BB79_36 Depth=1
	s_or_b64 exec, exec, s[82:83]
	v_mov_b32_e32 v29, s81
	v_add_co_u32_e32 v28, vcc, s80, v0
	v_addc_co_u32_e32 v29, vcc, 0, v29, vcc
	v_cmp_gt_u64_e32 vcc, s[24:25], v[28:29]
	s_and_saveexec_b64 s[6:7], vcc
	s_cbranch_execz .LBB79_91
; %bb.86:                               ;   in Loop: Header=BB79_36 Depth=1
	v_mov_b32_e32 v30, s44
	v_mov_b32_e32 v31, s45
	v_mad_u64_u32 v[30:31], s[2:3], v28, s26, v[30:31]
	v_mul_lo_u32 v46, v28, s27
	v_mul_lo_u32 v47, v29, s26
	s_mov_b64 s[4:5], 0
	v_add3_u32 v31, v47, v31, v46
	global_load_ubyte v31, v[30:31], off
	s_branch .LBB79_88
.LBB79_87:                              ;   in Loop: Header=BB79_88 Depth=2
	s_or_b64 exec, exec, s[2:3]
	s_waitcnt vmcnt(0)
	v_and_b32_e32 v31, 0xff, v31
	s_and_b64 s[2:3], exec, vcc
	v_and_b32_e32 v46, v44, v31
	v_bfe_u32 v31, v31, s63, 2
	s_or_b64 s[4:5], s[2:3], s[4:5]
	v_cmp_eq_u32_e32 vcc, v46, v41
	v_cmp_eq_u32_e64 s[14:15], 0, v31
	s_and_b64 s[2:3], vcc, s[14:15]
	v_cndmask_b32_e64 v46, 0, 1, s[2:3]
	v_cmp_ne_u32_e64 s[14:15], 0, v46
	s_bcnt1_i32_b64 s2, s[14:15]
	v_add_co_u32_e64 v4, s[14:15], s2, v4
	v_addc_co_u32_e64 v5, s[14:15], 0, v5, s[14:15]
	v_cmp_eq_u32_e64 s[14:15], 1, v31
	s_and_b64 s[2:3], vcc, s[14:15]
	v_cndmask_b32_e64 v46, 0, 1, s[2:3]
	v_cmp_ne_u32_e64 s[14:15], 0, v46
	s_bcnt1_i32_b64 s2, s[14:15]
	v_add_co_u32_e64 v6, s[14:15], s2, v6
	v_addc_co_u32_e64 v7, s[14:15], 0, v7, s[14:15]
	v_cmp_eq_u32_e64 s[14:15], 2, v31
	s_and_b64 s[2:3], vcc, s[14:15]
	v_cndmask_b32_e64 v46, 0, 1, s[2:3]
	v_cmp_ne_u32_e64 s[14:15], 0, v46
	s_bcnt1_i32_b64 s2, s[14:15]
	v_add_co_u32_e64 v8, s[14:15], s2, v8
	v_addc_co_u32_e64 v9, s[14:15], 0, v9, s[14:15]
	v_cmp_eq_u32_e64 s[14:15], 3, v31
	s_and_b64 s[2:3], vcc, s[14:15]
	v_cndmask_b32_e64 v31, 0, 1, s[2:3]
	v_cmp_ne_u32_e32 vcc, 0, v31
	s_bcnt1_i32_b64 s2, vcc
	v_add_co_u32_e32 v10, vcc, s2, v10
	v_addc_co_u32_e32 v11, vcc, 0, v11, vcc
	v_mov_b32_e32 v31, v30
	s_andn2_b64 exec, exec, s[4:5]
	s_cbranch_execz .LBB79_90
.LBB79_88:                              ;   Parent Loop BB79_36 Depth=1
                                        ; =>  This Inner Loop Header: Depth=2
	v_add_co_u32_e32 v28, vcc, v28, v2
	v_addc_co_u32_e32 v29, vcc, 0, v29, vcc
	v_cmp_gt_u64_e64 s[14:15], s[24:25], v[28:29]
	v_cmp_le_u64_e32 vcc, s[24:25], v[28:29]
	v_mov_b32_e32 v30, 0
	s_and_saveexec_b64 s[2:3], s[14:15]
	s_cbranch_execz .LBB79_87
; %bb.89:                               ;   in Loop: Header=BB79_88 Depth=2
	v_mov_b32_e32 v47, s45
	v_mov_b32_e32 v46, s44
	v_mad_u64_u32 v[46:47], s[8:9], v28, s26, v[46:47]
	v_mul_lo_u32 v30, v28, s27
	v_mul_lo_u32 v48, v29, s26
	v_add3_u32 v47, v48, v47, v30
	global_load_ubyte v30, v[46:47], off
	s_branch .LBB79_87
.LBB79_90:                              ;   in Loop: Header=BB79_36 Depth=1
	s_or_b64 exec, exec, s[4:5]
.LBB79_91:                              ;   in Loop: Header=BB79_36 Depth=1
	s_or_b64 exec, exec, s[6:7]
	s_branch .LBB79_70
.LBB79_92:                              ;   in Loop: Header=BB79_36 Depth=1
	v_readlane_b32 s2, v56, 16
	v_readlane_b32 s3, v56, 17
	v_mov_b32_e32 v8, 0
	v_mov_b32_e32 v9, 0
	s_nop 2
	global_load_ushort v2, v3, s[2:3]
	s_waitcnt vmcnt(0)
	v_readfirstlane_b32 s2, v2
	s_and_b32 s2, 0xffff, s2
	s_lshl_b32 s3, s2, 2
	v_cvt_f32_u32_e32 v4, s3
	s_sub_i32 s4, 0, s3
	v_rcp_iflag_f32_e32 v6, v4
	v_mov_b32_e32 v4, 0
	v_mov_b32_e32 v5, 0
	v_mul_f32_e32 v6, 0x4f7ffffe, v6
	v_cvt_u32_f32_e32 v10, v6
	v_mov_b32_e32 v6, 0
	v_mov_b32_e32 v7, 0
	v_readfirstlane_b32 s5, v10
	s_mul_i32 s4, s4, s5
	s_mul_hi_u32 s4, s5, s4
	s_add_i32 s5, s5, s4
	s_mul_hi_u32 s4, s78, s5
	s_mul_i32 s5, s4, s3
	s_sub_i32 s5, s78, s5
	s_add_i32 s6, s4, 1
	s_sub_i32 s7, s5, s3
	s_cmp_ge_u32 s5, s3
	s_cselect_b32 s4, s6, s4
	s_cselect_b32 s5, s7, s5
	s_add_i32 s6, s4, 1
	s_cmp_ge_u32 s5, s3
	s_cselect_b32 s4, s6, s4
	s_mul_hi_u32 s81, s2, s4
	s_mul_i32 s80, s2, s4
	s_lshl_b64 s[82:83], s[80:81], 2
	v_cmp_gt_u64_e32 vcc, s[82:83], v[16:17]
	v_mov_b32_e32 v10, 0
	v_mov_b32_e32 v11, 0
	s_and_saveexec_b64 s[84:85], vcc
	s_cbranch_execz .LBB79_96
; %bb.93:                               ;   in Loop: Header=BB79_36 Depth=1
	v_mov_b32_e32 v29, v17
	s_mov_b64 s[86:87], 0
	v_mov_b32_e32 v30, v16
	s_mov_b64 s[88:89], 0
	s_mov_b64 s[90:91], 0
	;; [unrolled: 1-line block ×4, first 2 shown]
	v_mov_b32_e32 v28, v16
.LBB79_94:                              ;   Parent Loop BB79_36 Depth=1
                                        ; =>  This Inner Loop Header: Depth=2
	ds_read_b32 v4, v30
	v_add_u32_e32 v30, s3, v30
	s_waitcnt lgkmcnt(0)
	v_and_b32_e32 v6, 0xff, v4
	v_bfe_u32 v7, v4, 8, 8
	v_and_b32_e32 v8, v44, v6
	v_bfe_u32 v6, v6, s63, 2
	v_lshrrev_b32_e32 v5, 24, v4
	v_bfe_u32 v4, v4, 16, 8
	v_cmp_eq_u32_e32 vcc, v8, v41
	v_and_b32_e32 v8, v44, v7
	v_bfe_u32 v7, v7, s63, 2
	v_cmp_eq_u32_e64 s[20:21], 0, v6
	v_cmp_eq_u32_e64 s[14:15], v8, v41
	v_and_b32_e32 v8, v44, v4
	v_bfe_u32 v4, v4, s63, 2
	s_and_b64 s[4:5], vcc, s[20:21]
	v_cmp_eq_u32_e64 s[20:21], 0, v7
	v_cmp_eq_u32_e64 s[16:17], v8, v41
	v_and_b32_e32 v8, v44, v5
	v_bfe_u32 v5, v5, s63, 2
	s_and_b64 s[6:7], s[14:15], s[20:21]
	v_cmp_eq_u32_e64 s[20:21], 0, v4
	v_cmp_eq_u32_e64 s[18:19], v8, v41
	s_and_b64 s[8:9], s[16:17], s[20:21]
	v_cmp_eq_u32_e64 s[20:21], 0, v5
	v_cndmask_b32_e64 v8, 0, 1, s[4:5]
	s_and_b64 s[34:35], s[18:19], s[20:21]
	v_cmp_ne_u32_e64 s[20:21], 0, v8
	v_cndmask_b32_e64 v8, 0, 1, s[6:7]
	s_bcnt1_i32_b64 s4, s[20:21]
	v_cmp_ne_u32_e64 s[20:21], 0, v8
	v_cndmask_b32_e64 v8, 0, 1, s[8:9]
	s_bcnt1_i32_b64 s5, s[20:21]
	;; [unrolled: 3-line block ×3, first 2 shown]
	v_cmp_ne_u32_e64 s[20:21], 0, v8
	s_bcnt1_i32_b64 s7, s[20:21]
	s_add_u32 s4, s4, s94
	s_addc_u32 s8, 0, s95
	s_add_u32 s4, s4, s5
	s_addc_u32 s5, s8, 0
	;; [unrolled: 2-line block ×3, first 2 shown]
	s_add_u32 s94, s4, s7
	v_cmp_eq_u32_e64 s[20:21], 1, v6
	s_addc_u32 s95, s5, 0
	s_and_b64 s[4:5], vcc, s[20:21]
	v_cmp_eq_u32_e64 s[20:21], 1, v7
	s_and_b64 s[6:7], s[14:15], s[20:21]
	v_cmp_eq_u32_e64 s[20:21], 1, v4
	s_and_b64 s[8:9], s[16:17], s[20:21]
	v_cmp_eq_u32_e64 s[20:21], 1, v5
	v_cndmask_b32_e64 v8, 0, 1, s[4:5]
	s_and_b64 s[34:35], s[18:19], s[20:21]
	v_cmp_ne_u32_e64 s[20:21], 0, v8
	v_cndmask_b32_e64 v8, 0, 1, s[6:7]
	s_bcnt1_i32_b64 s4, s[20:21]
	v_cmp_ne_u32_e64 s[20:21], 0, v8
	v_cndmask_b32_e64 v8, 0, 1, s[8:9]
	s_bcnt1_i32_b64 s5, s[20:21]
	;; [unrolled: 3-line block ×3, first 2 shown]
	v_cmp_ne_u32_e64 s[20:21], 0, v8
	s_bcnt1_i32_b64 s7, s[20:21]
	s_add_u32 s4, s4, s92
	s_addc_u32 s8, 0, s93
	s_add_u32 s4, s4, s5
	s_addc_u32 s5, s8, 0
	;; [unrolled: 2-line block ×3, first 2 shown]
	s_add_u32 s92, s4, s7
	v_cmp_eq_u32_e64 s[20:21], 2, v6
	s_addc_u32 s93, s5, 0
	s_and_b64 s[4:5], vcc, s[20:21]
	v_cmp_eq_u32_e64 s[20:21], 2, v7
	s_and_b64 s[6:7], s[14:15], s[20:21]
	v_cmp_eq_u32_e64 s[20:21], 2, v4
	s_and_b64 s[8:9], s[16:17], s[20:21]
	v_cmp_eq_u32_e64 s[20:21], 2, v5
	v_cndmask_b32_e64 v8, 0, 1, s[4:5]
	s_and_b64 s[34:35], s[18:19], s[20:21]
	v_cmp_ne_u32_e64 s[20:21], 0, v8
	v_cndmask_b32_e64 v8, 0, 1, s[6:7]
	s_bcnt1_i32_b64 s4, s[20:21]
	v_cmp_ne_u32_e64 s[20:21], 0, v8
	v_cndmask_b32_e64 v8, 0, 1, s[8:9]
	s_bcnt1_i32_b64 s5, s[20:21]
	;; [unrolled: 3-line block ×3, first 2 shown]
	v_cmp_ne_u32_e64 s[20:21], 0, v8
	s_bcnt1_i32_b64 s7, s[20:21]
	s_add_u32 s4, s4, s90
	s_addc_u32 s8, 0, s91
	s_add_u32 s4, s4, s5
	s_addc_u32 s5, s8, 0
	;; [unrolled: 2-line block ×3, first 2 shown]
	s_add_u32 s90, s4, s7
	v_cmp_eq_u32_e64 s[20:21], 3, v6
	s_addc_u32 s91, s5, 0
	s_and_b64 s[4:5], vcc, s[20:21]
	v_cmp_eq_u32_e32 vcc, 3, v7
	s_and_b64 s[6:7], s[14:15], vcc
	v_cmp_eq_u32_e32 vcc, 3, v4
	s_and_b64 s[8:9], s[16:17], vcc
	v_cmp_eq_u32_e32 vcc, 3, v5
	v_cndmask_b32_e64 v4, 0, 1, s[4:5]
	s_and_b64 s[14:15], s[18:19], vcc
	v_cmp_ne_u32_e32 vcc, 0, v4
	v_cndmask_b32_e64 v4, 0, 1, s[6:7]
	s_bcnt1_i32_b64 s4, vcc
	v_cmp_ne_u32_e32 vcc, 0, v4
	v_cndmask_b32_e64 v4, 0, 1, s[8:9]
	s_bcnt1_i32_b64 s5, vcc
	;; [unrolled: 3-line block ×3, first 2 shown]
	v_cmp_ne_u32_e32 vcc, 0, v4
	s_bcnt1_i32_b64 s7, vcc
	s_add_u32 s4, s4, s88
	s_addc_u32 s8, 0, s89
	s_add_u32 s4, s4, s5
	s_addc_u32 s5, s8, 0
	s_add_u32 s4, s4, s6
	v_add_co_u32_e32 v28, vcc, s3, v28
	s_addc_u32 s5, s5, 0
	v_addc_co_u32_e32 v29, vcc, 0, v29, vcc
	s_add_u32 s88, s4, s7
	v_cmp_le_u64_e32 vcc, s[82:83], v[28:29]
	s_addc_u32 s89, s5, 0
	v_mov_b32_e32 v4, s94
	v_mov_b32_e32 v6, s92
	;; [unrolled: 1-line block ×4, first 2 shown]
	s_or_b64 s[86:87], vcc, s[86:87]
	v_mov_b32_e32 v5, s95
	v_mov_b32_e32 v7, s93
	;; [unrolled: 1-line block ×4, first 2 shown]
	s_andn2_b64 exec, exec, s[86:87]
	s_cbranch_execnz .LBB79_94
; %bb.95:                               ;   in Loop: Header=BB79_36 Depth=1
	s_or_b64 exec, exec, s[86:87]
.LBB79_96:                              ;   in Loop: Header=BB79_36 Depth=1
	s_or_b64 exec, exec, s[84:85]
	v_mov_b32_e32 v29, s83
	v_add_co_u32_e32 v28, vcc, s82, v0
	s_and_b32 s60, s78, 0x7fffffff
	v_addc_co_u32_e32 v29, vcc, 0, v29, vcc
	v_cmp_gt_u64_e32 vcc, s[60:61], v[28:29]
	s_and_saveexec_b64 s[16:17], vcc
	s_cbranch_execz .LBB79_100
; %bb.97:                               ;   in Loop: Header=BB79_36 Depth=1
	v_lshl_add_u32 v30, s80, 2, v0
	s_mov_b64 s[6:7], 0
.LBB79_98:                              ;   Parent Loop BB79_36 Depth=1
                                        ; =>  This Inner Loop Header: Depth=2
	ds_read_u8 v31, v30
	v_add_u32_e32 v30, s2, v30
	s_waitcnt lgkmcnt(0)
	v_and_b32_e32 v46, v44, v31
	v_bfe_u32 v31, v31, s63, 2
	v_cmp_eq_u32_e32 vcc, v46, v41
	v_cmp_eq_u32_e64 s[14:15], 0, v31
	s_and_b64 s[4:5], vcc, s[14:15]
	v_cndmask_b32_e64 v46, 0, 1, s[4:5]
	v_cmp_ne_u32_e64 s[14:15], 0, v46
	s_bcnt1_i32_b64 s3, s[14:15]
	v_add_co_u32_e64 v4, s[14:15], s3, v4
	v_addc_co_u32_e64 v5, s[14:15], 0, v5, s[14:15]
	v_cmp_eq_u32_e64 s[14:15], 1, v31
	s_and_b64 s[4:5], vcc, s[14:15]
	v_cndmask_b32_e64 v46, 0, 1, s[4:5]
	v_cmp_ne_u32_e64 s[14:15], 0, v46
	s_bcnt1_i32_b64 s3, s[14:15]
	v_add_co_u32_e64 v6, s[14:15], s3, v6
	v_addc_co_u32_e64 v7, s[14:15], 0, v7, s[14:15]
	;; [unrolled: 7-line block ×3, first 2 shown]
	v_cmp_eq_u32_e64 s[14:15], 3, v31
	s_and_b64 s[4:5], vcc, s[14:15]
	v_cndmask_b32_e64 v31, 0, 1, s[4:5]
	v_cmp_ne_u32_e32 vcc, 0, v31
	s_bcnt1_i32_b64 s3, vcc
	v_add_co_u32_e32 v10, vcc, s3, v10
	v_addc_co_u32_e32 v11, vcc, 0, v11, vcc
	v_add_co_u32_sdwa v28, vcc, v28, v2 dst_sel:DWORD dst_unused:UNUSED_PAD src0_sel:DWORD src1_sel:WORD_0
	v_addc_co_u32_e32 v29, vcc, 0, v29, vcc
	v_cmp_le_u64_e32 vcc, s[60:61], v[28:29]
	s_or_b64 s[6:7], vcc, s[6:7]
	s_andn2_b64 exec, exec, s[6:7]
	s_cbranch_execnz .LBB79_98
; %bb.99:                               ;   in Loop: Header=BB79_36 Depth=1
	s_or_b64 exec, exec, s[6:7]
.LBB79_100:                             ;   in Loop: Header=BB79_36 Depth=1
	s_or_b64 exec, exec, s[16:17]
	v_readlane_b32 s60, v56, 37
	s_lshl_b32 s2, s47, 6
	s_and_saveexec_b64 s[4:5], s[10:11]
	s_cbranch_execnz .LBB79_71
	s_branch .LBB79_72
.LBB79_101:                             ;   in Loop: Header=BB79_36 Depth=1
                                        ; implicit-def: $sgpr4_sgpr5
	s_branch .LBB79_80
.LBB79_102:                             ;   in Loop: Header=BB79_36 Depth=1
	v_mov_b32_e32 v4, 0
	v_mov_b32_e32 v5, 0
	s_mov_b32 s3, 0
.LBB79_103:                             ;   in Loop: Header=BB79_36 Depth=1
	v_readlane_b32 s4, v56, 25
	v_readlane_b32 s5, v56, 26
	s_andn2_b64 vcc, exec, s[4:5]
	s_cbranch_vccnz .LBB79_106
; %bb.104:                              ;   in Loop: Header=BB79_36 Depth=1
	s_lshl_b32 s4, s47, 9
	s_lshl_b32 s3, s3, 5
	s_add_i32 s4, s4, s3
	v_add_u32_e32 v2, s4, v40
	v_readlane_b32 s3, v56, 24
.LBB79_105:                             ;   Parent Loop BB79_36 Depth=1
                                        ; =>  This Inner Loop Header: Depth=2
	ds_read_b64 v[6:7], v2
	s_add_i32 s3, s3, -1
	v_add_u32_e32 v2, 32, v2
	s_cmp_lg_u32 s3, 0
	s_waitcnt lgkmcnt(0)
	v_add_co_u32_e32 v4, vcc, v6, v4
	v_addc_co_u32_e32 v5, vcc, v7, v5, vcc
	s_cbranch_scc1 .LBB79_105
.LBB79_106:                             ;   in Loop: Header=BB79_36 Depth=1
	v_add_lshl_u32 v2, s2, v32, 3
	ds_write_b64 v2, v[4:5] offset:3072
.LBB79_107:                             ;   in Loop: Header=BB79_36 Depth=1
	s_or_b64 exec, exec, s[6:7]
	s_lshl_b32 s2, s2, 3
	v_mov_b32_e32 v2, s2
	s_waitcnt lgkmcnt(0)
	s_barrier
	ds_read_b128 v[8:11], v2 offset:3088
	ds_read_b128 v[4:7], v2 offset:3072
	v_cmp_eq_u64_e64 s[14:15], 1, v[26:27]
	s_lshl_b32 s46, 3, s63
	s_not_b32 s52, s46
	s_waitcnt lgkmcnt(1)
	v_readfirstlane_b32 s80, v8
	s_waitcnt lgkmcnt(0)
	v_cmp_eq_u64_e32 vcc, 1, v[4:5]
	v_readfirstlane_b32 s81, v9
	v_readfirstlane_b32 s16, v10
	;; [unrolled: 1-line block ×3, first 2 shown]
	s_and_b64 s[20:21], vcc, s[14:15]
	s_mov_b64 s[14:15], -1
	s_mov_b64 s[4:5], -1
                                        ; implicit-def: $sgpr40_sgpr41
                                        ; implicit-def: $sgpr38_sgpr39
	s_and_saveexec_b64 s[18:19], s[20:21]
	s_cbranch_execz .LBB79_145
; %bb.108:                              ;   in Loop: Header=BB79_36 Depth=1
	ds_read_b64 v[8:9], v3 offset:5120
	s_waitcnt lgkmcnt(0)
	s_barrier
	v_readfirstlane_b32 s34, v8
	v_readfirstlane_b32 s35, v9
	s_mov_b64 s[2:3], exec
	v_readlane_b32 s4, v56, 31
	v_readlane_b32 s5, v56, 32
	s_and_b64 s[4:5], s[2:3], s[4:5]
	s_mov_b64 exec, s[4:5]
; %bb.109:                              ;   in Loop: Header=BB79_36 Depth=1
	ds_write_b8 v0, v3 offset:3072
; %bb.110:                              ;   in Loop: Header=BB79_36 Depth=1
	s_or_b64 exec, exec, s[2:3]
	v_and_b32_e32 v41, s52, v41
	v_or_b32_e32 v44, s46, v44
	s_mov_b64 s[38:39], -1
	s_mov_b64 s[40:41], 0
	s_cmp_eq_u64 s[34:35], 0
	s_mov_b64 s[6:7], 0
	s_mov_b64 s[4:5], -1
	s_waitcnt lgkmcnt(0)
	s_barrier
                                        ; implicit-def: $vgpr45
	s_cbranch_scc1 .LBB79_124
; %bb.111:                              ;   in Loop: Header=BB79_36 Depth=1
	v_readlane_b32 s2, v56, 14
	s_add_u32 s8, s34, s2
	v_readlane_b32 s2, v56, 15
	s_addc_u32 s7, s35, s2
	s_mov_b32 s6, s61
	s_cmp_lg_u64 s[6:7], 0
	s_cbranch_scc0 .LBB79_127
; %bb.112:                              ;   in Loop: Header=BB79_36 Depth=1
	v_cvt_f32_u32_e32 v2, s33
	s_sub_u32 s4, 0, s33
	s_subb_u32 s5, 0, 0
	v_mac_f32_e32 v2, 0, v42
	v_rcp_f32_e32 v2, v2
	v_mul_f32_e32 v2, 0x5f7ffffc, v2
	v_mul_f32_e32 v8, 0x2f800000, v2
	v_trunc_f32_e32 v8, v8
	v_mac_f32_e32 v2, 0xcf800000, v8
	v_cvt_u32_f32_e32 v8, v8
	v_cvt_u32_f32_e32 v2, v2
	v_readfirstlane_b32 s6, v8
	v_readfirstlane_b32 s2, v2
	s_mul_i32 s3, s4, s6
	s_mul_hi_u32 s42, s4, s2
	s_mul_i32 s9, s5, s2
	s_add_i32 s3, s42, s3
	s_mul_i32 s43, s4, s2
	s_add_i32 s3, s3, s9
	s_mul_hi_u32 s42, s2, s43
	s_mul_i32 s50, s2, s3
	s_mul_hi_u32 s9, s2, s3
	s_add_u32 s42, s42, s50
	s_addc_u32 s9, 0, s9
	s_mul_hi_u32 s53, s6, s43
	s_mul_i32 s43, s6, s43
	s_add_u32 s42, s42, s43
	s_mul_hi_u32 s50, s6, s3
	s_addc_u32 s9, s9, s53
	s_addc_u32 s42, s50, 0
	s_mul_i32 s3, s6, s3
	s_add_u32 s3, s9, s3
	s_addc_u32 s9, 0, s42
	s_add_u32 s42, s2, s3
	s_cselect_b64 s[2:3], -1, 0
	s_cmp_lg_u64 s[2:3], 0
	s_addc_u32 s6, s6, s9
	s_mul_i32 s2, s4, s6
	s_mul_hi_u32 s3, s4, s42
	s_add_i32 s2, s3, s2
	s_mul_i32 s5, s5, s42
	s_add_i32 s2, s2, s5
	s_mul_i32 s4, s4, s42
	s_mul_hi_u32 s5, s6, s4
	s_mul_i32 s9, s6, s4
	s_mul_i32 s50, s42, s2
	s_mul_hi_u32 s4, s42, s4
	s_mul_hi_u32 s43, s42, s2
	s_add_u32 s4, s4, s50
	s_addc_u32 s43, 0, s43
	s_add_u32 s4, s4, s9
	s_mul_hi_u32 s3, s6, s2
	s_addc_u32 s4, s43, s5
	s_addc_u32 s3, s3, 0
	s_mul_i32 s2, s6, s2
	s_add_u32 s2, s4, s2
	s_addc_u32 s4, 0, s3
	s_add_u32 s5, s42, s2
	s_cselect_b64 s[2:3], -1, 0
	s_cmp_lg_u64 s[2:3], 0
	s_addc_u32 s2, s6, s4
	s_mul_i32 s4, s8, s2
	s_mul_hi_u32 s6, s8, s5
	s_mul_hi_u32 s3, s8, s2
	s_add_u32 s4, s6, s4
	s_addc_u32 s3, 0, s3
	s_mul_hi_u32 s9, s7, s5
	s_mul_i32 s5, s7, s5
	s_add_u32 s4, s4, s5
	s_mul_hi_u32 s6, s7, s2
	s_addc_u32 s3, s3, s9
	s_addc_u32 s4, s6, 0
	s_mul_i32 s2, s7, s2
	s_add_u32 s2, s3, s2
	s_addc_u32 s3, 0, s4
	s_mul_i32 s3, s33, s3
	s_mul_hi_u32 s4, s33, s2
	s_add_i32 s4, s4, s3
	s_mul_i32 s2, s33, s2
	s_sub_u32 s6, s8, s2
	s_cselect_b64 s[2:3], -1, 0
	s_cmp_lg_u64 s[2:3], 0
	s_subb_u32 s4, s7, s4
	s_sub_u32 s5, s6, s33
	s_cselect_b64 s[2:3], -1, 0
	s_cmp_lg_u64 s[2:3], 0
	s_subb_u32 s9, s4, 0
	;; [unrolled: 4-line block ×3, first 2 shown]
	s_cmp_ge_u32 s5, s33
	s_cselect_b32 s3, -1, 0
	s_cmp_eq_u32 s9, 0
	s_cselect_b32 s3, s3, -1
	s_cmp_lg_u32 s3, 0
	s_cselect_b32 s2, s2, s9
	s_cselect_b32 s3, s42, s5
	s_cmp_ge_u32 s6, s33
	s_cselect_b32 s5, -1, 0
	s_cmp_eq_u32 s4, 0
	s_cselect_b32 s5, s5, -1
	s_cmp_lg_u32 s5, 0
	s_cselect_b32 s5, s2, s4
	s_cselect_b32 s4, s3, s6
	s_cbranch_execnz .LBB79_114
.LBB79_113:                             ;   in Loop: Header=BB79_36 Depth=1
	v_cvt_f32_u32_e32 v2, s33
	s_sub_i32 s2, 0, s33
	v_rcp_iflag_f32_e32 v2, v2
	v_mul_f32_e32 v2, 0x4f7ffffe, v2
	v_cvt_u32_f32_e32 v2, v2
	v_readfirstlane_b32 s3, v2
	s_mul_i32 s2, s2, s3
	s_mul_hi_u32 s2, s3, s2
	s_add_i32 s3, s3, s2
	s_mul_hi_u32 s2, s8, s3
	s_mul_i32 s2, s2, s33
	s_sub_i32 s2, s8, s2
	s_sub_i32 s3, s2, s33
	s_cmp_ge_u32 s2, s33
	s_cselect_b32 s2, s3, s2
	s_sub_i32 s3, s2, s33
	s_cmp_ge_u32 s2, s33
	s_cselect_b32 s60, s3, s2
	s_mov_b64 s[4:5], s[60:61]
	v_readlane_b32 s60, v56, 37
.LBB79_114:                             ;   in Loop: Header=BB79_36 Depth=1
	s_sub_u32 s42, s8, s4
	s_subb_u32 s43, s7, s5
	v_cmp_gt_u64_e32 vcc, s[42:43], v[0:1]
	s_mov_b64 s[4:5], 0
	s_mov_b64 s[6:7], 0
                                        ; implicit-def: $vgpr45
	s_and_saveexec_b64 s[8:9], vcc
	v_readlane_b32 s53, v56, 35
	v_readlane_b32 s50, v56, 36
	s_cbranch_execz .LBB79_123
; %bb.115:                              ;   in Loop: Header=BB79_36 Depth=1
	v_mov_b32_e32 v9, v1
	s_mov_b64 s[78:79], s[56:57]
	v_mov_b32_e32 v2, v0
	v_mov_b32_e32 v8, v0
                                        ; implicit-def: $sgpr54_sgpr55
	s_branch .LBB79_118
.LBB79_116:                             ;   in Loop: Header=BB79_118 Depth=2
	s_or_b64 exec, exec, s[56:57]
	s_waitcnt lgkmcnt(0)
	s_barrier
	ds_read_u16 v10, v3 offset:3072
	s_mov_b64 s[56:57], -1
	s_mov_b64 s[58:59], -1
	s_waitcnt lgkmcnt(0)
	s_barrier
	v_cmp_ne_u32_sdwa s[2:3], v10, v3 src0_sel:BYTE_0 src1_sel:DWORD
	s_and_b64 vcc, exec, s[2:3]
	s_cbranch_vccz .LBB79_121
.LBB79_117:                             ;   in Loop: Header=BB79_118 Depth=2
	s_and_b64 s[2:3], exec, s[56:57]
	s_or_b64 s[6:7], s[2:3], s[6:7]
	s_andn2_b64 s[2:3], s[54:55], exec
	s_and_b64 s[54:55], s[58:59], exec
	s_or_b64 s[54:55], s[2:3], s[54:55]
	s_andn2_b64 exec, exec, s[6:7]
	s_cbranch_execz .LBB79_122
.LBB79_118:                             ;   Parent Loop BB79_36 Depth=1
                                        ; =>  This Inner Loop Header: Depth=2
	v_cmp_gt_u64_e32 vcc, s[34:35], v[8:9]
	s_and_saveexec_b64 s[56:57], vcc
	s_cbranch_execz .LBB79_116
; %bb.119:                              ;   in Loop: Header=BB79_118 Depth=2
	ds_read_u8 v10, v2
	s_waitcnt lgkmcnt(0)
	v_and_b32_e32 v11, v10, v44
	v_cmp_eq_u32_sdwa s[2:3], v11, v41 src0_sel:BYTE_0 src1_sel:DWORD
	s_and_b64 exec, exec, s[2:3]
	s_cbranch_execz .LBB79_116
; %bb.120:                              ;   in Loop: Header=BB79_118 Depth=2
	v_lshlrev_b16_e32 v10, 8, v10
	v_or_b32_e32 v10, 1, v10
	ds_write_b16 v3, v10 offset:3072
	s_branch .LBB79_116
.LBB79_121:                             ;   in Loop: Header=BB79_118 Depth=2
	v_add_co_u32_e32 v8, vcc, s33, v8
	v_addc_co_u32_e32 v9, vcc, 0, v9, vcc
	v_cmp_le_u64_e32 vcc, s[42:43], v[8:9]
	v_add_u32_e32 v2, s33, v2
	s_mov_b64 s[58:59], 0
	s_orn2_b64 s[56:57], vcc, exec
	s_branch .LBB79_117
.LBB79_122:                             ;   in Loop: Header=BB79_36 Depth=1
	s_or_b64 exec, exec, s[6:7]
	v_lshrrev_b32_sdwa v45, v43, v10 dst_sel:DWORD dst_unused:UNUSED_PAD src0_sel:DWORD src1_sel:WORD_0
	s_and_b64 s[6:7], s[54:55], exec
	s_mov_b64 s[56:57], s[78:79]
.LBB79_123:                             ;   in Loop: Header=BB79_36 Depth=1
	s_or_b64 exec, exec, s[8:9]
.LBB79_124:                             ;   in Loop: Header=BB79_36 Depth=1
	s_and_b64 vcc, exec, s[4:5]
	s_cbranch_vccz .LBB79_144
; %bb.125:                              ;   in Loop: Header=BB79_36 Depth=1
	s_mov_b32 s50, s61
	s_cmp_lg_u64 s[50:51], 0
	s_cbranch_scc0 .LBB79_131
; %bb.126:                              ;   in Loop: Header=BB79_36 Depth=1
	v_cvt_f32_u32_e32 v2, s33
	s_sub_u32 s4, 0, s33
	s_subb_u32 s5, 0, 0
	v_mac_f32_e32 v2, 0, v42
	v_rcp_f32_e32 v2, v2
	v_mul_f32_e32 v2, 0x5f7ffffc, v2
	v_mul_f32_e32 v8, 0x2f800000, v2
	v_trunc_f32_e32 v8, v8
	v_mac_f32_e32 v2, 0xcf800000, v8
	v_cvt_u32_f32_e32 v8, v8
	v_cvt_u32_f32_e32 v2, v2
	v_readfirstlane_b32 s8, v8
	v_readfirstlane_b32 s2, v2
	s_mul_i32 s3, s4, s8
	s_mul_hi_u32 s34, s4, s2
	s_mul_i32 s9, s5, s2
	s_add_i32 s3, s34, s3
	s_mul_i32 s35, s4, s2
	s_add_i32 s3, s3, s9
	s_mul_hi_u32 s34, s2, s35
	s_mul_i32 s38, s2, s3
	s_mul_hi_u32 s9, s2, s3
	s_add_u32 s34, s34, s38
	s_addc_u32 s9, 0, s9
	s_mul_hi_u32 s39, s8, s35
	s_mul_i32 s35, s8, s35
	s_add_u32 s34, s34, s35
	s_mul_hi_u32 s38, s8, s3
	s_addc_u32 s9, s9, s39
	s_addc_u32 s34, s38, 0
	s_mul_i32 s3, s8, s3
	s_add_u32 s3, s9, s3
	s_addc_u32 s9, 0, s34
	s_add_u32 s34, s2, s3
	s_cselect_b64 s[2:3], -1, 0
	s_cmp_lg_u64 s[2:3], 0
	s_addc_u32 s8, s8, s9
	s_mul_i32 s2, s4, s8
	s_mul_hi_u32 s3, s4, s34
	s_add_i32 s2, s3, s2
	s_mul_i32 s5, s5, s34
	s_add_i32 s2, s2, s5
	s_mul_i32 s4, s4, s34
	s_mul_hi_u32 s5, s8, s4
	s_mul_i32 s9, s8, s4
	s_mul_i32 s38, s34, s2
	s_mul_hi_u32 s4, s34, s4
	s_mul_hi_u32 s35, s34, s2
	s_add_u32 s4, s4, s38
	s_addc_u32 s35, 0, s35
	s_add_u32 s4, s4, s9
	s_mul_hi_u32 s3, s8, s2
	s_addc_u32 s4, s35, s5
	s_addc_u32 s3, s3, 0
	s_mul_i32 s2, s8, s2
	s_add_u32 s2, s4, s2
	s_addc_u32 s4, 0, s3
	s_add_u32 s5, s34, s2
	s_cselect_b64 s[2:3], -1, 0
	s_cmp_lg_u64 s[2:3], 0
	s_addc_u32 s2, s8, s4
	s_mul_i32 s4, s0, s2
	s_mul_hi_u32 s8, s0, s5
	s_mul_hi_u32 s3, s0, s2
	s_add_u32 s4, s8, s4
	s_addc_u32 s3, 0, s3
	s_mul_hi_u32 s9, s51, s5
	s_mul_i32 s5, s51, s5
	s_add_u32 s4, s4, s5
	s_mul_hi_u32 s8, s51, s2
	s_addc_u32 s3, s3, s9
	s_addc_u32 s4, s8, 0
	s_mul_i32 s2, s51, s2
	s_add_u32 s2, s3, s2
	s_addc_u32 s3, 0, s4
	s_mul_i32 s3, s33, s3
	s_mul_hi_u32 s4, s33, s2
	s_add_i32 s4, s4, s3
	s_mul_i32 s2, s33, s2
	s_sub_u32 s8, s0, s2
	s_cselect_b64 s[2:3], -1, 0
	s_cmp_lg_u64 s[2:3], 0
	s_subb_u32 s4, s51, s4
	s_sub_u32 s5, s8, s33
	s_cselect_b64 s[2:3], -1, 0
	s_cmp_lg_u64 s[2:3], 0
	s_subb_u32 s9, s4, 0
	;; [unrolled: 4-line block ×3, first 2 shown]
	s_cmp_ge_u32 s5, s33
	s_cselect_b32 s3, -1, 0
	s_cmp_eq_u32 s9, 0
	s_cselect_b32 s3, s3, -1
	s_cmp_lg_u32 s3, 0
	s_cselect_b32 s2, s2, s9
	s_cselect_b32 s3, s34, s5
	s_cmp_ge_u32 s8, s33
	s_cselect_b32 s5, -1, 0
	s_cmp_eq_u32 s4, 0
	s_cselect_b32 s5, s5, -1
	s_cmp_lg_u32 s5, 0
	s_cselect_b32 s5, s2, s4
	s_cselect_b32 s4, s3, s8
	s_mov_b64 s[2:3], 0
	s_branch .LBB79_132
.LBB79_127:                             ;   in Loop: Header=BB79_36 Depth=1
                                        ; implicit-def: $sgpr4_sgpr5
	s_branch .LBB79_113
.LBB79_128:                             ;   in Loop: Header=BB79_36 Depth=1
	s_or_b64 exec, exec, s[16:17]
	s_waitcnt lgkmcnt(0)
	s_barrier
	s_and_saveexec_b64 s[2:3], s[56:57]
	s_cbranch_execz .LBB79_130
; %bb.129:                              ;   in Loop: Header=BB79_36 Depth=1
	ds_read_b32 v4, v3 offset:5144
	s_waitcnt lgkmcnt(0)
	v_ashrrev_i32_e32 v5, 31, v4
	ds_write_b64 v3, v[4:5] offset:5120
.LBB79_130:                             ;   in Loop: Header=BB79_36 Depth=1
	s_or_b64 exec, exec, s[2:3]
	s_waitcnt lgkmcnt(0)
	s_barrier
	s_mov_b64 s[4:5], -1
	s_and_b64 vcc, exec, s[6:7]
	s_cbranch_vccnz .LBB79_51
	s_branch .LBB79_66
.LBB79_131:                             ;   in Loop: Header=BB79_36 Depth=1
	s_mov_b64 s[2:3], -1
                                        ; implicit-def: $sgpr4_sgpr5
.LBB79_132:                             ;   in Loop: Header=BB79_36 Depth=1
	s_andn2_b64 vcc, exec, s[2:3]
	v_readlane_b32 s50, v56, 36
	s_cbranch_vccnz .LBB79_134
; %bb.133:                              ;   in Loop: Header=BB79_36 Depth=1
	v_cvt_f32_u32_e32 v2, s33
	s_sub_i32 s2, 0, s33
	v_rcp_iflag_f32_e32 v2, v2
	v_mul_f32_e32 v2, 0x4f7ffffe, v2
	v_cvt_u32_f32_e32 v2, v2
	v_readfirstlane_b32 s3, v2
	s_mul_i32 s2, s2, s3
	s_mul_hi_u32 s2, s3, s2
	s_add_i32 s3, s3, s2
	s_mul_hi_u32 s2, s0, s3
	s_mul_i32 s2, s2, s33
	s_sub_i32 s2, s0, s2
	s_sub_i32 s3, s2, s33
	s_cmp_ge_u32 s2, s33
	s_cselect_b32 s2, s3, s2
	s_sub_i32 s3, s2, s33
	s_cmp_ge_u32 s2, s33
	s_cselect_b32 s60, s3, s2
	s_mov_b64 s[4:5], s[60:61]
	v_readlane_b32 s60, v56, 37
.LBB79_134:                             ;   in Loop: Header=BB79_36 Depth=1
	s_sub_u32 s34, s0, s4
	s_subb_u32 s35, s51, s5
	v_cmp_gt_u64_e32 vcc, s[34:35], v[0:1]
                                        ; implicit-def: $vgpr45
	s_and_saveexec_b64 s[4:5], vcc
	s_cbranch_execz .LBB79_143
; %bb.135:                              ;   in Loop: Header=BB79_36 Depth=1
	v_mov_b32_e32 v8, v12
	v_mov_b32_e32 v11, v1
	s_mov_b64 s[8:9], 0
	v_mov_b32_e32 v9, v13
	v_mov_b32_e32 v10, v0
                                        ; implicit-def: $sgpr38_sgpr39
	s_branch .LBB79_138
.LBB79_136:                             ;   in Loop: Header=BB79_138 Depth=2
	s_or_b64 exec, exec, s[40:41]
	s_waitcnt lgkmcnt(0)
	s_barrier
	ds_read_u16 v2, v3 offset:3072
	s_mov_b64 s[40:41], -1
	s_mov_b64 s[42:43], -1
	s_waitcnt lgkmcnt(0)
	s_barrier
	v_cmp_ne_u32_sdwa s[2:3], v2, v3 src0_sel:BYTE_0 src1_sel:DWORD
	s_and_b64 vcc, exec, s[2:3]
	s_cbranch_vccz .LBB79_141
.LBB79_137:                             ;   in Loop: Header=BB79_138 Depth=2
	s_and_b64 s[2:3], exec, s[40:41]
	s_or_b64 s[8:9], s[2:3], s[8:9]
	s_andn2_b64 s[2:3], s[38:39], exec
	s_and_b64 s[38:39], s[42:43], exec
	s_or_b64 s[38:39], s[2:3], s[38:39]
	s_andn2_b64 exec, exec, s[8:9]
	s_cbranch_execz .LBB79_142
.LBB79_138:                             ;   Parent Loop BB79_36 Depth=1
                                        ; =>  This Inner Loop Header: Depth=2
	v_cmp_gt_u64_e32 vcc, s[24:25], v[10:11]
	s_and_saveexec_b64 s[40:41], vcc
	s_cbranch_execz .LBB79_136
; %bb.139:                              ;   in Loop: Header=BB79_138 Depth=2
	global_load_ubyte v2, v[8:9], off
	s_waitcnt vmcnt(0)
	v_and_b32_e32 v28, v2, v44
	v_cmp_eq_u32_sdwa s[2:3], v28, v41 src0_sel:BYTE_0 src1_sel:DWORD
	s_and_b64 exec, exec, s[2:3]
	s_cbranch_execz .LBB79_136
; %bb.140:                              ;   in Loop: Header=BB79_138 Depth=2
	v_lshlrev_b16_e32 v2, 8, v2
	v_or_b32_e32 v2, 1, v2
	ds_write_b16 v3, v2 offset:3072
	s_branch .LBB79_136
.LBB79_141:                             ;   in Loop: Header=BB79_138 Depth=2
	v_add_co_u32_e32 v10, vcc, s33, v10
	v_addc_co_u32_e32 v11, vcc, 0, v11, vcc
	v_mov_b32_e32 v28, s48
	v_add_co_u32_e32 v8, vcc, s49, v8
	v_addc_co_u32_e32 v9, vcc, v9, v28, vcc
	v_cmp_le_u64_e32 vcc, s[34:35], v[10:11]
	s_mov_b64 s[42:43], 0
	s_orn2_b64 s[40:41], vcc, exec
	s_branch .LBB79_137
.LBB79_142:                             ;   in Loop: Header=BB79_36 Depth=1
	s_or_b64 exec, exec, s[8:9]
	s_andn2_b64 s[2:3], s[6:7], exec
	s_and_b64 s[6:7], s[38:39], exec
	v_lshrrev_b32_sdwa v45, v43, v2 dst_sel:DWORD dst_unused:UNUSED_PAD src0_sel:DWORD src1_sel:WORD_0
	s_or_b64 s[6:7], s[2:3], s[6:7]
.LBB79_143:                             ;   in Loop: Header=BB79_36 Depth=1
	s_or_b64 exec, exec, s[4:5]
	s_mov_b64 s[38:39], 0
	s_mov_b64 s[40:41], -1
.LBB79_144:                             ;   in Loop: Header=BB79_36 Depth=1
	s_orn2_b64 s[4:5], s[6:7], exec
.LBB79_145:                             ;   in Loop: Header=BB79_36 Depth=1
	s_or_b64 exec, exec, s[18:19]
	s_andn2_b64 s[2:3], s[76:77], exec
	s_and_b64 s[6:7], s[40:41], exec
	s_or_b64 s[76:77], s[2:3], s[6:7]
	s_andn2_b64 s[2:3], s[74:75], exec
	s_and_b64 s[6:7], s[38:39], exec
	s_andn2_b64 s[72:73], s[72:73], exec
	s_or_b64 s[74:75], s[2:3], s[6:7]
                                        ; implicit-def: $vgpr8_vgpr9
	s_and_saveexec_b64 s[18:19], s[4:5]
	s_cbranch_execz .LBB79_35
; %bb.146:                              ;   in Loop: Header=BB79_36 Depth=1
	v_mov_b32_e32 v8, 1
	s_xor_b64 s[2:3], s[20:21], -1
	v_mov_b32_e32 v2, 1
	v_mov_b32_e32 v9, 0
	s_mov_b64 s[8:9], 0
	s_and_saveexec_b64 s[6:7], s[2:3]
	s_cbranch_execz .LBB79_152
; %bb.147:                              ;   in Loop: Header=BB79_36 Depth=1
	v_cmp_le_u64_e32 vcc, v[26:27], v[4:5]
	s_and_saveexec_b64 s[2:3], vcc
	s_xor_b64 s[4:5], exec, s[2:3]
	s_cbranch_execz .LBB79_149
; %bb.148:                              ;   in Loop: Header=BB79_36 Depth=1
	ds_read_b64 v[8:9], v3 offset:5120
	v_and_b32_e32 v41, s52, v41
	v_or_b32_e32 v44, s46, v44
	s_waitcnt lgkmcnt(0)
	v_cmp_ne_u64_e32 vcc, 0, v[8:9]
	s_cbranch_vccz .LBB79_168
.LBB79_149:                             ;   in Loop: Header=BB79_36 Depth=1
	s_or_saveexec_b64 s[4:5], s[4:5]
	v_mov_b32_e32 v2, 8
	s_xor_b64 exec, exec, s[4:5]
.LBB79_150:                             ;   in Loop: Header=BB79_36 Depth=1
	v_sub_co_u32_e32 v26, vcc, v26, v4
	v_subb_co_u32_e32 v27, vcc, v27, v5, vcc
	v_mov_b32_e32 v2, 0
	s_mov_b64 s[8:9], exec
.LBB79_151:                             ;   in Loop: Header=BB79_36 Depth=1
	s_or_b64 exec, exec, s[4:5]
	v_mov_b32_e32 v8, v26
	s_and_b64 s[8:9], s[8:9], exec
	v_mov_b32_e32 v9, v27
.LBB79_152:                             ;   in Loop: Header=BB79_36 Depth=1
	s_or_b64 exec, exec, s[6:7]
	s_mov_b64 s[20:21], -1
	s_mov_b64 s[4:5], -1
                                        ; implicit-def: $sgpr14_sgpr15
                                        ; implicit-def: $sgpr82_sgpr83
	s_and_saveexec_b64 s[2:3], s[8:9]
	s_xor_b64 s[78:79], exec, s[2:3]
	s_cbranch_execz .LBB79_300
; %bb.153:                              ;   in Loop: Header=BB79_36 Depth=1
	v_cmp_eq_u64_e32 vcc, 1, v[6:7]
	v_cmp_eq_u64_e64 s[14:15], 1, v[8:9]
                                        ; implicit-def: $sgpr82_sgpr83
	s_and_b64 s[86:87], vcc, s[14:15]
                                        ; implicit-def: $sgpr14_sgpr15
	s_and_saveexec_b64 s[84:85], s[86:87]
	s_cbranch_execz .LBB79_191
; %bb.154:                              ;   in Loop: Header=BB79_36 Depth=1
	ds_read_b64 v[4:5], v3 offset:5120
	s_waitcnt lgkmcnt(0)
	s_barrier
	v_readfirstlane_b32 s6, v4
	v_readfirstlane_b32 s7, v5
	s_mov_b64 s[2:3], exec
	v_readlane_b32 s4, v56, 31
	v_readlane_b32 s5, v56, 32
	s_and_b64 s[4:5], s[2:3], s[4:5]
	s_mov_b64 exec, s[4:5]
; %bb.155:                              ;   in Loop: Header=BB79_36 Depth=1
	ds_write_b8 v0, v3 offset:3072
; %bb.156:                              ;   in Loop: Header=BB79_36 Depth=1
	s_or_b64 exec, exec, s[2:3]
	v_and_b32_e32 v4, s52, v41
	v_lshl_or_b32 v41, 1, s63, v4
	v_or_b32_e32 v44, s46, v44
	s_mov_b64 s[14:15], -1
	s_mov_b64 s[82:83], 0
	s_cmp_eq_u64 s[6:7], 0
	s_mov_b64 s[38:39], 0
	s_mov_b64 s[34:35], -1
	s_waitcnt lgkmcnt(0)
	s_barrier
                                        ; implicit-def: $vgpr45
	s_cbranch_scc1 .LBB79_173
; %bb.157:                              ;   in Loop: Header=BB79_36 Depth=1
	v_readlane_b32 s2, v56, 14
	s_add_u32 s8, s6, s2
	v_readlane_b32 s2, v56, 15
	s_addc_u32 s35, s7, s2
	s_mov_b32 s34, s61
	s_cmp_lg_u64 s[34:35], 0
	s_cbranch_scc0 .LBB79_176
; %bb.158:                              ;   in Loop: Header=BB79_36 Depth=1
	v_cvt_f32_u32_e32 v4, s33
	s_sub_u32 s4, 0, s33
	s_subb_u32 s5, 0, 0
	v_mac_f32_e32 v4, 0, v42
	v_rcp_f32_e32 v4, v4
	v_mul_f32_e32 v4, 0x5f7ffffc, v4
	v_mul_f32_e32 v5, 0x2f800000, v4
	v_trunc_f32_e32 v5, v5
	v_mac_f32_e32 v4, 0xcf800000, v5
	v_cvt_u32_f32_e32 v5, v5
	v_cvt_u32_f32_e32 v4, v4
	v_readfirstlane_b32 s9, v5
	v_readfirstlane_b32 s2, v4
	s_mul_i32 s3, s4, s9
	s_mul_hi_u32 s38, s4, s2
	s_mul_i32 s34, s5, s2
	s_add_i32 s3, s38, s3
	s_mul_i32 s39, s4, s2
	s_add_i32 s3, s3, s34
	s_mul_hi_u32 s38, s2, s39
	s_mul_i32 s40, s2, s3
	s_mul_hi_u32 s34, s2, s3
	s_add_u32 s38, s38, s40
	s_addc_u32 s34, 0, s34
	s_mul_hi_u32 s41, s9, s39
	s_mul_i32 s39, s9, s39
	s_add_u32 s38, s38, s39
	s_mul_hi_u32 s40, s9, s3
	s_addc_u32 s34, s34, s41
	s_addc_u32 s38, s40, 0
	s_mul_i32 s3, s9, s3
	s_add_u32 s3, s34, s3
	s_addc_u32 s34, 0, s38
	s_add_u32 s38, s2, s3
	s_cselect_b64 s[2:3], -1, 0
	s_cmp_lg_u64 s[2:3], 0
	s_addc_u32 s9, s9, s34
	s_mul_i32 s2, s4, s9
	s_mul_hi_u32 s3, s4, s38
	s_add_i32 s2, s3, s2
	s_mul_i32 s5, s5, s38
	s_add_i32 s2, s2, s5
	s_mul_i32 s4, s4, s38
	s_mul_hi_u32 s5, s9, s4
	s_mul_i32 s34, s9, s4
	s_mul_i32 s40, s38, s2
	s_mul_hi_u32 s4, s38, s4
	s_mul_hi_u32 s39, s38, s2
	s_add_u32 s4, s4, s40
	s_addc_u32 s39, 0, s39
	s_add_u32 s4, s4, s34
	s_mul_hi_u32 s3, s9, s2
	s_addc_u32 s4, s39, s5
	s_addc_u32 s3, s3, 0
	s_mul_i32 s2, s9, s2
	s_add_u32 s2, s4, s2
	s_addc_u32 s4, 0, s3
	s_add_u32 s5, s38, s2
	s_cselect_b64 s[2:3], -1, 0
	s_cmp_lg_u64 s[2:3], 0
	s_addc_u32 s2, s9, s4
	s_mul_i32 s4, s8, s2
	s_mul_hi_u32 s9, s8, s5
	s_mul_hi_u32 s3, s8, s2
	s_add_u32 s4, s9, s4
	s_addc_u32 s3, 0, s3
	s_mul_hi_u32 s34, s35, s5
	s_mul_i32 s5, s35, s5
	s_add_u32 s4, s4, s5
	s_mul_hi_u32 s9, s35, s2
	s_addc_u32 s3, s3, s34
	s_addc_u32 s4, s9, 0
	s_mul_i32 s2, s35, s2
	s_add_u32 s2, s3, s2
	s_addc_u32 s3, 0, s4
	s_mul_i32 s3, s33, s3
	s_mul_hi_u32 s4, s33, s2
	s_add_i32 s4, s4, s3
	s_mul_i32 s2, s33, s2
	s_sub_u32 s9, s8, s2
	s_cselect_b64 s[2:3], -1, 0
	s_cmp_lg_u64 s[2:3], 0
	s_subb_u32 s4, s35, s4
	s_sub_u32 s5, s9, s33
	s_cselect_b64 s[2:3], -1, 0
	s_cmp_lg_u64 s[2:3], 0
	s_subb_u32 s34, s4, 0
	;; [unrolled: 4-line block ×3, first 2 shown]
	s_cmp_ge_u32 s5, s33
	s_cselect_b32 s3, -1, 0
	s_cmp_eq_u32 s34, 0
	s_cselect_b32 s3, s3, -1
	s_cmp_lg_u32 s3, 0
	s_cselect_b32 s2, s2, s34
	s_cselect_b32 s3, s38, s5
	s_cmp_ge_u32 s9, s33
	s_cselect_b32 s5, -1, 0
	s_cmp_eq_u32 s4, 0
	s_cselect_b32 s5, s5, -1
	s_cmp_lg_u32 s5, 0
	s_cselect_b32 s5, s2, s4
	s_cselect_b32 s4, s3, s9
	s_cbranch_execnz .LBB79_160
.LBB79_159:                             ;   in Loop: Header=BB79_36 Depth=1
	v_cvt_f32_u32_e32 v4, s33
	s_sub_i32 s2, 0, s33
	v_rcp_iflag_f32_e32 v4, v4
	v_mul_f32_e32 v4, 0x4f7ffffe, v4
	v_cvt_u32_f32_e32 v4, v4
	v_readfirstlane_b32 s3, v4
	s_mul_i32 s2, s2, s3
	s_mul_hi_u32 s2, s3, s2
	s_add_i32 s3, s3, s2
	s_mul_hi_u32 s2, s8, s3
	s_mul_i32 s2, s2, s33
	s_sub_i32 s2, s8, s2
	s_sub_i32 s3, s2, s33
	s_cmp_ge_u32 s2, s33
	s_cselect_b32 s2, s3, s2
	s_sub_i32 s3, s2, s33
	s_cmp_ge_u32 s2, s33
	s_cselect_b32 s60, s3, s2
	s_mov_b64 s[4:5], s[60:61]
	v_readlane_b32 s60, v56, 37
.LBB79_160:                             ;   in Loop: Header=BB79_36 Depth=1
	s_sub_u32 s8, s8, s4
	s_subb_u32 s9, s35, s5
	v_cmp_gt_u64_e32 vcc, s[8:9], v[0:1]
	s_mov_b64 s[34:35], 0
	s_mov_b64 s[38:39], 0
                                        ; implicit-def: $vgpr45
	s_and_saveexec_b64 s[4:5], vcc
	s_cbranch_execz .LBB79_172
; %bb.161:                              ;   in Loop: Header=BB79_36 Depth=1
	v_mov_b32_e32 v5, v1
	v_mov_b32_e32 v10, v0
	v_mov_b32_e32 v4, v0
                                        ; implicit-def: $sgpr40_sgpr41
	s_branch .LBB79_164
.LBB79_162:                             ;   in Loop: Header=BB79_164 Depth=2
	s_or_b64 exec, exec, s[42:43]
	s_waitcnt lgkmcnt(0)
	s_barrier
	ds_read_u16 v11, v3 offset:3072
	s_mov_b64 s[42:43], -1
	s_mov_b64 s[54:55], -1
	s_waitcnt lgkmcnt(0)
	s_barrier
	v_cmp_ne_u32_sdwa s[2:3], v11, v3 src0_sel:BYTE_0 src1_sel:DWORD
	s_and_b64 vcc, exec, s[2:3]
	s_cbranch_vccz .LBB79_167
.LBB79_163:                             ;   in Loop: Header=BB79_164 Depth=2
	s_and_b64 s[2:3], exec, s[42:43]
	s_or_b64 s[38:39], s[2:3], s[38:39]
	s_andn2_b64 s[2:3], s[40:41], exec
	s_and_b64 s[40:41], s[54:55], exec
	s_or_b64 s[40:41], s[2:3], s[40:41]
	s_andn2_b64 exec, exec, s[38:39]
	s_cbranch_execz .LBB79_171
.LBB79_164:                             ;   Parent Loop BB79_36 Depth=1
                                        ; =>  This Inner Loop Header: Depth=2
	v_cmp_gt_u64_e32 vcc, s[6:7], v[4:5]
	s_and_saveexec_b64 s[42:43], vcc
	s_cbranch_execz .LBB79_162
; %bb.165:                              ;   in Loop: Header=BB79_164 Depth=2
	ds_read_u8 v11, v10
	s_waitcnt lgkmcnt(0)
	v_and_b32_e32 v26, v11, v44
	v_cmp_eq_u32_sdwa s[2:3], v26, v41 src0_sel:BYTE_0 src1_sel:DWORD
	s_and_b64 exec, exec, s[2:3]
	s_cbranch_execz .LBB79_162
; %bb.166:                              ;   in Loop: Header=BB79_164 Depth=2
	v_lshlrev_b16_e32 v11, 8, v11
	v_or_b32_e32 v11, 1, v11
	ds_write_b16 v3, v11 offset:3072
	s_branch .LBB79_162
.LBB79_167:                             ;   in Loop: Header=BB79_164 Depth=2
	v_add_co_u32_e32 v4, vcc, s33, v4
	v_addc_co_u32_e32 v5, vcc, 0, v5, vcc
	v_cmp_le_u64_e32 vcc, s[8:9], v[4:5]
	v_add_u32_e32 v10, s33, v10
	s_mov_b64 s[54:55], 0
	s_orn2_b64 s[42:43], vcc, exec
	s_branch .LBB79_163
.LBB79_168:                             ;   in Loop: Header=BB79_36 Depth=1
	s_and_saveexec_b64 s[2:3], s[56:57]
; %bb.169:                              ;   in Loop: Header=BB79_36 Depth=1
	ds_write_b64 v3, v[4:5] offset:5128
; %bb.170:                              ;   in Loop: Header=BB79_36 Depth=1
	s_or_b64 exec, exec, s[2:3]
	s_waitcnt lgkmcnt(0)
	s_barrier
	s_or_saveexec_b64 s[4:5], s[4:5]
	v_mov_b32_e32 v2, 8
	s_xor_b64 exec, exec, s[4:5]
	s_cbranch_execnz .LBB79_150
	s_branch .LBB79_151
.LBB79_171:                             ;   in Loop: Header=BB79_36 Depth=1
	s_or_b64 exec, exec, s[38:39]
	v_lshrrev_b32_sdwa v45, v43, v11 dst_sel:DWORD dst_unused:UNUSED_PAD src0_sel:DWORD src1_sel:WORD_0
	s_and_b64 s[38:39], s[40:41], exec
.LBB79_172:                             ;   in Loop: Header=BB79_36 Depth=1
	s_or_b64 exec, exec, s[4:5]
.LBB79_173:                             ;   in Loop: Header=BB79_36 Depth=1
	s_and_b64 vcc, exec, s[34:35]
	s_cbranch_vccz .LBB79_190
; %bb.174:                              ;   in Loop: Header=BB79_36 Depth=1
	s_mov_b32 s50, s61
	s_cmp_lg_u64 s[50:51], 0
	s_cbranch_scc0 .LBB79_177
; %bb.175:                              ;   in Loop: Header=BB79_36 Depth=1
	v_cvt_f32_u32_e32 v4, s33
	s_sub_u32 s4, 0, s33
	s_subb_u32 s5, 0, 0
	v_mac_f32_e32 v4, 0, v42
	v_rcp_f32_e32 v4, v4
	v_mul_f32_e32 v4, 0x5f7ffffc, v4
	v_mul_f32_e32 v5, 0x2f800000, v4
	v_trunc_f32_e32 v5, v5
	v_mac_f32_e32 v4, 0xcf800000, v5
	v_cvt_u32_f32_e32 v5, v5
	v_cvt_u32_f32_e32 v4, v4
	v_readfirstlane_b32 s6, v5
	v_readfirstlane_b32 s2, v4
	s_mul_i32 s3, s4, s6
	s_mul_hi_u32 s8, s4, s2
	s_mul_i32 s7, s5, s2
	s_add_i32 s3, s8, s3
	s_mul_i32 s9, s4, s2
	s_add_i32 s3, s3, s7
	s_mul_hi_u32 s8, s2, s9
	s_mul_i32 s14, s2, s3
	s_mul_hi_u32 s7, s2, s3
	s_add_u32 s8, s8, s14
	s_addc_u32 s7, 0, s7
	s_mul_hi_u32 s15, s6, s9
	s_mul_i32 s9, s6, s9
	s_add_u32 s8, s8, s9
	s_mul_hi_u32 s14, s6, s3
	s_addc_u32 s7, s7, s15
	s_addc_u32 s8, s14, 0
	s_mul_i32 s3, s6, s3
	s_add_u32 s3, s7, s3
	s_addc_u32 s7, 0, s8
	s_add_u32 s8, s2, s3
	s_cselect_b64 s[2:3], -1, 0
	s_cmp_lg_u64 s[2:3], 0
	s_addc_u32 s6, s6, s7
	s_mul_i32 s2, s4, s6
	s_mul_hi_u32 s3, s4, s8
	s_add_i32 s2, s3, s2
	s_mul_i32 s5, s5, s8
	s_add_i32 s2, s2, s5
	s_mul_i32 s4, s4, s8
	s_mul_hi_u32 s5, s6, s4
	s_mul_i32 s7, s6, s4
	s_mul_i32 s14, s8, s2
	s_mul_hi_u32 s4, s8, s4
	s_mul_hi_u32 s9, s8, s2
	s_add_u32 s4, s4, s14
	s_addc_u32 s9, 0, s9
	s_add_u32 s4, s4, s7
	s_mul_hi_u32 s3, s6, s2
	s_addc_u32 s4, s9, s5
	s_addc_u32 s3, s3, 0
	s_mul_i32 s2, s6, s2
	s_add_u32 s2, s4, s2
	s_addc_u32 s4, 0, s3
	s_add_u32 s5, s8, s2
	s_cselect_b64 s[2:3], -1, 0
	s_cmp_lg_u64 s[2:3], 0
	s_addc_u32 s2, s6, s4
	s_mul_i32 s4, s0, s2
	s_mul_hi_u32 s6, s0, s5
	s_mul_hi_u32 s3, s0, s2
	s_add_u32 s4, s6, s4
	s_addc_u32 s3, 0, s3
	s_mul_hi_u32 s7, s51, s5
	s_mul_i32 s5, s51, s5
	s_add_u32 s4, s4, s5
	s_mul_hi_u32 s6, s51, s2
	s_addc_u32 s3, s3, s7
	s_addc_u32 s4, s6, 0
	s_mul_i32 s2, s51, s2
	s_add_u32 s2, s3, s2
	s_addc_u32 s3, 0, s4
	s_mul_i32 s3, s33, s3
	s_mul_hi_u32 s4, s33, s2
	s_add_i32 s4, s4, s3
	s_mul_i32 s2, s33, s2
	s_sub_u32 s6, s0, s2
	s_cselect_b64 s[2:3], -1, 0
	s_cmp_lg_u64 s[2:3], 0
	s_subb_u32 s4, s51, s4
	s_sub_u32 s5, s6, s33
	s_cselect_b64 s[2:3], -1, 0
	s_cmp_lg_u64 s[2:3], 0
	s_subb_u32 s7, s4, 0
	s_sub_u32 s8, s5, s33
	s_cselect_b64 s[2:3], -1, 0
	s_cmp_lg_u64 s[2:3], 0
	s_subb_u32 s2, s7, 0
	s_cmp_ge_u32 s5, s33
	s_cselect_b32 s3, -1, 0
	s_cmp_eq_u32 s7, 0
	s_cselect_b32 s3, s3, -1
	s_cmp_lg_u32 s3, 0
	s_cselect_b32 s2, s2, s7
	s_cselect_b32 s3, s8, s5
	s_cmp_ge_u32 s6, s33
	s_cselect_b32 s5, -1, 0
	s_cmp_eq_u32 s4, 0
	s_cselect_b32 s5, s5, -1
	s_cmp_lg_u32 s5, 0
	s_cselect_b32 s5, s2, s4
	s_cselect_b32 s4, s3, s6
	s_mov_b64 s[2:3], 0
	s_branch .LBB79_178
.LBB79_176:                             ;   in Loop: Header=BB79_36 Depth=1
                                        ; implicit-def: $sgpr4_sgpr5
	s_branch .LBB79_159
.LBB79_177:                             ;   in Loop: Header=BB79_36 Depth=1
	s_mov_b64 s[2:3], -1
                                        ; implicit-def: $sgpr4_sgpr5
.LBB79_178:                             ;   in Loop: Header=BB79_36 Depth=1
	s_andn2_b64 vcc, exec, s[2:3]
	v_readlane_b32 s50, v56, 36
	s_cbranch_vccnz .LBB79_180
; %bb.179:                              ;   in Loop: Header=BB79_36 Depth=1
	v_cvt_f32_u32_e32 v4, s33
	s_sub_i32 s2, 0, s33
	v_rcp_iflag_f32_e32 v4, v4
	v_mul_f32_e32 v4, 0x4f7ffffe, v4
	v_cvt_u32_f32_e32 v4, v4
	v_readfirstlane_b32 s3, v4
	s_mul_i32 s2, s2, s3
	s_mul_hi_u32 s2, s3, s2
	s_add_i32 s3, s3, s2
	s_mul_hi_u32 s2, s0, s3
	s_mul_i32 s2, s2, s33
	s_sub_i32 s2, s0, s2
	s_sub_i32 s3, s2, s33
	s_cmp_ge_u32 s2, s33
	s_cselect_b32 s2, s3, s2
	s_sub_i32 s3, s2, s33
	s_cmp_ge_u32 s2, s33
	s_cselect_b32 s60, s3, s2
	s_mov_b64 s[4:5], s[60:61]
	v_readlane_b32 s60, v56, 37
.LBB79_180:                             ;   in Loop: Header=BB79_36 Depth=1
	s_sub_u32 s6, s0, s4
	s_subb_u32 s7, s51, s5
	v_cmp_gt_u64_e32 vcc, s[6:7], v[0:1]
                                        ; implicit-def: $vgpr45
	s_and_saveexec_b64 s[4:5], vcc
	s_cbranch_execz .LBB79_189
; %bb.181:                              ;   in Loop: Header=BB79_36 Depth=1
	v_mov_b32_e32 v4, v12
	v_mov_b32_e32 v11, v1
	s_mov_b64 s[8:9], 0
	v_mov_b32_e32 v5, v13
	v_mov_b32_e32 v10, v0
                                        ; implicit-def: $sgpr14_sgpr15
	s_branch .LBB79_184
.LBB79_182:                             ;   in Loop: Header=BB79_184 Depth=2
	s_or_b64 exec, exec, s[34:35]
	s_waitcnt lgkmcnt(0)
	s_barrier
	ds_read_u16 v26, v3 offset:3072
	s_mov_b64 s[34:35], -1
	s_mov_b64 s[40:41], -1
	s_waitcnt lgkmcnt(0)
	s_barrier
	v_cmp_eq_u32_sdwa s[2:3], v26, v3 src0_sel:BYTE_0 src1_sel:DWORD
	s_and_b64 vcc, exec, s[2:3]
	s_cbranch_vccnz .LBB79_187
.LBB79_183:                             ;   in Loop: Header=BB79_184 Depth=2
	s_and_b64 s[2:3], exec, s[34:35]
	s_or_b64 s[8:9], s[2:3], s[8:9]
	s_andn2_b64 s[2:3], s[14:15], exec
	s_and_b64 s[14:15], s[40:41], exec
	s_or_b64 s[14:15], s[2:3], s[14:15]
	s_andn2_b64 exec, exec, s[8:9]
	s_cbranch_execz .LBB79_188
.LBB79_184:                             ;   Parent Loop BB79_36 Depth=1
                                        ; =>  This Inner Loop Header: Depth=2
	v_cmp_gt_u64_e32 vcc, s[24:25], v[10:11]
	s_and_saveexec_b64 s[34:35], vcc
	s_cbranch_execz .LBB79_182
; %bb.185:                              ;   in Loop: Header=BB79_184 Depth=2
	global_load_ubyte v26, v[4:5], off
	s_waitcnt vmcnt(0)
	v_and_b32_e32 v27, v26, v44
	v_cmp_eq_u32_sdwa s[2:3], v27, v41 src0_sel:BYTE_0 src1_sel:DWORD
	s_and_b64 exec, exec, s[2:3]
	s_cbranch_execz .LBB79_182
; %bb.186:                              ;   in Loop: Header=BB79_184 Depth=2
	v_lshlrev_b16_e32 v26, 8, v26
	v_or_b32_e32 v26, 1, v26
	ds_write_b16 v3, v26 offset:3072
	s_branch .LBB79_182
.LBB79_187:                             ;   in Loop: Header=BB79_184 Depth=2
	v_add_co_u32_e32 v10, vcc, s33, v10
	v_addc_co_u32_e32 v11, vcc, 0, v11, vcc
	v_mov_b32_e32 v27, s48
	v_add_co_u32_e32 v4, vcc, s49, v4
	v_addc_co_u32_e32 v5, vcc, v5, v27, vcc
	v_cmp_le_u64_e32 vcc, s[6:7], v[10:11]
	s_mov_b64 s[40:41], 0
	s_orn2_b64 s[34:35], vcc, exec
	s_branch .LBB79_183
.LBB79_188:                             ;   in Loop: Header=BB79_36 Depth=1
	s_or_b64 exec, exec, s[8:9]
	s_andn2_b64 s[2:3], s[38:39], exec
	s_and_b64 s[6:7], s[14:15], exec
	v_lshrrev_b32_sdwa v45, v43, v26 dst_sel:DWORD dst_unused:UNUSED_PAD src0_sel:DWORD src1_sel:WORD_0
	s_or_b64 s[38:39], s[2:3], s[6:7]
.LBB79_189:                             ;   in Loop: Header=BB79_36 Depth=1
	s_or_b64 exec, exec, s[4:5]
	s_mov_b64 s[14:15], 0
	s_mov_b64 s[82:83], -1
.LBB79_190:                             ;   in Loop: Header=BB79_36 Depth=1
	s_orn2_b64 s[4:5], s[38:39], exec
.LBB79_191:                             ;   in Loop: Header=BB79_36 Depth=1
	s_or_b64 exec, exec, s[84:85]
	s_mov_b64 s[6:7], 0
	s_and_saveexec_b64 s[84:85], s[4:5]
	s_cbranch_execz .LBB79_299
; %bb.192:                              ;   in Loop: Header=BB79_36 Depth=1
	v_mov_b32_e32 v4, 1
	s_xor_b64 s[2:3], s[86:87], -1
	v_mov_b32_e32 v2, 1
	v_mov_b32_e32 v5, 0
	s_mov_b64 s[8:9], 0
	s_and_saveexec_b64 s[6:7], s[2:3]
	s_cbranch_execz .LBB79_202
; %bb.193:                              ;   in Loop: Header=BB79_36 Depth=1
	v_cmp_le_u64_e32 vcc, v[8:9], v[6:7]
	s_and_saveexec_b64 s[2:3], vcc
	s_xor_b64 s[4:5], exec, s[2:3]
	s_cbranch_execz .LBB79_199
; %bb.194:                              ;   in Loop: Header=BB79_36 Depth=1
	ds_read_b64 v[4:5], v3 offset:5120
	v_and_b32_e32 v2, s52, v41
	v_lshl_or_b32 v41, 1, s63, v2
	v_or_b32_e32 v44, s46, v44
	s_waitcnt lgkmcnt(0)
	v_cmp_ne_u64_e32 vcc, 0, v[4:5]
	s_cbranch_vccnz .LBB79_198
; %bb.195:                              ;   in Loop: Header=BB79_36 Depth=1
	s_and_saveexec_b64 s[2:3], s[56:57]
; %bb.196:                              ;   in Loop: Header=BB79_36 Depth=1
	ds_write_b64 v3, v[6:7] offset:5128
; %bb.197:                              ;   in Loop: Header=BB79_36 Depth=1
	s_or_b64 exec, exec, s[2:3]
	s_waitcnt lgkmcnt(0)
	s_barrier
.LBB79_198:                             ;   in Loop: Header=BB79_36 Depth=1
                                        ; implicit-def: $vgpr4_vgpr5_vgpr6_vgpr7
.LBB79_199:                             ;   in Loop: Header=BB79_36 Depth=1
	s_or_saveexec_b64 s[4:5], s[4:5]
	v_mov_b32_e32 v2, 8
	s_xor_b64 exec, exec, s[4:5]
; %bb.200:                              ;   in Loop: Header=BB79_36 Depth=1
	v_sub_co_u32_e32 v8, vcc, v8, v6
	v_subb_co_u32_e32 v9, vcc, v9, v7, vcc
	v_mov_b32_e32 v2, 0
	s_mov_b64 s[8:9], exec
; %bb.201:                              ;   in Loop: Header=BB79_36 Depth=1
	s_or_b64 exec, exec, s[4:5]
	v_mov_b32_e32 v4, v8
	s_and_b64 s[8:9], s[8:9], exec
	v_mov_b32_e32 v5, v9
.LBB79_202:                             ;   in Loop: Header=BB79_36 Depth=1
	s_or_b64 exec, exec, s[6:7]
	s_mov_b64 s[4:5], -1
                                        ; implicit-def: $sgpr88_sgpr89
                                        ; implicit-def: $sgpr90_sgpr91
	s_and_saveexec_b64 s[86:87], s[8:9]
	s_cbranch_execz .LBB79_298
; %bb.203:                              ;   in Loop: Header=BB79_36 Depth=1
	s_cmp_eq_u64 s[80:81], 1
	v_cmp_eq_u64_e32 vcc, 1, v[4:5]
	s_cselect_b64 s[2:3], -1, 0
	s_and_b64 s[94:95], s[2:3], vcc
                                        ; implicit-def: $sgpr90_sgpr91
                                        ; implicit-def: $sgpr88_sgpr89
	s_and_saveexec_b64 s[92:93], s[94:95]
	s_cbranch_execz .LBB79_238
; %bb.204:                              ;   in Loop: Header=BB79_36 Depth=1
	ds_read_b64 v[6:7], v3 offset:5120
	s_waitcnt lgkmcnt(0)
	s_barrier
	v_readfirstlane_b32 s6, v6
	v_readfirstlane_b32 s7, v7
	s_mov_b64 s[2:3], exec
	v_readlane_b32 s4, v56, 31
	v_readlane_b32 s5, v56, 32
	s_and_b64 s[4:5], s[2:3], s[4:5]
	s_mov_b64 exec, s[4:5]
; %bb.205:                              ;   in Loop: Header=BB79_36 Depth=1
	ds_write_b8 v0, v3 offset:3072
; %bb.206:                              ;   in Loop: Header=BB79_36 Depth=1
	s_or_b64 exec, exec, s[2:3]
	v_and_b32_e32 v6, s52, v41
	v_lshl_or_b32 v41, 2, s63, v6
	v_or_b32_e32 v44, s46, v44
	s_mov_b64 s[88:89], -1
	s_mov_b64 s[90:91], 0
	s_cmp_eq_u64 s[6:7], 0
	s_mov_b64 s[38:39], 0
	s_mov_b64 s[34:35], -1
	s_waitcnt lgkmcnt(0)
	s_barrier
                                        ; implicit-def: $vgpr45
	s_cbranch_scc1 .LBB79_220
; %bb.207:                              ;   in Loop: Header=BB79_36 Depth=1
	v_readlane_b32 s2, v56, 14
	s_add_u32 s8, s6, s2
	v_readlane_b32 s2, v56, 15
	s_addc_u32 s35, s7, s2
	s_mov_b32 s34, s61
	s_cmp_lg_u64 s[34:35], 0
	s_cbranch_scc0 .LBB79_223
; %bb.208:                              ;   in Loop: Header=BB79_36 Depth=1
	v_cvt_f32_u32_e32 v6, s33
	s_sub_u32 s4, 0, s33
	s_subb_u32 s5, 0, 0
	v_mac_f32_e32 v6, 0, v42
	v_rcp_f32_e32 v6, v6
	v_mul_f32_e32 v6, 0x5f7ffffc, v6
	v_mul_f32_e32 v7, 0x2f800000, v6
	v_trunc_f32_e32 v7, v7
	v_mac_f32_e32 v6, 0xcf800000, v7
	v_cvt_u32_f32_e32 v7, v7
	v_cvt_u32_f32_e32 v6, v6
	v_readfirstlane_b32 s9, v7
	v_readfirstlane_b32 s2, v6
	s_mul_i32 s3, s4, s9
	s_mul_hi_u32 s38, s4, s2
	s_mul_i32 s34, s5, s2
	s_add_i32 s3, s38, s3
	s_mul_i32 s39, s4, s2
	s_add_i32 s3, s3, s34
	s_mul_hi_u32 s38, s2, s39
	s_mul_i32 s40, s2, s3
	s_mul_hi_u32 s34, s2, s3
	s_add_u32 s38, s38, s40
	s_addc_u32 s34, 0, s34
	s_mul_hi_u32 s41, s9, s39
	s_mul_i32 s39, s9, s39
	s_add_u32 s38, s38, s39
	s_mul_hi_u32 s40, s9, s3
	s_addc_u32 s34, s34, s41
	s_addc_u32 s38, s40, 0
	s_mul_i32 s3, s9, s3
	s_add_u32 s3, s34, s3
	s_addc_u32 s34, 0, s38
	s_add_u32 s38, s2, s3
	s_cselect_b64 s[2:3], -1, 0
	s_cmp_lg_u64 s[2:3], 0
	s_addc_u32 s9, s9, s34
	s_mul_i32 s2, s4, s9
	s_mul_hi_u32 s3, s4, s38
	s_add_i32 s2, s3, s2
	s_mul_i32 s5, s5, s38
	s_add_i32 s2, s2, s5
	s_mul_i32 s4, s4, s38
	s_mul_hi_u32 s5, s9, s4
	s_mul_i32 s34, s9, s4
	s_mul_i32 s40, s38, s2
	s_mul_hi_u32 s4, s38, s4
	s_mul_hi_u32 s39, s38, s2
	s_add_u32 s4, s4, s40
	s_addc_u32 s39, 0, s39
	s_add_u32 s4, s4, s34
	s_mul_hi_u32 s3, s9, s2
	s_addc_u32 s4, s39, s5
	s_addc_u32 s3, s3, 0
	s_mul_i32 s2, s9, s2
	s_add_u32 s2, s4, s2
	s_addc_u32 s4, 0, s3
	s_add_u32 s5, s38, s2
	s_cselect_b64 s[2:3], -1, 0
	s_cmp_lg_u64 s[2:3], 0
	s_addc_u32 s2, s9, s4
	s_mul_i32 s4, s8, s2
	s_mul_hi_u32 s9, s8, s5
	s_mul_hi_u32 s3, s8, s2
	s_add_u32 s4, s9, s4
	s_addc_u32 s3, 0, s3
	s_mul_hi_u32 s34, s35, s5
	s_mul_i32 s5, s35, s5
	s_add_u32 s4, s4, s5
	s_mul_hi_u32 s9, s35, s2
	s_addc_u32 s3, s3, s34
	s_addc_u32 s4, s9, 0
	s_mul_i32 s2, s35, s2
	s_add_u32 s2, s3, s2
	s_addc_u32 s3, 0, s4
	s_mul_i32 s3, s33, s3
	s_mul_hi_u32 s4, s33, s2
	s_add_i32 s4, s4, s3
	s_mul_i32 s2, s33, s2
	s_sub_u32 s9, s8, s2
	s_cselect_b64 s[2:3], -1, 0
	s_cmp_lg_u64 s[2:3], 0
	s_subb_u32 s4, s35, s4
	s_sub_u32 s5, s9, s33
	s_cselect_b64 s[2:3], -1, 0
	s_cmp_lg_u64 s[2:3], 0
	s_subb_u32 s34, s4, 0
	;; [unrolled: 4-line block ×3, first 2 shown]
	s_cmp_ge_u32 s5, s33
	s_cselect_b32 s3, -1, 0
	s_cmp_eq_u32 s34, 0
	s_cselect_b32 s3, s3, -1
	s_cmp_lg_u32 s3, 0
	s_cselect_b32 s2, s2, s34
	s_cselect_b32 s3, s38, s5
	s_cmp_ge_u32 s9, s33
	s_cselect_b32 s5, -1, 0
	s_cmp_eq_u32 s4, 0
	s_cselect_b32 s5, s5, -1
	s_cmp_lg_u32 s5, 0
	s_cselect_b32 s5, s2, s4
	s_cselect_b32 s4, s3, s9
	s_cbranch_execnz .LBB79_210
.LBB79_209:                             ;   in Loop: Header=BB79_36 Depth=1
	v_cvt_f32_u32_e32 v6, s33
	s_sub_i32 s2, 0, s33
	v_rcp_iflag_f32_e32 v6, v6
	v_mul_f32_e32 v6, 0x4f7ffffe, v6
	v_cvt_u32_f32_e32 v6, v6
	v_readfirstlane_b32 s3, v6
	s_mul_i32 s2, s2, s3
	s_mul_hi_u32 s2, s3, s2
	s_add_i32 s3, s3, s2
	s_mul_hi_u32 s2, s8, s3
	s_mul_i32 s2, s2, s33
	s_sub_i32 s2, s8, s2
	s_sub_i32 s3, s2, s33
	s_cmp_ge_u32 s2, s33
	s_cselect_b32 s2, s3, s2
	s_sub_i32 s3, s2, s33
	s_cmp_ge_u32 s2, s33
	s_cselect_b32 s60, s3, s2
	s_mov_b64 s[4:5], s[60:61]
	v_readlane_b32 s60, v56, 37
.LBB79_210:                             ;   in Loop: Header=BB79_36 Depth=1
	s_sub_u32 s8, s8, s4
	s_subb_u32 s9, s35, s5
	v_cmp_gt_u64_e32 vcc, s[8:9], v[0:1]
	s_mov_b64 s[34:35], 0
	s_mov_b64 s[38:39], 0
                                        ; implicit-def: $vgpr45
	s_and_saveexec_b64 s[4:5], vcc
	s_cbranch_execz .LBB79_219
; %bb.211:                              ;   in Loop: Header=BB79_36 Depth=1
	v_mov_b32_e32 v7, v1
	v_mov_b32_e32 v8, v0
	;; [unrolled: 1-line block ×3, first 2 shown]
                                        ; implicit-def: $sgpr40_sgpr41
	s_branch .LBB79_214
.LBB79_212:                             ;   in Loop: Header=BB79_214 Depth=2
	s_or_b64 exec, exec, s[42:43]
	s_waitcnt lgkmcnt(0)
	s_barrier
	ds_read_u16 v9, v3 offset:3072
	s_mov_b64 s[42:43], -1
	s_mov_b64 s[54:55], -1
	s_waitcnt lgkmcnt(0)
	s_barrier
	v_cmp_ne_u32_sdwa s[2:3], v9, v3 src0_sel:BYTE_0 src1_sel:DWORD
	s_and_b64 vcc, exec, s[2:3]
	s_cbranch_vccz .LBB79_217
.LBB79_213:                             ;   in Loop: Header=BB79_214 Depth=2
	s_and_b64 s[2:3], exec, s[42:43]
	s_or_b64 s[38:39], s[2:3], s[38:39]
	s_andn2_b64 s[2:3], s[40:41], exec
	s_and_b64 s[40:41], s[54:55], exec
	s_or_b64 s[40:41], s[2:3], s[40:41]
	s_andn2_b64 exec, exec, s[38:39]
	s_cbranch_execz .LBB79_218
.LBB79_214:                             ;   Parent Loop BB79_36 Depth=1
                                        ; =>  This Inner Loop Header: Depth=2
	v_cmp_gt_u64_e32 vcc, s[6:7], v[6:7]
	s_and_saveexec_b64 s[42:43], vcc
	s_cbranch_execz .LBB79_212
; %bb.215:                              ;   in Loop: Header=BB79_214 Depth=2
	ds_read_u8 v9, v8
	s_waitcnt lgkmcnt(0)
	v_and_b32_e32 v10, v9, v44
	v_cmp_eq_u32_sdwa s[2:3], v10, v41 src0_sel:BYTE_0 src1_sel:DWORD
	s_and_b64 exec, exec, s[2:3]
	s_cbranch_execz .LBB79_212
; %bb.216:                              ;   in Loop: Header=BB79_214 Depth=2
	v_lshlrev_b16_e32 v9, 8, v9
	v_or_b32_e32 v9, 1, v9
	ds_write_b16 v3, v9 offset:3072
	s_branch .LBB79_212
.LBB79_217:                             ;   in Loop: Header=BB79_214 Depth=2
	v_add_co_u32_e32 v6, vcc, s33, v6
	v_addc_co_u32_e32 v7, vcc, 0, v7, vcc
	v_cmp_le_u64_e32 vcc, s[8:9], v[6:7]
	v_add_u32_e32 v8, s33, v8
	s_mov_b64 s[54:55], 0
	s_orn2_b64 s[42:43], vcc, exec
	s_branch .LBB79_213
.LBB79_218:                             ;   in Loop: Header=BB79_36 Depth=1
	s_or_b64 exec, exec, s[38:39]
	v_lshrrev_b32_sdwa v45, v43, v9 dst_sel:DWORD dst_unused:UNUSED_PAD src0_sel:DWORD src1_sel:WORD_0
	s_and_b64 s[38:39], s[40:41], exec
.LBB79_219:                             ;   in Loop: Header=BB79_36 Depth=1
	s_or_b64 exec, exec, s[4:5]
.LBB79_220:                             ;   in Loop: Header=BB79_36 Depth=1
	s_and_b64 vcc, exec, s[34:35]
	s_cbranch_vccz .LBB79_237
; %bb.221:                              ;   in Loop: Header=BB79_36 Depth=1
	s_mov_b32 s50, s61
	s_cmp_lg_u64 s[50:51], 0
	s_cbranch_scc0 .LBB79_224
; %bb.222:                              ;   in Loop: Header=BB79_36 Depth=1
	v_cvt_f32_u32_e32 v6, s33
	s_sub_u32 s4, 0, s33
	s_subb_u32 s5, 0, 0
	v_mac_f32_e32 v6, 0, v42
	v_rcp_f32_e32 v6, v6
	v_mul_f32_e32 v6, 0x5f7ffffc, v6
	v_mul_f32_e32 v7, 0x2f800000, v6
	v_trunc_f32_e32 v7, v7
	v_mac_f32_e32 v6, 0xcf800000, v7
	v_cvt_u32_f32_e32 v7, v7
	v_cvt_u32_f32_e32 v6, v6
	v_readfirstlane_b32 s6, v7
	v_readfirstlane_b32 s2, v6
	s_mul_i32 s3, s4, s6
	s_mul_hi_u32 s8, s4, s2
	s_mul_i32 s7, s5, s2
	s_add_i32 s3, s8, s3
	s_mul_i32 s9, s4, s2
	s_add_i32 s3, s3, s7
	s_mul_hi_u32 s8, s2, s9
	s_mul_i32 s34, s2, s3
	s_mul_hi_u32 s7, s2, s3
	s_add_u32 s8, s8, s34
	s_addc_u32 s7, 0, s7
	s_mul_hi_u32 s35, s6, s9
	s_mul_i32 s9, s6, s9
	s_add_u32 s8, s8, s9
	s_mul_hi_u32 s34, s6, s3
	s_addc_u32 s7, s7, s35
	s_addc_u32 s8, s34, 0
	s_mul_i32 s3, s6, s3
	s_add_u32 s3, s7, s3
	s_addc_u32 s7, 0, s8
	s_add_u32 s8, s2, s3
	s_cselect_b64 s[2:3], -1, 0
	s_cmp_lg_u64 s[2:3], 0
	s_addc_u32 s6, s6, s7
	s_mul_i32 s2, s4, s6
	s_mul_hi_u32 s3, s4, s8
	s_add_i32 s2, s3, s2
	s_mul_i32 s5, s5, s8
	s_add_i32 s2, s2, s5
	s_mul_i32 s4, s4, s8
	s_mul_hi_u32 s5, s6, s4
	s_mul_i32 s7, s6, s4
	s_mul_i32 s34, s8, s2
	s_mul_hi_u32 s4, s8, s4
	s_mul_hi_u32 s9, s8, s2
	s_add_u32 s4, s4, s34
	s_addc_u32 s9, 0, s9
	s_add_u32 s4, s4, s7
	s_mul_hi_u32 s3, s6, s2
	s_addc_u32 s4, s9, s5
	s_addc_u32 s3, s3, 0
	s_mul_i32 s2, s6, s2
	s_add_u32 s2, s4, s2
	s_addc_u32 s4, 0, s3
	s_add_u32 s5, s8, s2
	s_cselect_b64 s[2:3], -1, 0
	s_cmp_lg_u64 s[2:3], 0
	s_addc_u32 s2, s6, s4
	s_mul_i32 s4, s0, s2
	s_mul_hi_u32 s6, s0, s5
	s_mul_hi_u32 s3, s0, s2
	s_add_u32 s4, s6, s4
	s_addc_u32 s3, 0, s3
	s_mul_hi_u32 s7, s51, s5
	s_mul_i32 s5, s51, s5
	s_add_u32 s4, s4, s5
	s_mul_hi_u32 s6, s51, s2
	s_addc_u32 s3, s3, s7
	s_addc_u32 s4, s6, 0
	s_mul_i32 s2, s51, s2
	s_add_u32 s2, s3, s2
	s_addc_u32 s3, 0, s4
	s_mul_i32 s3, s33, s3
	s_mul_hi_u32 s4, s33, s2
	s_add_i32 s4, s4, s3
	s_mul_i32 s2, s33, s2
	s_sub_u32 s6, s0, s2
	s_cselect_b64 s[2:3], -1, 0
	s_cmp_lg_u64 s[2:3], 0
	s_subb_u32 s4, s51, s4
	s_sub_u32 s5, s6, s33
	s_cselect_b64 s[2:3], -1, 0
	s_cmp_lg_u64 s[2:3], 0
	s_subb_u32 s7, s4, 0
	;; [unrolled: 4-line block ×3, first 2 shown]
	s_cmp_ge_u32 s5, s33
	s_cselect_b32 s3, -1, 0
	s_cmp_eq_u32 s7, 0
	s_cselect_b32 s3, s3, -1
	s_cmp_lg_u32 s3, 0
	s_cselect_b32 s2, s2, s7
	s_cselect_b32 s3, s8, s5
	s_cmp_ge_u32 s6, s33
	s_cselect_b32 s5, -1, 0
	s_cmp_eq_u32 s4, 0
	s_cselect_b32 s5, s5, -1
	s_cmp_lg_u32 s5, 0
	s_cselect_b32 s5, s2, s4
	s_cselect_b32 s4, s3, s6
	s_mov_b64 s[2:3], 0
	s_branch .LBB79_225
.LBB79_223:                             ;   in Loop: Header=BB79_36 Depth=1
                                        ; implicit-def: $sgpr4_sgpr5
	s_branch .LBB79_209
.LBB79_224:                             ;   in Loop: Header=BB79_36 Depth=1
	s_mov_b64 s[2:3], -1
                                        ; implicit-def: $sgpr4_sgpr5
.LBB79_225:                             ;   in Loop: Header=BB79_36 Depth=1
	s_andn2_b64 vcc, exec, s[2:3]
	v_readlane_b32 s50, v56, 36
	s_cbranch_vccnz .LBB79_227
; %bb.226:                              ;   in Loop: Header=BB79_36 Depth=1
	v_cvt_f32_u32_e32 v6, s33
	s_sub_i32 s2, 0, s33
	v_rcp_iflag_f32_e32 v6, v6
	v_mul_f32_e32 v6, 0x4f7ffffe, v6
	v_cvt_u32_f32_e32 v6, v6
	v_readfirstlane_b32 s3, v6
	s_mul_i32 s2, s2, s3
	s_mul_hi_u32 s2, s3, s2
	s_add_i32 s3, s3, s2
	s_mul_hi_u32 s2, s0, s3
	s_mul_i32 s2, s2, s33
	s_sub_i32 s2, s0, s2
	s_sub_i32 s3, s2, s33
	s_cmp_ge_u32 s2, s33
	s_cselect_b32 s2, s3, s2
	s_sub_i32 s3, s2, s33
	s_cmp_ge_u32 s2, s33
	s_cselect_b32 s60, s3, s2
	s_mov_b64 s[4:5], s[60:61]
	v_readlane_b32 s60, v56, 37
.LBB79_227:                             ;   in Loop: Header=BB79_36 Depth=1
	s_sub_u32 s6, s0, s4
	s_subb_u32 s7, s51, s5
	v_cmp_gt_u64_e32 vcc, s[6:7], v[0:1]
                                        ; implicit-def: $vgpr45
	s_and_saveexec_b64 s[4:5], vcc
	s_cbranch_execz .LBB79_236
; %bb.228:                              ;   in Loop: Header=BB79_36 Depth=1
	v_mov_b32_e32 v6, v12
	v_mov_b32_e32 v9, v1
	s_mov_b64 s[8:9], 0
	v_mov_b32_e32 v7, v13
	v_mov_b32_e32 v8, v0
                                        ; implicit-def: $sgpr34_sgpr35
	s_branch .LBB79_231
.LBB79_229:                             ;   in Loop: Header=BB79_231 Depth=2
	s_or_b64 exec, exec, s[40:41]
	s_waitcnt lgkmcnt(0)
	s_barrier
	ds_read_u16 v10, v3 offset:3072
	s_mov_b64 s[40:41], -1
	s_mov_b64 s[42:43], -1
	s_waitcnt lgkmcnt(0)
	s_barrier
	v_cmp_eq_u32_sdwa s[2:3], v10, v3 src0_sel:BYTE_0 src1_sel:DWORD
	s_and_b64 vcc, exec, s[2:3]
	s_cbranch_vccnz .LBB79_234
.LBB79_230:                             ;   in Loop: Header=BB79_231 Depth=2
	s_and_b64 s[2:3], exec, s[40:41]
	s_or_b64 s[8:9], s[2:3], s[8:9]
	s_andn2_b64 s[2:3], s[34:35], exec
	s_and_b64 s[34:35], s[42:43], exec
	s_or_b64 s[34:35], s[2:3], s[34:35]
	s_andn2_b64 exec, exec, s[8:9]
	s_cbranch_execz .LBB79_235
.LBB79_231:                             ;   Parent Loop BB79_36 Depth=1
                                        ; =>  This Inner Loop Header: Depth=2
	v_cmp_gt_u64_e32 vcc, s[24:25], v[8:9]
	s_and_saveexec_b64 s[40:41], vcc
	s_cbranch_execz .LBB79_229
; %bb.232:                              ;   in Loop: Header=BB79_231 Depth=2
	global_load_ubyte v10, v[6:7], off
	s_waitcnt vmcnt(0)
	v_and_b32_e32 v11, v10, v44
	v_cmp_eq_u32_sdwa s[2:3], v11, v41 src0_sel:BYTE_0 src1_sel:DWORD
	s_and_b64 exec, exec, s[2:3]
	s_cbranch_execz .LBB79_229
; %bb.233:                              ;   in Loop: Header=BB79_231 Depth=2
	v_lshlrev_b16_e32 v10, 8, v10
	v_or_b32_e32 v10, 1, v10
	ds_write_b16 v3, v10 offset:3072
	s_branch .LBB79_229
.LBB79_234:                             ;   in Loop: Header=BB79_231 Depth=2
	v_add_co_u32_e32 v8, vcc, s33, v8
	v_addc_co_u32_e32 v9, vcc, 0, v9, vcc
	v_mov_b32_e32 v11, s48
	v_add_co_u32_e32 v6, vcc, s49, v6
	v_addc_co_u32_e32 v7, vcc, v7, v11, vcc
	v_cmp_le_u64_e32 vcc, s[6:7], v[8:9]
	s_mov_b64 s[42:43], 0
	s_orn2_b64 s[40:41], vcc, exec
	s_branch .LBB79_230
.LBB79_235:                             ;   in Loop: Header=BB79_36 Depth=1
	s_or_b64 exec, exec, s[8:9]
	s_andn2_b64 s[2:3], s[38:39], exec
	s_and_b64 s[6:7], s[34:35], exec
	v_lshrrev_b32_sdwa v45, v43, v10 dst_sel:DWORD dst_unused:UNUSED_PAD src0_sel:DWORD src1_sel:WORD_0
	s_or_b64 s[38:39], s[2:3], s[6:7]
.LBB79_236:                             ;   in Loop: Header=BB79_36 Depth=1
	s_or_b64 exec, exec, s[4:5]
	s_mov_b64 s[88:89], 0
	s_mov_b64 s[90:91], -1
.LBB79_237:                             ;   in Loop: Header=BB79_36 Depth=1
	s_orn2_b64 s[4:5], s[38:39], exec
.LBB79_238:                             ;   in Loop: Header=BB79_36 Depth=1
	s_or_b64 exec, exec, s[92:93]
	s_mov_b64 s[6:7], 0
	s_and_saveexec_b64 s[92:93], s[4:5]
	s_cbranch_execz .LBB79_297
; %bb.239:                              ;   in Loop: Header=BB79_36 Depth=1
	v_mov_b32_e32 v6, 1
	s_xor_b64 s[2:3], s[94:95], -1
	v_mov_b32_e32 v2, 1
	v_mov_b32_e32 v7, 0
	s_mov_b64 s[8:9], 0
	s_and_saveexec_b64 s[6:7], s[2:3]
	s_cbranch_execz .LBB79_248
; %bb.240:                              ;   in Loop: Header=BB79_36 Depth=1
	v_cmp_ge_u64_e32 vcc, s[80:81], v[4:5]
	s_and_saveexec_b64 s[2:3], vcc
	s_xor_b64 s[4:5], exec, s[2:3]
	s_cbranch_execz .LBB79_245
; %bb.241:                              ;   in Loop: Header=BB79_36 Depth=1
	ds_read_b64 v[6:7], v3 offset:5120
	v_and_b32_e32 v2, s52, v41
	v_lshl_or_b32 v41, 2, s63, v2
	v_or_b32_e32 v44, s46, v44
	s_waitcnt lgkmcnt(0)
	v_cmp_ne_u64_e32 vcc, 0, v[6:7]
	s_cbranch_vccnz .LBB79_245
; %bb.242:                              ;   in Loop: Header=BB79_36 Depth=1
	s_and_saveexec_b64 s[2:3], s[56:57]
; %bb.243:                              ;   in Loop: Header=BB79_36 Depth=1
	v_mov_b32_e32 v6, s80
	v_mov_b32_e32 v7, s81
	ds_write_b64 v3, v[6:7] offset:5128
; %bb.244:                              ;   in Loop: Header=BB79_36 Depth=1
	s_or_b64 exec, exec, s[2:3]
	s_waitcnt lgkmcnt(0)
	s_barrier
.LBB79_245:                             ;   in Loop: Header=BB79_36 Depth=1
	s_or_saveexec_b64 s[4:5], s[4:5]
	v_mov_b32_e32 v2, 8
	s_xor_b64 exec, exec, s[4:5]
; %bb.246:                              ;   in Loop: Header=BB79_36 Depth=1
	v_subrev_co_u32_e32 v4, vcc, s80, v4
	v_mov_b32_e32 v2, s81
	v_subb_co_u32_e32 v5, vcc, v5, v2, vcc
	v_mov_b32_e32 v2, 0
	s_mov_b64 s[8:9], exec
; %bb.247:                              ;   in Loop: Header=BB79_36 Depth=1
	s_or_b64 exec, exec, s[4:5]
	v_mov_b32_e32 v7, v5
	s_and_b64 s[8:9], s[8:9], exec
	v_mov_b32_e32 v6, v4
.LBB79_248:                             ;   in Loop: Header=BB79_36 Depth=1
	s_or_b64 exec, exec, s[6:7]
	s_mov_b64 s[4:5], -1
                                        ; implicit-def: $sgpr42_sgpr43
                                        ; implicit-def: $sgpr38_sgpr39
	s_and_saveexec_b64 s[80:81], s[8:9]
	s_cbranch_execz .LBB79_296
; %bb.249:                              ;   in Loop: Header=BB79_36 Depth=1
	s_cmp_eq_u64 s[16:17], 1
	v_cmp_eq_u64_e32 vcc, 1, v[6:7]
	s_cselect_b64 s[2:3], -1, 0
	s_and_b64 s[94:95], s[2:3], vcc
                                        ; implicit-def: $sgpr42_sgpr43
                                        ; implicit-def: $sgpr38_sgpr39
	s_and_saveexec_b64 s[40:41], s[94:95]
	s_cbranch_execz .LBB79_284
; %bb.250:                              ;   in Loop: Header=BB79_36 Depth=1
	ds_read_b64 v[4:5], v3 offset:5120
	s_waitcnt lgkmcnt(0)
	s_barrier
	v_readfirstlane_b32 s34, v4
	v_readfirstlane_b32 s35, v5
	s_mov_b64 s[2:3], exec
	v_readlane_b32 s4, v56, 31
	v_readlane_b32 s5, v56, 32
	s_and_b64 s[4:5], s[2:3], s[4:5]
	s_mov_b64 exec, s[4:5]
; %bb.251:                              ;   in Loop: Header=BB79_36 Depth=1
	ds_write_b8 v0, v3 offset:3072
; %bb.252:                              ;   in Loop: Header=BB79_36 Depth=1
	s_or_b64 exec, exec, s[2:3]
	v_or_b32_e32 v41, s46, v41
	v_or_b32_e32 v44, s46, v44
	s_mov_b64 s[38:39], -1
	s_mov_b64 s[42:43], 0
	s_cmp_eq_u64 s[34:35], 0
	s_mov_b64 s[6:7], 0
	s_mov_b64 s[4:5], -1
	s_waitcnt lgkmcnt(0)
	s_barrier
                                        ; implicit-def: $vgpr45
	s_cbranch_scc1 .LBB79_266
; %bb.253:                              ;   in Loop: Header=BB79_36 Depth=1
	v_readlane_b32 s2, v56, 14
	s_add_u32 s8, s34, s2
	v_readlane_b32 s2, v56, 15
	s_addc_u32 s7, s35, s2
	s_mov_b32 s6, s61
	s_cmp_lg_u64 s[6:7], 0
	s_cbranch_scc0 .LBB79_269
; %bb.254:                              ;   in Loop: Header=BB79_36 Depth=1
	v_cvt_f32_u32_e32 v4, s33
	s_sub_u32 s4, 0, s33
	s_subb_u32 s5, 0, 0
	v_mac_f32_e32 v4, 0, v42
	v_rcp_f32_e32 v4, v4
	v_mul_f32_e32 v4, 0x5f7ffffc, v4
	v_mul_f32_e32 v5, 0x2f800000, v4
	v_trunc_f32_e32 v5, v5
	v_mac_f32_e32 v4, 0xcf800000, v5
	v_cvt_u32_f32_e32 v5, v5
	v_cvt_u32_f32_e32 v4, v4
	v_readfirstlane_b32 s6, v5
	v_readfirstlane_b32 s2, v4
	s_mul_i32 s3, s4, s6
	s_mul_hi_u32 s50, s4, s2
	s_mul_i32 s9, s5, s2
	s_add_i32 s3, s50, s3
	s_mul_i32 s52, s4, s2
	s_add_i32 s3, s3, s9
	s_mul_hi_u32 s50, s2, s52
	s_mul_i32 s53, s2, s3
	s_mul_hi_u32 s9, s2, s3
	s_add_u32 s50, s50, s53
	s_addc_u32 s9, 0, s9
	s_mul_hi_u32 s54, s6, s52
	s_mul_i32 s52, s6, s52
	s_add_u32 s50, s50, s52
	s_mul_hi_u32 s53, s6, s3
	s_addc_u32 s9, s9, s54
	s_addc_u32 s50, s53, 0
	s_mul_i32 s3, s6, s3
	s_add_u32 s3, s9, s3
	s_addc_u32 s9, 0, s50
	s_add_u32 s50, s2, s3
	s_cselect_b64 s[2:3], -1, 0
	s_cmp_lg_u64 s[2:3], 0
	s_addc_u32 s6, s6, s9
	s_mul_i32 s2, s4, s6
	s_mul_hi_u32 s3, s4, s50
	s_add_i32 s2, s3, s2
	s_mul_i32 s5, s5, s50
	s_add_i32 s2, s2, s5
	s_mul_i32 s4, s4, s50
	s_mul_hi_u32 s5, s6, s4
	s_mul_i32 s9, s6, s4
	s_mul_i32 s53, s50, s2
	s_mul_hi_u32 s4, s50, s4
	s_mul_hi_u32 s52, s50, s2
	s_add_u32 s4, s4, s53
	s_addc_u32 s52, 0, s52
	s_add_u32 s4, s4, s9
	s_mul_hi_u32 s3, s6, s2
	s_addc_u32 s4, s52, s5
	s_addc_u32 s3, s3, 0
	s_mul_i32 s2, s6, s2
	s_add_u32 s2, s4, s2
	s_addc_u32 s4, 0, s3
	s_add_u32 s5, s50, s2
	s_cselect_b64 s[2:3], -1, 0
	s_cmp_lg_u64 s[2:3], 0
	s_addc_u32 s2, s6, s4
	s_mul_i32 s4, s8, s2
	s_mul_hi_u32 s6, s8, s5
	s_mul_hi_u32 s3, s8, s2
	s_add_u32 s4, s6, s4
	s_addc_u32 s3, 0, s3
	s_mul_hi_u32 s9, s7, s5
	s_mul_i32 s5, s7, s5
	s_add_u32 s4, s4, s5
	s_mul_hi_u32 s6, s7, s2
	s_addc_u32 s3, s3, s9
	s_addc_u32 s4, s6, 0
	s_mul_i32 s2, s7, s2
	s_add_u32 s2, s3, s2
	s_addc_u32 s3, 0, s4
	s_mul_i32 s3, s33, s3
	s_mul_hi_u32 s4, s33, s2
	s_add_i32 s4, s4, s3
	s_mul_i32 s2, s33, s2
	s_sub_u32 s6, s8, s2
	s_cselect_b64 s[2:3], -1, 0
	s_cmp_lg_u64 s[2:3], 0
	s_subb_u32 s4, s7, s4
	s_sub_u32 s5, s6, s33
	s_cselect_b64 s[2:3], -1, 0
	s_cmp_lg_u64 s[2:3], 0
	s_subb_u32 s9, s4, 0
	;; [unrolled: 4-line block ×3, first 2 shown]
	s_cmp_ge_u32 s5, s33
	s_cselect_b32 s3, -1, 0
	s_cmp_eq_u32 s9, 0
	s_cselect_b32 s3, s3, -1
	s_cmp_lg_u32 s3, 0
	s_cselect_b32 s2, s2, s9
	s_cselect_b32 s3, s50, s5
	s_cmp_ge_u32 s6, s33
	s_cselect_b32 s5, -1, 0
	s_cmp_eq_u32 s4, 0
	s_cselect_b32 s5, s5, -1
	s_cmp_lg_u32 s5, 0
	s_cselect_b32 s5, s2, s4
	s_cselect_b32 s4, s3, s6
	s_cbranch_execnz .LBB79_256
.LBB79_255:                             ;   in Loop: Header=BB79_36 Depth=1
	v_cvt_f32_u32_e32 v4, s33
	s_sub_i32 s2, 0, s33
	v_rcp_iflag_f32_e32 v4, v4
	v_mul_f32_e32 v4, 0x4f7ffffe, v4
	v_cvt_u32_f32_e32 v4, v4
	v_readfirstlane_b32 s3, v4
	s_mul_i32 s2, s2, s3
	s_mul_hi_u32 s2, s3, s2
	s_add_i32 s3, s3, s2
	s_mul_hi_u32 s2, s8, s3
	s_mul_i32 s2, s2, s33
	s_sub_i32 s2, s8, s2
	s_sub_i32 s3, s2, s33
	s_cmp_ge_u32 s2, s33
	s_cselect_b32 s2, s3, s2
	s_sub_i32 s3, s2, s33
	s_cmp_ge_u32 s2, s33
	s_cselect_b32 s60, s3, s2
	s_mov_b64 s[4:5], s[60:61]
	v_readlane_b32 s60, v56, 37
.LBB79_256:                             ;   in Loop: Header=BB79_36 Depth=1
	s_sub_u32 s58, s8, s4
	s_subb_u32 s59, s7, s5
	v_cmp_gt_u64_e32 vcc, s[58:59], v[0:1]
	s_mov_b64 s[4:5], 0
	s_mov_b64 s[6:7], 0
                                        ; implicit-def: $vgpr45
	s_and_saveexec_b64 s[8:9], vcc
	v_readlane_b32 s53, v56, 35
	v_readlane_b32 s50, v56, 36
	s_cbranch_execz .LBB79_265
; %bb.257:                              ;   in Loop: Header=BB79_36 Depth=1
	v_mov_b32_e32 v5, v1
	v_writelane_b32 v56, s56, 38
	v_mov_b32_e32 v8, v0
	v_mov_b32_e32 v4, v0
	v_writelane_b32 v56, s57, 39
                                        ; implicit-def: $sgpr54_sgpr55
	s_branch .LBB79_260
.LBB79_258:                             ;   in Loop: Header=BB79_260 Depth=2
	s_or_b64 exec, exec, s[56:57]
	s_waitcnt lgkmcnt(0)
	s_barrier
	ds_read_u16 v9, v3 offset:3072
	s_mov_b64 s[56:57], -1
	s_waitcnt lgkmcnt(0)
	s_barrier
	v_cmp_ne_u32_sdwa s[2:3], v9, v3 src0_sel:BYTE_0 src1_sel:DWORD
	s_and_b64 vcc, exec, s[2:3]
	s_mov_b64 s[2:3], -1
	s_cbranch_vccz .LBB79_263
.LBB79_259:                             ;   in Loop: Header=BB79_260 Depth=2
	s_and_b64 s[52:53], exec, s[56:57]
	s_or_b64 s[6:7], s[52:53], s[6:7]
	s_andn2_b64 s[52:53], s[54:55], exec
	s_and_b64 s[2:3], s[2:3], exec
	s_or_b64 s[54:55], s[52:53], s[2:3]
	v_readlane_b32 s53, v56, 35
	s_andn2_b64 exec, exec, s[6:7]
	s_cbranch_execz .LBB79_264
.LBB79_260:                             ;   Parent Loop BB79_36 Depth=1
                                        ; =>  This Inner Loop Header: Depth=2
	v_cmp_gt_u64_e32 vcc, s[34:35], v[4:5]
	s_and_saveexec_b64 s[56:57], vcc
	s_cbranch_execz .LBB79_258
; %bb.261:                              ;   in Loop: Header=BB79_260 Depth=2
	ds_read_u8 v9, v8
	s_waitcnt lgkmcnt(0)
	v_and_b32_e32 v10, v9, v44
	v_cmp_eq_u32_sdwa s[2:3], v10, v41 src0_sel:BYTE_0 src1_sel:DWORD
	s_and_b64 exec, exec, s[2:3]
	s_cbranch_execz .LBB79_258
; %bb.262:                              ;   in Loop: Header=BB79_260 Depth=2
	v_lshlrev_b16_e32 v9, 8, v9
	v_or_b32_e32 v9, 1, v9
	ds_write_b16 v3, v9 offset:3072
	s_branch .LBB79_258
.LBB79_263:                             ;   in Loop: Header=BB79_260 Depth=2
	v_add_co_u32_e32 v4, vcc, s33, v4
	v_addc_co_u32_e32 v5, vcc, 0, v5, vcc
	v_cmp_le_u64_e32 vcc, s[58:59], v[4:5]
	v_add_u32_e32 v8, s33, v8
	s_mov_b64 s[2:3], 0
	s_orn2_b64 s[56:57], vcc, exec
	s_branch .LBB79_259
.LBB79_264:                             ;   in Loop: Header=BB79_36 Depth=1
	s_or_b64 exec, exec, s[6:7]
	v_readlane_b32 s56, v56, 38
	v_lshrrev_b32_sdwa v45, v43, v9 dst_sel:DWORD dst_unused:UNUSED_PAD src0_sel:DWORD src1_sel:WORD_0
	s_and_b64 s[6:7], s[54:55], exec
	v_readlane_b32 s57, v56, 39
.LBB79_265:                             ;   in Loop: Header=BB79_36 Depth=1
	s_or_b64 exec, exec, s[8:9]
.LBB79_266:                             ;   in Loop: Header=BB79_36 Depth=1
	s_and_b64 vcc, exec, s[4:5]
	s_cbranch_vccz .LBB79_283
; %bb.267:                              ;   in Loop: Header=BB79_36 Depth=1
	s_mov_b32 s50, s61
	s_cmp_lg_u64 s[50:51], 0
	s_cbranch_scc0 .LBB79_270
; %bb.268:                              ;   in Loop: Header=BB79_36 Depth=1
	v_cvt_f32_u32_e32 v4, s33
	s_sub_u32 s4, 0, s33
	s_subb_u32 s5, 0, 0
	v_mac_f32_e32 v4, 0, v42
	v_rcp_f32_e32 v4, v4
	v_mul_f32_e32 v4, 0x5f7ffffc, v4
	v_mul_f32_e32 v5, 0x2f800000, v4
	v_trunc_f32_e32 v5, v5
	v_mac_f32_e32 v4, 0xcf800000, v5
	v_cvt_u32_f32_e32 v5, v5
	v_cvt_u32_f32_e32 v4, v4
	v_readfirstlane_b32 s8, v5
	v_readfirstlane_b32 s2, v4
	s_mul_i32 s3, s4, s8
	s_mul_hi_u32 s34, s4, s2
	s_mul_i32 s9, s5, s2
	s_add_i32 s3, s34, s3
	s_mul_i32 s35, s4, s2
	s_add_i32 s3, s3, s9
	s_mul_hi_u32 s34, s2, s35
	s_mul_i32 s38, s2, s3
	s_mul_hi_u32 s9, s2, s3
	s_add_u32 s34, s34, s38
	s_addc_u32 s9, 0, s9
	s_mul_hi_u32 s39, s8, s35
	s_mul_i32 s35, s8, s35
	s_add_u32 s34, s34, s35
	s_mul_hi_u32 s38, s8, s3
	s_addc_u32 s9, s9, s39
	s_addc_u32 s34, s38, 0
	s_mul_i32 s3, s8, s3
	s_add_u32 s3, s9, s3
	s_addc_u32 s9, 0, s34
	s_add_u32 s34, s2, s3
	s_cselect_b64 s[2:3], -1, 0
	s_cmp_lg_u64 s[2:3], 0
	s_addc_u32 s8, s8, s9
	s_mul_i32 s2, s4, s8
	s_mul_hi_u32 s3, s4, s34
	s_add_i32 s2, s3, s2
	s_mul_i32 s5, s5, s34
	s_add_i32 s2, s2, s5
	s_mul_i32 s4, s4, s34
	s_mul_hi_u32 s5, s8, s4
	s_mul_i32 s9, s8, s4
	s_mul_i32 s38, s34, s2
	s_mul_hi_u32 s4, s34, s4
	s_mul_hi_u32 s35, s34, s2
	s_add_u32 s4, s4, s38
	s_addc_u32 s35, 0, s35
	s_add_u32 s4, s4, s9
	s_mul_hi_u32 s3, s8, s2
	s_addc_u32 s4, s35, s5
	s_addc_u32 s3, s3, 0
	s_mul_i32 s2, s8, s2
	s_add_u32 s2, s4, s2
	s_addc_u32 s4, 0, s3
	s_add_u32 s5, s34, s2
	s_cselect_b64 s[2:3], -1, 0
	s_cmp_lg_u64 s[2:3], 0
	s_addc_u32 s2, s8, s4
	s_mul_i32 s4, s0, s2
	s_mul_hi_u32 s8, s0, s5
	s_mul_hi_u32 s3, s0, s2
	s_add_u32 s4, s8, s4
	s_addc_u32 s3, 0, s3
	s_mul_hi_u32 s9, s51, s5
	s_mul_i32 s5, s51, s5
	s_add_u32 s4, s4, s5
	s_mul_hi_u32 s8, s51, s2
	s_addc_u32 s3, s3, s9
	s_addc_u32 s4, s8, 0
	s_mul_i32 s2, s51, s2
	s_add_u32 s2, s3, s2
	s_addc_u32 s3, 0, s4
	s_mul_i32 s3, s33, s3
	s_mul_hi_u32 s4, s33, s2
	s_add_i32 s4, s4, s3
	s_mul_i32 s2, s33, s2
	s_sub_u32 s8, s0, s2
	s_cselect_b64 s[2:3], -1, 0
	s_cmp_lg_u64 s[2:3], 0
	s_subb_u32 s4, s51, s4
	s_sub_u32 s5, s8, s33
	s_cselect_b64 s[2:3], -1, 0
	s_cmp_lg_u64 s[2:3], 0
	s_subb_u32 s9, s4, 0
	;; [unrolled: 4-line block ×3, first 2 shown]
	s_cmp_ge_u32 s5, s33
	s_cselect_b32 s3, -1, 0
	s_cmp_eq_u32 s9, 0
	s_cselect_b32 s3, s3, -1
	s_cmp_lg_u32 s3, 0
	s_cselect_b32 s2, s2, s9
	s_cselect_b32 s3, s34, s5
	s_cmp_ge_u32 s8, s33
	s_cselect_b32 s5, -1, 0
	s_cmp_eq_u32 s4, 0
	s_cselect_b32 s5, s5, -1
	s_cmp_lg_u32 s5, 0
	s_cselect_b32 s5, s2, s4
	s_cselect_b32 s4, s3, s8
	s_mov_b64 s[2:3], 0
	s_branch .LBB79_271
.LBB79_269:                             ;   in Loop: Header=BB79_36 Depth=1
                                        ; implicit-def: $sgpr4_sgpr5
	s_branch .LBB79_255
.LBB79_270:                             ;   in Loop: Header=BB79_36 Depth=1
	s_mov_b64 s[2:3], -1
                                        ; implicit-def: $sgpr4_sgpr5
.LBB79_271:                             ;   in Loop: Header=BB79_36 Depth=1
	s_andn2_b64 vcc, exec, s[2:3]
	v_readlane_b32 s50, v56, 36
	s_cbranch_vccnz .LBB79_273
; %bb.272:                              ;   in Loop: Header=BB79_36 Depth=1
	v_cvt_f32_u32_e32 v4, s33
	s_sub_i32 s2, 0, s33
	v_rcp_iflag_f32_e32 v4, v4
	v_mul_f32_e32 v4, 0x4f7ffffe, v4
	v_cvt_u32_f32_e32 v4, v4
	v_readfirstlane_b32 s3, v4
	s_mul_i32 s2, s2, s3
	s_mul_hi_u32 s2, s3, s2
	s_add_i32 s3, s3, s2
	s_mul_hi_u32 s2, s0, s3
	s_mul_i32 s2, s2, s33
	s_sub_i32 s2, s0, s2
	s_sub_i32 s3, s2, s33
	s_cmp_ge_u32 s2, s33
	s_cselect_b32 s2, s3, s2
	s_sub_i32 s3, s2, s33
	s_cmp_ge_u32 s2, s33
	s_cselect_b32 s60, s3, s2
	s_mov_b64 s[4:5], s[60:61]
	v_readlane_b32 s60, v56, 37
.LBB79_273:                             ;   in Loop: Header=BB79_36 Depth=1
	s_sub_u32 s34, s0, s4
	s_subb_u32 s35, s51, s5
	v_cmp_gt_u64_e32 vcc, s[34:35], v[0:1]
                                        ; implicit-def: $vgpr45
	s_and_saveexec_b64 s[4:5], vcc
	s_cbranch_execz .LBB79_282
; %bb.274:                              ;   in Loop: Header=BB79_36 Depth=1
	v_mov_b32_e32 v4, v12
	v_mov_b32_e32 v9, v1
	s_mov_b64 s[8:9], 0
	v_mov_b32_e32 v5, v13
	v_mov_b32_e32 v8, v0
                                        ; implicit-def: $sgpr38_sgpr39
	s_branch .LBB79_277
.LBB79_275:                             ;   in Loop: Header=BB79_277 Depth=2
	s_or_b64 exec, exec, s[42:43]
	s_waitcnt lgkmcnt(0)
	s_barrier
	ds_read_u16 v10, v3 offset:3072
	s_mov_b64 s[42:43], -1
	s_waitcnt lgkmcnt(0)
	s_barrier
	v_cmp_eq_u32_sdwa s[2:3], v10, v3 src0_sel:BYTE_0 src1_sel:DWORD
	s_and_b64 vcc, exec, s[2:3]
	s_mov_b64 s[2:3], -1
	s_cbranch_vccnz .LBB79_280
.LBB79_276:                             ;   in Loop: Header=BB79_277 Depth=2
	s_and_b64 s[42:43], exec, s[42:43]
	s_or_b64 s[8:9], s[42:43], s[8:9]
	s_andn2_b64 s[38:39], s[38:39], exec
	s_and_b64 s[2:3], s[2:3], exec
	s_or_b64 s[38:39], s[38:39], s[2:3]
	s_andn2_b64 exec, exec, s[8:9]
	s_cbranch_execz .LBB79_281
.LBB79_277:                             ;   Parent Loop BB79_36 Depth=1
                                        ; =>  This Inner Loop Header: Depth=2
	v_cmp_gt_u64_e32 vcc, s[24:25], v[8:9]
	s_and_saveexec_b64 s[42:43], vcc
	s_cbranch_execz .LBB79_275
; %bb.278:                              ;   in Loop: Header=BB79_277 Depth=2
	global_load_ubyte v10, v[4:5], off
	s_waitcnt vmcnt(0)
	v_and_b32_e32 v11, v10, v44
	v_cmp_eq_u32_sdwa s[2:3], v11, v41 src0_sel:BYTE_0 src1_sel:DWORD
	s_and_b64 exec, exec, s[2:3]
	s_cbranch_execz .LBB79_275
; %bb.279:                              ;   in Loop: Header=BB79_277 Depth=2
	v_lshlrev_b16_e32 v10, 8, v10
	v_or_b32_e32 v10, 1, v10
	ds_write_b16 v3, v10 offset:3072
	s_branch .LBB79_275
.LBB79_280:                             ;   in Loop: Header=BB79_277 Depth=2
	v_add_co_u32_e32 v8, vcc, s33, v8
	v_addc_co_u32_e32 v9, vcc, 0, v9, vcc
	v_mov_b32_e32 v11, s48
	v_add_co_u32_e32 v4, vcc, s49, v4
	v_addc_co_u32_e32 v5, vcc, v5, v11, vcc
	v_cmp_le_u64_e32 vcc, s[34:35], v[8:9]
	s_mov_b64 s[2:3], 0
	s_orn2_b64 s[42:43], vcc, exec
	s_branch .LBB79_276
.LBB79_281:                             ;   in Loop: Header=BB79_36 Depth=1
	s_or_b64 exec, exec, s[8:9]
	s_andn2_b64 s[2:3], s[6:7], exec
	s_and_b64 s[6:7], s[38:39], exec
	v_lshrrev_b32_sdwa v45, v43, v10 dst_sel:DWORD dst_unused:UNUSED_PAD src0_sel:DWORD src1_sel:WORD_0
	s_or_b64 s[6:7], s[2:3], s[6:7]
.LBB79_282:                             ;   in Loop: Header=BB79_36 Depth=1
	s_or_b64 exec, exec, s[4:5]
	s_mov_b64 s[38:39], 0
	s_mov_b64 s[42:43], -1
.LBB79_283:                             ;   in Loop: Header=BB79_36 Depth=1
	s_orn2_b64 s[4:5], s[6:7], exec
.LBB79_284:                             ;   in Loop: Header=BB79_36 Depth=1
	s_or_b64 exec, exec, s[40:41]
	s_mov_b64 s[8:9], 0
	s_and_saveexec_b64 s[6:7], s[4:5]
	s_cbranch_execz .LBB79_295
; %bb.285:                              ;   in Loop: Header=BB79_36 Depth=1
	v_mov_b32_e32 v4, 1
	s_xor_b64 s[2:3], s[94:95], -1
	v_mov_b32_e32 v5, 0
	v_mov_b32_e32 v2, 1
	s_and_saveexec_b64 s[4:5], s[2:3]
	s_cbranch_execz .LBB79_294
; %bb.286:                              ;   in Loop: Header=BB79_36 Depth=1
	v_cmp_ge_u64_e32 vcc, s[16:17], v[6:7]
	s_and_saveexec_b64 s[2:3], vcc
	s_xor_b64 s[8:9], exec, s[2:3]
	s_cbranch_execz .LBB79_291
; %bb.287:                              ;   in Loop: Header=BB79_36 Depth=1
	ds_read_b64 v[4:5], v3 offset:5120
	v_or_b32_e32 v41, s46, v41
	v_or_b32_e32 v44, s46, v44
	s_waitcnt lgkmcnt(0)
	v_cmp_ne_u64_e32 vcc, 0, v[4:5]
	s_cbranch_vccnz .LBB79_291
; %bb.288:                              ;   in Loop: Header=BB79_36 Depth=1
	s_and_saveexec_b64 s[2:3], s[56:57]
; %bb.289:                              ;   in Loop: Header=BB79_36 Depth=1
	v_mov_b32_e32 v4, s16
	v_mov_b32_e32 v5, s17
	ds_write_b64 v3, v[4:5] offset:5128
; %bb.290:                              ;   in Loop: Header=BB79_36 Depth=1
	s_or_b64 exec, exec, s[2:3]
	s_waitcnt lgkmcnt(0)
	s_barrier
.LBB79_291:                             ;   in Loop: Header=BB79_36 Depth=1
	s_andn2_saveexec_b64 s[8:9], s[8:9]
; %bb.292:                              ;   in Loop: Header=BB79_36 Depth=1
	v_mov_b32_e32 v2, s17
	v_subrev_co_u32_e32 v6, vcc, s16, v6
	v_subb_co_u32_e32 v7, vcc, v7, v2, vcc
; %bb.293:                              ;   in Loop: Header=BB79_36 Depth=1
	s_or_b64 exec, exec, s[8:9]
	v_mov_b32_e32 v4, v6
	v_mov_b32_e32 v2, 8
	;; [unrolled: 1-line block ×3, first 2 shown]
.LBB79_294:                             ;   in Loop: Header=BB79_36 Depth=1
	s_or_b64 exec, exec, s[4:5]
	v_mov_b32_e32 v7, v5
	s_mov_b64 s[8:9], exec
	v_mov_b32_e32 v6, v4
.LBB79_295:                             ;   in Loop: Header=BB79_36 Depth=1
	s_or_b64 exec, exec, s[6:7]
	s_orn2_b64 s[4:5], s[8:9], exec
.LBB79_296:                             ;   in Loop: Header=BB79_36 Depth=1
	s_or_b64 exec, exec, s[80:81]
	s_andn2_b64 s[2:3], s[90:91], exec
	s_and_b64 s[6:7], s[42:43], exec
	s_or_b64 s[90:91], s[2:3], s[6:7]
	s_andn2_b64 s[2:3], s[88:89], exec
	s_and_b64 s[6:7], s[38:39], exec
	v_mov_b32_e32 v4, v6
	s_or_b64 s[88:89], s[2:3], s[6:7]
	s_and_b64 s[6:7], s[4:5], exec
	v_mov_b32_e32 v5, v7
.LBB79_297:                             ;   in Loop: Header=BB79_36 Depth=1
	s_or_b64 exec, exec, s[92:93]
	s_orn2_b64 s[4:5], s[6:7], exec
.LBB79_298:                             ;   in Loop: Header=BB79_36 Depth=1
	s_or_b64 exec, exec, s[86:87]
	s_andn2_b64 s[2:3], s[82:83], exec
	s_and_b64 s[6:7], s[90:91], exec
	s_or_b64 s[82:83], s[2:3], s[6:7]
	s_andn2_b64 s[2:3], s[14:15], exec
	s_and_b64 s[6:7], s[88:89], exec
	v_mov_b32_e32 v9, v5
	s_or_b64 s[14:15], s[2:3], s[6:7]
	s_and_b64 s[6:7], s[4:5], exec
	v_mov_b32_e32 v8, v4
.LBB79_299:                             ;   in Loop: Header=BB79_36 Depth=1
	s_or_b64 exec, exec, s[84:85]
	s_orn2_b64 s[4:5], s[6:7], exec
.LBB79_300:                             ;   in Loop: Header=BB79_36 Depth=1
	s_or_b64 exec, exec, s[78:79]
	s_mov_b64 s[6:7], 0
	s_and_saveexec_b64 s[2:3], s[4:5]
	s_xor_b64 s[4:5], exec, s[2:3]
	s_cbranch_execz .LBB79_34
; %bb.301:                              ;   in Loop: Header=BB79_36 Depth=1
	v_and_b32_e32 v2, 7, v2
	v_cmp_eq_u32_e32 vcc, 0, v2
	s_mov_b64 s[8:9], -1
	s_mov_b64 s[6:7], -1
	s_and_saveexec_b64 s[16:17], vcc
	s_cbranch_execz .LBB79_33
; %bb.302:                              ;   in Loop: Header=BB79_36 Depth=1
	s_xor_b32 s47, s47, 1
	s_add_i32 s20, s63, -2
	s_cmp_eq_u32 s63, 0
	s_cselect_b64 s[2:3], -1, 0
	s_xor_b64 s[6:7], exec, -1
	s_orn2_b64 s[8:9], s[2:3], exec
	s_mov_b32 s63, s20
	s_branch .LBB79_33
.LBB79_303:
	s_or_b64 exec, exec, s[64:65]
	s_xor_b64 s[6:7], s[70:71], -1
	s_xor_b64 s[0:1], s[66:67], -1
	s_xor_b64 s[4:5], s[68:69], -1
	s_mov_b64 s[2:3], 0
	s_and_saveexec_b64 s[8:9], s[0:1]
	s_xor_b64 s[0:1], exec, s[8:9]
	s_cbranch_execnz .LBB79_308
; %bb.304:
	s_andn2_saveexec_b64 s[0:1], s[0:1]
	s_cbranch_execnz .LBB79_321
.LBB79_305:
	s_or_b64 exec, exec, s[0:1]
	s_and_saveexec_b64 s[0:1], s[2:3]
.LBB79_306:
	; divergent unreachable
.LBB79_307:
	s_endpgm
.LBB79_308:
	s_and_saveexec_b64 s[2:3], s[6:7]
	s_xor_b64 s[2:3], exec, s[2:3]
	s_cbranch_execz .LBB79_319
; %bb.309:
	s_and_saveexec_b64 s[6:7], s[4:5]
	s_xor_b64 s[4:5], exec, s[6:7]
; %bb.310:
	v_mov_b32_e32 v45, v41
; %bb.311:
	s_or_b64 exec, exec, s[4:5]
	v_readlane_b32 s6, v56, 0
	v_readlane_b32 s7, v56, 1
	s_mul_i32 s4, s6, s31
	s_mul_hi_u32 s5, s6, s30
	s_add_i32 s4, s5, s4
	s_mul_i32 s5, s7, s30
	s_add_i32 s4, s4, s5
	s_mul_i32 s5, s6, s30
	v_readlane_b32 s6, v56, 4
	v_readlane_b32 s7, v56, 5
	s_add_u32 s5, s6, s5
	s_addc_u32 s6, s7, s4
	s_add_u32 s4, s5, s22
	s_addc_u32 s5, s6, s23
	v_mov_b32_e32 v2, 0
	global_store_byte v2, v45, s[4:5]
	s_mov_b64 s[4:5], exec
	v_readlane_b32 s6, v56, 29
	v_readlane_b32 s7, v56, 30
	s_and_b64 s[6:7], s[4:5], s[6:7]
	s_mov_b64 exec, s[6:7]
	s_cbranch_execz .LBB79_318
; %bb.312:
	s_mov_b64 s[6:7], 0
                                        ; implicit-def: $sgpr8_sgpr9
                                        ; implicit-def: $sgpr12_sgpr13
                                        ; implicit-def: $sgpr10_sgpr11
	s_branch .LBB79_314
.LBB79_313:                             ;   in Loop: Header=BB79_314 Depth=1
	s_or_b64 exec, exec, s[14:15]
	s_and_b64 s[14:15], exec, s[12:13]
	s_or_b64 s[6:7], s[14:15], s[6:7]
	s_andn2_b64 s[8:9], s[8:9], exec
	s_and_b64 s[14:15], s[10:11], exec
	s_or_b64 s[8:9], s[8:9], s[14:15]
	s_andn2_b64 exec, exec, s[6:7]
	s_cbranch_execz .LBB79_316
.LBB79_314:                             ; =>This Inner Loop Header: Depth=1
	global_load_ubyte v4, v[12:13], off
	v_mov_b32_e32 v3, v1
	v_mov_b32_e32 v2, v0
	s_or_b64 s[10:11], s[10:11], exec
	s_or_b64 s[12:13], s[12:13], exec
                                        ; implicit-def: $vgpr0_vgpr1
	s_waitcnt vmcnt(0)
	v_cmp_ne_u16_sdwa s[16:17], v4, v45 src0_sel:DWORD src1_sel:BYTE_0
	s_and_saveexec_b64 s[14:15], s[16:17]
	s_cbranch_execz .LBB79_313
; %bb.315:                              ;   in Loop: Header=BB79_314 Depth=1
	v_add_co_u32_e32 v0, vcc, s33, v2
	v_addc_co_u32_e32 v1, vcc, 0, v3, vcc
	v_mov_b32_e32 v4, s48
	v_add_co_u32_e32 v12, vcc, s49, v12
	v_addc_co_u32_e32 v13, vcc, v13, v4, vcc
	v_cmp_le_u64_e32 vcc, s[24:25], v[0:1]
	s_andn2_b64 s[12:13], s[12:13], exec
	s_and_b64 s[16:17], vcc, exec
	s_andn2_b64 s[10:11], s[10:11], exec
	s_or_b64 s[12:13], s[12:13], s[16:17]
	s_branch .LBB79_313
.LBB79_316:
	s_or_b64 exec, exec, s[6:7]
	s_and_saveexec_b64 s[6:7], s[8:9]
	s_xor_b64 s[6:7], exec, s[6:7]
	s_cbranch_execz .LBB79_318
; %bb.317:
	v_readlane_b32 s8, v56, 2
	v_readlane_b32 s9, v56, 3
	s_mul_i32 s6, s8, s37
	s_mul_hi_u32 s7, s8, s36
	s_add_i32 s6, s7, s6
	s_mul_i32 s7, s9, s36
	s_add_i32 s7, s6, s7
	s_mul_i32 s6, s8, s36
	s_lshl_b64 s[6:7], s[6:7], 3
	v_readlane_b32 s8, v56, 6
	v_readlane_b32 s9, v56, 7
	s_add_u32 s8, s8, s6
	s_addc_u32 s9, s9, s7
	s_lshl_b64 s[6:7], s[28:29], 3
	s_add_u32 s6, s8, s6
	s_addc_u32 s7, s9, s7
	v_mov_b32_e32 v0, 0
	global_store_dwordx2 v0, v[2:3], s[6:7]
.LBB79_318:
	s_or_b64 exec, exec, s[4:5]
.LBB79_319:
	s_or_saveexec_b64 s[2:3], s[2:3]
	s_mov_b64 s[4:5], 0
	s_xor_b64 exec, exec, s[2:3]
	s_cbranch_execnz .LBB79_322
.LBB79_320:
	s_or_b64 exec, exec, s[2:3]
	s_and_b64 s[2:3], s[4:5], exec
	s_andn2_saveexec_b64 s[0:1], s[0:1]
	s_cbranch_execz .LBB79_305
.LBB79_321:
	s_or_b64 s[2:3], s[2:3], exec
	s_trap 2
	s_or_b64 exec, exec, s[0:1]
	s_and_saveexec_b64 s[0:1], s[2:3]
	s_cbranch_execnz .LBB79_306
	s_branch .LBB79_307
.LBB79_322:
	s_mov_b64 s[4:5], exec
	s_trap 2
	s_branch .LBB79_320
	.section	.rodata,"a",@progbits
	.p2align	6, 0x0
	.amdhsa_kernel _ZN2at6native12_GLOBAL__N_112gatherMedianIhmLin1EEEvNS_4cuda6detail10TensorInfoIT_T0_EENS5_IlS7_EENS5_IKS6_S7_EES7_S7_S7_b
		.amdhsa_group_segment_fixed_size 5152
		.amdhsa_private_segment_fixed_size 0
		.amdhsa_kernarg_size 1536
		.amdhsa_user_sgpr_count 6
		.amdhsa_user_sgpr_private_segment_buffer 1
		.amdhsa_user_sgpr_dispatch_ptr 0
		.amdhsa_user_sgpr_queue_ptr 0
		.amdhsa_user_sgpr_kernarg_segment_ptr 1
		.amdhsa_user_sgpr_dispatch_id 0
		.amdhsa_user_sgpr_flat_scratch_init 0
		.amdhsa_user_sgpr_private_segment_size 0
		.amdhsa_uses_dynamic_stack 0
		.amdhsa_system_sgpr_private_segment_wavefront_offset 0
		.amdhsa_system_sgpr_workgroup_id_x 1
		.amdhsa_system_sgpr_workgroup_id_y 1
		.amdhsa_system_sgpr_workgroup_id_z 1
		.amdhsa_system_sgpr_workgroup_info 0
		.amdhsa_system_vgpr_workitem_id 0
		.amdhsa_next_free_vgpr 57
		.amdhsa_next_free_sgpr 96
		.amdhsa_reserve_vcc 1
		.amdhsa_reserve_flat_scratch 0
		.amdhsa_float_round_mode_32 0
		.amdhsa_float_round_mode_16_64 0
		.amdhsa_float_denorm_mode_32 3
		.amdhsa_float_denorm_mode_16_64 3
		.amdhsa_dx10_clamp 1
		.amdhsa_ieee_mode 1
		.amdhsa_fp16_overflow 0
		.amdhsa_exception_fp_ieee_invalid_op 0
		.amdhsa_exception_fp_denorm_src 0
		.amdhsa_exception_fp_ieee_div_zero 0
		.amdhsa_exception_fp_ieee_overflow 0
		.amdhsa_exception_fp_ieee_underflow 0
		.amdhsa_exception_fp_ieee_inexact 0
		.amdhsa_exception_int_div_zero 0
	.end_amdhsa_kernel
	.section	.text._ZN2at6native12_GLOBAL__N_112gatherMedianIhmLin1EEEvNS_4cuda6detail10TensorInfoIT_T0_EENS5_IlS7_EENS5_IKS6_S7_EES7_S7_S7_b,"axG",@progbits,_ZN2at6native12_GLOBAL__N_112gatherMedianIhmLin1EEEvNS_4cuda6detail10TensorInfoIT_T0_EENS5_IlS7_EENS5_IKS6_S7_EES7_S7_S7_b,comdat
.Lfunc_end79:
	.size	_ZN2at6native12_GLOBAL__N_112gatherMedianIhmLin1EEEvNS_4cuda6detail10TensorInfoIT_T0_EENS5_IlS7_EENS5_IKS6_S7_EES7_S7_S7_b, .Lfunc_end79-_ZN2at6native12_GLOBAL__N_112gatherMedianIhmLin1EEEvNS_4cuda6detail10TensorInfoIT_T0_EENS5_IlS7_EENS5_IKS6_S7_EES7_S7_S7_b
                                        ; -- End function
	.set _ZN2at6native12_GLOBAL__N_112gatherMedianIhmLin1EEEvNS_4cuda6detail10TensorInfoIT_T0_EENS5_IlS7_EENS5_IKS6_S7_EES7_S7_S7_b.num_vgpr, 57
	.set _ZN2at6native12_GLOBAL__N_112gatherMedianIhmLin1EEEvNS_4cuda6detail10TensorInfoIT_T0_EENS5_IlS7_EENS5_IKS6_S7_EES7_S7_S7_b.num_agpr, 0
	.set _ZN2at6native12_GLOBAL__N_112gatherMedianIhmLin1EEEvNS_4cuda6detail10TensorInfoIT_T0_EENS5_IlS7_EENS5_IKS6_S7_EES7_S7_S7_b.numbered_sgpr, 96
	.set _ZN2at6native12_GLOBAL__N_112gatherMedianIhmLin1EEEvNS_4cuda6detail10TensorInfoIT_T0_EENS5_IlS7_EENS5_IKS6_S7_EES7_S7_S7_b.num_named_barrier, 0
	.set _ZN2at6native12_GLOBAL__N_112gatherMedianIhmLin1EEEvNS_4cuda6detail10TensorInfoIT_T0_EENS5_IlS7_EENS5_IKS6_S7_EES7_S7_S7_b.private_seg_size, 0
	.set _ZN2at6native12_GLOBAL__N_112gatherMedianIhmLin1EEEvNS_4cuda6detail10TensorInfoIT_T0_EENS5_IlS7_EENS5_IKS6_S7_EES7_S7_S7_b.uses_vcc, 1
	.set _ZN2at6native12_GLOBAL__N_112gatherMedianIhmLin1EEEvNS_4cuda6detail10TensorInfoIT_T0_EENS5_IlS7_EENS5_IKS6_S7_EES7_S7_S7_b.uses_flat_scratch, 0
	.set _ZN2at6native12_GLOBAL__N_112gatherMedianIhmLin1EEEvNS_4cuda6detail10TensorInfoIT_T0_EENS5_IlS7_EENS5_IKS6_S7_EES7_S7_S7_b.has_dyn_sized_stack, 0
	.set _ZN2at6native12_GLOBAL__N_112gatherMedianIhmLin1EEEvNS_4cuda6detail10TensorInfoIT_T0_EENS5_IlS7_EENS5_IKS6_S7_EES7_S7_S7_b.has_recursion, 0
	.set _ZN2at6native12_GLOBAL__N_112gatherMedianIhmLin1EEEvNS_4cuda6detail10TensorInfoIT_T0_EENS5_IlS7_EENS5_IKS6_S7_EES7_S7_S7_b.has_indirect_call, 0
	.section	.AMDGPU.csdata,"",@progbits
; Kernel info:
; codeLenInByte = 17640
; TotalNumSgprs: 100
; NumVgprs: 57
; ScratchSize: 0
; MemoryBound: 0
; FloatMode: 240
; IeeeMode: 1
; LDSByteSize: 5152 bytes/workgroup (compile time only)
; SGPRBlocks: 12
; VGPRBlocks: 14
; NumSGPRsForWavesPerEU: 100
; NumVGPRsForWavesPerEU: 57
; Occupancy: 4
; WaveLimiterHint : 1
; COMPUTE_PGM_RSRC2:SCRATCH_EN: 0
; COMPUTE_PGM_RSRC2:USER_SGPR: 6
; COMPUTE_PGM_RSRC2:TRAP_HANDLER: 0
; COMPUTE_PGM_RSRC2:TGID_X_EN: 1
; COMPUTE_PGM_RSRC2:TGID_Y_EN: 1
; COMPUTE_PGM_RSRC2:TGID_Z_EN: 1
; COMPUTE_PGM_RSRC2:TIDIG_COMP_CNT: 0
	.section	.text._ZN2at6native12_GLOBAL__N_112gatherMedianIajLi1EEEvNS_4cuda6detail10TensorInfoIT_T0_EENS5_IlS7_EENS5_IKS6_S7_EES7_S7_S7_b,"axG",@progbits,_ZN2at6native12_GLOBAL__N_112gatherMedianIajLi1EEEvNS_4cuda6detail10TensorInfoIT_T0_EENS5_IlS7_EENS5_IKS6_S7_EES7_S7_S7_b,comdat
	.globl	_ZN2at6native12_GLOBAL__N_112gatherMedianIajLi1EEEvNS_4cuda6detail10TensorInfoIT_T0_EENS5_IlS7_EENS5_IKS6_S7_EES7_S7_S7_b ; -- Begin function _ZN2at6native12_GLOBAL__N_112gatherMedianIajLi1EEEvNS_4cuda6detail10TensorInfoIT_T0_EENS5_IlS7_EENS5_IKS6_S7_EES7_S7_S7_b
	.p2align	8
	.type	_ZN2at6native12_GLOBAL__N_112gatherMedianIajLi1EEEvNS_4cuda6detail10TensorInfoIT_T0_EENS5_IlS7_EENS5_IKS6_S7_EES7_S7_S7_b,@function
_ZN2at6native12_GLOBAL__N_112gatherMedianIajLi1EEEvNS_4cuda6detail10TensorInfoIT_T0_EENS5_IlS7_EENS5_IKS6_S7_EES7_S7_S7_b: ; @_ZN2at6native12_GLOBAL__N_112gatherMedianIajLi1EEEvNS_4cuda6detail10TensorInfoIT_T0_EENS5_IlS7_EENS5_IKS6_S7_EES7_S7_S7_b
; %bb.0:
	s_load_dwordx2 s[12:13], s[4:5], 0x298
	s_load_dwordx4 s[36:39], s[4:5], 0x288
	s_add_u32 s10, s4, 0x298
	s_addc_u32 s11, s5, 0
	s_waitcnt lgkmcnt(0)
	s_mul_i32 s0, s13, s8
	s_add_i32 s0, s0, s7
	s_mul_i32 s0, s0, s12
	s_add_i32 s18, s0, s6
	s_cmp_ge_u32 s18, s37
	s_cbranch_scc1 .LBB80_251
; %bb.1:
	v_cmp_eq_u32_e64 s[0:1], 0, v0
	s_and_saveexec_b64 s[2:3], s[0:1]
; %bb.2:
	v_mov_b32_e32 v1, 0
	v_mov_b32_e32 v2, v1
	ds_write_b64 v1, v[1:2] offset:4096
; %bb.3:
	s_or_b64 exec, exec, s[2:3]
	v_mov_b32_e32 v1, 0
	s_waitcnt lgkmcnt(0)
	s_barrier
	s_barrier
	ds_read_b64 v[1:2], v1 offset:4096
	s_load_dwordx2 s[2:3], s[4:5], 0x1b0
	s_bitcmp1_b32 s39, 0
	s_cselect_b64 s[16:17], -1, 0
	s_mov_b32 s7, s36
	s_waitcnt lgkmcnt(0)
	v_readfirstlane_b32 s8, v1
	v_readfirstlane_b32 s9, v2
	v_cmp_lt_i64_e64 s[14:15], s[8:9], 1
	s_or_b64 s[14:15], s[16:17], s[14:15]
	s_andn2_b64 vcc, exec, s[14:15]
	s_cbranch_vccnz .LBB80_5
; %bb.4:
	s_not_b64 s[8:9], s[8:9]
	s_add_u32 s7, s8, s36
	s_addc_u32 s9, s9, 0
	s_lshr_b32 s8, s9, 31
	s_add_u32 s8, s7, s8
	s_addc_u32 s9, s9, 0
	s_lshr_b64 s[8:9], s[8:9], 1
	s_add_i32 s7, s8, 1
.LBB80_5:
	s_load_dwordx2 s[8:9], s[4:5], 0xd8
                                        ; implicit-def: $vgpr52 : SGPR spill to VGPR lane
	s_waitcnt lgkmcnt(0)
	v_writelane_b32 v52, s8, 0
	v_writelane_b32 v52, s9, 1
	s_load_dword s13, s[4:5], 0x21c
	s_load_dwordx2 s[8:9], s[4:5], 0x0
	s_waitcnt lgkmcnt(0)
	v_writelane_b32 v52, s8, 2
	v_writelane_b32 v52, s9, 3
	s_and_saveexec_b64 s[8:9], s[0:1]
	s_cbranch_execz .LBB80_7
; %bb.6:
	v_mov_b32_e32 v1, 0
	v_mov_b32_e32 v2, s36
	ds_write_b32 v1, v1 offset:4112
	ds_write_b64 v1, v[1:2] offset:4104
.LBB80_7:
	s_or_b64 exec, exec, s[8:9]
	s_load_dword s8, s[4:5], 0x144
                                        ; kill: killed $sgpr4 killed $sgpr5
	s_waitcnt lgkmcnt(0)
	s_barrier
	s_mul_i32 s13, s13, s18
	v_writelane_b32 v52, s8, 4
	s_load_dword s8, s[4:5], 0x6c
	s_add_u32 s40, s2, s13
	s_load_dword s4, s[10:11], 0xc
	v_mbcnt_lo_u32_b32 v1, -1, 0
	s_addc_u32 s41, s3, 0
	s_waitcnt lgkmcnt(0)
	v_writelane_b32 v52, s8, 5
	v_writelane_b32 v52, s18, 6
	v_cmp_gt_u32_e64 s[2:3], s36, v0
	s_and_b32 s39, s4, 0xffff
	v_mbcnt_hi_u32_b32 v19, -1, v1
	v_writelane_b32 v52, s2, 7
	v_cmp_gt_u32_e32 vcc, 64, v0
	v_cmp_gt_i32_e64 s[8:9], 4, v19
	s_add_i32 s13, s39, -1
	v_writelane_b32 v52, s3, 8
	s_lshl_b32 s37, s39, 2
	s_bfe_u32 s2, s4, 0xa0006
	s_and_b64 s[44:45], vcc, s[8:9]
	s_add_i32 s20, s13, s36
	s_cmpk_gt_u32 s36, 0xc00
	v_lshlrev_b64 v[2:3], v19, -1
	s_cselect_b64 s[8:9], -1, 0
	s_cmp_gt_u32 s39, 63
	s_cselect_b64 s[48:49], -1, 0
	v_not_b32_e32 v23, v2
	v_lshrrev_b32_e32 v2, 2, v0
	s_cmp_lt_u32 s6, s12
	v_writelane_b32 v52, s8, 9
	v_and_b32_e32 v2, 0xf0, v2
	s_cselect_b32 s3, 12, 18
	v_writelane_b32 v52, s9, 10
	v_or_b32_e32 v24, 0xc00, v2
	s_add_u32 s8, s10, s3
	v_add_u32_e32 v2, 2, v0
	s_addc_u32 s9, s11, 0
	v_max_u32_e32 v2, s36, v2
	v_writelane_b32 v52, s8, 11
	v_xad_u32 v2, v0, -1, v2
	v_not_b32_e32 v22, v3
	v_writelane_b32 v52, s9, 12
	v_add_u32_e32 v3, -4, v2
	v_cmp_lt_u32_e64 s[8:9], 31, v2
	v_lshrrev_b32_e32 v4, 2, v3
	v_writelane_b32 v52, s8, 13
	v_add_u32_e32 v4, 1, v4
	v_writelane_b32 v52, s9, 14
	v_cmp_lt_u32_e64 s[10:11], 11, v3
	v_and_b32_e32 v5, 3, v4
	v_writelane_b32 v52, s10, 15
	v_writelane_b32 v52, s11, 16
	v_cmp_ne_u32_e64 s[10:11], 0, v5
	v_and_b32_e32 v25, -4, v2
	v_writelane_b32 v52, s10, 17
	v_writelane_b32 v52, s11, 18
	v_cmp_ne_u32_e64 s[10:11], v2, v25
	v_cvt_f32_u32_e32 v2, s37
	s_add_i32 s3, s2, -1
	s_bfe_u32 s6, s39, 0x30006
	s_and_b32 s3, s3, 0xffff
	v_rcp_iflag_f32_e32 v2, v2
	v_writelane_b32 v52, s10, 19
	s_cmp_gt_u32 s3, 6
	v_writelane_b32 v52, s11, 20
	s_cselect_b64 s[10:11], -1, 0
	v_mul_f32_e32 v2, 0x4f7ffffe, v2
	v_writelane_b32 v52, s10, 21
	s_and_b32 s9, s2, 0x3f8
	v_cvt_u32_f32_e32 v2, v2
	v_writelane_b32 v52, s11, 22
	s_cmp_lg_u32 s6, 0
	v_writelane_b32 v52, s6, 23
	s_cselect_b64 s[2:3], -1, 0
	v_writelane_b32 v52, s2, 24
	v_writelane_b32 v52, s3, 25
	v_readfirstlane_b32 s3, v2
	v_cvt_f32_u32_e32 v2, s39
	s_sub_i32 s2, 0, s37
	s_mul_i32 s2, s2, s3
	s_mul_hi_u32 s2, s3, s2
	s_add_i32 s2, s3, s2
	v_rcp_iflag_f32_e32 v2, v2
	s_mul_hi_u32 s3, s36, s2
	s_mul_i32 s3, s3, s37
	s_sub_i32 s3, s36, s3
	s_sub_i32 s6, s3, s37
	v_mul_f32_e32 v2, 0x4f7ffffe, v2
	s_cmp_ge_u32 s3, s37
	v_cvt_u32_f32_e32 v2, v2
	s_cselect_b32 s3, s6, s3
	s_sub_i32 s6, s3, s37
	s_cmp_ge_u32 s3, s37
	s_cselect_b32 s6, s6, s3
	s_sub_i32 s10, 0, s39
	v_readfirstlane_b32 s11, v2
	s_mul_i32 s10, s10, s11
	s_mul_hi_u32 s10, s11, s10
	s_add_i32 s51, s11, s10
	s_mul_hi_u32 s10, s20, s51
	s_mul_i32 s10, s10, s39
	s_sub_i32 s10, s20, s10
	s_sub_i32 s3, s36, s6
	s_sub_i32 s11, s10, s39
	s_cmp_ge_u32 s10, s39
	s_cselect_b32 s10, s11, s10
	v_lshlrev_b32_e32 v18, 2, v0
	s_sub_i32 s11, s10, s39
	s_cmp_ge_u32 s10, s39
	v_mul_lo_u32 v2, s38, v18
	s_cselect_b32 s10, s11, s10
	s_sub_i32 s52, s20, s10
	v_cmp_gt_u32_e64 s[10:11], s52, v0
	v_mul_lo_u32 v17, s38, v0
	v_writelane_b32 v52, s10, 26
	v_add_u32_e32 v30, s38, v2
	v_or_b32_e32 v2, 2, v18
	v_add_u32_e32 v28, s3, v0
	v_writelane_b32 v52, s11, 27
	v_mul_lo_u32 v31, s38, v2
	v_or_b32_e32 v2, 3, v18
	s_add_i32 s10, s39, s36
	v_mul_lo_u32 v3, v28, s38
	v_mul_lo_u32 v32, s38, v2
	v_add_u32_e32 v2, s10, v0
	v_subrev_u32_e32 v2, s6, v2
	v_mov_b32_e32 v1, s41
	v_add_co_u32_e32 v13, vcc, s40, v17
	v_mul_lo_u32 v35, s38, v2
	v_addc_co_u32_e32 v14, vcc, 0, v1, vcc
	v_lshlrev_b32_e32 v1, 2, v19
	v_and_b32_e32 v27, 0x7ffffffc, v4
	v_mov_b32_e32 v4, s41
	v_add_co_u32_e32 v15, vcc, s40, v3
	s_mul_i32 s33, s38, s39
	s_mov_b32 s50, 0
	v_cmp_eq_u32_e64 s[4:5], 0, v19
	v_cmp_gt_u32_e64 s[24:25], 2, v0
	v_mov_b32_e32 v20, 0
	v_and_b32_e32 v21, 0x100, v1
	v_add_u32_e32 v26, v0, v25
	s_mov_b32 s12, s38
	s_mov_b32 s14, s38
	;; [unrolled: 1-line block ×4, first 2 shown]
	v_cmp_gt_u32_e64 s[16:17], s3, v18
	v_cmp_gt_u32_e64 s[18:19], s36, v28
	v_addc_co_u32_e32 v16, vcc, 0, v4, vcc
	v_lshlrev_b32_e32 v29, 2, v5
	s_lshl_b32 s53, s33, 2
	v_lshlrev_b32_e32 v34, 2, v17
	v_or_b32_e32 v36, 0xc00, v1
	s_mov_b64 s[56:57], 0
	v_mov_b32_e32 v37, 6
	v_mov_b32_e32 v41, s7
	s_movk_i32 s54, 0x80
	s_mov_b32 s55, 0xc0c0004
	v_mov_b32_e32 v38, 8
	v_mov_b32_e32 v40, 0
	;; [unrolled: 1-line block ×4, first 2 shown]
                                        ; implicit-def: $sgpr58_sgpr59
                                        ; implicit-def: $sgpr62_sgpr63
                                        ; implicit-def: $sgpr60_sgpr61
                                        ; implicit-def: $sgpr66_sgpr67
                                        ; implicit-def: $sgpr68_sgpr69
                                        ; implicit-def: $sgpr64_sgpr65
	s_branch .LBB80_11
.LBB80_8:                               ;   in Loop: Header=BB80_11 Depth=1
	s_or_b64 exec, exec, s[42:43]
	s_and_b64 s[70:71], s[34:35], exec
	s_andn2_b64 s[30:31], s[30:31], exec
	s_andn2_b64 s[28:29], s[28:29], exec
	s_orn2_b64 s[22:23], s[22:23], exec
.LBB80_9:                               ;   in Loop: Header=BB80_11 Depth=1
	s_or_b64 exec, exec, s[26:27]
	s_andn2_b64 s[20:21], s[64:65], exec
	s_and_b64 s[26:27], s[70:71], exec
	s_or_b64 s[64:65], s[20:21], s[26:27]
	s_andn2_b64 s[20:21], s[68:69], exec
	s_and_b64 s[26:27], s[30:31], exec
	s_or_b64 s[68:69], s[20:21], s[26:27]
	;; [unrolled: 3-line block ×3, first 2 shown]
	s_orn2_b64 s[22:23], s[22:23], exec
.LBB80_10:                              ;   in Loop: Header=BB80_11 Depth=1
	s_or_b64 exec, exec, s[6:7]
	s_and_b64 s[6:7], exec, s[22:23]
	s_or_b64 s[56:57], s[6:7], s[56:57]
	s_andn2_b64 s[6:7], s[60:61], exec
	s_and_b64 s[20:21], s[64:65], exec
	s_or_b64 s[60:61], s[6:7], s[20:21]
	s_andn2_b64 s[6:7], s[62:63], exec
	s_and_b64 s[20:21], s[68:69], exec
	;; [unrolled: 3-line block ×3, first 2 shown]
	s_or_b64 s[58:59], s[6:7], s[20:21]
	s_mov_b32 s50, s10
	v_mov_b32_e32 v41, v4
	s_andn2_b64 exec, exec, s[56:57]
	s_cbranch_execz .LBB80_247
.LBB80_11:                              ; =>This Loop Header: Depth=1
                                        ;     Child Loop BB80_16 Depth 2
                                        ;     Child Loop BB80_37 Depth 2
	;; [unrolled: 1-line block ×18, first 2 shown]
	ds_read_b64 v[1:2], v20 offset:4104
	s_waitcnt lgkmcnt(0)
	v_readfirstlane_b32 s34, v1
	s_cmp_lg_u32 s34, 0
	s_cbranch_scc1 .LBB80_56
; %bb.12:                               ;   in Loop: Header=BB80_11 Depth=1
	v_readlane_b32 s6, v52, 9
	v_readlane_b32 s7, v52, 10
	s_and_b64 vcc, exec, s[6:7]
	s_cbranch_vccz .LBB80_24
; %bb.13:                               ;   in Loop: Header=BB80_11 Depth=1
	s_movk_i32 s6, 0xc01
	v_cmp_gt_u32_e32 vcc, s6, v2
	s_mov_b64 s[26:27], 0
	s_mov_b64 s[6:7], 0
	s_cbranch_vccz .LBB80_25
; %bb.14:                               ;   in Loop: Header=BB80_11 Depth=1
	v_readlane_b32 s6, v52, 11
	v_readlane_b32 s7, v52, 12
	s_nop 4
	global_load_ushort v1, v20, s[6:7]
	global_load_ubyte v4, v[13:14], off
	s_mov_b64 s[28:29], 0
	v_mov_b32_e32 v5, v0
	s_waitcnt vmcnt(1)
	v_add_u32_e32 v2, v0, v1
	v_mul_lo_u32 v2, s38, v2
	v_mul_lo_u32 v3, s38, v1
	s_branch .LBB80_16
.LBB80_15:                              ;   in Loop: Header=BB80_16 Depth=2
	s_or_b64 exec, exec, s[6:7]
	v_add_u32_e32 v2, v2, v3
	v_mov_b32_e32 v4, v6
	s_andn2_b64 exec, exec, s[28:29]
	s_cbranch_execz .LBB80_31
.LBB80_16:                              ;   Parent Loop BB80_11 Depth=1
                                        ; =>  This Inner Loop Header: Depth=2
	v_add_u32_e32 v5, v5, v1
	v_cmp_gt_u32_e64 s[6:7], s36, v5
	v_cmp_le_u32_e32 vcc, s36, v5
	s_waitcnt lgkmcnt(0)
	v_mov_b32_e32 v7, 0
	v_mov_b32_e32 v6, 0
	s_and_saveexec_b64 s[10:11], s[6:7]
	s_cbranch_execz .LBB80_18
; %bb.17:                               ;   in Loop: Header=BB80_16 Depth=2
	global_load_ubyte v6, v2, s[40:41]
.LBB80_18:                              ;   in Loop: Header=BB80_16 Depth=2
	s_or_b64 exec, exec, s[10:11]
	s_waitcnt vmcnt(0)
	v_add_u32_sdwa v8, sext(v4), s54 dst_sel:DWORD dst_unused:UNUSED_PAD src0_sel:BYTE_0 src1_sel:DWORD
	v_and_b32_e32 v8, v8, v39
	v_cmp_eq_u32_e64 s[22:23], v8, v33
	s_cmp_lg_u64 s[22:23], 0
	s_cselect_b64 s[6:7], -1, 0
	s_and_b64 s[6:7], s[4:5], s[6:7]
	s_and_saveexec_b64 s[30:31], s[6:7]
	s_cbranch_execz .LBB80_22
; %bb.19:                               ;   in Loop: Header=BB80_16 Depth=2
	s_mov_b64 s[34:35], exec
	v_mbcnt_lo_u32_b32 v7, s34, 0
	v_mbcnt_hi_u32_b32 v7, s35, v7
	s_bcnt1_i32_b64 s20, s[22:23]
	v_cmp_eq_u32_e64 s[6:7], 0, v7
                                        ; implicit-def: $vgpr8
	s_and_saveexec_b64 s[10:11], s[6:7]
; %bb.20:                               ;   in Loop: Header=BB80_16 Depth=2
	s_bcnt1_i32_b64 s6, s[34:35]
	s_mul_i32 s6, s20, s6
	v_mov_b32_e32 v8, s6
	ds_add_rtn_u32 v8, v20, v8 offset:4112
; %bb.21:                               ;   in Loop: Header=BB80_16 Depth=2
	s_or_b64 exec, exec, s[10:11]
	s_waitcnt lgkmcnt(0)
	v_readfirstlane_b32 s6, v8
	v_mov_b32_e32 v8, s6
	v_mad_u32_u24 v7, s20, v7, v8
.LBB80_22:                              ;   in Loop: Header=BB80_16 Depth=2
	s_or_b64 exec, exec, s[30:31]
	ds_bpermute_b32 v7, v21, v7
	s_and_b64 s[6:7], exec, vcc
	s_or_b64 s[28:29], s[6:7], s[28:29]
	s_and_saveexec_b64 s[6:7], s[22:23]
	s_cbranch_execz .LBB80_15
; %bb.23:                               ;   in Loop: Header=BB80_16 Depth=2
	v_and_b32_e32 v9, s22, v23
	v_and_b32_e32 v8, s23, v22
	v_bcnt_u32_b32 v9, v9, 0
	v_bcnt_u32_b32 v8, v8, v9
	s_waitcnt lgkmcnt(0)
	v_add_u32_e32 v7, v7, v8
	ds_write_b8 v7, v4
	s_branch .LBB80_15
.LBB80_24:                              ;   in Loop: Header=BB80_11 Depth=1
	s_mov_b64 s[26:27], -1
	s_mov_b64 s[6:7], 0
.LBB80_25:                              ;   in Loop: Header=BB80_11 Depth=1
	s_and_b64 vcc, exec, s[26:27]
	s_cbranch_vccz .LBB80_54
.LBB80_26:                              ;   in Loop: Header=BB80_11 Depth=1
	s_mov_b64 s[22:23], exec
	v_readlane_b32 s6, v52, 7
	v_readlane_b32 s7, v52, 8
	s_and_b64 s[6:7], s[22:23], s[6:7]
	s_mov_b64 exec, s[6:7]
	s_cbranch_execz .LBB80_51
; %bb.27:                               ;   in Loop: Header=BB80_11 Depth=1
	v_readlane_b32 s6, v52, 11
	v_readlane_b32 s7, v52, 12
	s_nop 4
	global_load_ushort v1, v20, s[6:7]
	global_load_ubyte v43, v[13:14], off
	v_mov_b32_e32 v2, v0
	s_waitcnt vmcnt(1)
	v_readfirstlane_b32 s10, v1
	v_add_u32_e32 v1, v0, v1
	v_cmp_gt_u32_e32 vcc, s36, v1
	s_and_saveexec_b64 s[26:27], vcc
	s_cbranch_execz .LBB80_50
; %bb.28:                               ;   in Loop: Header=BB80_11 Depth=1
	v_readlane_b32 s28, v52, 13
	s_mov_b64 s[6:7], 0
	s_mul_i32 s11, s38, s10
	v_readlane_b32 s29, v52, 14
                                        ; implicit-def: $vgpr2
                                        ; implicit-def: $vgpr5
                                        ; implicit-def: $vgpr3
                                        ; implicit-def: $vgpr4
	s_and_saveexec_b64 s[20:21], s[28:29]
	s_xor_b64 s[28:29], exec, s[20:21]
	s_cbranch_execnz .LBB80_34
; %bb.29:                               ;   in Loop: Header=BB80_11 Depth=1
	s_andn2_saveexec_b64 s[28:29], s[28:29]
	s_cbranch_execnz .LBB80_45
.LBB80_30:                              ;   in Loop: Header=BB80_11 Depth=1
	s_or_b64 exec, exec, s[28:29]
	s_and_saveexec_b64 s[28:29], s[6:7]
	s_cbranch_execnz .LBB80_46
	s_branch .LBB80_49
.LBB80_31:                              ;   in Loop: Header=BB80_11 Depth=1
	s_or_b64 exec, exec, s[28:29]
	s_waitcnt lgkmcnt(0)
	s_barrier
	s_and_saveexec_b64 s[6:7], s[0:1]
	s_cbranch_execz .LBB80_33
; %bb.32:                               ;   in Loop: Header=BB80_11 Depth=1
	ds_read_b32 v1, v20 offset:4112
	s_waitcnt lgkmcnt(0)
	ds_write_b32 v20, v1 offset:4104
.LBB80_33:                              ;   in Loop: Header=BB80_11 Depth=1
	s_or_b64 exec, exec, s[6:7]
	s_waitcnt lgkmcnt(0)
	s_barrier
	s_mov_b64 s[6:7], -1
	s_and_b64 vcc, exec, s[26:27]
	s_cbranch_vccnz .LBB80_26
	s_branch .LBB80_54
.LBB80_34:                              ;   in Loop: Header=BB80_11 Depth=1
	v_cvt_f32_u32_e32 v2, s10
	s_sub_i32 s7, 0, s10
	v_add_u32_e32 v4, s10, v1
	v_max_u32_e32 v4, s36, v4
	v_rcp_iflag_f32_e32 v2, v2
	s_lshl_b32 s6, s10, 1
	v_sub_u32_e32 v4, v4, v0
	v_cmp_ne_u32_e32 vcc, s6, v4
	v_mul_f32_e32 v2, 0x4f7ffffe, v2
	v_cvt_u32_f32_e32 v2, v2
	v_cndmask_b32_e64 v5, 0, 1, vcc
	v_or_b32_e32 v5, s6, v5
	v_sub_u32_e32 v4, v4, v5
	v_mul_lo_u32 v3, s7, v2
	s_not_b32 s6, s11
	s_ashr_i32 s30, s6, 31
	s_abs_i32 s20, s11
	v_mul_hi_u32 v3, v2, v3
	s_cmp_eq_u32 s10, 1
	v_add_u32_e32 v2, v2, v3
	v_mul_hi_u32 v2, v4, v2
	v_mul_lo_u32 v3, s38, v1
	v_mul_lo_u32 v5, v2, s10
	v_add_u32_e32 v6, 1, v2
	v_xor_b32_e32 v3, s30, v3
	s_mov_b64 s[30:31], -1
	v_sub_u32_e32 v4, v4, v5
	v_cmp_le_u32_e64 s[6:7], s10, v4
	v_subrev_u32_e32 v5, s10, v4
	v_cndmask_b32_e64 v2, v2, v6, s[6:7]
	v_cndmask_b32_e64 v4, v4, v5, s[6:7]
	v_add_u32_e32 v5, 1, v2
	v_cmp_le_u32_e64 s[6:7], s10, v4
	v_cndmask_b32_e64 v2, v2, v5, s[6:7]
	v_addc_co_u32_e32 v2, vcc, 0, v2, vcc
	v_mul_hi_u32 v4, s20, v2
	v_mul_lo_u32 v2, s20, v2
	s_cselect_b64 s[20:21], -1, 0
	v_cmp_eq_u32_e32 vcc, 0, v4
	v_cmp_le_u32_e64 s[6:7], v2, v3
	s_and_b64 s[20:21], vcc, s[20:21]
	s_and_b64 s[20:21], s[20:21], s[6:7]
	v_mov_b32_e32 v3, v0
                                        ; implicit-def: $vgpr2
	s_and_saveexec_b64 s[6:7], s[20:21]
	s_cbranch_execz .LBB80_44
; %bb.35:                               ;   in Loop: Header=BB80_11 Depth=1
	v_add_u32_e32 v4, 3, v1
	v_add_u32_e32 v3, 2, v1
	;; [unrolled: 1-line block ×3, first 2 shown]
	v_mov_b32_e32 v8, v4
	s_waitcnt vmcnt(0)
	v_lshlrev_b32_e32 v44, 24, v43
	v_mov_b32_e32 v9, 0
	v_mov_b32_e32 v7, v3
	;; [unrolled: 1-line block ×4, first 2 shown]
                                        ; implicit-def: $vgpr43
	s_mov_b64 s[30:31], exec
	v_readlane_b32 s20, v52, 15
	v_readlane_b32 s21, v52, 16
	s_and_b64 s[20:21], s[30:31], s[20:21]
	s_mov_b64 exec, s[20:21]
	s_cbranch_execz .LBB80_39
; %bb.36:                               ;   in Loop: Header=BB80_11 Depth=1
	v_mov_b32_e32 v8, v4
	s_mov_b32 s20, 0
	s_mov_b64 s[70:71], 0
	v_mov_b32_e32 v42, v27
	v_mov_b32_e32 v7, v3
	;; [unrolled: 1-line block ×4, first 2 shown]
	s_mov_b32 s21, 0xc0c0007
.LBB80_37:                              ;   Parent Loop BB80_11 Depth=1
                                        ; =>  This Inner Loop Header: Depth=2
	v_mul_lo_u32 v2, v5, s12
	v_mul_lo_u32 v9, v6, s14
	;; [unrolled: 1-line block ×3, first 2 shown]
	v_mov_b32_e32 v12, s41
	v_add_co_u32_e32 v2, vcc, s40, v2
	v_addc_co_u32_e32 v3, vcc, 0, v12, vcc
	v_mul_lo_u32 v4, v8, s8
	v_add_co_u32_e32 v9, vcc, s40, v9
	v_addc_co_u32_e32 v10, vcc, 0, v12, vcc
	v_add_co_u32_e32 v45, vcc, s40, v11
	v_addc_co_u32_e32 v46, vcc, 0, v12, vcc
	v_add_co_u32_e32 v47, vcc, s40, v4
	global_load_ubyte v4, v[45:46], off
	s_nop 0
	global_load_ubyte v9, v[9:10], off
	v_add_u32_e32 v10, 4, v7
	global_load_ubyte v2, v[2:3], off
	v_add_u32_e32 v3, 4, v6
	v_mul_lo_u32 v43, v10, s15
	v_mul_lo_u32 v10, v3, s14
	v_addc_co_u32_e32 v48, vcc, 0, v12, vcc
	v_add_u32_e32 v11, 4, v8
	v_mul_lo_u32 v45, v11, s8
	v_add_u32_e32 v42, -4, v42
	s_waitcnt vmcnt(1)
	v_perm_b32 v4, v9, v4, s55
	s_waitcnt vmcnt(0)
	v_perm_b32 v2, v44, v2, s21
	v_lshl_or_b32 v9, v4, 16, v2
	v_add_u32_e32 v2, 4, v5
	v_mul_lo_u32 v2, v2, s12
	v_add_u32_e32 v4, s20, v0
	s_add_i32 s20, s20, 16
	v_add_co_u32_e32 v2, vcc, s40, v2
	v_addc_co_u32_e32 v3, vcc, 0, v12, vcc
	v_add_co_u32_e32 v10, vcc, s40, v10
	v_addc_co_u32_e32 v11, vcc, 0, v12, vcc
	;; [unrolled: 2-line block ×3, first 2 shown]
	global_load_ubyte v47, v[47:48], off
	s_nop 0
	global_load_ubyte v2, v[2:3], off
	s_nop 0
	;; [unrolled: 2-line block ×3, first 2 shown]
	global_load_ubyte v10, v[10:11], off
	v_add_co_u32_e32 v45, vcc, s40, v45
	v_addc_co_u32_e32 v46, vcc, 0, v12, vcc
	v_add_u32_e32 v11, 8, v7
	v_add_u32_e32 v43, 8, v8
	v_mul_lo_u32 v51, v43, s8
	v_mul_lo_u32 v11, v11, s15
	s_waitcnt vmcnt(2)
	v_perm_b32 v2, v47, v2, s55
	s_waitcnt vmcnt(0)
	v_perm_b32 v3, v10, v3, s55
	v_lshl_or_b32 v10, v3, 16, v2
	v_add_u32_e32 v2, 8, v5
	v_mul_lo_u32 v2, v2, s12
	v_add_u32_e32 v3, 8, v6
	v_mul_lo_u32 v3, v3, s14
	v_add_co_u32_e32 v43, vcc, s40, v2
	v_addc_co_u32_e32 v44, vcc, 0, v12, vcc
	v_add_co_u32_e32 v47, vcc, s40, v3
	v_addc_co_u32_e32 v48, vcc, 0, v12, vcc
	v_add_co_u32_e32 v49, vcc, s40, v11
	global_load_ubyte v11, v[43:44], off
	s_nop 0
	global_load_ubyte v43, v[45:46], off
	v_addc_co_u32_e32 v50, vcc, 0, v12, vcc
	v_add_u32_e32 v46, 12, v8
	v_add_co_u32_e32 v2, vcc, s40, v51
	v_addc_co_u32_e32 v3, vcc, 0, v12, vcc
	v_add_u32_e32 v45, 12, v7
	v_add_u32_e32 v8, 16, v8
	;; [unrolled: 1-line block ×3, first 2 shown]
	s_waitcnt vmcnt(0)
	v_perm_b32 v11, v43, v11, s55
	global_load_ubyte v43, v[49:50], off
	global_load_ubyte v44, v[47:48], off
	v_mul_lo_u32 v50, v46, s8
	v_mul_lo_u32 v48, v45, s15
	s_waitcnt vmcnt(0)
	v_perm_b32 v43, v44, v43, s55
	v_lshl_or_b32 v11, v43, 16, v11
	v_add_u32_e32 v43, 12, v5
	v_mul_lo_u32 v43, v43, s12
	v_add_u32_e32 v44, 12, v6
	v_mul_lo_u32 v46, v44, s14
	v_add_u32_e32 v6, 16, v6
	v_add_co_u32_e32 v44, vcc, s40, v43
	v_addc_co_u32_e32 v45, vcc, 0, v12, vcc
	v_add_co_u32_e32 v46, vcc, s40, v46
	v_addc_co_u32_e32 v47, vcc, 0, v12, vcc
	;; [unrolled: 2-line block ×4, first 2 shown]
	global_load_ubyte v43, v[50:51], off
	global_load_ubyte v12, v[46:47], off
	s_nop 0
	global_load_ubyte v45, v[44:45], off
	v_cmp_eq_u32_e32 vcc, 0, v42
	global_load_ubyte v46, v[48:49], off
	v_add_u32_e32 v5, 16, v5
	global_load_ubyte v2, v[2:3], off
	s_or_b64 s[70:71], vcc, s[70:71]
	s_waitcnt vmcnt(2)
	v_perm_b32 v44, v45, v12, s55
	s_waitcnt vmcnt(1)
	v_perm_b32 v3, v12, v46, s55
	v_perm_b32 v47, v46, v43, s55
	s_waitcnt vmcnt(0)
	v_perm_b32 v2, v2, v45, s55
	v_lshl_or_b32 v12, v3, 16, v2
	v_lshl_or_b32 v44, v47, 16, v44
	ds_write_b128 v4, v[9:12]
	v_mov_b32_e32 v9, s20
	s_andn2_b64 exec, exec, s[70:71]
	s_cbranch_execnz .LBB80_37
; %bb.38:                               ;   in Loop: Header=BB80_11 Depth=1
	s_or_b64 exec, exec, s[70:71]
.LBB80_39:                              ;   in Loop: Header=BB80_11 Depth=1
	s_or_b64 exec, exec, s[30:31]
	s_mov_b64 s[30:31], exec
	v_readlane_b32 s20, v52, 17
	v_readlane_b32 s21, v52, 18
	s_and_b64 s[20:21], s[30:31], s[20:21]
	s_mov_b64 exec, s[20:21]
	s_cbranch_execz .LBB80_43
; %bb.40:                               ;   in Loop: Header=BB80_11 Depth=1
	v_add_u32_e32 v2, v0, v9
	s_mov_b64 s[70:71], 0
	v_mov_b32_e32 v3, v29
	s_mov_b32 s20, 0xc0c0007
.LBB80_41:                              ;   Parent Loop BB80_11 Depth=1
                                        ; =>  This Inner Loop Header: Depth=2
	v_mul_lo_u32 v9, v5, s12
	v_mul_lo_u32 v11, v6, s14
	;; [unrolled: 1-line block ×3, first 2 shown]
	v_mov_b32_e32 v46, s41
	v_add_co_u32_e32 v9, vcc, s40, v9
	v_addc_co_u32_e32 v10, vcc, 0, v46, vcc
	v_mul_lo_u32 v4, v8, s8
	v_add_co_u32_e32 v11, vcc, s40, v11
	v_addc_co_u32_e32 v12, vcc, 0, v46, vcc
	v_add_co_u32_e32 v42, vcc, s40, v42
	v_addc_co_u32_e32 v43, vcc, 0, v46, vcc
	;; [unrolled: 2-line block ×3, first 2 shown]
	global_load_ubyte v4, v[11:12], off
	s_nop 0
	global_load_ubyte v11, v[42:43], off
	s_nop 0
	;; [unrolled: 2-line block ×3, first 2 shown]
	global_load_ubyte v9, v[9:10], off
	v_add_u32_e32 v3, -4, v3
	v_cmp_eq_u32_e32 vcc, 0, v3
	v_add_u32_e32 v8, 4, v8
	v_add_u32_e32 v7, 4, v7
	;; [unrolled: 1-line block ×4, first 2 shown]
	s_or_b64 s[70:71], vcc, s[70:71]
	s_waitcnt vmcnt(1)
	v_perm_b32 v12, v11, v43, s55
	s_waitcnt vmcnt(0)
	v_perm_b32 v10, v9, v4, s55
	v_perm_b32 v4, v4, v11, s55
	v_perm_b32 v9, v44, v9, s20
	v_lshl_or_b32 v4, v4, 16, v9
	v_lshl_or_b32 v44, v12, 16, v10
	ds_write_b32 v2, v4
	v_add_u32_e32 v2, 4, v2
	s_andn2_b64 exec, exec, s[70:71]
	s_cbranch_execnz .LBB80_41
; %bb.42:                               ;   in Loop: Header=BB80_11 Depth=1
	s_or_b64 exec, exec, s[70:71]
.LBB80_43:                              ;   in Loop: Header=BB80_11 Depth=1
	s_or_b64 exec, exec, s[30:31]
	v_readlane_b32 s20, v52, 19
	v_add_u32_e32 v1, v1, v25
	v_readlane_b32 s21, v52, 20
	v_add_u32_e32 v2, -1, v1
	s_orn2_b64 s[30:31], s[20:21], exec
	v_mov_b32_e32 v3, v26
.LBB80_44:                              ;   in Loop: Header=BB80_11 Depth=1
	s_or_b64 exec, exec, s[6:7]
	v_mov_b32_e32 v4, s11
	s_and_b64 s[6:7], s[30:31], exec
	s_waitcnt vmcnt(0)
	v_mov_b32_e32 v5, v43
	s_andn2_saveexec_b64 s[28:29], s[28:29]
	s_cbranch_execz .LBB80_30
.LBB80_45:                              ;   in Loop: Header=BB80_11 Depth=1
	v_mov_b32_e32 v4, s11
	s_or_b64 s[6:7], s[6:7], exec
	s_waitcnt vmcnt(0)
	v_mov_b32_e32 v5, v43
	v_mov_b32_e32 v3, v0
	s_or_b64 exec, exec, s[28:29]
	s_and_saveexec_b64 s[28:29], s[6:7]
	s_cbranch_execz .LBB80_49
.LBB80_46:                              ;   in Loop: Header=BB80_11 Depth=1
	v_mul_lo_u32 v2, s38, v1
	s_sub_i32 s11, 0, s10
	s_mov_b64 s[6:7], 0
.LBB80_47:                              ;   Parent Loop BB80_11 Depth=1
                                        ; =>  This Inner Loop Header: Depth=2
	global_load_ubyte v43, v2, s[40:41]
	v_mov_b32_e32 v6, v1
	v_add_u32_e32 v1, s10, v6
	v_cmp_le_u32_e32 vcc, s36, v1
	ds_write_b8 v3, v5
	v_add_u32_e32 v2, v2, v4
	v_mov_b32_e32 v3, v6
	s_or_b64 s[6:7], vcc, s[6:7]
	s_waitcnt vmcnt(0)
	v_mov_b32_e32 v5, v43
	s_andn2_b64 exec, exec, s[6:7]
	s_cbranch_execnz .LBB80_47
; %bb.48:                               ;   in Loop: Header=BB80_11 Depth=1
	s_or_b64 exec, exec, s[6:7]
	v_add_u32_e32 v2, s11, v1
.LBB80_49:                              ;   in Loop: Header=BB80_11 Depth=1
	s_or_b64 exec, exec, s[28:29]
.LBB80_50:                              ;   in Loop: Header=BB80_11 Depth=1
	s_or_b64 exec, exec, s[26:27]
	s_waitcnt vmcnt(0)
	ds_write_b8 v2, v43
.LBB80_51:                              ;   in Loop: Header=BB80_11 Depth=1
	s_or_b64 exec, exec, s[22:23]
	s_waitcnt lgkmcnt(0)
	s_barrier
	s_and_saveexec_b64 s[6:7], s[0:1]
; %bb.52:                               ;   in Loop: Header=BB80_11 Depth=1
	v_mov_b32_e32 v1, s36
	ds_write_b32 v20, v1 offset:4104
; %bb.53:                               ;   in Loop: Header=BB80_11 Depth=1
	s_or_b64 exec, exec, s[6:7]
	s_mov_b64 s[6:7], -1
	s_waitcnt lgkmcnt(0)
	s_barrier
.LBB80_54:                              ;   in Loop: Header=BB80_11 Depth=1
	s_mov_b32 s34, 0
	s_and_b64 vcc, exec, s[6:7]
	s_cbranch_vccz .LBB80_56
; %bb.55:                               ;   in Loop: Header=BB80_11 Depth=1
	ds_read_b32 v1, v20 offset:4104
	s_waitcnt lgkmcnt(0)
	v_readfirstlane_b32 s34, v1
.LBB80_56:                              ;   in Loop: Header=BB80_11 Depth=1
	s_cmp_lt_i32 s34, 1
	s_mov_b64 s[6:7], -1
                                        ; implicit-def: $vgpr4
	s_cbranch_scc1 .LBB80_66
; %bb.57:                               ;   in Loop: Header=BB80_11 Depth=1
	s_and_b64 vcc, exec, s[6:7]
	s_cbranch_vccnz .LBB80_77
.LBB80_58:                              ;   in Loop: Header=BB80_11 Depth=1
	s_lshl_b32 s10, s50, 6
	s_and_saveexec_b64 s[6:7], s[4:5]
.LBB80_59:                              ;   in Loop: Header=BB80_11 Depth=1
	v_lshl_add_u32 v5, s10, 2, v24
	ds_write_b128 v5, v[1:4]
.LBB80_60:                              ;   in Loop: Header=BB80_11 Depth=1
	s_or_b64 exec, exec, s[6:7]
	s_waitcnt lgkmcnt(0)
	s_barrier
	s_and_saveexec_b64 s[6:7], s[44:45]
	s_cbranch_execz .LBB80_91
; %bb.61:                               ;   in Loop: Header=BB80_11 Depth=1
	s_andn2_b64 vcc, exec, s[48:49]
	v_mov_b32_e32 v1, 0
	s_cbranch_vccnz .LBB80_90
; %bb.62:                               ;   in Loop: Header=BB80_11 Depth=1
	v_readlane_b32 s20, v52, 21
	v_readlane_b32 s21, v52, 22
	s_andn2_b64 vcc, exec, s[20:21]
	s_cbranch_vccnz .LBB80_86
; %bb.63:                               ;   in Loop: Header=BB80_11 Depth=1
	v_lshl_add_u32 v2, s50, 8, v36
	s_mov_b32 s11, 0
	v_mov_b32_e32 v1, 0
.LBB80_64:                              ;   Parent Loop BB80_11 Depth=1
                                        ; =>  This Inner Loop Header: Depth=2
	ds_read2_b32 v[3:4], v2 offset1:4
	ds_read2_b32 v[5:6], v2 offset0:8 offset1:12
	ds_read2_b32 v[7:8], v2 offset0:16 offset1:20
	ds_read2_b32 v[9:10], v2 offset0:24 offset1:28
	s_add_i32 s11, s11, 8
	s_waitcnt lgkmcnt(3)
	v_add3_u32 v1, v3, v1, v4
	s_waitcnt lgkmcnt(2)
	v_add3_u32 v1, v5, v1, v6
	s_waitcnt lgkmcnt(1)
	v_add3_u32 v1, v7, v1, v8
	v_add_u32_e32 v2, 0x80, v2
	s_cmp_eq_u32 s9, s11
	s_waitcnt lgkmcnt(0)
	v_add3_u32 v1, v9, v1, v10
	s_cbranch_scc0 .LBB80_64
; %bb.65:                               ;   in Loop: Header=BB80_11 Depth=1
	s_mov_b32 s11, s9
	s_branch .LBB80_87
.LBB80_66:                              ;   in Loop: Header=BB80_11 Depth=1
	v_mov_b32_e32 v1, 0
	v_mov_b32_e32 v2, 0
	v_mov_b32_e32 v3, 0
	v_mov_b32_e32 v4, 0
	s_and_saveexec_b64 s[30:31], s[16:17]
	s_cbranch_execz .LBB80_70
; %bb.67:                               ;   in Loop: Header=BB80_11 Depth=1
	s_mov_b32 s10, 0
	s_mov_b64 s[70:71], 0
	s_mov_b32 s11, 0
	s_mov_b32 s20, 0
	;; [unrolled: 1-line block ×4, first 2 shown]
	v_mov_b32_e32 v5, v18
.LBB80_68:                              ;   Parent Loop BB80_11 Depth=1
                                        ; =>  This Inner Loop Header: Depth=2
	v_add_u32_e32 v1, s10, v34
	global_load_sbyte v1, v1, s[40:41]
	v_add_u32_e32 v2, s10, v30
	global_load_sbyte v2, v2, s[40:41]
	;; [unrolled: 2-line block ×4, first 2 shown]
	v_add_u32_e32 v5, s37, v5
	s_add_i32 s10, s10, s53
	s_waitcnt vmcnt(3)
	v_add_u32_e32 v1, 0x80, v1
	v_and_b32_e32 v6, v1, v39
	s_waitcnt vmcnt(2)
	v_add_u32_e32 v2, 0x80, v2
	v_bfe_u32 v1, v1, v37, 2
	s_waitcnt vmcnt(1)
	v_add_u32_e32 v3, 0x80, v3
	v_cmp_eq_u32_e32 vcc, v6, v33
	v_and_b32_e32 v6, v2, v39
	v_bfe_u32 v2, v2, v37, 2
	v_cmp_eq_u32_e64 s[28:29], 0, v1
	s_waitcnt vmcnt(0)
	v_add_u32_e32 v4, 0x80, v4
	v_cmp_eq_u32_e64 s[6:7], v6, v33
	v_and_b32_e32 v6, v3, v39
	v_bfe_u32 v3, v3, v37, 2
	s_and_b64 s[42:43], vcc, s[28:29]
	v_cmp_eq_u32_e64 s[28:29], 0, v2
	v_cmp_eq_u32_e64 s[22:23], v6, v33
	v_and_b32_e32 v6, v4, v39
	v_bfe_u32 v4, v4, v37, 2
	s_and_b64 s[46:47], s[6:7], s[28:29]
	v_cmp_eq_u32_e64 s[28:29], 0, v3
	v_cmp_eq_u32_e64 s[26:27], v6, v33
	s_and_b64 s[72:73], s[22:23], s[28:29]
	v_cmp_eq_u32_e64 s[28:29], 0, v4
	v_cndmask_b32_e64 v6, 0, 1, s[42:43]
	s_and_b64 s[74:75], s[26:27], s[28:29]
	v_cmp_ne_u32_e64 s[28:29], 0, v6
	v_cndmask_b32_e64 v6, 0, 1, s[46:47]
	s_bcnt1_i32_b64 s42, s[28:29]
	v_cmp_ne_u32_e64 s[28:29], 0, v6
	v_cndmask_b32_e64 v6, 0, 1, s[72:73]
	s_bcnt1_i32_b64 s43, s[28:29]
	;; [unrolled: 3-line block ×3, first 2 shown]
	v_cmp_ne_u32_e64 s[28:29], 0, v6
	s_bcnt1_i32_b64 s28, s[28:29]
	s_add_i32 s29, s35, s42
	s_add_i32 s29, s29, s43
	s_add_i32 s29, s29, s46
	s_add_i32 s35, s29, s28
	v_cmp_eq_u32_e64 s[28:29], 1, v1
	s_and_b64 s[42:43], vcc, s[28:29]
	v_cmp_eq_u32_e64 s[28:29], 1, v2
	s_and_b64 s[46:47], s[6:7], s[28:29]
	v_cmp_eq_u32_e64 s[28:29], 1, v3
	s_and_b64 s[72:73], s[22:23], s[28:29]
	v_cmp_eq_u32_e64 s[28:29], 1, v4
	v_cndmask_b32_e64 v6, 0, 1, s[42:43]
	s_and_b64 s[74:75], s[26:27], s[28:29]
	v_cmp_ne_u32_e64 s[28:29], 0, v6
	v_cndmask_b32_e64 v6, 0, 1, s[46:47]
	s_bcnt1_i32_b64 s42, s[28:29]
	v_cmp_ne_u32_e64 s[28:29], 0, v6
	v_cndmask_b32_e64 v6, 0, 1, s[72:73]
	s_bcnt1_i32_b64 s43, s[28:29]
	v_cmp_ne_u32_e64 s[28:29], 0, v6
	v_cndmask_b32_e64 v6, 0, 1, s[74:75]
	s_add_i32 s21, s21, s42
	s_bcnt1_i32_b64 s46, s[28:29]
	v_cmp_ne_u32_e64 s[28:29], 0, v6
	s_add_i32 s21, s21, s43
	s_bcnt1_i32_b64 s28, s[28:29]
	s_add_i32 s21, s21, s46
	s_add_i32 s21, s21, s28
	v_cmp_eq_u32_e64 s[28:29], 2, v1
	s_and_b64 s[42:43], vcc, s[28:29]
	v_cmp_eq_u32_e64 s[28:29], 2, v2
	s_and_b64 s[46:47], s[6:7], s[28:29]
	v_cmp_eq_u32_e64 s[28:29], 2, v3
	s_and_b64 s[72:73], s[22:23], s[28:29]
	v_cmp_eq_u32_e64 s[28:29], 2, v4
	v_cndmask_b32_e64 v6, 0, 1, s[42:43]
	s_and_b64 s[74:75], s[26:27], s[28:29]
	v_cmp_ne_u32_e64 s[28:29], 0, v6
	v_cndmask_b32_e64 v6, 0, 1, s[46:47]
	s_bcnt1_i32_b64 s42, s[28:29]
	v_cmp_ne_u32_e64 s[28:29], 0, v6
	v_cndmask_b32_e64 v6, 0, 1, s[72:73]
	s_bcnt1_i32_b64 s43, s[28:29]
	v_cmp_ne_u32_e64 s[28:29], 0, v6
	v_cndmask_b32_e64 v6, 0, 1, s[74:75]
	s_add_i32 s20, s20, s42
	s_bcnt1_i32_b64 s46, s[28:29]
	v_cmp_ne_u32_e64 s[28:29], 0, v6
	s_add_i32 s20, s20, s43
	s_bcnt1_i32_b64 s28, s[28:29]
	s_add_i32 s20, s20, s46
	s_add_i32 s20, s20, s28
	v_cmp_eq_u32_e64 s[28:29], 3, v1
	s_and_b64 s[28:29], vcc, s[28:29]
	v_cmp_eq_u32_e32 vcc, 3, v2
	s_and_b64 s[6:7], s[6:7], vcc
	v_cmp_eq_u32_e32 vcc, 3, v3
	s_and_b64 s[22:23], s[22:23], vcc
	v_cmp_eq_u32_e32 vcc, 3, v4
	v_cndmask_b32_e64 v1, 0, 1, s[28:29]
	s_and_b64 s[26:27], s[26:27], vcc
	v_cmp_ne_u32_e32 vcc, 0, v1
	v_cndmask_b32_e64 v1, 0, 1, s[6:7]
	s_bcnt1_i32_b64 s28, vcc
	v_cmp_ne_u32_e32 vcc, 0, v1
	v_cndmask_b32_e64 v1, 0, 1, s[22:23]
	s_bcnt1_i32_b64 s6, vcc
	v_cmp_ne_u32_e32 vcc, 0, v1
	v_cndmask_b32_e64 v1, 0, 1, s[26:27]
	s_add_i32 s11, s11, s28
	s_bcnt1_i32_b64 s7, vcc
	v_cmp_ne_u32_e32 vcc, 0, v1
	s_add_i32 s6, s11, s6
	s_bcnt1_i32_b64 s22, vcc
	s_add_i32 s6, s6, s7
	s_add_i32 s11, s6, s22
	v_cmp_le_u32_e32 vcc, s3, v5
	s_or_b64 s[70:71], vcc, s[70:71]
	v_mov_b32_e32 v1, s35
	v_mov_b32_e32 v2, s21
	;; [unrolled: 1-line block ×4, first 2 shown]
	s_andn2_b64 exec, exec, s[70:71]
	s_cbranch_execnz .LBB80_68
; %bb.69:                               ;   in Loop: Header=BB80_11 Depth=1
	s_or_b64 exec, exec, s[70:71]
.LBB80_70:                              ;   in Loop: Header=BB80_11 Depth=1
	s_or_b64 exec, exec, s[30:31]
	s_and_saveexec_b64 s[22:23], s[18:19]
	s_cbranch_execz .LBB80_76
; %bb.71:                               ;   in Loop: Header=BB80_11 Depth=1
	global_load_ubyte v8, v[15:16], off
	s_mov_b64 s[26:27], 0
	v_mov_b32_e32 v5, v35
	v_mov_b32_e32 v6, v28
	s_branch .LBB80_73
.LBB80_72:                              ;   in Loop: Header=BB80_73 Depth=2
	s_or_b64 exec, exec, s[10:11]
	s_waitcnt vmcnt(0)
	v_add_u32_sdwa v8, sext(v8), s54 dst_sel:DWORD dst_unused:UNUSED_PAD src0_sel:BYTE_0 src1_sel:DWORD
	s_and_b64 s[6:7], exec, vcc
	v_and_b32_e32 v9, v8, v39
	v_bfe_u32 v8, v8, v37, 2
	s_or_b64 s[26:27], s[6:7], s[26:27]
	v_cmp_eq_u32_e32 vcc, v9, v33
	v_cmp_eq_u32_e64 s[6:7], 0, v8
	s_and_b64 s[6:7], vcc, s[6:7]
	v_cndmask_b32_e64 v9, 0, 1, s[6:7]
	v_cmp_ne_u32_e64 s[6:7], 0, v9
	s_bcnt1_i32_b64 s6, s[6:7]
	v_add_u32_e32 v1, s6, v1
	v_cmp_eq_u32_e64 s[6:7], 1, v8
	s_and_b64 s[6:7], vcc, s[6:7]
	v_cndmask_b32_e64 v9, 0, 1, s[6:7]
	v_cmp_ne_u32_e64 s[6:7], 0, v9
	s_bcnt1_i32_b64 s6, s[6:7]
	v_add_u32_e32 v2, s6, v2
	;; [unrolled: 6-line block ×3, first 2 shown]
	v_cmp_eq_u32_e64 s[6:7], 3, v8
	s_and_b64 s[6:7], vcc, s[6:7]
	v_cndmask_b32_e64 v8, 0, 1, s[6:7]
	v_cmp_ne_u32_e32 vcc, 0, v8
	s_bcnt1_i32_b64 s6, vcc
	v_add_u32_e32 v4, s6, v4
	v_add_u32_e32 v5, s33, v5
	v_mov_b32_e32 v8, v7
	s_andn2_b64 exec, exec, s[26:27]
	s_cbranch_execz .LBB80_75
.LBB80_73:                              ;   Parent Loop BB80_11 Depth=1
                                        ; =>  This Inner Loop Header: Depth=2
	v_add_u32_e32 v6, s39, v6
	v_cmp_gt_u32_e64 s[6:7], s36, v6
	v_cmp_le_u32_e32 vcc, s36, v6
	v_mov_b32_e32 v7, 0
	s_and_saveexec_b64 s[10:11], s[6:7]
	s_cbranch_execz .LBB80_72
; %bb.74:                               ;   in Loop: Header=BB80_73 Depth=2
	global_load_ubyte v7, v5, s[40:41]
	s_branch .LBB80_72
.LBB80_75:                              ;   in Loop: Header=BB80_11 Depth=1
	s_or_b64 exec, exec, s[26:27]
.LBB80_76:                              ;   in Loop: Header=BB80_11 Depth=1
	s_or_b64 exec, exec, s[22:23]
	s_branch .LBB80_58
.LBB80_77:                              ;   in Loop: Header=BB80_11 Depth=1
	s_mul_hi_u32 s6, s34, s2
	s_mul_i32 s6, s6, s37
	s_sub_i32 s6, s34, s6
	s_sub_i32 s7, s6, s37
	s_cmp_ge_u32 s6, s37
	s_cselect_b32 s6, s7, s6
	s_sub_i32 s7, s6, s37
	s_cmp_ge_u32 s6, s37
	s_cselect_b32 s6, s7, s6
	s_sub_i32 s10, s34, s6
	v_cmp_gt_u32_e32 vcc, s10, v18
	v_mov_b32_e32 v1, 0
	v_mov_b32_e32 v2, 0
	;; [unrolled: 1-line block ×4, first 2 shown]
	s_and_saveexec_b64 s[30:31], vcc
	s_cbranch_execz .LBB80_81
; %bb.78:                               ;   in Loop: Header=BB80_11 Depth=1
	s_mov_b32 s11, 0
	s_mov_b64 s[70:71], 0
	s_mov_b32 s20, 0
	s_mov_b32 s21, 0
	;; [unrolled: 1-line block ×3, first 2 shown]
	v_mov_b32_e32 v5, v18
.LBB80_79:                              ;   Parent Loop BB80_11 Depth=1
                                        ; =>  This Inner Loop Header: Depth=2
	ds_read_b32 v1, v5
	v_add_u32_e32 v5, s37, v5
	s_waitcnt lgkmcnt(0)
	v_add_u32_sdwa v2, sext(v1), s54 dst_sel:DWORD dst_unused:UNUSED_PAD src0_sel:BYTE_0 src1_sel:DWORD
	v_add_u32_sdwa v3, sext(v1), s54 dst_sel:DWORD dst_unused:UNUSED_PAD src0_sel:BYTE_1 src1_sel:DWORD
	v_and_b32_e32 v6, v2, v39
	v_bfe_u32 v2, v2, v37, 2
	v_add_u32_sdwa v4, sext(v1), s54 dst_sel:DWORD dst_unused:UNUSED_PAD src0_sel:BYTE_2 src1_sel:DWORD
	v_cmp_eq_u32_e32 vcc, v6, v33
	v_and_b32_e32 v6, v3, v39
	v_bfe_u32 v3, v3, v37, 2
	v_cmp_eq_u32_e64 s[28:29], 0, v2
	v_add_u32_sdwa v1, sext(v1), s54 dst_sel:DWORD dst_unused:UNUSED_PAD src0_sel:BYTE_3 src1_sel:DWORD
	v_cmp_eq_u32_e64 s[6:7], v6, v33
	v_and_b32_e32 v6, v4, v39
	v_bfe_u32 v4, v4, v37, 2
	s_and_b64 s[42:43], vcc, s[28:29]
	v_cmp_eq_u32_e64 s[28:29], 0, v3
	v_cmp_eq_u32_e64 s[22:23], v6, v33
	v_and_b32_e32 v6, v1, v39
	v_bfe_u32 v1, v1, v37, 2
	s_and_b64 s[46:47], s[6:7], s[28:29]
	v_cmp_eq_u32_e64 s[28:29], 0, v4
	v_cmp_eq_u32_e64 s[26:27], v6, v33
	s_and_b64 s[72:73], s[22:23], s[28:29]
	v_cmp_eq_u32_e64 s[28:29], 0, v1
	v_cndmask_b32_e64 v6, 0, 1, s[42:43]
	s_and_b64 s[74:75], s[26:27], s[28:29]
	v_cmp_ne_u32_e64 s[28:29], 0, v6
	v_cndmask_b32_e64 v6, 0, 1, s[46:47]
	s_bcnt1_i32_b64 s42, s[28:29]
	v_cmp_ne_u32_e64 s[28:29], 0, v6
	v_cndmask_b32_e64 v6, 0, 1, s[72:73]
	s_bcnt1_i32_b64 s43, s[28:29]
	;; [unrolled: 3-line block ×3, first 2 shown]
	v_cmp_ne_u32_e64 s[28:29], 0, v6
	s_bcnt1_i32_b64 s28, s[28:29]
	s_add_i32 s29, s35, s42
	s_add_i32 s29, s29, s43
	;; [unrolled: 1-line block ×4, first 2 shown]
	v_cmp_eq_u32_e64 s[28:29], 1, v2
	s_and_b64 s[42:43], vcc, s[28:29]
	v_cmp_eq_u32_e64 s[28:29], 1, v3
	s_and_b64 s[46:47], s[6:7], s[28:29]
	v_cmp_eq_u32_e64 s[28:29], 1, v4
	s_and_b64 s[72:73], s[22:23], s[28:29]
	v_cmp_eq_u32_e64 s[28:29], 1, v1
	v_cndmask_b32_e64 v6, 0, 1, s[42:43]
	s_and_b64 s[74:75], s[26:27], s[28:29]
	v_cmp_ne_u32_e64 s[28:29], 0, v6
	v_cndmask_b32_e64 v6, 0, 1, s[46:47]
	s_bcnt1_i32_b64 s42, s[28:29]
	v_cmp_ne_u32_e64 s[28:29], 0, v6
	v_cndmask_b32_e64 v6, 0, 1, s[72:73]
	s_bcnt1_i32_b64 s43, s[28:29]
	v_cmp_ne_u32_e64 s[28:29], 0, v6
	v_cndmask_b32_e64 v6, 0, 1, s[74:75]
	s_add_i32 s21, s21, s42
	s_bcnt1_i32_b64 s46, s[28:29]
	v_cmp_ne_u32_e64 s[28:29], 0, v6
	s_add_i32 s21, s21, s43
	s_bcnt1_i32_b64 s28, s[28:29]
	s_add_i32 s21, s21, s46
	s_add_i32 s21, s21, s28
	v_cmp_eq_u32_e64 s[28:29], 2, v2
	s_and_b64 s[42:43], vcc, s[28:29]
	v_cmp_eq_u32_e64 s[28:29], 2, v3
	s_and_b64 s[46:47], s[6:7], s[28:29]
	v_cmp_eq_u32_e64 s[28:29], 2, v4
	s_and_b64 s[72:73], s[22:23], s[28:29]
	v_cmp_eq_u32_e64 s[28:29], 2, v1
	v_cndmask_b32_e64 v6, 0, 1, s[42:43]
	s_and_b64 s[74:75], s[26:27], s[28:29]
	v_cmp_ne_u32_e64 s[28:29], 0, v6
	v_cndmask_b32_e64 v6, 0, 1, s[46:47]
	s_bcnt1_i32_b64 s42, s[28:29]
	v_cmp_ne_u32_e64 s[28:29], 0, v6
	v_cndmask_b32_e64 v6, 0, 1, s[72:73]
	s_bcnt1_i32_b64 s43, s[28:29]
	v_cmp_ne_u32_e64 s[28:29], 0, v6
	v_cndmask_b32_e64 v6, 0, 1, s[74:75]
	s_add_i32 s20, s20, s42
	s_bcnt1_i32_b64 s46, s[28:29]
	v_cmp_ne_u32_e64 s[28:29], 0, v6
	s_add_i32 s20, s20, s43
	s_bcnt1_i32_b64 s28, s[28:29]
	s_add_i32 s20, s20, s46
	s_add_i32 s20, s20, s28
	v_cmp_eq_u32_e64 s[28:29], 3, v2
	s_and_b64 s[28:29], vcc, s[28:29]
	v_cmp_eq_u32_e32 vcc, 3, v3
	s_and_b64 s[6:7], s[6:7], vcc
	v_cmp_eq_u32_e32 vcc, 3, v4
	s_and_b64 s[22:23], s[22:23], vcc
	v_cmp_eq_u32_e32 vcc, 3, v1
	v_cndmask_b32_e64 v1, 0, 1, s[28:29]
	s_and_b64 s[26:27], s[26:27], vcc
	v_cmp_ne_u32_e32 vcc, 0, v1
	v_cndmask_b32_e64 v1, 0, 1, s[6:7]
	s_bcnt1_i32_b64 s28, vcc
	v_cmp_ne_u32_e32 vcc, 0, v1
	v_cndmask_b32_e64 v1, 0, 1, s[22:23]
	s_bcnt1_i32_b64 s6, vcc
	v_cmp_ne_u32_e32 vcc, 0, v1
	v_cndmask_b32_e64 v1, 0, 1, s[26:27]
	s_add_i32 s11, s11, s28
	s_bcnt1_i32_b64 s7, vcc
	v_cmp_ne_u32_e32 vcc, 0, v1
	s_add_i32 s6, s11, s6
	s_bcnt1_i32_b64 s22, vcc
	s_add_i32 s6, s6, s7
	s_add_i32 s11, s6, s22
	v_cmp_le_u32_e32 vcc, s10, v5
	s_or_b64 s[70:71], vcc, s[70:71]
	v_mov_b32_e32 v1, s35
	v_mov_b32_e32 v2, s21
	;; [unrolled: 1-line block ×4, first 2 shown]
	s_andn2_b64 exec, exec, s[70:71]
	s_cbranch_execnz .LBB80_79
; %bb.80:                               ;   in Loop: Header=BB80_11 Depth=1
	s_or_b64 exec, exec, s[70:71]
.LBB80_81:                              ;   in Loop: Header=BB80_11 Depth=1
	s_or_b64 exec, exec, s[30:31]
	v_add_u32_e32 v5, s10, v0
	v_cmp_gt_u32_e32 vcc, s34, v5
	s_and_saveexec_b64 s[70:71], vcc
	s_cbranch_execz .LBB80_85
; %bb.82:                               ;   in Loop: Header=BB80_11 Depth=1
	s_mov_b64 s[72:73], 0
.LBB80_83:                              ;   Parent Loop BB80_11 Depth=1
                                        ; =>  This Inner Loop Header: Depth=2
	ds_read_i8 v6, v5
	v_add_u32_e32 v5, s39, v5
	v_cmp_le_u32_e32 vcc, s34, v5
	s_waitcnt lgkmcnt(0)
	v_add_u32_e32 v6, 0x80, v6
	v_and_b32_e32 v7, v6, v39
	v_bfe_u32 v6, v6, v37, 2
	v_cmp_eq_u32_e64 s[6:7], v7, v33
	v_cmp_eq_u32_e64 s[22:23], 0, v6
	;; [unrolled: 1-line block ×3, first 2 shown]
	s_and_b64 s[10:11], s[6:7], s[22:23]
	v_cmp_eq_u32_e64 s[28:29], 2, v6
	v_cmp_eq_u32_e64 s[30:31], 3, v6
	v_cndmask_b32_e64 v6, 0, 1, s[10:11]
	s_and_b64 s[10:11], s[6:7], s[26:27]
	v_cndmask_b32_e64 v7, 0, 1, s[10:11]
	s_and_b64 s[10:11], s[6:7], s[28:29]
	s_and_b64 s[6:7], s[6:7], s[30:31]
	v_cndmask_b32_e64 v8, 0, 1, s[10:11]
	v_cndmask_b32_e64 v9, 0, 1, s[6:7]
	v_cmp_ne_u32_e64 s[6:7], 0, v6
	v_cmp_ne_u32_e64 s[22:23], 0, v7
	;; [unrolled: 1-line block ×4, first 2 shown]
	s_bcnt1_i32_b64 s6, s[6:7]
	s_bcnt1_i32_b64 s7, s[22:23]
	;; [unrolled: 1-line block ×4, first 2 shown]
	v_add_u32_e32 v1, s6, v1
	v_add_u32_e32 v2, s7, v2
	;; [unrolled: 1-line block ×3, first 2 shown]
	s_or_b64 s[72:73], vcc, s[72:73]
	v_add_u32_e32 v4, s11, v4
	s_andn2_b64 exec, exec, s[72:73]
	s_cbranch_execnz .LBB80_83
; %bb.84:                               ;   in Loop: Header=BB80_11 Depth=1
	s_or_b64 exec, exec, s[72:73]
.LBB80_85:                              ;   in Loop: Header=BB80_11 Depth=1
	s_or_b64 exec, exec, s[70:71]
	s_lshl_b32 s10, s50, 6
	s_and_saveexec_b64 s[6:7], s[4:5]
	s_cbranch_execnz .LBB80_59
	s_branch .LBB80_60
.LBB80_86:                              ;   in Loop: Header=BB80_11 Depth=1
	v_mov_b32_e32 v1, 0
	s_mov_b32 s11, 0
.LBB80_87:                              ;   in Loop: Header=BB80_11 Depth=1
	v_readlane_b32 s20, v52, 24
	v_readlane_b32 s21, v52, 25
	s_andn2_b64 vcc, exec, s[20:21]
	s_cbranch_vccnz .LBB80_90
; %bb.88:                               ;   in Loop: Header=BB80_11 Depth=1
	s_lshl_b32 s20, s50, 8
	s_lshl_b32 s11, s11, 4
	s_add_i32 s20, s20, s11
	v_add_u32_e32 v2, s20, v36
	v_readlane_b32 s11, v52, 23
.LBB80_89:                              ;   Parent Loop BB80_11 Depth=1
                                        ; =>  This Inner Loop Header: Depth=2
	ds_read_b32 v3, v2
	s_add_i32 s11, s11, -1
	v_add_u32_e32 v2, 16, v2
	s_cmp_lg_u32 s11, 0
	s_waitcnt lgkmcnt(0)
	v_add_u32_e32 v1, v3, v1
	s_cbranch_scc1 .LBB80_89
.LBB80_90:                              ;   in Loop: Header=BB80_11 Depth=1
	v_add_lshl_u32 v2, s10, v19, 2
	ds_write_b32 v2, v1 offset:3072
.LBB80_91:                              ;   in Loop: Header=BB80_11 Depth=1
	s_or_b64 exec, exec, s[6:7]
	s_lshl_b32 s6, s10, 2
	v_mov_b32_e32 v1, s6
	s_waitcnt lgkmcnt(0)
	s_barrier
	ds_read_b128 v[1:4], v1 offset:3072
	v_cmp_eq_u32_e32 vcc, 1, v41
	s_mov_b64 s[22:23], -1
	s_mov_b64 s[34:35], -1
                                        ; implicit-def: $sgpr30_sgpr31
                                        ; implicit-def: $sgpr28_sgpr29
	s_waitcnt lgkmcnt(0)
	v_readfirstlane_b32 s78, v1
	s_cmp_eq_u32 s78, 1
	v_lshlrev_b32_e64 v1, v37, 3
	s_cselect_b64 s[6:7], -1, 0
	v_readfirstlane_b32 s82, v2
	v_readfirstlane_b32 s21, v3
	;; [unrolled: 1-line block ×3, first 2 shown]
	v_not_b32_e32 v3, v1
	s_and_b64 s[26:27], s[6:7], vcc
	s_and_saveexec_b64 s[6:7], s[26:27]
	s_cbranch_execz .LBB80_117
; %bb.92:                               ;   in Loop: Header=BB80_11 Depth=1
	ds_read_b32 v2, v20 offset:4104
	s_waitcnt lgkmcnt(0)
	s_barrier
	v_readfirstlane_b32 s79, v2
	s_and_saveexec_b64 s[10:11], s[24:25]
; %bb.93:                               ;   in Loop: Header=BB80_11 Depth=1
	ds_write_b8 v0, v20 offset:3072
; %bb.94:                               ;   in Loop: Header=BB80_11 Depth=1
	s_or_b64 exec, exec, s[10:11]
	v_and_b32_e32 v33, v33, v3
	v_or_b32_e32 v39, v39, v1
	s_mov_b64 s[28:29], -1
	s_mov_b64 s[30:31], 0
	s_cmp_eq_u32 s79, 0
	s_mov_b64 s[70:71], 0
	s_mov_b64 s[72:73], -1
	s_waitcnt lgkmcnt(0)
	s_barrier
                                        ; implicit-def: $vgpr40
	s_cbranch_scc1 .LBB80_105
; %bb.95:                               ;   in Loop: Header=BB80_11 Depth=1
	s_add_i32 s10, s79, s13
	s_mul_hi_u32 s11, s10, s51
	s_mul_i32 s11, s11, s39
	s_sub_i32 s11, s10, s11
	s_sub_i32 s34, s11, s39
	s_cmp_ge_u32 s11, s39
	s_cselect_b32 s11, s34, s11
	s_sub_i32 s34, s11, s39
	s_cmp_ge_u32 s11, s39
	s_cselect_b32 s11, s34, s11
	s_sub_i32 s10, s10, s11
	v_cmp_gt_u32_e32 vcc, s10, v0
	s_mov_b64 s[72:73], 0
                                        ; implicit-def: $vgpr40
	s_and_saveexec_b64 s[74:75], vcc
	s_cbranch_execz .LBB80_104
; %bb.96:                               ;   in Loop: Header=BB80_11 Depth=1
	v_mov_b32_e32 v2, v0
                                        ; implicit-def: $sgpr34_sgpr35
	s_branch .LBB80_99
.LBB80_97:                              ;   in Loop: Header=BB80_99 Depth=2
	s_or_b64 exec, exec, s[42:43]
	s_waitcnt lgkmcnt(0)
	s_barrier
	ds_read_u16 v4, v20 offset:3072
	s_mov_b64 s[42:43], -1
	s_mov_b64 s[76:77], -1
	s_waitcnt lgkmcnt(0)
	s_barrier
	v_cmp_ne_u32_sdwa s[46:47], v4, v20 src0_sel:BYTE_0 src1_sel:DWORD
	s_and_b64 vcc, exec, s[46:47]
	s_cbranch_vccz .LBB80_102
.LBB80_98:                              ;   in Loop: Header=BB80_99 Depth=2
	s_and_b64 s[42:43], exec, s[42:43]
	s_or_b64 s[70:71], s[42:43], s[70:71]
	s_andn2_b64 s[34:35], s[34:35], exec
	s_and_b64 s[42:43], s[76:77], exec
	s_or_b64 s[34:35], s[34:35], s[42:43]
	s_andn2_b64 exec, exec, s[70:71]
	s_cbranch_execz .LBB80_103
.LBB80_99:                              ;   Parent Loop BB80_11 Depth=1
                                        ; =>  This Inner Loop Header: Depth=2
	v_cmp_gt_u32_e32 vcc, s79, v2
	s_and_saveexec_b64 s[42:43], vcc
	s_cbranch_execz .LBB80_97
; %bb.100:                              ;   in Loop: Header=BB80_99 Depth=2
	ds_read_u8 v4, v2
	s_waitcnt lgkmcnt(0)
	v_add_u32_sdwa v5, sext(v4), s54 dst_sel:DWORD dst_unused:UNUSED_PAD src0_sel:BYTE_0 src1_sel:DWORD
	v_and_b32_e32 v5, v5, v39
	v_cmp_eq_u32_e32 vcc, v5, v33
	s_and_b64 exec, exec, vcc
	s_cbranch_execz .LBB80_97
; %bb.101:                              ;   in Loop: Header=BB80_99 Depth=2
	v_lshlrev_b16_e32 v4, 8, v4
	v_or_b32_e32 v4, 1, v4
	ds_write_b16 v20, v4 offset:3072
	s_branch .LBB80_97
.LBB80_102:                             ;   in Loop: Header=BB80_99 Depth=2
	v_add_u32_e32 v2, s39, v2
	v_cmp_le_u32_e32 vcc, s10, v2
	s_mov_b64 s[76:77], 0
	s_orn2_b64 s[42:43], vcc, exec
	s_branch .LBB80_98
.LBB80_103:                             ;   in Loop: Header=BB80_11 Depth=1
	s_or_b64 exec, exec, s[70:71]
	v_lshrrev_b32_sdwa v40, v38, v4 dst_sel:DWORD dst_unused:UNUSED_PAD src0_sel:DWORD src1_sel:WORD_0
	s_and_b64 s[70:71], s[34:35], exec
.LBB80_104:                             ;   in Loop: Header=BB80_11 Depth=1
	s_or_b64 exec, exec, s[74:75]
.LBB80_105:                             ;   in Loop: Header=BB80_11 Depth=1
	s_and_b64 vcc, exec, s[72:73]
	s_cbranch_vccz .LBB80_116
; %bb.106:                              ;   in Loop: Header=BB80_11 Depth=1
                                        ; implicit-def: $vgpr40
	s_mov_b64 s[28:29], exec
	v_readlane_b32 s10, v52, 26
	v_readlane_b32 s11, v52, 27
	s_and_b64 s[10:11], s[28:29], s[10:11]
	s_mov_b64 exec, s[10:11]
	s_cbranch_execz .LBB80_115
; %bb.107:                              ;   in Loop: Header=BB80_11 Depth=1
	s_mov_b64 s[30:31], 0
	v_mov_b32_e32 v2, v17
	v_mov_b32_e32 v4, v0
                                        ; implicit-def: $sgpr72_sgpr73
	s_branch .LBB80_110
.LBB80_108:                             ;   in Loop: Header=BB80_110 Depth=2
	s_or_b64 exec, exec, s[34:35]
	s_waitcnt lgkmcnt(0)
	s_barrier
	ds_read_u16 v5, v20 offset:3072
	s_mov_b64 s[34:35], -1
	s_mov_b64 s[42:43], -1
	s_waitcnt lgkmcnt(0)
	s_barrier
	v_cmp_ne_u32_sdwa s[10:11], v5, v20 src0_sel:BYTE_0 src1_sel:DWORD
	s_and_b64 vcc, exec, s[10:11]
	s_cbranch_vccz .LBB80_113
.LBB80_109:                             ;   in Loop: Header=BB80_110 Depth=2
	s_and_b64 s[10:11], exec, s[34:35]
	s_or_b64 s[30:31], s[10:11], s[30:31]
	s_andn2_b64 s[10:11], s[72:73], exec
	s_and_b64 s[34:35], s[42:43], exec
	s_or_b64 s[72:73], s[10:11], s[34:35]
	s_andn2_b64 exec, exec, s[30:31]
	s_cbranch_execz .LBB80_114
.LBB80_110:                             ;   Parent Loop BB80_11 Depth=1
                                        ; =>  This Inner Loop Header: Depth=2
	v_cmp_gt_u32_e32 vcc, s36, v4
	s_and_saveexec_b64 s[34:35], vcc
	s_cbranch_execz .LBB80_108
; %bb.111:                              ;   in Loop: Header=BB80_110 Depth=2
	global_load_ubyte v5, v2, s[40:41]
	s_waitcnt vmcnt(0)
	v_add_u32_sdwa v6, sext(v5), s54 dst_sel:DWORD dst_unused:UNUSED_PAD src0_sel:BYTE_0 src1_sel:DWORD
	v_and_b32_e32 v6, v6, v39
	v_cmp_eq_u32_e32 vcc, v6, v33
	s_and_b64 exec, exec, vcc
	s_cbranch_execz .LBB80_108
; %bb.112:                              ;   in Loop: Header=BB80_110 Depth=2
	v_lshlrev_b16_e32 v5, 8, v5
	v_or_b32_e32 v5, 1, v5
	ds_write_b16 v20, v5 offset:3072
	s_branch .LBB80_108
.LBB80_113:                             ;   in Loop: Header=BB80_110 Depth=2
	v_add_u32_e32 v4, s39, v4
	v_cmp_le_u32_e32 vcc, s52, v4
	v_add_u32_e32 v2, s33, v2
	s_mov_b64 s[42:43], 0
	s_orn2_b64 s[34:35], vcc, exec
	s_branch .LBB80_109
.LBB80_114:                             ;   in Loop: Header=BB80_11 Depth=1
	s_or_b64 exec, exec, s[30:31]
	s_andn2_b64 s[10:11], s[70:71], exec
	s_and_b64 s[30:31], s[72:73], exec
	v_lshrrev_b32_sdwa v40, v38, v5 dst_sel:DWORD dst_unused:UNUSED_PAD src0_sel:DWORD src1_sel:WORD_0
	s_or_b64 s[70:71], s[10:11], s[30:31]
.LBB80_115:                             ;   in Loop: Header=BB80_11 Depth=1
	s_or_b64 exec, exec, s[28:29]
	s_mov_b64 s[28:29], 0
	s_mov_b64 s[30:31], -1
.LBB80_116:                             ;   in Loop: Header=BB80_11 Depth=1
	s_orn2_b64 s[34:35], s[70:71], exec
.LBB80_117:                             ;   in Loop: Header=BB80_11 Depth=1
	s_or_b64 exec, exec, s[6:7]
	s_andn2_b64 s[6:7], s[68:69], exec
	s_and_b64 s[30:31], s[30:31], exec
	s_or_b64 s[68:69], s[6:7], s[30:31]
	s_andn2_b64 s[6:7], s[66:67], exec
	s_and_b64 s[28:29], s[28:29], exec
	v_readfirstlane_b32 s10, v0
	s_andn2_b64 s[64:65], s[64:65], exec
	s_or_b64 s[66:67], s[6:7], s[28:29]
                                        ; implicit-def: $vgpr4
	s_and_saveexec_b64 s[6:7], s[34:35]
	s_cbranch_execz .LBB80_10
; %bb.118:                              ;   in Loop: Header=BB80_11 Depth=1
	s_xor_b64 s[10:11], s[26:27], -1
	s_mov_b64 s[26:27], 0
	v_mov_b32_e32 v4, 1
	v_mov_b32_e32 v2, 1
	s_and_saveexec_b64 s[22:23], s[10:11]
	s_cbranch_execz .LBB80_127
; %bb.119:                              ;   in Loop: Header=BB80_11 Depth=1
	v_cmp_ge_u32_e32 vcc, s78, v41
	s_and_saveexec_b64 s[10:11], vcc
	s_xor_b64 s[26:27], exec, s[10:11]
	s_cbranch_execz .LBB80_124
; %bb.120:                              ;   in Loop: Header=BB80_11 Depth=1
	ds_read_b32 v2, v20 offset:4104
	v_and_b32_e32 v33, v33, v3
	v_or_b32_e32 v39, v39, v1
	s_waitcnt lgkmcnt(0)
	v_cmp_ne_u32_e32 vcc, 0, v2
	s_cbranch_vccnz .LBB80_124
; %bb.121:                              ;   in Loop: Header=BB80_11 Depth=1
	s_and_saveexec_b64 s[10:11], s[0:1]
; %bb.122:                              ;   in Loop: Header=BB80_11 Depth=1
	v_mov_b32_e32 v2, s78
	ds_write_b32 v20, v2 offset:4108
; %bb.123:                              ;   in Loop: Header=BB80_11 Depth=1
	s_or_b64 exec, exec, s[10:11]
	s_waitcnt lgkmcnt(0)
	s_barrier
.LBB80_124:                             ;   in Loop: Header=BB80_11 Depth=1
	s_or_saveexec_b64 s[26:27], s[26:27]
	s_mov_b64 s[28:29], 0
	v_mov_b32_e32 v2, 8
	s_xor_b64 exec, exec, s[26:27]
; %bb.125:                              ;   in Loop: Header=BB80_11 Depth=1
	s_mov_b64 s[28:29], exec
	v_subrev_u32_e32 v41, s78, v41
	v_mov_b32_e32 v2, 0
; %bb.126:                              ;   in Loop: Header=BB80_11 Depth=1
	s_or_b64 exec, exec, s[26:27]
	s_and_b64 s[26:27], s[28:29], exec
	v_mov_b32_e32 v4, v41
.LBB80_127:                             ;   in Loop: Header=BB80_11 Depth=1
	s_or_b64 exec, exec, s[22:23]
	s_mov_b64 s[22:23], -1
	s_mov_b64 s[34:35], -1
                                        ; implicit-def: $sgpr28_sgpr29
                                        ; implicit-def: $sgpr30_sgpr31
	s_and_saveexec_b64 s[10:11], s[26:27]
	s_xor_b64 s[26:27], exec, s[10:11]
	s_cbranch_execz .LBB80_244
; %bb.128:                              ;   in Loop: Header=BB80_11 Depth=1
	s_cmp_eq_u32 s82, 1
	s_cselect_b64 s[10:11], -1, 0
	v_cmp_eq_u32_e32 vcc, 1, v4
	s_and_b64 s[72:73], s[10:11], vcc
                                        ; implicit-def: $sgpr30_sgpr31
                                        ; implicit-def: $sgpr28_sgpr29
	s_and_saveexec_b64 s[70:71], s[72:73]
	s_cbranch_execz .LBB80_154
; %bb.129:                              ;   in Loop: Header=BB80_11 Depth=1
	ds_read_b32 v5, v20 offset:4104
	s_waitcnt lgkmcnt(0)
	s_barrier
	v_readfirstlane_b32 s83, v5
	s_and_saveexec_b64 s[10:11], s[24:25]
; %bb.130:                              ;   in Loop: Header=BB80_11 Depth=1
	ds_write_b8 v0, v20 offset:3072
; %bb.131:                              ;   in Loop: Header=BB80_11 Depth=1
	s_or_b64 exec, exec, s[10:11]
	v_and_b32_e32 v5, v33, v3
	v_lshl_or_b32 v33, 1, v37, v5
	v_or_b32_e32 v39, v39, v1
	s_mov_b64 s[28:29], -1
	s_mov_b64 s[30:31], 0
	s_cmp_eq_u32 s83, 0
	s_mov_b64 s[74:75], 0
	s_mov_b64 s[76:77], -1
	s_waitcnt lgkmcnt(0)
	s_barrier
                                        ; implicit-def: $vgpr40
	s_cbranch_scc1 .LBB80_142
; %bb.132:                              ;   in Loop: Header=BB80_11 Depth=1
	s_add_i32 s10, s83, s13
	s_mul_hi_u32 s11, s10, s51
	s_mul_i32 s11, s11, s39
	s_sub_i32 s11, s10, s11
	s_sub_i32 s34, s11, s39
	s_cmp_ge_u32 s11, s39
	s_cselect_b32 s11, s34, s11
	s_sub_i32 s34, s11, s39
	s_cmp_ge_u32 s11, s39
	s_cselect_b32 s11, s34, s11
	s_sub_i32 s10, s10, s11
	v_cmp_gt_u32_e32 vcc, s10, v0
	s_mov_b64 s[76:77], 0
                                        ; implicit-def: $vgpr40
	s_and_saveexec_b64 s[78:79], vcc
	s_cbranch_execz .LBB80_141
; %bb.133:                              ;   in Loop: Header=BB80_11 Depth=1
	v_mov_b32_e32 v5, v0
                                        ; implicit-def: $sgpr80_sgpr81
	s_branch .LBB80_136
.LBB80_134:                             ;   in Loop: Header=BB80_136 Depth=2
	s_or_b64 exec, exec, s[34:35]
	s_waitcnt lgkmcnt(0)
	s_barrier
	ds_read_u16 v6, v20 offset:3072
	s_mov_b64 s[34:35], -1
	s_waitcnt lgkmcnt(0)
	s_barrier
	v_cmp_ne_u32_sdwa s[42:43], v6, v20 src0_sel:BYTE_0 src1_sel:DWORD
	s_and_b64 vcc, exec, s[42:43]
	s_mov_b64 s[42:43], -1
	s_cbranch_vccz .LBB80_139
.LBB80_135:                             ;   in Loop: Header=BB80_136 Depth=2
	s_and_b64 s[34:35], exec, s[34:35]
	s_or_b64 s[74:75], s[34:35], s[74:75]
	s_andn2_b64 s[34:35], s[80:81], exec
	s_and_b64 s[42:43], s[42:43], exec
	s_or_b64 s[80:81], s[34:35], s[42:43]
	s_andn2_b64 exec, exec, s[74:75]
	s_cbranch_execz .LBB80_140
.LBB80_136:                             ;   Parent Loop BB80_11 Depth=1
                                        ; =>  This Inner Loop Header: Depth=2
	v_cmp_gt_u32_e32 vcc, s83, v5
	s_and_saveexec_b64 s[34:35], vcc
	s_cbranch_execz .LBB80_134
; %bb.137:                              ;   in Loop: Header=BB80_136 Depth=2
	ds_read_u8 v6, v5
	s_waitcnt lgkmcnt(0)
	v_add_u32_sdwa v7, sext(v6), s54 dst_sel:DWORD dst_unused:UNUSED_PAD src0_sel:BYTE_0 src1_sel:DWORD
	v_and_b32_e32 v7, v7, v39
	v_cmp_eq_u32_e32 vcc, v7, v33
	s_and_b64 exec, exec, vcc
	s_cbranch_execz .LBB80_134
; %bb.138:                              ;   in Loop: Header=BB80_136 Depth=2
	v_lshlrev_b16_e32 v6, 8, v6
	v_or_b32_e32 v6, 1, v6
	ds_write_b16 v20, v6 offset:3072
	s_branch .LBB80_134
.LBB80_139:                             ;   in Loop: Header=BB80_136 Depth=2
	v_add_u32_e32 v5, s39, v5
	v_cmp_le_u32_e32 vcc, s10, v5
	s_mov_b64 s[42:43], 0
	s_orn2_b64 s[34:35], vcc, exec
	s_branch .LBB80_135
.LBB80_140:                             ;   in Loop: Header=BB80_11 Depth=1
	s_or_b64 exec, exec, s[74:75]
	v_lshrrev_b32_sdwa v40, v38, v6 dst_sel:DWORD dst_unused:UNUSED_PAD src0_sel:DWORD src1_sel:WORD_0
	s_and_b64 s[74:75], s[80:81], exec
.LBB80_141:                             ;   in Loop: Header=BB80_11 Depth=1
	s_or_b64 exec, exec, s[78:79]
.LBB80_142:                             ;   in Loop: Header=BB80_11 Depth=1
	s_and_b64 vcc, exec, s[76:77]
	s_cbranch_vccz .LBB80_153
; %bb.143:                              ;   in Loop: Header=BB80_11 Depth=1
                                        ; implicit-def: $vgpr40
	s_mov_b64 s[28:29], exec
	v_readlane_b32 s10, v52, 26
	v_readlane_b32 s11, v52, 27
	s_and_b64 s[10:11], s[28:29], s[10:11]
	s_mov_b64 exec, s[10:11]
	s_cbranch_execz .LBB80_152
; %bb.144:                              ;   in Loop: Header=BB80_11 Depth=1
	s_mov_b64 s[30:31], 0
	v_mov_b32_e32 v5, v17
	v_mov_b32_e32 v6, v0
                                        ; implicit-def: $sgpr76_sgpr77
	s_branch .LBB80_147
.LBB80_145:                             ;   in Loop: Header=BB80_147 Depth=2
	s_or_b64 exec, exec, s[34:35]
	s_waitcnt lgkmcnt(0)
	s_barrier
	ds_read_u16 v7, v20 offset:3072
	s_mov_b64 s[34:35], -1
	s_mov_b64 s[42:43], -1
	s_waitcnt lgkmcnt(0)
	s_barrier
	v_cmp_eq_u32_sdwa s[10:11], v7, v20 src0_sel:BYTE_0 src1_sel:DWORD
	s_and_b64 vcc, exec, s[10:11]
	s_cbranch_vccnz .LBB80_150
.LBB80_146:                             ;   in Loop: Header=BB80_147 Depth=2
	s_and_b64 s[10:11], exec, s[34:35]
	s_or_b64 s[30:31], s[10:11], s[30:31]
	s_andn2_b64 s[10:11], s[76:77], exec
	s_and_b64 s[34:35], s[42:43], exec
	s_or_b64 s[76:77], s[10:11], s[34:35]
	s_andn2_b64 exec, exec, s[30:31]
	s_cbranch_execz .LBB80_151
.LBB80_147:                             ;   Parent Loop BB80_11 Depth=1
                                        ; =>  This Inner Loop Header: Depth=2
	v_cmp_gt_u32_e32 vcc, s36, v6
	s_and_saveexec_b64 s[34:35], vcc
	s_cbranch_execz .LBB80_145
; %bb.148:                              ;   in Loop: Header=BB80_147 Depth=2
	global_load_ubyte v7, v5, s[40:41]
	s_waitcnt vmcnt(0)
	v_add_u32_sdwa v8, sext(v7), s54 dst_sel:DWORD dst_unused:UNUSED_PAD src0_sel:BYTE_0 src1_sel:DWORD
	v_and_b32_e32 v8, v8, v39
	v_cmp_eq_u32_e32 vcc, v8, v33
	s_and_b64 exec, exec, vcc
	s_cbranch_execz .LBB80_145
; %bb.149:                              ;   in Loop: Header=BB80_147 Depth=2
	v_lshlrev_b16_e32 v7, 8, v7
	v_or_b32_e32 v7, 1, v7
	ds_write_b16 v20, v7 offset:3072
	s_branch .LBB80_145
.LBB80_150:                             ;   in Loop: Header=BB80_147 Depth=2
	v_add_u32_e32 v6, s39, v6
	v_cmp_le_u32_e32 vcc, s52, v6
	v_add_u32_e32 v5, s33, v5
	s_mov_b64 s[42:43], 0
	s_orn2_b64 s[34:35], vcc, exec
	s_branch .LBB80_146
.LBB80_151:                             ;   in Loop: Header=BB80_11 Depth=1
	s_or_b64 exec, exec, s[30:31]
	s_andn2_b64 s[10:11], s[74:75], exec
	s_and_b64 s[30:31], s[76:77], exec
	v_lshrrev_b32_sdwa v40, v38, v7 dst_sel:DWORD dst_unused:UNUSED_PAD src0_sel:DWORD src1_sel:WORD_0
	s_or_b64 s[74:75], s[10:11], s[30:31]
.LBB80_152:                             ;   in Loop: Header=BB80_11 Depth=1
	s_or_b64 exec, exec, s[28:29]
	s_mov_b64 s[28:29], 0
	s_mov_b64 s[30:31], -1
.LBB80_153:                             ;   in Loop: Header=BB80_11 Depth=1
	s_orn2_b64 s[34:35], s[74:75], exec
.LBB80_154:                             ;   in Loop: Header=BB80_11 Depth=1
	s_or_b64 exec, exec, s[70:71]
	s_mov_b64 s[74:75], 0
	s_and_saveexec_b64 s[70:71], s[34:35]
	s_cbranch_execz .LBB80_243
; %bb.155:                              ;   in Loop: Header=BB80_11 Depth=1
	s_xor_b64 s[10:11], s[72:73], -1
	s_mov_b64 s[78:79], 0
	v_mov_b32_e32 v5, 1
	v_mov_b32_e32 v2, 1
	s_and_saveexec_b64 s[72:73], s[10:11]
	s_cbranch_execz .LBB80_161
; %bb.156:                              ;   in Loop: Header=BB80_11 Depth=1
	v_cmp_ge_u32_e32 vcc, s82, v4
	s_and_saveexec_b64 s[10:11], vcc
	s_xor_b64 s[34:35], exec, s[10:11]
	s_cbranch_execz .LBB80_158
; %bb.157:                              ;   in Loop: Header=BB80_11 Depth=1
	ds_read_b32 v2, v20 offset:4104
	v_and_b32_e32 v5, v33, v3
	v_lshl_or_b32 v33, 1, v37, v5
	v_or_b32_e32 v39, v39, v1
	s_waitcnt lgkmcnt(0)
	v_cmp_ne_u32_e32 vcc, 0, v2
	s_cbranch_vccz .LBB80_174
.LBB80_158:                             ;   in Loop: Header=BB80_11 Depth=1
	s_or_saveexec_b64 s[34:35], s[34:35]
	v_mov_b32_e32 v2, 8
	s_xor_b64 exec, exec, s[34:35]
.LBB80_159:                             ;   in Loop: Header=BB80_11 Depth=1
	s_mov_b64 s[74:75], exec
	v_subrev_u32_e32 v4, s82, v4
	v_mov_b32_e32 v2, 0
.LBB80_160:                             ;   in Loop: Header=BB80_11 Depth=1
	s_or_b64 exec, exec, s[34:35]
	s_and_b64 s[78:79], s[74:75], exec
	v_mov_b32_e32 v5, v4
.LBB80_161:                             ;   in Loop: Header=BB80_11 Depth=1
	s_or_b64 exec, exec, s[72:73]
	s_mov_b64 s[34:35], -1
                                        ; implicit-def: $sgpr74_sgpr75
                                        ; implicit-def: $sgpr76_sgpr77
	s_and_saveexec_b64 s[72:73], s[78:79]
	s_cbranch_execz .LBB80_242
; %bb.162:                              ;   in Loop: Header=BB80_11 Depth=1
	s_cmp_eq_u32 s21, 1
	s_cselect_b64 s[10:11], -1, 0
	v_cmp_eq_u32_e32 vcc, 1, v5
	s_and_b64 s[80:81], s[10:11], vcc
                                        ; implicit-def: $sgpr76_sgpr77
                                        ; implicit-def: $sgpr74_sgpr75
	s_and_saveexec_b64 s[78:79], s[80:81]
	s_cbranch_execz .LBB80_191
; %bb.163:                              ;   in Loop: Header=BB80_11 Depth=1
	ds_read_b32 v4, v20 offset:4104
	s_waitcnt lgkmcnt(0)
	s_barrier
	v_readfirstlane_b32 s90, v4
	s_and_saveexec_b64 s[10:11], s[24:25]
; %bb.164:                              ;   in Loop: Header=BB80_11 Depth=1
	ds_write_b8 v0, v20 offset:3072
; %bb.165:                              ;   in Loop: Header=BB80_11 Depth=1
	s_or_b64 exec, exec, s[10:11]
	v_and_b32_e32 v4, v33, v3
	v_lshl_or_b32 v33, 2, v37, v4
	v_or_b32_e32 v39, v39, v1
	s_mov_b64 s[74:75], -1
	s_mov_b64 s[76:77], 0
	s_cmp_eq_u32 s90, 0
	s_mov_b64 s[82:83], 0
	s_mov_b64 s[84:85], -1
	s_waitcnt lgkmcnt(0)
	s_barrier
                                        ; implicit-def: $vgpr40
	s_cbranch_scc1 .LBB80_179
; %bb.166:                              ;   in Loop: Header=BB80_11 Depth=1
	s_add_i32 s10, s90, s13
	s_mul_hi_u32 s11, s10, s51
	s_mul_i32 s11, s11, s39
	s_sub_i32 s11, s10, s11
	s_sub_i32 s34, s11, s39
	s_cmp_ge_u32 s11, s39
	s_cselect_b32 s11, s34, s11
	s_sub_i32 s34, s11, s39
	s_cmp_ge_u32 s11, s39
	s_cselect_b32 s11, s34, s11
	s_sub_i32 s10, s10, s11
	v_cmp_gt_u32_e32 vcc, s10, v0
	s_mov_b64 s[84:85], 0
                                        ; implicit-def: $vgpr40
	s_and_saveexec_b64 s[86:87], vcc
	s_cbranch_execz .LBB80_178
; %bb.167:                              ;   in Loop: Header=BB80_11 Depth=1
	v_mov_b32_e32 v4, v0
                                        ; implicit-def: $sgpr88_sgpr89
	s_branch .LBB80_170
.LBB80_168:                             ;   in Loop: Header=BB80_170 Depth=2
	s_or_b64 exec, exec, s[34:35]
	s_waitcnt lgkmcnt(0)
	s_barrier
	ds_read_u16 v6, v20 offset:3072
	s_mov_b64 s[34:35], -1
	s_waitcnt lgkmcnt(0)
	s_barrier
	v_cmp_ne_u32_sdwa s[42:43], v6, v20 src0_sel:BYTE_0 src1_sel:DWORD
	s_and_b64 vcc, exec, s[42:43]
	s_mov_b64 s[42:43], -1
	s_cbranch_vccz .LBB80_173
.LBB80_169:                             ;   in Loop: Header=BB80_170 Depth=2
	s_and_b64 s[34:35], exec, s[34:35]
	s_or_b64 s[82:83], s[34:35], s[82:83]
	s_andn2_b64 s[34:35], s[88:89], exec
	s_and_b64 s[42:43], s[42:43], exec
	s_or_b64 s[88:89], s[34:35], s[42:43]
	s_andn2_b64 exec, exec, s[82:83]
	s_cbranch_execz .LBB80_177
.LBB80_170:                             ;   Parent Loop BB80_11 Depth=1
                                        ; =>  This Inner Loop Header: Depth=2
	v_cmp_gt_u32_e32 vcc, s90, v4
	s_and_saveexec_b64 s[34:35], vcc
	s_cbranch_execz .LBB80_168
; %bb.171:                              ;   in Loop: Header=BB80_170 Depth=2
	ds_read_u8 v6, v4
	s_waitcnt lgkmcnt(0)
	v_add_u32_sdwa v7, sext(v6), s54 dst_sel:DWORD dst_unused:UNUSED_PAD src0_sel:BYTE_0 src1_sel:DWORD
	v_and_b32_e32 v7, v7, v39
	v_cmp_eq_u32_e32 vcc, v7, v33
	s_and_b64 exec, exec, vcc
	s_cbranch_execz .LBB80_168
; %bb.172:                              ;   in Loop: Header=BB80_170 Depth=2
	v_lshlrev_b16_e32 v6, 8, v6
	v_or_b32_e32 v6, 1, v6
	ds_write_b16 v20, v6 offset:3072
	s_branch .LBB80_168
.LBB80_173:                             ;   in Loop: Header=BB80_170 Depth=2
	v_add_u32_e32 v4, s39, v4
	v_cmp_le_u32_e32 vcc, s10, v4
	s_mov_b64 s[42:43], 0
	s_orn2_b64 s[34:35], vcc, exec
	s_branch .LBB80_169
.LBB80_174:                             ;   in Loop: Header=BB80_11 Depth=1
	s_and_saveexec_b64 s[10:11], s[0:1]
; %bb.175:                              ;   in Loop: Header=BB80_11 Depth=1
	v_mov_b32_e32 v2, s82
	ds_write_b32 v20, v2 offset:4108
; %bb.176:                              ;   in Loop: Header=BB80_11 Depth=1
	s_or_b64 exec, exec, s[10:11]
	s_waitcnt lgkmcnt(0)
	s_barrier
	s_or_saveexec_b64 s[34:35], s[34:35]
	v_mov_b32_e32 v2, 8
	s_xor_b64 exec, exec, s[34:35]
	s_cbranch_execnz .LBB80_159
	s_branch .LBB80_160
.LBB80_177:                             ;   in Loop: Header=BB80_11 Depth=1
	s_or_b64 exec, exec, s[82:83]
	v_lshrrev_b32_sdwa v40, v38, v6 dst_sel:DWORD dst_unused:UNUSED_PAD src0_sel:DWORD src1_sel:WORD_0
	s_and_b64 s[82:83], s[88:89], exec
.LBB80_178:                             ;   in Loop: Header=BB80_11 Depth=1
	s_or_b64 exec, exec, s[86:87]
.LBB80_179:                             ;   in Loop: Header=BB80_11 Depth=1
	s_and_b64 vcc, exec, s[84:85]
	s_cbranch_vccz .LBB80_190
; %bb.180:                              ;   in Loop: Header=BB80_11 Depth=1
                                        ; implicit-def: $vgpr40
	s_mov_b64 s[74:75], exec
	v_readlane_b32 s10, v52, 26
	v_readlane_b32 s11, v52, 27
	s_and_b64 s[10:11], s[74:75], s[10:11]
	s_mov_b64 exec, s[10:11]
	s_cbranch_execz .LBB80_189
; %bb.181:                              ;   in Loop: Header=BB80_11 Depth=1
	s_mov_b64 s[76:77], 0
	v_mov_b32_e32 v4, v17
	v_mov_b32_e32 v6, v0
                                        ; implicit-def: $sgpr84_sgpr85
	s_branch .LBB80_184
.LBB80_182:                             ;   in Loop: Header=BB80_184 Depth=2
	s_or_b64 exec, exec, s[34:35]
	s_waitcnt lgkmcnt(0)
	s_barrier
	ds_read_u16 v7, v20 offset:3072
	s_mov_b64 s[34:35], -1
	s_mov_b64 s[42:43], -1
	s_waitcnt lgkmcnt(0)
	s_barrier
	v_cmp_eq_u32_sdwa s[10:11], v7, v20 src0_sel:BYTE_0 src1_sel:DWORD
	s_and_b64 vcc, exec, s[10:11]
	s_cbranch_vccnz .LBB80_187
.LBB80_183:                             ;   in Loop: Header=BB80_184 Depth=2
	s_and_b64 s[10:11], exec, s[34:35]
	s_or_b64 s[76:77], s[10:11], s[76:77]
	s_andn2_b64 s[10:11], s[84:85], exec
	s_and_b64 s[34:35], s[42:43], exec
	s_or_b64 s[84:85], s[10:11], s[34:35]
	s_andn2_b64 exec, exec, s[76:77]
	s_cbranch_execz .LBB80_188
.LBB80_184:                             ;   Parent Loop BB80_11 Depth=1
                                        ; =>  This Inner Loop Header: Depth=2
	v_cmp_gt_u32_e32 vcc, s36, v6
	s_and_saveexec_b64 s[34:35], vcc
	s_cbranch_execz .LBB80_182
; %bb.185:                              ;   in Loop: Header=BB80_184 Depth=2
	global_load_ubyte v7, v4, s[40:41]
	s_waitcnt vmcnt(0)
	v_add_u32_sdwa v8, sext(v7), s54 dst_sel:DWORD dst_unused:UNUSED_PAD src0_sel:BYTE_0 src1_sel:DWORD
	v_and_b32_e32 v8, v8, v39
	v_cmp_eq_u32_e32 vcc, v8, v33
	s_and_b64 exec, exec, vcc
	s_cbranch_execz .LBB80_182
; %bb.186:                              ;   in Loop: Header=BB80_184 Depth=2
	v_lshlrev_b16_e32 v7, 8, v7
	v_or_b32_e32 v7, 1, v7
	ds_write_b16 v20, v7 offset:3072
	s_branch .LBB80_182
.LBB80_187:                             ;   in Loop: Header=BB80_184 Depth=2
	v_add_u32_e32 v6, s39, v6
	v_cmp_le_u32_e32 vcc, s52, v6
	v_add_u32_e32 v4, s33, v4
	s_mov_b64 s[42:43], 0
	s_orn2_b64 s[34:35], vcc, exec
	s_branch .LBB80_183
.LBB80_188:                             ;   in Loop: Header=BB80_11 Depth=1
	s_or_b64 exec, exec, s[76:77]
	s_andn2_b64 s[10:11], s[82:83], exec
	s_and_b64 s[34:35], s[84:85], exec
	v_lshrrev_b32_sdwa v40, v38, v7 dst_sel:DWORD dst_unused:UNUSED_PAD src0_sel:DWORD src1_sel:WORD_0
	s_or_b64 s[82:83], s[10:11], s[34:35]
.LBB80_189:                             ;   in Loop: Header=BB80_11 Depth=1
	s_or_b64 exec, exec, s[74:75]
	s_mov_b64 s[74:75], 0
	s_mov_b64 s[76:77], -1
.LBB80_190:                             ;   in Loop: Header=BB80_11 Depth=1
	s_orn2_b64 s[34:35], s[82:83], exec
.LBB80_191:                             ;   in Loop: Header=BB80_11 Depth=1
	s_or_b64 exec, exec, s[78:79]
	s_mov_b64 s[82:83], 0
	s_and_saveexec_b64 s[78:79], s[34:35]
	s_cbranch_execz .LBB80_241
; %bb.192:                              ;   in Loop: Header=BB80_11 Depth=1
	s_xor_b64 s[10:11], s[80:81], -1
	s_mov_b64 s[86:87], 0
	v_mov_b32_e32 v4, 1
	v_mov_b32_e32 v2, 1
	s_and_saveexec_b64 s[80:81], s[10:11]
	s_cbranch_execz .LBB80_201
; %bb.193:                              ;   in Loop: Header=BB80_11 Depth=1
	v_cmp_ge_u32_e32 vcc, s21, v5
	s_and_saveexec_b64 s[10:11], vcc
	s_xor_b64 s[34:35], exec, s[10:11]
	s_cbranch_execz .LBB80_198
; %bb.194:                              ;   in Loop: Header=BB80_11 Depth=1
	v_and_b32_e32 v2, v33, v3
	v_lshl_or_b32 v33, 2, v37, v2
	ds_read_b32 v2, v20 offset:4104
	v_or_b32_e32 v39, v39, v1
	s_waitcnt lgkmcnt(0)
	v_cmp_ne_u32_e32 vcc, 0, v2
	s_cbranch_vccnz .LBB80_198
; %bb.195:                              ;   in Loop: Header=BB80_11 Depth=1
	s_and_saveexec_b64 s[10:11], s[0:1]
; %bb.196:                              ;   in Loop: Header=BB80_11 Depth=1
	v_mov_b32_e32 v2, s21
	ds_write_b32 v20, v2 offset:4108
; %bb.197:                              ;   in Loop: Header=BB80_11 Depth=1
	s_or_b64 exec, exec, s[10:11]
	s_waitcnt lgkmcnt(0)
	s_barrier
.LBB80_198:                             ;   in Loop: Header=BB80_11 Depth=1
	s_or_saveexec_b64 s[34:35], s[34:35]
	v_mov_b32_e32 v2, 8
	s_xor_b64 exec, exec, s[34:35]
; %bb.199:                              ;   in Loop: Header=BB80_11 Depth=1
	v_subrev_u32_e32 v5, s21, v5
	v_mov_b32_e32 v2, 0
	s_mov_b64 s[82:83], exec
; %bb.200:                              ;   in Loop: Header=BB80_11 Depth=1
	s_or_b64 exec, exec, s[34:35]
	s_and_b64 s[86:87], s[82:83], exec
	v_mov_b32_e32 v4, v5
.LBB80_201:                             ;   in Loop: Header=BB80_11 Depth=1
	s_or_b64 exec, exec, s[80:81]
	s_mov_b64 s[34:35], -1
                                        ; implicit-def: $sgpr84_sgpr85
                                        ; implicit-def: $sgpr82_sgpr83
	s_and_saveexec_b64 s[80:81], s[86:87]
	s_cbranch_execz .LBB80_240
; %bb.202:                              ;   in Loop: Header=BB80_11 Depth=1
	s_cmp_eq_u32 s20, 1
	s_cselect_b64 s[10:11], -1, 0
	v_cmp_eq_u32_e32 vcc, 1, v4
	s_and_b64 s[86:87], s[10:11], vcc
                                        ; implicit-def: $sgpr84_sgpr85
                                        ; implicit-def: $sgpr82_sgpr83
	s_and_saveexec_b64 s[88:89], s[86:87]
	s_cbranch_execz .LBB80_228
; %bb.203:                              ;   in Loop: Header=BB80_11 Depth=1
	ds_read_b32 v3, v20 offset:4104
	s_waitcnt lgkmcnt(0)
	s_barrier
	v_readfirstlane_b32 s21, v3
	s_and_saveexec_b64 s[10:11], s[24:25]
; %bb.204:                              ;   in Loop: Header=BB80_11 Depth=1
	ds_write_b8 v0, v20 offset:3072
; %bb.205:                              ;   in Loop: Header=BB80_11 Depth=1
	s_or_b64 exec, exec, s[10:11]
	v_or_b32_e32 v33, v33, v1
	v_or_b32_e32 v39, v39, v1
	s_mov_b64 s[82:83], -1
	s_mov_b64 s[84:85], 0
	s_cmp_eq_u32 s21, 0
	s_mov_b64 s[90:91], 0
	s_mov_b64 s[92:93], -1
	s_waitcnt lgkmcnt(0)
	s_barrier
                                        ; implicit-def: $vgpr40
	s_cbranch_scc1 .LBB80_216
; %bb.206:                              ;   in Loop: Header=BB80_11 Depth=1
	s_add_i32 s10, s21, s13
	s_mul_hi_u32 s11, s10, s51
	s_mul_i32 s11, s11, s39
	s_sub_i32 s11, s10, s11
	s_sub_i32 s34, s11, s39
	s_cmp_ge_u32 s11, s39
	s_cselect_b32 s11, s34, s11
	s_sub_i32 s34, s11, s39
	s_cmp_ge_u32 s11, s39
	s_cselect_b32 s11, s34, s11
	s_sub_i32 s46, s10, s11
	v_cmp_gt_u32_e32 vcc, s46, v0
	s_mov_b64 s[92:93], 0
                                        ; implicit-def: $vgpr40
	s_and_saveexec_b64 s[94:95], vcc
	s_cbranch_execz .LBB80_215
; %bb.207:                              ;   in Loop: Header=BB80_11 Depth=1
	v_mov_b32_e32 v3, v0
                                        ; implicit-def: $sgpr34_sgpr35
	s_branch .LBB80_210
.LBB80_208:                             ;   in Loop: Header=BB80_210 Depth=2
	s_or_b64 exec, exec, s[42:43]
	s_waitcnt lgkmcnt(0)
	s_barrier
	ds_read_u16 v5, v20 offset:3072
	s_mov_b64 s[42:43], -1
	s_waitcnt lgkmcnt(0)
	s_barrier
	v_cmp_ne_u32_sdwa s[10:11], v5, v20 src0_sel:BYTE_0 src1_sel:DWORD
	s_and_b64 vcc, exec, s[10:11]
	s_mov_b64 s[10:11], -1
	s_cbranch_vccz .LBB80_213
.LBB80_209:                             ;   in Loop: Header=BB80_210 Depth=2
	s_and_b64 s[42:43], exec, s[42:43]
	s_or_b64 s[90:91], s[42:43], s[90:91]
	s_andn2_b64 s[34:35], s[34:35], exec
	s_and_b64 s[10:11], s[10:11], exec
	s_or_b64 s[34:35], s[34:35], s[10:11]
	s_andn2_b64 exec, exec, s[90:91]
	s_cbranch_execz .LBB80_214
.LBB80_210:                             ;   Parent Loop BB80_11 Depth=1
                                        ; =>  This Inner Loop Header: Depth=2
	v_cmp_gt_u32_e32 vcc, s21, v3
	s_and_saveexec_b64 s[42:43], vcc
	s_cbranch_execz .LBB80_208
; %bb.211:                              ;   in Loop: Header=BB80_210 Depth=2
	ds_read_u8 v5, v3
	s_waitcnt lgkmcnt(0)
	v_add_u32_sdwa v6, sext(v5), s54 dst_sel:DWORD dst_unused:UNUSED_PAD src0_sel:BYTE_0 src1_sel:DWORD
	v_and_b32_e32 v6, v6, v39
	v_cmp_eq_u32_e32 vcc, v6, v33
	s_and_b64 exec, exec, vcc
	s_cbranch_execz .LBB80_208
; %bb.212:                              ;   in Loop: Header=BB80_210 Depth=2
	v_lshlrev_b16_e32 v5, 8, v5
	v_or_b32_e32 v5, 1, v5
	ds_write_b16 v20, v5 offset:3072
	s_branch .LBB80_208
.LBB80_213:                             ;   in Loop: Header=BB80_210 Depth=2
	v_add_u32_e32 v3, s39, v3
	v_cmp_le_u32_e32 vcc, s46, v3
	s_mov_b64 s[10:11], 0
	s_orn2_b64 s[42:43], vcc, exec
	s_branch .LBB80_209
.LBB80_214:                             ;   in Loop: Header=BB80_11 Depth=1
	s_or_b64 exec, exec, s[90:91]
	v_lshrrev_b32_sdwa v40, v38, v5 dst_sel:DWORD dst_unused:UNUSED_PAD src0_sel:DWORD src1_sel:WORD_0
	s_and_b64 s[90:91], s[34:35], exec
.LBB80_215:                             ;   in Loop: Header=BB80_11 Depth=1
	s_or_b64 exec, exec, s[94:95]
.LBB80_216:                             ;   in Loop: Header=BB80_11 Depth=1
	s_and_b64 vcc, exec, s[92:93]
	s_cbranch_vccz .LBB80_227
; %bb.217:                              ;   in Loop: Header=BB80_11 Depth=1
                                        ; implicit-def: $vgpr40
	s_mov_b64 s[82:83], exec
	v_readlane_b32 s10, v52, 26
	v_readlane_b32 s11, v52, 27
	s_and_b64 s[10:11], s[82:83], s[10:11]
	s_mov_b64 exec, s[10:11]
	s_cbranch_execz .LBB80_226
; %bb.218:                              ;   in Loop: Header=BB80_11 Depth=1
	s_mov_b64 s[84:85], 0
	v_mov_b32_e32 v3, v17
	v_mov_b32_e32 v5, v0
                                        ; implicit-def: $sgpr92_sgpr93
	s_branch .LBB80_221
.LBB80_219:                             ;   in Loop: Header=BB80_221 Depth=2
	s_or_b64 exec, exec, s[34:35]
	s_waitcnt lgkmcnt(0)
	s_barrier
	ds_read_u16 v6, v20 offset:3072
	s_mov_b64 s[34:35], -1
	s_mov_b64 s[42:43], -1
	s_waitcnt lgkmcnt(0)
	s_barrier
	v_cmp_eq_u32_sdwa s[10:11], v6, v20 src0_sel:BYTE_0 src1_sel:DWORD
	s_and_b64 vcc, exec, s[10:11]
	s_cbranch_vccnz .LBB80_224
.LBB80_220:                             ;   in Loop: Header=BB80_221 Depth=2
	s_and_b64 s[10:11], exec, s[34:35]
	s_or_b64 s[84:85], s[10:11], s[84:85]
	s_andn2_b64 s[10:11], s[92:93], exec
	s_and_b64 s[34:35], s[42:43], exec
	s_or_b64 s[92:93], s[10:11], s[34:35]
	s_andn2_b64 exec, exec, s[84:85]
	s_cbranch_execz .LBB80_225
.LBB80_221:                             ;   Parent Loop BB80_11 Depth=1
                                        ; =>  This Inner Loop Header: Depth=2
	v_cmp_gt_u32_e32 vcc, s36, v5
	s_and_saveexec_b64 s[34:35], vcc
	s_cbranch_execz .LBB80_219
; %bb.222:                              ;   in Loop: Header=BB80_221 Depth=2
	global_load_ubyte v6, v3, s[40:41]
	s_waitcnt vmcnt(0)
	v_add_u32_sdwa v7, sext(v6), s54 dst_sel:DWORD dst_unused:UNUSED_PAD src0_sel:BYTE_0 src1_sel:DWORD
	v_and_b32_e32 v7, v7, v39
	v_cmp_eq_u32_e32 vcc, v7, v33
	s_and_b64 exec, exec, vcc
	s_cbranch_execz .LBB80_219
; %bb.223:                              ;   in Loop: Header=BB80_221 Depth=2
	v_lshlrev_b16_e32 v6, 8, v6
	v_or_b32_e32 v6, 1, v6
	ds_write_b16 v20, v6 offset:3072
	s_branch .LBB80_219
.LBB80_224:                             ;   in Loop: Header=BB80_221 Depth=2
	v_add_u32_e32 v5, s39, v5
	v_cmp_le_u32_e32 vcc, s52, v5
	v_add_u32_e32 v3, s33, v3
	s_mov_b64 s[42:43], 0
	s_orn2_b64 s[34:35], vcc, exec
	s_branch .LBB80_220
.LBB80_225:                             ;   in Loop: Header=BB80_11 Depth=1
	s_or_b64 exec, exec, s[84:85]
	s_andn2_b64 s[10:11], s[90:91], exec
	s_and_b64 s[34:35], s[92:93], exec
	v_lshrrev_b32_sdwa v40, v38, v6 dst_sel:DWORD dst_unused:UNUSED_PAD src0_sel:DWORD src1_sel:WORD_0
	s_or_b64 s[90:91], s[10:11], s[34:35]
.LBB80_226:                             ;   in Loop: Header=BB80_11 Depth=1
	s_or_b64 exec, exec, s[82:83]
	s_mov_b64 s[82:83], 0
	s_mov_b64 s[84:85], -1
.LBB80_227:                             ;   in Loop: Header=BB80_11 Depth=1
	s_orn2_b64 s[34:35], s[90:91], exec
.LBB80_228:                             ;   in Loop: Header=BB80_11 Depth=1
	s_or_b64 exec, exec, s[88:89]
	s_mov_b64 s[90:91], 0
	s_and_saveexec_b64 s[88:89], s[34:35]
	s_cbranch_execz .LBB80_239
; %bb.229:                              ;   in Loop: Header=BB80_11 Depth=1
	s_xor_b64 s[10:11], s[86:87], -1
	v_mov_b32_e32 v2, 1
	v_mov_b32_e32 v3, 1
	s_and_saveexec_b64 s[86:87], s[10:11]
	s_cbranch_execz .LBB80_238
; %bb.230:                              ;   in Loop: Header=BB80_11 Depth=1
	v_cmp_ge_u32_e32 vcc, s20, v4
	s_and_saveexec_b64 s[10:11], vcc
	s_xor_b64 s[34:35], exec, s[10:11]
	s_cbranch_execz .LBB80_235
; %bb.231:                              ;   in Loop: Header=BB80_11 Depth=1
	v_or_b32_e32 v33, v33, v1
	v_or_b32_e32 v39, v39, v1
	ds_read_b32 v1, v20 offset:4104
	s_waitcnt lgkmcnt(0)
	v_cmp_ne_u32_e32 vcc, 0, v1
	s_cbranch_vccnz .LBB80_235
; %bb.232:                              ;   in Loop: Header=BB80_11 Depth=1
	s_and_saveexec_b64 s[10:11], s[0:1]
; %bb.233:                              ;   in Loop: Header=BB80_11 Depth=1
	v_mov_b32_e32 v1, s20
	ds_write_b32 v20, v1 offset:4108
; %bb.234:                              ;   in Loop: Header=BB80_11 Depth=1
	s_or_b64 exec, exec, s[10:11]
	s_waitcnt lgkmcnt(0)
	s_barrier
.LBB80_235:                             ;   in Loop: Header=BB80_11 Depth=1
	s_andn2_saveexec_b64 s[34:35], s[34:35]
; %bb.236:                              ;   in Loop: Header=BB80_11 Depth=1
	v_subrev_u32_e32 v4, s20, v4
; %bb.237:                              ;   in Loop: Header=BB80_11 Depth=1
	s_or_b64 exec, exec, s[34:35]
	v_mov_b32_e32 v2, 8
	v_mov_b32_e32 v3, v4
.LBB80_238:                             ;   in Loop: Header=BB80_11 Depth=1
	s_or_b64 exec, exec, s[86:87]
	s_mov_b64 s[90:91], exec
	v_mov_b32_e32 v4, v3
.LBB80_239:                             ;   in Loop: Header=BB80_11 Depth=1
	s_or_b64 exec, exec, s[88:89]
	s_orn2_b64 s[34:35], s[90:91], exec
.LBB80_240:                             ;   in Loop: Header=BB80_11 Depth=1
	s_or_b64 exec, exec, s[80:81]
	s_andn2_b64 s[10:11], s[76:77], exec
	s_and_b64 s[20:21], s[84:85], exec
	s_or_b64 s[76:77], s[10:11], s[20:21]
	s_andn2_b64 s[10:11], s[74:75], exec
	s_and_b64 s[20:21], s[82:83], exec
	s_or_b64 s[74:75], s[10:11], s[20:21]
	s_and_b64 s[82:83], s[34:35], exec
	v_mov_b32_e32 v5, v4
.LBB80_241:                             ;   in Loop: Header=BB80_11 Depth=1
	s_or_b64 exec, exec, s[78:79]
	s_orn2_b64 s[34:35], s[82:83], exec
.LBB80_242:                             ;   in Loop: Header=BB80_11 Depth=1
	s_or_b64 exec, exec, s[72:73]
	s_andn2_b64 s[10:11], s[30:31], exec
	s_and_b64 s[20:21], s[76:77], exec
	s_or_b64 s[30:31], s[10:11], s[20:21]
	s_andn2_b64 s[10:11], s[28:29], exec
	s_and_b64 s[20:21], s[74:75], exec
	s_or_b64 s[28:29], s[10:11], s[20:21]
	s_and_b64 s[74:75], s[34:35], exec
	v_mov_b32_e32 v4, v5
.LBB80_243:                             ;   in Loop: Header=BB80_11 Depth=1
	s_or_b64 exec, exec, s[70:71]
	s_orn2_b64 s[34:35], s[74:75], exec
.LBB80_244:                             ;   in Loop: Header=BB80_11 Depth=1
	s_or_b64 exec, exec, s[26:27]
	s_mov_b64 s[70:71], 0
                                        ; implicit-def: $sgpr10
	s_and_saveexec_b64 s[20:21], s[34:35]
	s_xor_b64 s[26:27], exec, s[20:21]
	s_cbranch_execz .LBB80_9
; %bb.245:                              ;   in Loop: Header=BB80_11 Depth=1
	v_and_b32_e32 v1, 7, v2
	v_cmp_eq_u32_e32 vcc, 0, v1
	s_mov_b64 s[22:23], -1
	s_mov_b64 s[34:35], -1
                                        ; implicit-def: $sgpr10
	s_and_saveexec_b64 s[42:43], vcc
	s_cbranch_execz .LBB80_8
; %bb.246:                              ;   in Loop: Header=BB80_11 Depth=1
	v_add_u32_e32 v1, -2, v37
	v_cmp_eq_u32_e32 vcc, 0, v37
	s_xor_b32 s10, s50, 1
	s_xor_b64 s[34:35], exec, -1
	s_orn2_b64 s[22:23], vcc, exec
	v_mov_b32_e32 v37, v1
	s_branch .LBB80_8
.LBB80_247:
	s_or_b64 exec, exec, s[56:57]
	s_xor_b64 s[8:9], s[62:63], -1
	s_xor_b64 s[0:1], s[58:59], -1
	;; [unrolled: 1-line block ×3, first 2 shown]
	s_mov_b64 s[4:5], 0
	s_and_saveexec_b64 s[2:3], s[0:1]
	s_xor_b64 s[0:1], exec, s[2:3]
	s_cbranch_execnz .LBB80_252
; %bb.248:
	s_andn2_saveexec_b64 s[0:1], s[0:1]
	s_cbranch_execnz .LBB80_265
.LBB80_249:
	s_or_b64 exec, exec, s[0:1]
	s_and_saveexec_b64 s[0:1], s[4:5]
.LBB80_250:
	; divergent unreachable
.LBB80_251:
	s_endpgm
.LBB80_252:
	s_and_saveexec_b64 s[2:3], s[8:9]
	s_xor_b64 s[4:5], exec, s[2:3]
	s_cbranch_execz .LBB80_263
; %bb.253:
	s_and_saveexec_b64 s[2:3], s[6:7]
	s_xor_b64 s[6:7], exec, s[2:3]
; %bb.254:
	v_xor_b32_e32 v40, 0xffffff80, v33
; %bb.255:
	s_or_b64 exec, exec, s[6:7]
	v_readlane_b32 s18, v52, 6
	v_readlane_b32 s2, v52, 5
	s_mul_i32 s2, s2, s18
	v_mov_b32_e32 v1, s2
	v_readlane_b32 s2, v52, 2
	v_readlane_b32 s3, v52, 3
	s_nop 4
	global_store_byte v1, v40, s[2:3]
	s_mov_b64 s[6:7], exec
	v_readlane_b32 s2, v52, 7
	v_readlane_b32 s3, v52, 8
	s_and_b64 s[2:3], s[6:7], s[2:3]
	s_mov_b64 exec, s[2:3]
	s_cbranch_execz .LBB80_262
; %bb.256:
	s_mov_b64 s[2:3], 0
                                        ; implicit-def: $sgpr8_sgpr9
                                        ; implicit-def: $sgpr12_sgpr13
                                        ; implicit-def: $sgpr10_sgpr11
	s_branch .LBB80_258
.LBB80_257:                             ;   in Loop: Header=BB80_258 Depth=1
	s_or_b64 exec, exec, s[14:15]
	s_and_b64 s[14:15], exec, s[12:13]
	s_or_b64 s[2:3], s[14:15], s[2:3]
	s_andn2_b64 s[8:9], s[8:9], exec
	s_and_b64 s[14:15], s[10:11], exec
	s_or_b64 s[8:9], s[8:9], s[14:15]
	s_andn2_b64 exec, exec, s[2:3]
	s_cbranch_execz .LBB80_260
.LBB80_258:                             ; =>This Inner Loop Header: Depth=1
	global_load_ubyte v2, v17, s[40:41]
	v_mov_b32_e32 v1, v0
	s_or_b64 s[10:11], s[10:11], exec
	s_or_b64 s[12:13], s[12:13], exec
                                        ; implicit-def: $vgpr0
	s_waitcnt vmcnt(0)
	v_cmp_ne_u16_sdwa s[16:17], v2, v40 src0_sel:DWORD src1_sel:BYTE_0
	s_and_saveexec_b64 s[14:15], s[16:17]
	s_cbranch_execz .LBB80_257
; %bb.259:                              ;   in Loop: Header=BB80_258 Depth=1
	v_add_u32_e32 v0, s39, v1
	v_cmp_le_u32_e32 vcc, s36, v0
	s_andn2_b64 s[12:13], s[12:13], exec
	s_and_b64 s[16:17], vcc, exec
	v_add_u32_e32 v17, s33, v17
	s_andn2_b64 s[10:11], s[10:11], exec
	s_or_b64 s[12:13], s[12:13], s[16:17]
	s_branch .LBB80_257
.LBB80_260:
	s_or_b64 exec, exec, s[2:3]
	s_and_saveexec_b64 s[2:3], s[8:9]
	s_xor_b64 s[2:3], exec, s[2:3]
	s_cbranch_execz .LBB80_262
; %bb.261:
	v_readlane_b32 s2, v52, 4
	s_mul_i32 s2, s2, s18
	s_mov_b32 s3, 0
	s_lshl_b64 s[2:3], s[2:3], 3
	v_readlane_b32 s8, v52, 0
	v_readlane_b32 s9, v52, 1
	s_add_u32 s2, s8, s2
	s_addc_u32 s3, s9, s3
	v_mov_b32_e32 v2, 0
	global_store_dwordx2 v2, v[1:2], s[2:3]
.LBB80_262:
	s_or_b64 exec, exec, s[6:7]
.LBB80_263:
	s_or_saveexec_b64 s[2:3], s[4:5]
	s_mov_b64 s[4:5], 0
	s_xor_b64 exec, exec, s[2:3]
	s_cbranch_execnz .LBB80_266
.LBB80_264:
	s_or_b64 exec, exec, s[2:3]
	s_and_b64 s[4:5], s[4:5], exec
	s_andn2_saveexec_b64 s[0:1], s[0:1]
	s_cbranch_execz .LBB80_249
.LBB80_265:
	s_or_b64 s[4:5], s[4:5], exec
	s_trap 2
	s_or_b64 exec, exec, s[0:1]
	s_and_saveexec_b64 s[0:1], s[4:5]
	s_cbranch_execnz .LBB80_250
	s_branch .LBB80_251
.LBB80_266:
	s_mov_b64 s[4:5], exec
	s_trap 2
	s_branch .LBB80_264
	.section	.rodata,"a",@progbits
	.p2align	6, 0x0
	.amdhsa_kernel _ZN2at6native12_GLOBAL__N_112gatherMedianIajLi1EEEvNS_4cuda6detail10TensorInfoIT_T0_EENS5_IlS7_EENS5_IKS6_S7_EES7_S7_S7_b
		.amdhsa_group_segment_fixed_size 4120
		.amdhsa_private_segment_fixed_size 0
		.amdhsa_kernarg_size 920
		.amdhsa_user_sgpr_count 6
		.amdhsa_user_sgpr_private_segment_buffer 1
		.amdhsa_user_sgpr_dispatch_ptr 0
		.amdhsa_user_sgpr_queue_ptr 0
		.amdhsa_user_sgpr_kernarg_segment_ptr 1
		.amdhsa_user_sgpr_dispatch_id 0
		.amdhsa_user_sgpr_flat_scratch_init 0
		.amdhsa_user_sgpr_private_segment_size 0
		.amdhsa_uses_dynamic_stack 0
		.amdhsa_system_sgpr_private_segment_wavefront_offset 0
		.amdhsa_system_sgpr_workgroup_id_x 1
		.amdhsa_system_sgpr_workgroup_id_y 1
		.amdhsa_system_sgpr_workgroup_id_z 1
		.amdhsa_system_sgpr_workgroup_info 0
		.amdhsa_system_vgpr_workitem_id 0
		.amdhsa_next_free_vgpr 53
		.amdhsa_next_free_sgpr 96
		.amdhsa_reserve_vcc 1
		.amdhsa_reserve_flat_scratch 0
		.amdhsa_float_round_mode_32 0
		.amdhsa_float_round_mode_16_64 0
		.amdhsa_float_denorm_mode_32 3
		.amdhsa_float_denorm_mode_16_64 3
		.amdhsa_dx10_clamp 1
		.amdhsa_ieee_mode 1
		.amdhsa_fp16_overflow 0
		.amdhsa_exception_fp_ieee_invalid_op 0
		.amdhsa_exception_fp_denorm_src 0
		.amdhsa_exception_fp_ieee_div_zero 0
		.amdhsa_exception_fp_ieee_overflow 0
		.amdhsa_exception_fp_ieee_underflow 0
		.amdhsa_exception_fp_ieee_inexact 0
		.amdhsa_exception_int_div_zero 0
	.end_amdhsa_kernel
	.section	.text._ZN2at6native12_GLOBAL__N_112gatherMedianIajLi1EEEvNS_4cuda6detail10TensorInfoIT_T0_EENS5_IlS7_EENS5_IKS6_S7_EES7_S7_S7_b,"axG",@progbits,_ZN2at6native12_GLOBAL__N_112gatherMedianIajLi1EEEvNS_4cuda6detail10TensorInfoIT_T0_EENS5_IlS7_EENS5_IKS6_S7_EES7_S7_S7_b,comdat
.Lfunc_end80:
	.size	_ZN2at6native12_GLOBAL__N_112gatherMedianIajLi1EEEvNS_4cuda6detail10TensorInfoIT_T0_EENS5_IlS7_EENS5_IKS6_S7_EES7_S7_S7_b, .Lfunc_end80-_ZN2at6native12_GLOBAL__N_112gatherMedianIajLi1EEEvNS_4cuda6detail10TensorInfoIT_T0_EENS5_IlS7_EENS5_IKS6_S7_EES7_S7_S7_b
                                        ; -- End function
	.set _ZN2at6native12_GLOBAL__N_112gatherMedianIajLi1EEEvNS_4cuda6detail10TensorInfoIT_T0_EENS5_IlS7_EENS5_IKS6_S7_EES7_S7_S7_b.num_vgpr, 53
	.set _ZN2at6native12_GLOBAL__N_112gatherMedianIajLi1EEEvNS_4cuda6detail10TensorInfoIT_T0_EENS5_IlS7_EENS5_IKS6_S7_EES7_S7_S7_b.num_agpr, 0
	.set _ZN2at6native12_GLOBAL__N_112gatherMedianIajLi1EEEvNS_4cuda6detail10TensorInfoIT_T0_EENS5_IlS7_EENS5_IKS6_S7_EES7_S7_S7_b.numbered_sgpr, 96
	.set _ZN2at6native12_GLOBAL__N_112gatherMedianIajLi1EEEvNS_4cuda6detail10TensorInfoIT_T0_EENS5_IlS7_EENS5_IKS6_S7_EES7_S7_S7_b.num_named_barrier, 0
	.set _ZN2at6native12_GLOBAL__N_112gatherMedianIajLi1EEEvNS_4cuda6detail10TensorInfoIT_T0_EENS5_IlS7_EENS5_IKS6_S7_EES7_S7_S7_b.private_seg_size, 0
	.set _ZN2at6native12_GLOBAL__N_112gatherMedianIajLi1EEEvNS_4cuda6detail10TensorInfoIT_T0_EENS5_IlS7_EENS5_IKS6_S7_EES7_S7_S7_b.uses_vcc, 1
	.set _ZN2at6native12_GLOBAL__N_112gatherMedianIajLi1EEEvNS_4cuda6detail10TensorInfoIT_T0_EENS5_IlS7_EENS5_IKS6_S7_EES7_S7_S7_b.uses_flat_scratch, 0
	.set _ZN2at6native12_GLOBAL__N_112gatherMedianIajLi1EEEvNS_4cuda6detail10TensorInfoIT_T0_EENS5_IlS7_EENS5_IKS6_S7_EES7_S7_S7_b.has_dyn_sized_stack, 0
	.set _ZN2at6native12_GLOBAL__N_112gatherMedianIajLi1EEEvNS_4cuda6detail10TensorInfoIT_T0_EENS5_IlS7_EENS5_IKS6_S7_EES7_S7_S7_b.has_recursion, 0
	.set _ZN2at6native12_GLOBAL__N_112gatherMedianIajLi1EEEvNS_4cuda6detail10TensorInfoIT_T0_EENS5_IlS7_EENS5_IKS6_S7_EES7_S7_S7_b.has_indirect_call, 0
	.section	.AMDGPU.csdata,"",@progbits
; Kernel info:
; codeLenInByte = 9904
; TotalNumSgprs: 100
; NumVgprs: 53
; ScratchSize: 0
; MemoryBound: 0
; FloatMode: 240
; IeeeMode: 1
; LDSByteSize: 4120 bytes/workgroup (compile time only)
; SGPRBlocks: 12
; VGPRBlocks: 13
; NumSGPRsForWavesPerEU: 100
; NumVGPRsForWavesPerEU: 53
; Occupancy: 4
; WaveLimiterHint : 1
; COMPUTE_PGM_RSRC2:SCRATCH_EN: 0
; COMPUTE_PGM_RSRC2:USER_SGPR: 6
; COMPUTE_PGM_RSRC2:TRAP_HANDLER: 0
; COMPUTE_PGM_RSRC2:TGID_X_EN: 1
; COMPUTE_PGM_RSRC2:TGID_Y_EN: 1
; COMPUTE_PGM_RSRC2:TGID_Z_EN: 1
; COMPUTE_PGM_RSRC2:TIDIG_COMP_CNT: 0
	.section	.text._ZN2at6native12_GLOBAL__N_112gatherMedianIajLi2EEEvNS_4cuda6detail10TensorInfoIT_T0_EENS5_IlS7_EENS5_IKS6_S7_EES7_S7_S7_b,"axG",@progbits,_ZN2at6native12_GLOBAL__N_112gatherMedianIajLi2EEEvNS_4cuda6detail10TensorInfoIT_T0_EENS5_IlS7_EENS5_IKS6_S7_EES7_S7_S7_b,comdat
	.globl	_ZN2at6native12_GLOBAL__N_112gatherMedianIajLi2EEEvNS_4cuda6detail10TensorInfoIT_T0_EENS5_IlS7_EENS5_IKS6_S7_EES7_S7_S7_b ; -- Begin function _ZN2at6native12_GLOBAL__N_112gatherMedianIajLi2EEEvNS_4cuda6detail10TensorInfoIT_T0_EENS5_IlS7_EENS5_IKS6_S7_EES7_S7_S7_b
	.p2align	8
	.type	_ZN2at6native12_GLOBAL__N_112gatherMedianIajLi2EEEvNS_4cuda6detail10TensorInfoIT_T0_EENS5_IlS7_EENS5_IKS6_S7_EES7_S7_S7_b,@function
_ZN2at6native12_GLOBAL__N_112gatherMedianIajLi2EEEvNS_4cuda6detail10TensorInfoIT_T0_EENS5_IlS7_EENS5_IKS6_S7_EES7_S7_S7_b: ; @_ZN2at6native12_GLOBAL__N_112gatherMedianIajLi2EEEvNS_4cuda6detail10TensorInfoIT_T0_EENS5_IlS7_EENS5_IKS6_S7_EES7_S7_S7_b
; %bb.0:
	s_load_dwordx2 s[12:13], s[4:5], 0x298
	s_load_dwordx4 s[36:39], s[4:5], 0x288
	s_add_u32 s10, s4, 0x298
	s_addc_u32 s11, s5, 0
	s_waitcnt lgkmcnt(0)
	s_mul_i32 s0, s13, s8
	s_add_i32 s0, s0, s7
	s_mul_i32 s0, s0, s12
	s_add_i32 s19, s0, s6
	s_cmp_ge_u32 s19, s37
	s_cbranch_scc1 .LBB81_251
; %bb.1:
	s_load_dword s0, s[4:5], 0xc
	s_load_dword s1, s[4:5], 0xe4
	;; [unrolled: 1-line block ×3, first 2 shown]
                                        ; implicit-def: $vgpr52 : SGPR spill to VGPR lane
	s_waitcnt lgkmcnt(0)
	v_cvt_f32_u32_e32 v1, s0
	v_cvt_f32_u32_e32 v2, s1
	;; [unrolled: 1-line block ×3, first 2 shown]
	v_writelane_b32 v52, s0, 0
	v_rcp_iflag_f32_e32 v1, v1
	v_rcp_iflag_f32_e32 v2, v2
	;; [unrolled: 1-line block ×3, first 2 shown]
	s_sub_i32 s0, 0, s0
	v_mul_f32_e32 v1, 0x4f7ffffe, v1
	v_cvt_u32_f32_e32 v1, v1
	v_mul_f32_e32 v3, 0x4f7ffffe, v3
	v_mul_f32_e32 v2, 0x4f7ffffe, v2
	v_cvt_u32_f32_e32 v3, v3
	v_cvt_u32_f32_e32 v2, v2
	v_readfirstlane_b32 s17, v1
	s_mul_i32 s0, s0, s17
	s_mul_hi_u32 s8, s17, s0
	s_sub_i32 s0, 0, s13
	v_readfirstlane_b32 s7, v3
	v_writelane_b32 v52, s1, 1
	s_sub_i32 s1, 0, s1
	v_readfirstlane_b32 s18, v2
	s_mul_i32 s0, s0, s7
	s_mul_i32 s1, s1, s18
	s_mul_hi_u32 s0, s7, s0
	s_mul_hi_u32 s9, s18, s1
	s_add_i32 s7, s7, s0
	v_cmp_eq_u32_e64 s[0:1], 0, v0
	s_and_saveexec_b64 s[2:3], s[0:1]
; %bb.2:
	v_mov_b32_e32 v1, 0
	v_mov_b32_e32 v2, v1
	ds_write_b64 v1, v[1:2] offset:4096
; %bb.3:
	s_or_b64 exec, exec, s[2:3]
	v_mov_b32_e32 v1, 0
	s_waitcnt lgkmcnt(0)
	s_barrier
	s_barrier
	ds_read_b64 v[1:2], v1 offset:4096
	s_add_i32 s17, s17, s8
	s_add_i32 s18, s18, s9
	s_load_dwordx2 s[8:9], s[4:5], 0x21c
	s_load_dwordx2 s[2:3], s[4:5], 0x1b0
	s_bitcmp1_b32 s39, 0
	s_waitcnt lgkmcnt(0)
	v_readfirstlane_b32 s14, v1
	v_readfirstlane_b32 s15, v2
	v_cmp_lt_i64_e64 s[20:21], s[14:15], 1
	s_cselect_b64 s[22:23], -1, 0
	s_or_b64 s[20:21], s[22:23], s[20:21]
	s_mul_hi_u32 s16, s19, s7
	s_andn2_b64 vcc, exec, s[20:21]
	s_mov_b32 s7, s36
	s_cbranch_vccnz .LBB81_5
; %bb.4:
	s_not_b64 s[14:15], s[14:15]
	s_add_u32 s7, s14, s36
	s_addc_u32 s15, s15, 0
	s_lshr_b32 s14, s15, 31
	s_add_u32 s14, s7, s14
	s_addc_u32 s15, s15, 0
	s_lshr_b64 s[14:15], s[14:15], 1
	s_add_i32 s7, s14, 1
.LBB81_5:
	s_load_dwordx2 s[14:15], s[4:5], 0x144
                                        ; kill: killed $sgpr4 killed $sgpr5
	s_waitcnt lgkmcnt(0)
	v_writelane_b32 v52, s14, 2
	v_writelane_b32 v52, s15, 3
	s_load_dwordx2 s[14:15], s[4:5], 0xd8
	s_waitcnt lgkmcnt(0)
	v_writelane_b32 v52, s14, 4
	v_writelane_b32 v52, s15, 5
	s_load_dwordx2 s[14:15], s[4:5], 0x6c
	;; [unrolled: 4-line block ×3, first 2 shown]
	s_mul_hi_u32 s4, s19, s17
	s_waitcnt lgkmcnt(0)
	v_writelane_b32 v52, s14, 8
	v_writelane_b32 v52, s15, 9
	;; [unrolled: 1-line block ×3, first 2 shown]
	s_mul_hi_u32 s4, s19, s18
	v_writelane_b32 v52, s4, 11
	s_and_saveexec_b64 s[4:5], s[0:1]
	s_cbranch_execz .LBB81_7
; %bb.6:
	v_mov_b32_e32 v1, 0
	v_mov_b32_e32 v2, s36
	ds_write_b32 v1, v1 offset:4112
	ds_write_b64 v1, v[1:2] offset:4104
.LBB81_7:
	s_or_b64 exec, exec, s[4:5]
	s_mul_i32 s4, s16, s13
	s_sub_i32 s4, s19, s4
	s_add_i32 s5, s16, 1
	s_sub_i32 s14, s4, s13
	s_cmp_ge_u32 s4, s13
	s_cselect_b32 s5, s5, s16
	s_cselect_b32 s4, s14, s4
	s_add_i32 s14, s5, 1
	s_cmp_ge_u32 s4, s13
	s_cselect_b32 s4, s14, s5
	s_mul_i32 s5, s4, s13
	s_sub_i32 s5, s19, s5
	s_mul_i32 s5, s5, s9
	s_mul_i32 s4, s4, s8
	s_add_i32 s4, s4, s5
	s_waitcnt lgkmcnt(0)
	s_barrier
	s_load_dword s5, s[10:11], 0xc
	s_add_u32 s40, s2, s4
	v_mbcnt_lo_u32_b32 v1, -1, 0
	v_writelane_b32 v52, s19, 12
	s_addc_u32 s41, s3, 0
	v_cmp_gt_u32_e64 s[2:3], s36, v0
	s_waitcnt lgkmcnt(0)
	s_and_b32 s45, s5, 0xffff
	v_mbcnt_hi_u32_b32 v19, -1, v1
	v_writelane_b32 v52, s2, 13
	v_cmp_gt_u32_e32 vcc, 64, v0
	v_cmp_gt_i32_e64 s[8:9], 4, v19
	s_add_i32 s15, s45, -1
	v_writelane_b32 v52, s3, 14
	s_lshl_b32 s14, s45, 2
	s_bfe_u32 s2, s5, 0xa0006
	s_and_b64 s[46:47], vcc, s[8:9]
	s_add_i32 s13, s15, s36
	s_cmpk_gt_u32 s36, 0xc00
	v_lshlrev_b64 v[2:3], v19, -1
	s_cselect_b64 s[8:9], -1, 0
	s_cmp_gt_u32 s45, 63
	s_cselect_b64 s[50:51], -1, 0
	v_not_b32_e32 v23, v2
	v_lshrrev_b32_e32 v2, 2, v0
	s_cmp_lt_u32 s6, s12
	v_writelane_b32 v52, s8, 15
	v_and_b32_e32 v2, 0xf0, v2
	s_cselect_b32 s3, 12, 18
	v_writelane_b32 v52, s9, 16
	v_or_b32_e32 v24, 0xc00, v2
	s_add_u32 s8, s10, s3
	v_add_u32_e32 v2, 2, v0
	s_addc_u32 s9, s11, 0
	v_max_u32_e32 v2, s36, v2
	v_writelane_b32 v52, s8, 17
	v_xad_u32 v2, v0, -1, v2
	v_not_b32_e32 v22, v3
	v_writelane_b32 v52, s9, 18
	v_add_u32_e32 v3, -4, v2
	v_cmp_lt_u32_e64 s[8:9], 31, v2
	v_lshrrev_b32_e32 v4, 2, v3
	v_writelane_b32 v52, s8, 19
	v_add_u32_e32 v4, 1, v4
	v_writelane_b32 v52, s9, 20
	v_cmp_lt_u32_e64 s[10:11], 11, v3
	v_and_b32_e32 v5, 3, v4
	v_writelane_b32 v52, s10, 21
	v_writelane_b32 v52, s11, 22
	v_cmp_ne_u32_e64 s[10:11], 0, v5
	v_and_b32_e32 v25, -4, v2
	v_writelane_b32 v52, s10, 23
	v_writelane_b32 v52, s11, 24
	v_cmp_ne_u32_e64 s[10:11], v2, v25
	v_cvt_f32_u32_e32 v2, s14
	s_add_i32 s3, s2, -1
	s_bfe_u32 s6, s45, 0x30006
	s_and_b32 s3, s3, 0xffff
	v_rcp_iflag_f32_e32 v2, v2
	v_writelane_b32 v52, s10, 25
	s_cmp_gt_u32 s3, 6
	v_writelane_b32 v52, s11, 26
	v_mul_f32_e32 v2, 0x4f7ffffe, v2
	v_cvt_u32_f32_e32 v2, v2
	s_cselect_b64 s[10:11], -1, 0
	v_writelane_b32 v52, s10, 27
	v_writelane_b32 v52, s11, 28
	s_and_b32 s2, s2, 0x3f8
	v_writelane_b32 v52, s6, 29
	s_cmp_lg_u32 s6, 0
	v_readfirstlane_b32 s6, v2
	v_cvt_f32_u32_e32 v2, s45
	s_cselect_b64 s[10:11], -1, 0
	s_sub_i32 s3, 0, s14
	s_mul_i32 s3, s3, s6
	s_mul_hi_u32 s3, s6, s3
	s_add_i32 s3, s6, s3
	v_rcp_iflag_f32_e32 v2, v2
	s_mul_hi_u32 s6, s36, s3
	s_mul_i32 s6, s6, s14
	v_writelane_b32 v52, s10, 30
	s_sub_i32 s6, s36, s6
	v_writelane_b32 v52, s11, 31
	s_sub_i32 s10, s6, s14
	v_mul_f32_e32 v2, 0x4f7ffffe, v2
	s_cmp_ge_u32 s6, s14
	v_cvt_u32_f32_e32 v2, v2
	s_cselect_b32 s6, s10, s6
	s_sub_i32 s10, s6, s14
	s_cmp_ge_u32 s6, s14
	s_cselect_b32 s6, s10, s6
	s_sub_i32 s10, 0, s45
	v_readfirstlane_b32 s11, v2
	s_mul_i32 s10, s10, s11
	s_mul_hi_u32 s10, s11, s10
	s_add_i32 s54, s11, s10
	s_mul_hi_u32 s10, s13, s54
	s_mul_i32 s10, s10, s45
	s_sub_i32 s10, s13, s10
	s_sub_i32 s53, s36, s6
	;; [unrolled: 1-line block ×3, first 2 shown]
	s_cmp_ge_u32 s10, s45
	s_cselect_b32 s10, s11, s10
	v_lshlrev_b32_e32 v18, 2, v0
	s_sub_i32 s11, s10, s45
	s_cmp_ge_u32 s10, s45
	v_mul_lo_u32 v2, s38, v18
	s_cselect_b32 s10, s11, s10
	s_sub_i32 s55, s13, s10
	v_cmp_gt_u32_e64 s[10:11], s55, v0
	v_mul_lo_u32 v17, s38, v0
	v_writelane_b32 v52, s10, 32
	v_add_u32_e32 v30, s38, v2
	v_or_b32_e32 v2, 2, v18
	v_add_u32_e32 v28, s53, v0
	v_writelane_b32 v52, s11, 33
	v_mul_lo_u32 v31, s38, v2
	v_or_b32_e32 v2, 3, v18
	s_add_i32 s10, s45, s36
	v_mul_lo_u32 v3, v28, s38
	v_mul_lo_u32 v32, s38, v2
	v_add_u32_e32 v2, s10, v0
	v_subrev_u32_e32 v2, s6, v2
	v_mov_b32_e32 v1, s41
	v_add_co_u32_e32 v13, vcc, s40, v17
	v_mul_lo_u32 v35, s38, v2
	v_addc_co_u32_e32 v14, vcc, 0, v1, vcc
	v_lshlrev_b32_e32 v1, 2, v19
	v_and_b32_e32 v27, 0x7ffffffc, v4
	v_mov_b32_e32 v4, s41
	v_add_co_u32_e32 v15, vcc, s40, v3
	s_mul_i32 s39, s38, s45
	s_mov_b32 s52, 0
	v_cmp_eq_u32_e64 s[4:5], 0, v19
	v_cmp_gt_u32_e64 s[24:25], 2, v0
	v_mov_b32_e32 v20, 0
	v_and_b32_e32 v21, 0x100, v1
	v_add_u32_e32 v26, v0, v25
	s_mov_b32 s8, s38
	s_mov_b32 s9, s38
	;; [unrolled: 1-line block ×4, first 2 shown]
	v_cmp_gt_u32_e64 s[16:17], s53, v18
	v_cmp_gt_u32_e64 s[18:19], s36, v28
	v_addc_co_u32_e32 v16, vcc, 0, v4, vcc
	v_lshlrev_b32_e32 v29, 2, v5
	s_lshl_b32 s56, s39, 2
	v_lshlrev_b32_e32 v34, 2, v17
	v_or_b32_e32 v36, 0xc00, v1
	s_mov_b64 s[58:59], 0
	v_mov_b32_e32 v37, 6
	v_mov_b32_e32 v41, s7
	s_movk_i32 s57, 0x80
	s_mov_b32 s33, 0xc0c0004
	s_mov_b32 s49, 0xc0c0007
	v_mov_b32_e32 v38, 8
	v_mov_b32_e32 v40, 0
	;; [unrolled: 1-line block ×4, first 2 shown]
                                        ; implicit-def: $sgpr60_sgpr61
                                        ; implicit-def: $sgpr64_sgpr65
                                        ; implicit-def: $sgpr62_sgpr63
                                        ; implicit-def: $sgpr68_sgpr69
                                        ; implicit-def: $sgpr70_sgpr71
                                        ; implicit-def: $sgpr66_sgpr67
	s_branch .LBB81_11
.LBB81_8:                               ;   in Loop: Header=BB81_11 Depth=1
	s_or_b64 exec, exec, s[10:11]
	s_and_b64 s[34:35], s[30:31], exec
	s_andn2_b64 s[72:73], s[72:73], exec
	s_andn2_b64 s[28:29], s[28:29], exec
	s_orn2_b64 s[22:23], s[22:23], exec
.LBB81_9:                               ;   in Loop: Header=BB81_11 Depth=1
	s_or_b64 exec, exec, s[26:27]
	s_andn2_b64 s[10:11], s[66:67], exec
	s_and_b64 s[12:13], s[34:35], exec
	s_or_b64 s[66:67], s[10:11], s[12:13]
	s_andn2_b64 s[10:11], s[70:71], exec
	s_and_b64 s[12:13], s[72:73], exec
	s_or_b64 s[70:71], s[10:11], s[12:13]
	;; [unrolled: 3-line block ×3, first 2 shown]
	s_orn2_b64 s[22:23], s[22:23], exec
.LBB81_10:                              ;   in Loop: Header=BB81_11 Depth=1
	s_or_b64 exec, exec, s[6:7]
	s_and_b64 s[6:7], exec, s[22:23]
	s_or_b64 s[58:59], s[6:7], s[58:59]
	s_andn2_b64 s[6:7], s[62:63], exec
	s_and_b64 s[10:11], s[66:67], exec
	s_or_b64 s[62:63], s[6:7], s[10:11]
	s_andn2_b64 s[6:7], s[64:65], exec
	s_and_b64 s[10:11], s[70:71], exec
	;; [unrolled: 3-line block ×3, first 2 shown]
	s_or_b64 s[60:61], s[6:7], s[10:11]
	s_mov_b32 s52, s42
	v_mov_b32_e32 v41, v4
	s_andn2_b64 exec, exec, s[58:59]
	s_cbranch_execz .LBB81_247
.LBB81_11:                              ; =>This Loop Header: Depth=1
                                        ;     Child Loop BB81_16 Depth 2
                                        ;     Child Loop BB81_37 Depth 2
	;; [unrolled: 1-line block ×18, first 2 shown]
	ds_read_b64 v[1:2], v20 offset:4104
	s_waitcnt lgkmcnt(0)
	v_readfirstlane_b32 s12, v1
	s_cmp_lg_u32 s12, 0
	s_cbranch_scc1 .LBB81_56
; %bb.12:                               ;   in Loop: Header=BB81_11 Depth=1
	v_readlane_b32 s6, v52, 15
	v_readlane_b32 s7, v52, 16
	s_and_b64 vcc, exec, s[6:7]
	s_cbranch_vccz .LBB81_24
; %bb.13:                               ;   in Loop: Header=BB81_11 Depth=1
	s_movk_i32 s6, 0xc01
	v_cmp_gt_u32_e32 vcc, s6, v2
	s_mov_b64 s[26:27], 0
	s_mov_b64 s[6:7], 0
	s_cbranch_vccz .LBB81_25
; %bb.14:                               ;   in Loop: Header=BB81_11 Depth=1
	v_readlane_b32 s6, v52, 17
	v_readlane_b32 s7, v52, 18
	s_nop 4
	global_load_ushort v1, v20, s[6:7]
	global_load_ubyte v4, v[13:14], off
	s_mov_b64 s[28:29], 0
	v_mov_b32_e32 v5, v0
	s_waitcnt vmcnt(1)
	v_add_u32_e32 v2, v0, v1
	v_mul_lo_u32 v2, s38, v2
	v_mul_lo_u32 v3, s38, v1
	s_branch .LBB81_16
.LBB81_15:                              ;   in Loop: Header=BB81_16 Depth=2
	s_or_b64 exec, exec, s[6:7]
	v_add_u32_e32 v2, v2, v3
	v_mov_b32_e32 v4, v6
	s_andn2_b64 exec, exec, s[28:29]
	s_cbranch_execz .LBB81_31
.LBB81_16:                              ;   Parent Loop BB81_11 Depth=1
                                        ; =>  This Inner Loop Header: Depth=2
	v_add_u32_e32 v5, v5, v1
	v_cmp_gt_u32_e64 s[6:7], s36, v5
	v_cmp_le_u32_e32 vcc, s36, v5
	s_waitcnt lgkmcnt(0)
	v_mov_b32_e32 v7, 0
	v_mov_b32_e32 v6, 0
	s_and_saveexec_b64 s[10:11], s[6:7]
	s_cbranch_execz .LBB81_18
; %bb.17:                               ;   in Loop: Header=BB81_16 Depth=2
	global_load_ubyte v6, v2, s[40:41]
.LBB81_18:                              ;   in Loop: Header=BB81_16 Depth=2
	s_or_b64 exec, exec, s[10:11]
	s_waitcnt vmcnt(0)
	v_add_u32_sdwa v8, sext(v4), s57 dst_sel:DWORD dst_unused:UNUSED_PAD src0_sel:BYTE_0 src1_sel:DWORD
	v_and_b32_e32 v8, v8, v39
	v_cmp_eq_u32_e64 s[22:23], v8, v33
	s_cmp_lg_u64 s[22:23], 0
	s_cselect_b64 s[6:7], -1, 0
	s_and_b64 s[6:7], s[4:5], s[6:7]
	s_and_saveexec_b64 s[30:31], s[6:7]
	s_cbranch_execz .LBB81_22
; %bb.19:                               ;   in Loop: Header=BB81_16 Depth=2
	s_mov_b64 s[12:13], exec
	v_mbcnt_lo_u32_b32 v7, s12, 0
	v_mbcnt_hi_u32_b32 v7, s13, v7
	s_bcnt1_i32_b64 s20, s[22:23]
	v_cmp_eq_u32_e64 s[6:7], 0, v7
                                        ; implicit-def: $vgpr8
	s_and_saveexec_b64 s[10:11], s[6:7]
; %bb.20:                               ;   in Loop: Header=BB81_16 Depth=2
	s_bcnt1_i32_b64 s6, s[12:13]
	s_mul_i32 s6, s20, s6
	v_mov_b32_e32 v8, s6
	ds_add_rtn_u32 v8, v20, v8 offset:4112
; %bb.21:                               ;   in Loop: Header=BB81_16 Depth=2
	s_or_b64 exec, exec, s[10:11]
	s_waitcnt lgkmcnt(0)
	v_readfirstlane_b32 s6, v8
	v_mov_b32_e32 v8, s6
	v_mad_u32_u24 v7, s20, v7, v8
.LBB81_22:                              ;   in Loop: Header=BB81_16 Depth=2
	s_or_b64 exec, exec, s[30:31]
	ds_bpermute_b32 v7, v21, v7
	s_and_b64 s[6:7], exec, vcc
	s_or_b64 s[28:29], s[6:7], s[28:29]
	s_and_saveexec_b64 s[6:7], s[22:23]
	s_cbranch_execz .LBB81_15
; %bb.23:                               ;   in Loop: Header=BB81_16 Depth=2
	v_and_b32_e32 v9, s22, v23
	v_and_b32_e32 v8, s23, v22
	v_bcnt_u32_b32 v9, v9, 0
	v_bcnt_u32_b32 v8, v8, v9
	s_waitcnt lgkmcnt(0)
	v_add_u32_e32 v7, v7, v8
	ds_write_b8 v7, v4
	s_branch .LBB81_15
.LBB81_24:                              ;   in Loop: Header=BB81_11 Depth=1
	s_mov_b64 s[26:27], -1
	s_mov_b64 s[6:7], 0
.LBB81_25:                              ;   in Loop: Header=BB81_11 Depth=1
	s_and_b64 vcc, exec, s[26:27]
	s_cbranch_vccz .LBB81_54
.LBB81_26:                              ;   in Loop: Header=BB81_11 Depth=1
	s_mov_b64 s[22:23], exec
	v_readlane_b32 s6, v52, 13
	v_readlane_b32 s7, v52, 14
	s_and_b64 s[6:7], s[22:23], s[6:7]
	s_mov_b64 exec, s[6:7]
	s_cbranch_execz .LBB81_51
; %bb.27:                               ;   in Loop: Header=BB81_11 Depth=1
	v_readlane_b32 s6, v52, 17
	v_readlane_b32 s7, v52, 18
	s_nop 4
	global_load_ushort v1, v20, s[6:7]
	global_load_ubyte v43, v[13:14], off
	v_mov_b32_e32 v2, v0
	s_waitcnt vmcnt(1)
	v_readfirstlane_b32 s10, v1
	v_add_u32_e32 v1, v0, v1
	v_cmp_gt_u32_e32 vcc, s36, v1
	s_and_saveexec_b64 s[26:27], vcc
	s_cbranch_execz .LBB81_50
; %bb.28:                               ;   in Loop: Header=BB81_11 Depth=1
	s_mov_b64 s[6:7], 0
	s_mul_i32 s11, s38, s10
                                        ; implicit-def: $vgpr2
                                        ; implicit-def: $vgpr5
                                        ; implicit-def: $vgpr3
                                        ; implicit-def: $vgpr4
	s_mov_b64 s[12:13], exec
	v_readlane_b32 s20, v52, 19
	v_readlane_b32 s21, v52, 20
	s_and_b64 s[20:21], s[12:13], s[20:21]
	s_xor_b64 s[28:29], s[20:21], s[12:13]
	s_mov_b64 exec, s[20:21]
	s_cbranch_execnz .LBB81_34
; %bb.29:                               ;   in Loop: Header=BB81_11 Depth=1
	s_andn2_saveexec_b64 s[28:29], s[28:29]
	s_cbranch_execnz .LBB81_45
.LBB81_30:                              ;   in Loop: Header=BB81_11 Depth=1
	s_or_b64 exec, exec, s[28:29]
	s_and_saveexec_b64 s[28:29], s[6:7]
	s_cbranch_execnz .LBB81_46
	s_branch .LBB81_49
.LBB81_31:                              ;   in Loop: Header=BB81_11 Depth=1
	s_or_b64 exec, exec, s[28:29]
	s_waitcnt lgkmcnt(0)
	s_barrier
	s_and_saveexec_b64 s[6:7], s[0:1]
	s_cbranch_execz .LBB81_33
; %bb.32:                               ;   in Loop: Header=BB81_11 Depth=1
	ds_read_b32 v1, v20 offset:4112
	s_waitcnt lgkmcnt(0)
	ds_write_b32 v20, v1 offset:4104
.LBB81_33:                              ;   in Loop: Header=BB81_11 Depth=1
	s_or_b64 exec, exec, s[6:7]
	s_waitcnt lgkmcnt(0)
	s_barrier
	s_mov_b64 s[6:7], -1
	s_and_b64 vcc, exec, s[26:27]
	s_cbranch_vccnz .LBB81_26
	s_branch .LBB81_54
.LBB81_34:                              ;   in Loop: Header=BB81_11 Depth=1
	v_cvt_f32_u32_e32 v2, s10
	s_sub_i32 s7, 0, s10
	v_add_u32_e32 v4, s10, v1
	v_max_u32_e32 v4, s36, v4
	v_rcp_iflag_f32_e32 v2, v2
	s_lshl_b32 s6, s10, 1
	v_sub_u32_e32 v4, v4, v0
	v_cmp_ne_u32_e32 vcc, s6, v4
	v_mul_f32_e32 v2, 0x4f7ffffe, v2
	v_cvt_u32_f32_e32 v2, v2
	v_cndmask_b32_e64 v5, 0, 1, vcc
	v_or_b32_e32 v5, s6, v5
	v_sub_u32_e32 v4, v4, v5
	v_mul_lo_u32 v3, s7, v2
	s_not_b32 s6, s11
	s_ashr_i32 s20, s6, 31
	s_abs_i32 s12, s11
	v_mul_hi_u32 v3, v2, v3
	s_cmp_eq_u32 s10, 1
	s_mov_b64 s[30:31], -1
	v_add_u32_e32 v2, v2, v3
	v_mul_hi_u32 v2, v4, v2
	v_mul_lo_u32 v3, s38, v1
	v_mul_lo_u32 v5, v2, s10
	v_add_u32_e32 v6, 1, v2
	v_xor_b32_e32 v3, s20, v3
	v_sub_u32_e32 v4, v4, v5
	v_cmp_le_u32_e64 s[6:7], s10, v4
	v_subrev_u32_e32 v5, s10, v4
	v_cndmask_b32_e64 v2, v2, v6, s[6:7]
	v_cndmask_b32_e64 v4, v4, v5, s[6:7]
	v_add_u32_e32 v5, 1, v2
	v_cmp_le_u32_e64 s[6:7], s10, v4
	v_cndmask_b32_e64 v2, v2, v5, s[6:7]
	v_addc_co_u32_e32 v2, vcc, 0, v2, vcc
	v_mul_hi_u32 v4, s12, v2
	v_mul_lo_u32 v2, s12, v2
	s_cselect_b64 s[12:13], -1, 0
	v_cmp_eq_u32_e32 vcc, 0, v4
	v_cmp_le_u32_e64 s[6:7], v2, v3
	s_and_b64 s[12:13], vcc, s[12:13]
	s_and_b64 s[12:13], s[12:13], s[6:7]
	v_mov_b32_e32 v3, v0
                                        ; implicit-def: $vgpr2
	s_and_saveexec_b64 s[6:7], s[12:13]
	s_cbranch_execz .LBB81_44
; %bb.35:                               ;   in Loop: Header=BB81_11 Depth=1
	v_add_u32_e32 v4, 3, v1
	v_add_u32_e32 v3, 2, v1
	;; [unrolled: 1-line block ×3, first 2 shown]
	v_mov_b32_e32 v8, v4
	s_waitcnt vmcnt(0)
	v_lshlrev_b32_e32 v44, 24, v43
	v_mov_b32_e32 v9, 0
	v_mov_b32_e32 v7, v3
	;; [unrolled: 1-line block ×4, first 2 shown]
                                        ; implicit-def: $vgpr43
	s_mov_b64 s[72:73], exec
	v_readlane_b32 s12, v52, 21
	v_readlane_b32 s13, v52, 22
	s_and_b64 s[12:13], s[72:73], s[12:13]
	s_mov_b64 exec, s[12:13]
	s_cbranch_execz .LBB81_39
; %bb.36:                               ;   in Loop: Header=BB81_11 Depth=1
	v_mov_b32_e32 v8, v4
	s_mov_b32 s12, 0
	s_mov_b64 s[74:75], 0
	v_mov_b32_e32 v42, v27
	v_mov_b32_e32 v7, v3
	v_mov_b32_e32 v6, v2
	v_mov_b32_e32 v5, v1
.LBB81_37:                              ;   Parent Loop BB81_11 Depth=1
                                        ; =>  This Inner Loop Header: Depth=2
	v_mul_lo_u32 v2, v5, s8
	v_mul_lo_u32 v9, v6, s9
	;; [unrolled: 1-line block ×3, first 2 shown]
	v_mov_b32_e32 v12, s41
	v_add_co_u32_e32 v2, vcc, s40, v2
	v_addc_co_u32_e32 v3, vcc, 0, v12, vcc
	v_mul_lo_u32 v4, v8, s44
	v_add_co_u32_e32 v9, vcc, s40, v9
	v_addc_co_u32_e32 v10, vcc, 0, v12, vcc
	v_add_co_u32_e32 v45, vcc, s40, v11
	v_addc_co_u32_e32 v46, vcc, 0, v12, vcc
	v_add_co_u32_e32 v47, vcc, s40, v4
	global_load_ubyte v4, v[45:46], off
	s_nop 0
	global_load_ubyte v9, v[9:10], off
	v_add_u32_e32 v10, 4, v7
	global_load_ubyte v2, v[2:3], off
	v_add_u32_e32 v3, 4, v6
	v_mul_lo_u32 v43, v10, s37
	v_mul_lo_u32 v10, v3, s9
	v_addc_co_u32_e32 v48, vcc, 0, v12, vcc
	v_add_u32_e32 v11, 4, v8
	v_mul_lo_u32 v45, v11, s44
	v_add_u32_e32 v42, -4, v42
	s_waitcnt vmcnt(1)
	v_perm_b32 v4, v9, v4, s33
	s_waitcnt vmcnt(0)
	v_perm_b32 v2, v44, v2, s49
	v_lshl_or_b32 v9, v4, 16, v2
	v_add_u32_e32 v2, 4, v5
	v_mul_lo_u32 v2, v2, s8
	v_add_u32_e32 v4, s12, v0
	s_add_i32 s12, s12, 16
	v_add_co_u32_e32 v2, vcc, s40, v2
	v_addc_co_u32_e32 v3, vcc, 0, v12, vcc
	v_add_co_u32_e32 v10, vcc, s40, v10
	v_addc_co_u32_e32 v11, vcc, 0, v12, vcc
	;; [unrolled: 2-line block ×3, first 2 shown]
	global_load_ubyte v47, v[47:48], off
	s_nop 0
	global_load_ubyte v2, v[2:3], off
	s_nop 0
	;; [unrolled: 2-line block ×3, first 2 shown]
	global_load_ubyte v10, v[10:11], off
	v_add_co_u32_e32 v45, vcc, s40, v45
	v_addc_co_u32_e32 v46, vcc, 0, v12, vcc
	v_add_u32_e32 v11, 8, v7
	v_add_u32_e32 v43, 8, v8
	v_mul_lo_u32 v51, v43, s44
	v_mul_lo_u32 v11, v11, s37
	s_waitcnt vmcnt(2)
	v_perm_b32 v2, v47, v2, s33
	s_waitcnt vmcnt(0)
	v_perm_b32 v3, v10, v3, s33
	v_lshl_or_b32 v10, v3, 16, v2
	v_add_u32_e32 v2, 8, v5
	v_mul_lo_u32 v2, v2, s8
	v_add_u32_e32 v3, 8, v6
	v_mul_lo_u32 v3, v3, s9
	v_add_co_u32_e32 v43, vcc, s40, v2
	v_addc_co_u32_e32 v44, vcc, 0, v12, vcc
	v_add_co_u32_e32 v47, vcc, s40, v3
	v_addc_co_u32_e32 v48, vcc, 0, v12, vcc
	v_add_co_u32_e32 v49, vcc, s40, v11
	global_load_ubyte v11, v[43:44], off
	s_nop 0
	global_load_ubyte v43, v[45:46], off
	v_addc_co_u32_e32 v50, vcc, 0, v12, vcc
	v_add_u32_e32 v46, 12, v8
	v_add_co_u32_e32 v2, vcc, s40, v51
	v_addc_co_u32_e32 v3, vcc, 0, v12, vcc
	v_add_u32_e32 v45, 12, v7
	v_add_u32_e32 v8, 16, v8
	;; [unrolled: 1-line block ×3, first 2 shown]
	s_waitcnt vmcnt(0)
	v_perm_b32 v11, v43, v11, s33
	global_load_ubyte v43, v[49:50], off
	global_load_ubyte v44, v[47:48], off
	v_mul_lo_u32 v50, v46, s44
	v_mul_lo_u32 v48, v45, s37
	s_waitcnt vmcnt(0)
	v_perm_b32 v43, v44, v43, s33
	v_lshl_or_b32 v11, v43, 16, v11
	v_add_u32_e32 v43, 12, v5
	v_mul_lo_u32 v43, v43, s8
	v_add_u32_e32 v44, 12, v6
	v_mul_lo_u32 v46, v44, s9
	v_add_u32_e32 v6, 16, v6
	v_add_co_u32_e32 v44, vcc, s40, v43
	v_addc_co_u32_e32 v45, vcc, 0, v12, vcc
	v_add_co_u32_e32 v46, vcc, s40, v46
	v_addc_co_u32_e32 v47, vcc, 0, v12, vcc
	;; [unrolled: 2-line block ×4, first 2 shown]
	global_load_ubyte v43, v[50:51], off
	global_load_ubyte v12, v[46:47], off
	s_nop 0
	global_load_ubyte v45, v[44:45], off
	v_cmp_eq_u32_e32 vcc, 0, v42
	global_load_ubyte v46, v[48:49], off
	v_add_u32_e32 v5, 16, v5
	global_load_ubyte v2, v[2:3], off
	s_or_b64 s[74:75], vcc, s[74:75]
	s_waitcnt vmcnt(2)
	v_perm_b32 v44, v45, v12, s33
	s_waitcnt vmcnt(1)
	v_perm_b32 v3, v12, v46, s33
	v_perm_b32 v47, v46, v43, s33
	s_waitcnt vmcnt(0)
	v_perm_b32 v2, v2, v45, s33
	v_lshl_or_b32 v12, v3, 16, v2
	v_lshl_or_b32 v44, v47, 16, v44
	ds_write_b128 v4, v[9:12]
	v_mov_b32_e32 v9, s12
	s_andn2_b64 exec, exec, s[74:75]
	s_cbranch_execnz .LBB81_37
; %bb.38:                               ;   in Loop: Header=BB81_11 Depth=1
	s_or_b64 exec, exec, s[74:75]
.LBB81_39:                              ;   in Loop: Header=BB81_11 Depth=1
	s_or_b64 exec, exec, s[72:73]
	s_mov_b64 s[30:31], exec
	v_readlane_b32 s12, v52, 23
	v_readlane_b32 s13, v52, 24
	s_and_b64 s[12:13], s[30:31], s[12:13]
	s_mov_b64 exec, s[12:13]
	s_cbranch_execz .LBB81_43
; %bb.40:                               ;   in Loop: Header=BB81_11 Depth=1
	v_add_u32_e32 v2, v0, v9
	s_mov_b64 s[34:35], 0
	v_mov_b32_e32 v3, v29
.LBB81_41:                              ;   Parent Loop BB81_11 Depth=1
                                        ; =>  This Inner Loop Header: Depth=2
	v_mul_lo_u32 v9, v5, s8
	v_mul_lo_u32 v11, v6, s9
	;; [unrolled: 1-line block ×3, first 2 shown]
	v_mov_b32_e32 v46, s41
	v_add_co_u32_e32 v9, vcc, s40, v9
	v_addc_co_u32_e32 v10, vcc, 0, v46, vcc
	v_mul_lo_u32 v4, v8, s44
	v_add_co_u32_e32 v11, vcc, s40, v11
	v_addc_co_u32_e32 v12, vcc, 0, v46, vcc
	v_add_co_u32_e32 v42, vcc, s40, v42
	v_addc_co_u32_e32 v43, vcc, 0, v46, vcc
	;; [unrolled: 2-line block ×3, first 2 shown]
	global_load_ubyte v4, v[11:12], off
	s_nop 0
	global_load_ubyte v11, v[42:43], off
	s_nop 0
	;; [unrolled: 2-line block ×3, first 2 shown]
	global_load_ubyte v9, v[9:10], off
	v_add_u32_e32 v3, -4, v3
	v_cmp_eq_u32_e32 vcc, 0, v3
	v_add_u32_e32 v8, 4, v8
	v_add_u32_e32 v7, 4, v7
	;; [unrolled: 1-line block ×4, first 2 shown]
	s_or_b64 s[34:35], vcc, s[34:35]
	s_waitcnt vmcnt(1)
	v_perm_b32 v12, v11, v43, s33
	s_waitcnt vmcnt(0)
	v_perm_b32 v10, v9, v4, s33
	v_perm_b32 v4, v4, v11, s33
	;; [unrolled: 1-line block ×3, first 2 shown]
	v_lshl_or_b32 v4, v4, 16, v9
	v_lshl_or_b32 v44, v12, 16, v10
	ds_write_b32 v2, v4
	v_add_u32_e32 v2, 4, v2
	s_andn2_b64 exec, exec, s[34:35]
	s_cbranch_execnz .LBB81_41
; %bb.42:                               ;   in Loop: Header=BB81_11 Depth=1
	s_or_b64 exec, exec, s[34:35]
.LBB81_43:                              ;   in Loop: Header=BB81_11 Depth=1
	s_or_b64 exec, exec, s[30:31]
	v_readlane_b32 s12, v52, 25
	v_add_u32_e32 v1, v1, v25
	v_readlane_b32 s13, v52, 26
	v_add_u32_e32 v2, -1, v1
	s_orn2_b64 s[30:31], s[12:13], exec
	v_mov_b32_e32 v3, v26
.LBB81_44:                              ;   in Loop: Header=BB81_11 Depth=1
	s_or_b64 exec, exec, s[6:7]
	v_mov_b32_e32 v4, s11
	s_and_b64 s[6:7], s[30:31], exec
	s_waitcnt vmcnt(0)
	v_mov_b32_e32 v5, v43
	s_andn2_saveexec_b64 s[28:29], s[28:29]
	s_cbranch_execz .LBB81_30
.LBB81_45:                              ;   in Loop: Header=BB81_11 Depth=1
	v_mov_b32_e32 v4, s11
	s_or_b64 s[6:7], s[6:7], exec
	s_waitcnt vmcnt(0)
	v_mov_b32_e32 v5, v43
	v_mov_b32_e32 v3, v0
	s_or_b64 exec, exec, s[28:29]
	s_and_saveexec_b64 s[28:29], s[6:7]
	s_cbranch_execz .LBB81_49
.LBB81_46:                              ;   in Loop: Header=BB81_11 Depth=1
	v_mul_lo_u32 v2, s38, v1
	s_sub_i32 s11, 0, s10
	s_mov_b64 s[6:7], 0
.LBB81_47:                              ;   Parent Loop BB81_11 Depth=1
                                        ; =>  This Inner Loop Header: Depth=2
	global_load_ubyte v43, v2, s[40:41]
	v_mov_b32_e32 v6, v1
	v_add_u32_e32 v1, s10, v6
	v_cmp_le_u32_e32 vcc, s36, v1
	ds_write_b8 v3, v5
	v_add_u32_e32 v2, v2, v4
	v_mov_b32_e32 v3, v6
	s_or_b64 s[6:7], vcc, s[6:7]
	s_waitcnt vmcnt(0)
	v_mov_b32_e32 v5, v43
	s_andn2_b64 exec, exec, s[6:7]
	s_cbranch_execnz .LBB81_47
; %bb.48:                               ;   in Loop: Header=BB81_11 Depth=1
	s_or_b64 exec, exec, s[6:7]
	v_add_u32_e32 v2, s11, v1
.LBB81_49:                              ;   in Loop: Header=BB81_11 Depth=1
	s_or_b64 exec, exec, s[28:29]
.LBB81_50:                              ;   in Loop: Header=BB81_11 Depth=1
	s_or_b64 exec, exec, s[26:27]
	s_waitcnt vmcnt(0)
	ds_write_b8 v2, v43
.LBB81_51:                              ;   in Loop: Header=BB81_11 Depth=1
	s_or_b64 exec, exec, s[22:23]
	s_waitcnt lgkmcnt(0)
	s_barrier
	s_and_saveexec_b64 s[6:7], s[0:1]
; %bb.52:                               ;   in Loop: Header=BB81_11 Depth=1
	v_mov_b32_e32 v1, s36
	ds_write_b32 v20, v1 offset:4104
; %bb.53:                               ;   in Loop: Header=BB81_11 Depth=1
	s_or_b64 exec, exec, s[6:7]
	s_mov_b64 s[6:7], -1
	s_waitcnt lgkmcnt(0)
	s_barrier
.LBB81_54:                              ;   in Loop: Header=BB81_11 Depth=1
	s_mov_b32 s12, 0
	s_and_b64 vcc, exec, s[6:7]
	s_cbranch_vccz .LBB81_56
; %bb.55:                               ;   in Loop: Header=BB81_11 Depth=1
	ds_read_b32 v1, v20 offset:4104
	s_waitcnt lgkmcnt(0)
	v_readfirstlane_b32 s12, v1
.LBB81_56:                              ;   in Loop: Header=BB81_11 Depth=1
	s_cmp_lt_i32 s12, 1
	s_mov_b64 s[6:7], -1
                                        ; implicit-def: $vgpr4
	s_cbranch_scc1 .LBB81_66
; %bb.57:                               ;   in Loop: Header=BB81_11 Depth=1
	s_and_b64 vcc, exec, s[6:7]
	s_cbranch_vccnz .LBB81_77
.LBB81_58:                              ;   in Loop: Header=BB81_11 Depth=1
	s_lshl_b32 s10, s52, 6
	s_and_saveexec_b64 s[6:7], s[4:5]
.LBB81_59:                              ;   in Loop: Header=BB81_11 Depth=1
	v_lshl_add_u32 v5, s10, 2, v24
	ds_write_b128 v5, v[1:4]
.LBB81_60:                              ;   in Loop: Header=BB81_11 Depth=1
	s_or_b64 exec, exec, s[6:7]
	s_waitcnt lgkmcnt(0)
	s_barrier
	s_and_saveexec_b64 s[6:7], s[46:47]
	s_cbranch_execz .LBB81_91
; %bb.61:                               ;   in Loop: Header=BB81_11 Depth=1
	s_andn2_b64 vcc, exec, s[50:51]
	v_mov_b32_e32 v1, 0
	s_cbranch_vccnz .LBB81_90
; %bb.62:                               ;   in Loop: Header=BB81_11 Depth=1
	v_readlane_b32 s12, v52, 27
	v_readlane_b32 s13, v52, 28
	s_andn2_b64 vcc, exec, s[12:13]
	s_cbranch_vccnz .LBB81_86
; %bb.63:                               ;   in Loop: Header=BB81_11 Depth=1
	v_lshl_add_u32 v2, s52, 8, v36
	s_mov_b32 s11, 0
	v_mov_b32_e32 v1, 0
.LBB81_64:                              ;   Parent Loop BB81_11 Depth=1
                                        ; =>  This Inner Loop Header: Depth=2
	ds_read2_b32 v[3:4], v2 offset1:4
	ds_read2_b32 v[5:6], v2 offset0:8 offset1:12
	ds_read2_b32 v[7:8], v2 offset0:16 offset1:20
	;; [unrolled: 1-line block ×3, first 2 shown]
	s_add_i32 s11, s11, 8
	s_waitcnt lgkmcnt(3)
	v_add3_u32 v1, v3, v1, v4
	s_waitcnt lgkmcnt(2)
	v_add3_u32 v1, v5, v1, v6
	;; [unrolled: 2-line block ×3, first 2 shown]
	v_add_u32_e32 v2, 0x80, v2
	s_cmp_eq_u32 s2, s11
	s_waitcnt lgkmcnt(0)
	v_add3_u32 v1, v9, v1, v10
	s_cbranch_scc0 .LBB81_64
; %bb.65:                               ;   in Loop: Header=BB81_11 Depth=1
	s_mov_b32 s11, s2
	s_branch .LBB81_87
.LBB81_66:                              ;   in Loop: Header=BB81_11 Depth=1
	v_mov_b32_e32 v1, 0
	v_mov_b32_e32 v2, 0
	;; [unrolled: 1-line block ×4, first 2 shown]
	s_and_saveexec_b64 s[72:73], s[16:17]
	s_cbranch_execz .LBB81_70
; %bb.67:                               ;   in Loop: Header=BB81_11 Depth=1
	s_mov_b32 s10, 0
	s_mov_b64 s[74:75], 0
	s_mov_b32 s11, 0
	s_mov_b32 s13, 0
	;; [unrolled: 1-line block ×4, first 2 shown]
	v_mov_b32_e32 v5, v18
.LBB81_68:                              ;   Parent Loop BB81_11 Depth=1
                                        ; =>  This Inner Loop Header: Depth=2
	v_add_u32_e32 v1, s10, v34
	global_load_sbyte v1, v1, s[40:41]
	v_add_u32_e32 v2, s10, v30
	global_load_sbyte v2, v2, s[40:41]
	;; [unrolled: 2-line block ×4, first 2 shown]
	v_add_u32_e32 v5, s14, v5
	s_add_i32 s10, s10, s56
	s_waitcnt vmcnt(3)
	v_add_u32_e32 v1, 0x80, v1
	v_and_b32_e32 v6, v1, v39
	s_waitcnt vmcnt(2)
	v_add_u32_e32 v2, 0x80, v2
	v_bfe_u32 v1, v1, v37, 2
	s_waitcnt vmcnt(1)
	v_add_u32_e32 v3, 0x80, v3
	v_cmp_eq_u32_e32 vcc, v6, v33
	v_and_b32_e32 v6, v2, v39
	v_bfe_u32 v2, v2, v37, 2
	v_cmp_eq_u32_e64 s[28:29], 0, v1
	s_waitcnt vmcnt(0)
	v_add_u32_e32 v4, 0x80, v4
	v_cmp_eq_u32_e64 s[6:7], v6, v33
	v_and_b32_e32 v6, v3, v39
	v_bfe_u32 v3, v3, v37, 2
	s_and_b64 s[30:31], vcc, s[28:29]
	v_cmp_eq_u32_e64 s[28:29], 0, v2
	v_cmp_eq_u32_e64 s[22:23], v6, v33
	v_and_b32_e32 v6, v4, v39
	v_bfe_u32 v4, v4, v37, 2
	s_and_b64 s[34:35], s[6:7], s[28:29]
	v_cmp_eq_u32_e64 s[28:29], 0, v3
	v_cmp_eq_u32_e64 s[26:27], v6, v33
	s_and_b64 s[42:43], s[22:23], s[28:29]
	v_cmp_eq_u32_e64 s[28:29], 0, v4
	v_cndmask_b32_e64 v6, 0, 1, s[30:31]
	s_and_b64 s[48:49], s[26:27], s[28:29]
	v_cmp_ne_u32_e64 s[28:29], 0, v6
	v_cndmask_b32_e64 v6, 0, 1, s[34:35]
	s_bcnt1_i32_b64 s30, s[28:29]
	v_cmp_ne_u32_e64 s[28:29], 0, v6
	v_cndmask_b32_e64 v6, 0, 1, s[42:43]
	s_bcnt1_i32_b64 s31, s[28:29]
	v_cmp_ne_u32_e64 s[28:29], 0, v6
	v_cndmask_b32_e64 v6, 0, 1, s[48:49]
	s_add_i32 s21, s21, s30
	s_bcnt1_i32_b64 s34, s[28:29]
	v_cmp_ne_u32_e64 s[28:29], 0, v6
	s_add_i32 s21, s21, s31
	s_bcnt1_i32_b64 s28, s[28:29]
	s_add_i32 s21, s21, s34
	s_add_i32 s21, s21, s28
	v_cmp_eq_u32_e64 s[28:29], 1, v1
	s_and_b64 s[30:31], vcc, s[28:29]
	v_cmp_eq_u32_e64 s[28:29], 1, v2
	s_and_b64 s[34:35], s[6:7], s[28:29]
	v_cmp_eq_u32_e64 s[28:29], 1, v3
	s_and_b64 s[42:43], s[22:23], s[28:29]
	v_cmp_eq_u32_e64 s[28:29], 1, v4
	v_cndmask_b32_e64 v6, 0, 1, s[30:31]
	s_and_b64 s[48:49], s[26:27], s[28:29]
	v_cmp_ne_u32_e64 s[28:29], 0, v6
	v_cndmask_b32_e64 v6, 0, 1, s[34:35]
	s_bcnt1_i32_b64 s30, s[28:29]
	v_cmp_ne_u32_e64 s[28:29], 0, v6
	v_cndmask_b32_e64 v6, 0, 1, s[42:43]
	s_bcnt1_i32_b64 s31, s[28:29]
	v_cmp_ne_u32_e64 s[28:29], 0, v6
	v_cndmask_b32_e64 v6, 0, 1, s[48:49]
	s_add_i32 s20, s20, s30
	s_bcnt1_i32_b64 s34, s[28:29]
	v_cmp_ne_u32_e64 s[28:29], 0, v6
	s_add_i32 s20, s20, s31
	s_bcnt1_i32_b64 s28, s[28:29]
	s_add_i32 s20, s20, s34
	s_add_i32 s20, s20, s28
	v_cmp_eq_u32_e64 s[28:29], 2, v1
	s_and_b64 s[30:31], vcc, s[28:29]
	v_cmp_eq_u32_e64 s[28:29], 2, v2
	s_and_b64 s[34:35], s[6:7], s[28:29]
	v_cmp_eq_u32_e64 s[28:29], 2, v3
	s_and_b64 s[42:43], s[22:23], s[28:29]
	v_cmp_eq_u32_e64 s[28:29], 2, v4
	v_cndmask_b32_e64 v6, 0, 1, s[30:31]
	s_and_b64 s[48:49], s[26:27], s[28:29]
	v_cmp_ne_u32_e64 s[28:29], 0, v6
	v_cndmask_b32_e64 v6, 0, 1, s[34:35]
	s_bcnt1_i32_b64 s30, s[28:29]
	v_cmp_ne_u32_e64 s[28:29], 0, v6
	v_cndmask_b32_e64 v6, 0, 1, s[42:43]
	s_bcnt1_i32_b64 s31, s[28:29]
	v_cmp_ne_u32_e64 s[28:29], 0, v6
	v_cndmask_b32_e64 v6, 0, 1, s[48:49]
	s_add_i32 s13, s13, s30
	s_bcnt1_i32_b64 s34, s[28:29]
	v_cmp_ne_u32_e64 s[28:29], 0, v6
	s_add_i32 s13, s13, s31
	s_bcnt1_i32_b64 s28, s[28:29]
	s_add_i32 s13, s13, s34
	s_add_i32 s13, s13, s28
	v_cmp_eq_u32_e64 s[28:29], 3, v1
	s_and_b64 s[28:29], vcc, s[28:29]
	v_cmp_eq_u32_e32 vcc, 3, v2
	s_and_b64 s[6:7], s[6:7], vcc
	v_cmp_eq_u32_e32 vcc, 3, v3
	s_and_b64 s[22:23], s[22:23], vcc
	v_cmp_eq_u32_e32 vcc, 3, v4
	v_cndmask_b32_e64 v1, 0, 1, s[28:29]
	s_and_b64 s[26:27], s[26:27], vcc
	v_cmp_ne_u32_e32 vcc, 0, v1
	v_cndmask_b32_e64 v1, 0, 1, s[6:7]
	s_bcnt1_i32_b64 s28, vcc
	v_cmp_ne_u32_e32 vcc, 0, v1
	v_cndmask_b32_e64 v1, 0, 1, s[22:23]
	s_bcnt1_i32_b64 s6, vcc
	v_cmp_ne_u32_e32 vcc, 0, v1
	v_cndmask_b32_e64 v1, 0, 1, s[26:27]
	s_add_i32 s11, s11, s28
	s_bcnt1_i32_b64 s7, vcc
	v_cmp_ne_u32_e32 vcc, 0, v1
	s_add_i32 s6, s11, s6
	s_bcnt1_i32_b64 s22, vcc
	s_add_i32 s6, s6, s7
	s_add_i32 s11, s6, s22
	v_cmp_le_u32_e32 vcc, s53, v5
	s_or_b64 s[74:75], vcc, s[74:75]
	v_mov_b32_e32 v1, s21
	v_mov_b32_e32 v2, s20
	v_mov_b32_e32 v3, s13
	v_mov_b32_e32 v4, s11
	s_andn2_b64 exec, exec, s[74:75]
	s_cbranch_execnz .LBB81_68
; %bb.69:                               ;   in Loop: Header=BB81_11 Depth=1
	s_or_b64 exec, exec, s[74:75]
	s_mov_b32 s49, 0xc0c0007
.LBB81_70:                              ;   in Loop: Header=BB81_11 Depth=1
	s_or_b64 exec, exec, s[72:73]
	s_and_saveexec_b64 s[22:23], s[18:19]
	s_cbranch_execz .LBB81_76
; %bb.71:                               ;   in Loop: Header=BB81_11 Depth=1
	global_load_ubyte v8, v[15:16], off
	s_mov_b64 s[26:27], 0
	v_mov_b32_e32 v5, v35
	v_mov_b32_e32 v6, v28
	s_branch .LBB81_73
.LBB81_72:                              ;   in Loop: Header=BB81_73 Depth=2
	s_or_b64 exec, exec, s[10:11]
	s_waitcnt vmcnt(0)
	v_add_u32_sdwa v8, sext(v8), s57 dst_sel:DWORD dst_unused:UNUSED_PAD src0_sel:BYTE_0 src1_sel:DWORD
	s_and_b64 s[6:7], exec, vcc
	v_and_b32_e32 v9, v8, v39
	v_bfe_u32 v8, v8, v37, 2
	s_or_b64 s[26:27], s[6:7], s[26:27]
	v_cmp_eq_u32_e32 vcc, v9, v33
	v_cmp_eq_u32_e64 s[6:7], 0, v8
	s_and_b64 s[6:7], vcc, s[6:7]
	v_cndmask_b32_e64 v9, 0, 1, s[6:7]
	v_cmp_ne_u32_e64 s[6:7], 0, v9
	s_bcnt1_i32_b64 s6, s[6:7]
	v_add_u32_e32 v1, s6, v1
	v_cmp_eq_u32_e64 s[6:7], 1, v8
	s_and_b64 s[6:7], vcc, s[6:7]
	v_cndmask_b32_e64 v9, 0, 1, s[6:7]
	v_cmp_ne_u32_e64 s[6:7], 0, v9
	s_bcnt1_i32_b64 s6, s[6:7]
	v_add_u32_e32 v2, s6, v2
	;; [unrolled: 6-line block ×3, first 2 shown]
	v_cmp_eq_u32_e64 s[6:7], 3, v8
	s_and_b64 s[6:7], vcc, s[6:7]
	v_cndmask_b32_e64 v8, 0, 1, s[6:7]
	v_cmp_ne_u32_e32 vcc, 0, v8
	s_bcnt1_i32_b64 s6, vcc
	v_add_u32_e32 v4, s6, v4
	v_add_u32_e32 v5, s39, v5
	v_mov_b32_e32 v8, v7
	s_andn2_b64 exec, exec, s[26:27]
	s_cbranch_execz .LBB81_75
.LBB81_73:                              ;   Parent Loop BB81_11 Depth=1
                                        ; =>  This Inner Loop Header: Depth=2
	v_add_u32_e32 v6, s45, v6
	v_cmp_gt_u32_e64 s[6:7], s36, v6
	v_cmp_le_u32_e32 vcc, s36, v6
	v_mov_b32_e32 v7, 0
	s_and_saveexec_b64 s[10:11], s[6:7]
	s_cbranch_execz .LBB81_72
; %bb.74:                               ;   in Loop: Header=BB81_73 Depth=2
	global_load_ubyte v7, v5, s[40:41]
	s_branch .LBB81_72
.LBB81_75:                              ;   in Loop: Header=BB81_11 Depth=1
	s_or_b64 exec, exec, s[26:27]
.LBB81_76:                              ;   in Loop: Header=BB81_11 Depth=1
	s_or_b64 exec, exec, s[22:23]
	s_branch .LBB81_58
.LBB81_77:                              ;   in Loop: Header=BB81_11 Depth=1
	s_mul_hi_u32 s6, s12, s3
	s_mul_i32 s6, s6, s14
	s_sub_i32 s6, s12, s6
	s_sub_i32 s7, s6, s14
	s_cmp_ge_u32 s6, s14
	s_cselect_b32 s6, s7, s6
	s_sub_i32 s7, s6, s14
	s_cmp_ge_u32 s6, s14
	s_cselect_b32 s6, s7, s6
	s_sub_i32 s10, s12, s6
	v_cmp_gt_u32_e32 vcc, s10, v18
	v_mov_b32_e32 v1, 0
	v_mov_b32_e32 v2, 0
	;; [unrolled: 1-line block ×4, first 2 shown]
	s_and_saveexec_b64 s[72:73], vcc
	s_cbranch_execz .LBB81_81
; %bb.78:                               ;   in Loop: Header=BB81_11 Depth=1
	s_mov_b32 s11, 0
	s_mov_b64 s[74:75], 0
	s_mov_b32 s13, 0
	s_mov_b32 s20, 0
	;; [unrolled: 1-line block ×3, first 2 shown]
	v_mov_b32_e32 v5, v18
.LBB81_79:                              ;   Parent Loop BB81_11 Depth=1
                                        ; =>  This Inner Loop Header: Depth=2
	ds_read_b32 v1, v5
	v_add_u32_e32 v5, s14, v5
	s_waitcnt lgkmcnt(0)
	v_add_u32_sdwa v2, sext(v1), s57 dst_sel:DWORD dst_unused:UNUSED_PAD src0_sel:BYTE_0 src1_sel:DWORD
	v_add_u32_sdwa v3, sext(v1), s57 dst_sel:DWORD dst_unused:UNUSED_PAD src0_sel:BYTE_1 src1_sel:DWORD
	v_and_b32_e32 v6, v2, v39
	v_bfe_u32 v2, v2, v37, 2
	v_add_u32_sdwa v4, sext(v1), s57 dst_sel:DWORD dst_unused:UNUSED_PAD src0_sel:BYTE_2 src1_sel:DWORD
	v_cmp_eq_u32_e32 vcc, v6, v33
	v_and_b32_e32 v6, v3, v39
	v_bfe_u32 v3, v3, v37, 2
	v_cmp_eq_u32_e64 s[28:29], 0, v2
	v_add_u32_sdwa v1, sext(v1), s57 dst_sel:DWORD dst_unused:UNUSED_PAD src0_sel:BYTE_3 src1_sel:DWORD
	v_cmp_eq_u32_e64 s[6:7], v6, v33
	v_and_b32_e32 v6, v4, v39
	v_bfe_u32 v4, v4, v37, 2
	s_and_b64 s[30:31], vcc, s[28:29]
	v_cmp_eq_u32_e64 s[28:29], 0, v3
	v_cmp_eq_u32_e64 s[22:23], v6, v33
	v_and_b32_e32 v6, v1, v39
	v_bfe_u32 v1, v1, v37, 2
	s_and_b64 s[34:35], s[6:7], s[28:29]
	v_cmp_eq_u32_e64 s[28:29], 0, v4
	v_cmp_eq_u32_e64 s[26:27], v6, v33
	s_and_b64 s[42:43], s[22:23], s[28:29]
	v_cmp_eq_u32_e64 s[28:29], 0, v1
	v_cndmask_b32_e64 v6, 0, 1, s[30:31]
	s_and_b64 s[48:49], s[26:27], s[28:29]
	v_cmp_ne_u32_e64 s[28:29], 0, v6
	v_cndmask_b32_e64 v6, 0, 1, s[34:35]
	s_bcnt1_i32_b64 s30, s[28:29]
	v_cmp_ne_u32_e64 s[28:29], 0, v6
	v_cndmask_b32_e64 v6, 0, 1, s[42:43]
	s_bcnt1_i32_b64 s31, s[28:29]
	v_cmp_ne_u32_e64 s[28:29], 0, v6
	v_cndmask_b32_e64 v6, 0, 1, s[48:49]
	s_add_i32 s21, s21, s30
	s_bcnt1_i32_b64 s34, s[28:29]
	v_cmp_ne_u32_e64 s[28:29], 0, v6
	s_add_i32 s21, s21, s31
	s_bcnt1_i32_b64 s28, s[28:29]
	s_add_i32 s21, s21, s34
	s_add_i32 s21, s21, s28
	v_cmp_eq_u32_e64 s[28:29], 1, v2
	s_and_b64 s[30:31], vcc, s[28:29]
	v_cmp_eq_u32_e64 s[28:29], 1, v3
	s_and_b64 s[34:35], s[6:7], s[28:29]
	v_cmp_eq_u32_e64 s[28:29], 1, v4
	s_and_b64 s[42:43], s[22:23], s[28:29]
	v_cmp_eq_u32_e64 s[28:29], 1, v1
	v_cndmask_b32_e64 v6, 0, 1, s[30:31]
	s_and_b64 s[48:49], s[26:27], s[28:29]
	v_cmp_ne_u32_e64 s[28:29], 0, v6
	v_cndmask_b32_e64 v6, 0, 1, s[34:35]
	s_bcnt1_i32_b64 s30, s[28:29]
	v_cmp_ne_u32_e64 s[28:29], 0, v6
	v_cndmask_b32_e64 v6, 0, 1, s[42:43]
	s_bcnt1_i32_b64 s31, s[28:29]
	v_cmp_ne_u32_e64 s[28:29], 0, v6
	v_cndmask_b32_e64 v6, 0, 1, s[48:49]
	s_add_i32 s20, s20, s30
	s_bcnt1_i32_b64 s34, s[28:29]
	v_cmp_ne_u32_e64 s[28:29], 0, v6
	s_add_i32 s20, s20, s31
	s_bcnt1_i32_b64 s28, s[28:29]
	s_add_i32 s20, s20, s34
	s_add_i32 s20, s20, s28
	v_cmp_eq_u32_e64 s[28:29], 2, v2
	s_and_b64 s[30:31], vcc, s[28:29]
	v_cmp_eq_u32_e64 s[28:29], 2, v3
	s_and_b64 s[34:35], s[6:7], s[28:29]
	v_cmp_eq_u32_e64 s[28:29], 2, v4
	s_and_b64 s[42:43], s[22:23], s[28:29]
	v_cmp_eq_u32_e64 s[28:29], 2, v1
	v_cndmask_b32_e64 v6, 0, 1, s[30:31]
	s_and_b64 s[48:49], s[26:27], s[28:29]
	v_cmp_ne_u32_e64 s[28:29], 0, v6
	v_cndmask_b32_e64 v6, 0, 1, s[34:35]
	s_bcnt1_i32_b64 s30, s[28:29]
	v_cmp_ne_u32_e64 s[28:29], 0, v6
	v_cndmask_b32_e64 v6, 0, 1, s[42:43]
	s_bcnt1_i32_b64 s31, s[28:29]
	v_cmp_ne_u32_e64 s[28:29], 0, v6
	v_cndmask_b32_e64 v6, 0, 1, s[48:49]
	s_add_i32 s13, s13, s30
	s_bcnt1_i32_b64 s34, s[28:29]
	v_cmp_ne_u32_e64 s[28:29], 0, v6
	s_add_i32 s13, s13, s31
	s_bcnt1_i32_b64 s28, s[28:29]
	s_add_i32 s13, s13, s34
	s_add_i32 s13, s13, s28
	v_cmp_eq_u32_e64 s[28:29], 3, v2
	s_and_b64 s[28:29], vcc, s[28:29]
	v_cmp_eq_u32_e32 vcc, 3, v3
	s_and_b64 s[6:7], s[6:7], vcc
	v_cmp_eq_u32_e32 vcc, 3, v4
	s_and_b64 s[22:23], s[22:23], vcc
	v_cmp_eq_u32_e32 vcc, 3, v1
	v_cndmask_b32_e64 v1, 0, 1, s[28:29]
	s_and_b64 s[26:27], s[26:27], vcc
	v_cmp_ne_u32_e32 vcc, 0, v1
	v_cndmask_b32_e64 v1, 0, 1, s[6:7]
	s_bcnt1_i32_b64 s28, vcc
	v_cmp_ne_u32_e32 vcc, 0, v1
	v_cndmask_b32_e64 v1, 0, 1, s[22:23]
	s_bcnt1_i32_b64 s6, vcc
	v_cmp_ne_u32_e32 vcc, 0, v1
	v_cndmask_b32_e64 v1, 0, 1, s[26:27]
	s_add_i32 s11, s11, s28
	s_bcnt1_i32_b64 s7, vcc
	v_cmp_ne_u32_e32 vcc, 0, v1
	s_add_i32 s6, s11, s6
	s_bcnt1_i32_b64 s22, vcc
	s_add_i32 s6, s6, s7
	s_add_i32 s11, s6, s22
	v_cmp_le_u32_e32 vcc, s10, v5
	s_or_b64 s[74:75], vcc, s[74:75]
	v_mov_b32_e32 v1, s21
	v_mov_b32_e32 v2, s20
	;; [unrolled: 1-line block ×4, first 2 shown]
	s_andn2_b64 exec, exec, s[74:75]
	s_cbranch_execnz .LBB81_79
; %bb.80:                               ;   in Loop: Header=BB81_11 Depth=1
	s_or_b64 exec, exec, s[74:75]
	s_mov_b32 s49, 0xc0c0007
.LBB81_81:                              ;   in Loop: Header=BB81_11 Depth=1
	s_or_b64 exec, exec, s[72:73]
	v_add_u32_e32 v5, s10, v0
	v_cmp_gt_u32_e32 vcc, s12, v5
	s_and_saveexec_b64 s[22:23], vcc
	s_cbranch_execz .LBB81_85
; %bb.82:                               ;   in Loop: Header=BB81_11 Depth=1
	s_mov_b64 s[26:27], 0
.LBB81_83:                              ;   Parent Loop BB81_11 Depth=1
                                        ; =>  This Inner Loop Header: Depth=2
	ds_read_i8 v6, v5
	v_add_u32_e32 v5, s45, v5
	s_waitcnt lgkmcnt(0)
	v_add_u32_e32 v6, 0x80, v6
	v_and_b32_e32 v7, v6, v39
	v_bfe_u32 v6, v6, v37, 2
	v_cmp_eq_u32_e32 vcc, v7, v33
	v_cmp_eq_u32_e64 s[6:7], 0, v6
	s_and_b64 s[6:7], vcc, s[6:7]
	v_cndmask_b32_e64 v7, 0, 1, s[6:7]
	v_cmp_ne_u32_e64 s[6:7], 0, v7
	s_bcnt1_i32_b64 s6, s[6:7]
	v_add_u32_e32 v1, s6, v1
	v_cmp_eq_u32_e64 s[6:7], 1, v6
	s_and_b64 s[6:7], vcc, s[6:7]
	v_cndmask_b32_e64 v7, 0, 1, s[6:7]
	v_cmp_ne_u32_e64 s[6:7], 0, v7
	s_bcnt1_i32_b64 s6, s[6:7]
	v_add_u32_e32 v2, s6, v2
	;; [unrolled: 6-line block ×3, first 2 shown]
	v_cmp_eq_u32_e64 s[6:7], 3, v6
	s_and_b64 s[6:7], vcc, s[6:7]
	v_cndmask_b32_e64 v6, 0, 1, s[6:7]
	v_cmp_ne_u32_e32 vcc, 0, v6
	s_bcnt1_i32_b64 s6, vcc
	v_cmp_le_u32_e32 vcc, s12, v5
	v_add_u32_e32 v4, s6, v4
	s_or_b64 s[26:27], vcc, s[26:27]
	s_andn2_b64 exec, exec, s[26:27]
	s_cbranch_execnz .LBB81_83
; %bb.84:                               ;   in Loop: Header=BB81_11 Depth=1
	s_or_b64 exec, exec, s[26:27]
.LBB81_85:                              ;   in Loop: Header=BB81_11 Depth=1
	s_or_b64 exec, exec, s[22:23]
	s_lshl_b32 s10, s52, 6
	s_and_saveexec_b64 s[6:7], s[4:5]
	s_cbranch_execnz .LBB81_59
	s_branch .LBB81_60
.LBB81_86:                              ;   in Loop: Header=BB81_11 Depth=1
	v_mov_b32_e32 v1, 0
	s_mov_b32 s11, 0
.LBB81_87:                              ;   in Loop: Header=BB81_11 Depth=1
	v_readlane_b32 s12, v52, 30
	v_readlane_b32 s13, v52, 31
	s_andn2_b64 vcc, exec, s[12:13]
	s_cbranch_vccnz .LBB81_90
; %bb.88:                               ;   in Loop: Header=BB81_11 Depth=1
	s_lshl_b32 s12, s52, 8
	s_lshl_b32 s11, s11, 4
	s_add_i32 s12, s12, s11
	v_add_u32_e32 v2, s12, v36
	v_readlane_b32 s11, v52, 29
.LBB81_89:                              ;   Parent Loop BB81_11 Depth=1
                                        ; =>  This Inner Loop Header: Depth=2
	ds_read_b32 v3, v2
	s_add_i32 s11, s11, -1
	v_add_u32_e32 v2, 16, v2
	s_cmp_lg_u32 s11, 0
	s_waitcnt lgkmcnt(0)
	v_add_u32_e32 v1, v3, v1
	s_cbranch_scc1 .LBB81_89
.LBB81_90:                              ;   in Loop: Header=BB81_11 Depth=1
	v_add_lshl_u32 v2, s10, v19, 2
	ds_write_b32 v2, v1 offset:3072
.LBB81_91:                              ;   in Loop: Header=BB81_11 Depth=1
	s_or_b64 exec, exec, s[6:7]
	s_lshl_b32 s6, s10, 2
	v_mov_b32_e32 v1, s6
	s_waitcnt lgkmcnt(0)
	s_barrier
	ds_read_b128 v[1:4], v1 offset:3072
	v_cmp_eq_u32_e32 vcc, 1, v41
	s_mov_b64 s[22:23], -1
	s_mov_b64 s[30:31], -1
                                        ; implicit-def: $sgpr72_sgpr73
                                        ; implicit-def: $sgpr28_sgpr29
	s_waitcnt lgkmcnt(0)
	v_readfirstlane_b32 s21, v1
	s_cmp_eq_u32 s21, 1
	v_lshlrev_b32_e64 v1, v37, 3
	s_cselect_b64 s[6:7], -1, 0
	v_readfirstlane_b32 s13, v2
	v_readfirstlane_b32 s12, v3
	;; [unrolled: 1-line block ×3, first 2 shown]
	v_not_b32_e32 v3, v1
	s_and_b64 s[26:27], s[6:7], vcc
	s_and_saveexec_b64 s[6:7], s[26:27]
	s_cbranch_execz .LBB81_117
; %bb.92:                               ;   in Loop: Header=BB81_11 Depth=1
	ds_read_b32 v2, v20 offset:4104
	s_waitcnt lgkmcnt(0)
	s_barrier
	v_readfirstlane_b32 s78, v2
	s_and_saveexec_b64 s[10:11], s[24:25]
; %bb.93:                               ;   in Loop: Header=BB81_11 Depth=1
	ds_write_b8 v0, v20 offset:3072
; %bb.94:                               ;   in Loop: Header=BB81_11 Depth=1
	s_or_b64 exec, exec, s[10:11]
	v_and_b32_e32 v33, v33, v3
	v_or_b32_e32 v39, v39, v1
	s_mov_b64 s[28:29], -1
	s_mov_b64 s[72:73], 0
	s_cmp_eq_u32 s78, 0
	s_mov_b64 s[74:75], 0
	s_mov_b64 s[76:77], -1
	s_waitcnt lgkmcnt(0)
	s_barrier
                                        ; implicit-def: $vgpr40
	s_cbranch_scc1 .LBB81_105
; %bb.95:                               ;   in Loop: Header=BB81_11 Depth=1
	s_add_i32 s10, s78, s15
	s_mul_hi_u32 s11, s10, s54
	s_mul_i32 s11, s11, s45
	s_sub_i32 s11, s10, s11
	s_sub_i32 s30, s11, s45
	s_cmp_ge_u32 s11, s45
	s_cselect_b32 s11, s30, s11
	s_sub_i32 s30, s11, s45
	s_cmp_ge_u32 s11, s45
	s_cselect_b32 s11, s30, s11
	s_sub_i32 s48, s10, s11
	v_cmp_gt_u32_e32 vcc, s48, v0
	s_mov_b64 s[76:77], 0
                                        ; implicit-def: $vgpr40
	s_and_saveexec_b64 s[30:31], vcc
	s_cbranch_execz .LBB81_104
; %bb.96:                               ;   in Loop: Header=BB81_11 Depth=1
	s_mov_b64 s[34:35], 0
	v_mov_b32_e32 v2, v0
                                        ; implicit-def: $sgpr42_sgpr43
	s_branch .LBB81_99
.LBB81_97:                              ;   in Loop: Header=BB81_99 Depth=2
	s_or_b64 exec, exec, s[10:11]
	s_waitcnt lgkmcnt(0)
	s_barrier
	ds_read_u16 v4, v20 offset:3072
	s_mov_b64 s[10:11], -1
	s_waitcnt lgkmcnt(0)
	s_barrier
	v_cmp_ne_u32_sdwa s[74:75], v4, v20 src0_sel:BYTE_0 src1_sel:DWORD
	s_and_b64 vcc, exec, s[74:75]
	s_mov_b64 s[74:75], -1
	s_cbranch_vccz .LBB81_102
.LBB81_98:                              ;   in Loop: Header=BB81_99 Depth=2
	s_and_b64 s[10:11], exec, s[10:11]
	s_or_b64 s[34:35], s[10:11], s[34:35]
	s_andn2_b64 s[10:11], s[42:43], exec
	s_and_b64 s[42:43], s[74:75], exec
	s_or_b64 s[42:43], s[10:11], s[42:43]
	s_andn2_b64 exec, exec, s[34:35]
	s_cbranch_execz .LBB81_103
.LBB81_99:                              ;   Parent Loop BB81_11 Depth=1
                                        ; =>  This Inner Loop Header: Depth=2
	v_cmp_gt_u32_e32 vcc, s78, v2
	s_and_saveexec_b64 s[10:11], vcc
	s_cbranch_execz .LBB81_97
; %bb.100:                              ;   in Loop: Header=BB81_99 Depth=2
	ds_read_u8 v4, v2
	s_waitcnt lgkmcnt(0)
	v_add_u32_sdwa v5, sext(v4), s57 dst_sel:DWORD dst_unused:UNUSED_PAD src0_sel:BYTE_0 src1_sel:DWORD
	v_and_b32_e32 v5, v5, v39
	v_cmp_eq_u32_e32 vcc, v5, v33
	s_and_b64 exec, exec, vcc
	s_cbranch_execz .LBB81_97
; %bb.101:                              ;   in Loop: Header=BB81_99 Depth=2
	v_lshlrev_b16_e32 v4, 8, v4
	v_or_b32_e32 v4, 1, v4
	ds_write_b16 v20, v4 offset:3072
	s_branch .LBB81_97
.LBB81_102:                             ;   in Loop: Header=BB81_99 Depth=2
	v_add_u32_e32 v2, s45, v2
	v_cmp_le_u32_e32 vcc, s48, v2
	s_mov_b64 s[74:75], 0
	s_orn2_b64 s[10:11], vcc, exec
	s_branch .LBB81_98
.LBB81_103:                             ;   in Loop: Header=BB81_11 Depth=1
	s_or_b64 exec, exec, s[34:35]
	v_lshrrev_b32_sdwa v40, v38, v4 dst_sel:DWORD dst_unused:UNUSED_PAD src0_sel:DWORD src1_sel:WORD_0
	s_and_b64 s[74:75], s[42:43], exec
.LBB81_104:                             ;   in Loop: Header=BB81_11 Depth=1
	s_or_b64 exec, exec, s[30:31]
.LBB81_105:                             ;   in Loop: Header=BB81_11 Depth=1
	s_and_b64 vcc, exec, s[76:77]
	s_cbranch_vccz .LBB81_116
; %bb.106:                              ;   in Loop: Header=BB81_11 Depth=1
                                        ; implicit-def: $vgpr40
	s_mov_b64 s[28:29], exec
	v_readlane_b32 s10, v52, 32
	v_readlane_b32 s11, v52, 33
	s_and_b64 s[10:11], s[28:29], s[10:11]
	s_mov_b64 exec, s[10:11]
	s_cbranch_execz .LBB81_115
; %bb.107:                              ;   in Loop: Header=BB81_11 Depth=1
	s_mov_b64 s[30:31], 0
	v_mov_b32_e32 v2, v17
	v_mov_b32_e32 v4, v0
                                        ; implicit-def: $sgpr34_sgpr35
	s_branch .LBB81_110
.LBB81_108:                             ;   in Loop: Header=BB81_110 Depth=2
	s_or_b64 exec, exec, s[10:11]
	s_waitcnt lgkmcnt(0)
	s_barrier
	ds_read_u16 v5, v20 offset:3072
	s_mov_b64 s[10:11], -1
	s_waitcnt lgkmcnt(0)
	s_barrier
	v_cmp_ne_u32_sdwa s[42:43], v5, v20 src0_sel:BYTE_0 src1_sel:DWORD
	s_and_b64 vcc, exec, s[42:43]
	s_mov_b64 s[42:43], -1
	s_cbranch_vccz .LBB81_113
.LBB81_109:                             ;   in Loop: Header=BB81_110 Depth=2
	s_and_b64 s[10:11], exec, s[10:11]
	s_or_b64 s[30:31], s[10:11], s[30:31]
	s_andn2_b64 s[10:11], s[34:35], exec
	s_and_b64 s[34:35], s[42:43], exec
	s_or_b64 s[34:35], s[10:11], s[34:35]
	s_andn2_b64 exec, exec, s[30:31]
	s_cbranch_execz .LBB81_114
.LBB81_110:                             ;   Parent Loop BB81_11 Depth=1
                                        ; =>  This Inner Loop Header: Depth=2
	v_cmp_gt_u32_e32 vcc, s36, v4
	s_and_saveexec_b64 s[10:11], vcc
	s_cbranch_execz .LBB81_108
; %bb.111:                              ;   in Loop: Header=BB81_110 Depth=2
	global_load_ubyte v5, v2, s[40:41]
	s_waitcnt vmcnt(0)
	v_add_u32_sdwa v6, sext(v5), s57 dst_sel:DWORD dst_unused:UNUSED_PAD src0_sel:BYTE_0 src1_sel:DWORD
	v_and_b32_e32 v6, v6, v39
	v_cmp_eq_u32_e32 vcc, v6, v33
	s_and_b64 exec, exec, vcc
	s_cbranch_execz .LBB81_108
; %bb.112:                              ;   in Loop: Header=BB81_110 Depth=2
	v_lshlrev_b16_e32 v5, 8, v5
	v_or_b32_e32 v5, 1, v5
	ds_write_b16 v20, v5 offset:3072
	s_branch .LBB81_108
.LBB81_113:                             ;   in Loop: Header=BB81_110 Depth=2
	v_add_u32_e32 v4, s45, v4
	v_cmp_le_u32_e32 vcc, s55, v4
	v_add_u32_e32 v2, s39, v2
	s_mov_b64 s[42:43], 0
	s_orn2_b64 s[10:11], vcc, exec
	s_branch .LBB81_109
.LBB81_114:                             ;   in Loop: Header=BB81_11 Depth=1
	s_or_b64 exec, exec, s[30:31]
	s_andn2_b64 s[10:11], s[74:75], exec
	s_and_b64 s[30:31], s[34:35], exec
	v_lshrrev_b32_sdwa v40, v38, v5 dst_sel:DWORD dst_unused:UNUSED_PAD src0_sel:DWORD src1_sel:WORD_0
	s_or_b64 s[74:75], s[10:11], s[30:31]
.LBB81_115:                             ;   in Loop: Header=BB81_11 Depth=1
	s_or_b64 exec, exec, s[28:29]
	s_mov_b64 s[28:29], 0
	s_mov_b64 s[72:73], -1
.LBB81_116:                             ;   in Loop: Header=BB81_11 Depth=1
	s_orn2_b64 s[30:31], s[74:75], exec
.LBB81_117:                             ;   in Loop: Header=BB81_11 Depth=1
	s_or_b64 exec, exec, s[6:7]
	s_andn2_b64 s[6:7], s[70:71], exec
	s_and_b64 s[10:11], s[72:73], exec
	s_or_b64 s[70:71], s[6:7], s[10:11]
	s_andn2_b64 s[6:7], s[68:69], exec
	s_and_b64 s[10:11], s[28:29], exec
	v_readfirstlane_b32 s42, v0
	s_andn2_b64 s[66:67], s[66:67], exec
	s_or_b64 s[68:69], s[6:7], s[10:11]
                                        ; implicit-def: $vgpr4
	s_and_saveexec_b64 s[6:7], s[30:31]
	s_cbranch_execz .LBB81_10
; %bb.118:                              ;   in Loop: Header=BB81_11 Depth=1
	s_xor_b64 s[10:11], s[26:27], -1
	s_mov_b64 s[26:27], 0
	v_mov_b32_e32 v4, 1
	v_mov_b32_e32 v2, 1
	s_and_saveexec_b64 s[22:23], s[10:11]
	s_cbranch_execz .LBB81_127
; %bb.119:                              ;   in Loop: Header=BB81_11 Depth=1
	v_cmp_ge_u32_e32 vcc, s21, v41
	s_and_saveexec_b64 s[10:11], vcc
	s_xor_b64 s[26:27], exec, s[10:11]
	s_cbranch_execz .LBB81_124
; %bb.120:                              ;   in Loop: Header=BB81_11 Depth=1
	ds_read_b32 v2, v20 offset:4104
	v_and_b32_e32 v33, v33, v3
	v_or_b32_e32 v39, v39, v1
	s_waitcnt lgkmcnt(0)
	v_cmp_ne_u32_e32 vcc, 0, v2
	s_cbranch_vccnz .LBB81_124
; %bb.121:                              ;   in Loop: Header=BB81_11 Depth=1
	s_and_saveexec_b64 s[10:11], s[0:1]
; %bb.122:                              ;   in Loop: Header=BB81_11 Depth=1
	v_mov_b32_e32 v2, s21
	ds_write_b32 v20, v2 offset:4108
; %bb.123:                              ;   in Loop: Header=BB81_11 Depth=1
	s_or_b64 exec, exec, s[10:11]
	s_waitcnt lgkmcnt(0)
	s_barrier
.LBB81_124:                             ;   in Loop: Header=BB81_11 Depth=1
	s_or_saveexec_b64 s[26:27], s[26:27]
	s_mov_b64 s[28:29], 0
	v_mov_b32_e32 v2, 8
	s_xor_b64 exec, exec, s[26:27]
; %bb.125:                              ;   in Loop: Header=BB81_11 Depth=1
	s_mov_b64 s[28:29], exec
	v_subrev_u32_e32 v41, s21, v41
	v_mov_b32_e32 v2, 0
; %bb.126:                              ;   in Loop: Header=BB81_11 Depth=1
	s_or_b64 exec, exec, s[26:27]
	s_and_b64 s[26:27], s[28:29], exec
	v_mov_b32_e32 v4, v41
.LBB81_127:                             ;   in Loop: Header=BB81_11 Depth=1
	s_or_b64 exec, exec, s[22:23]
	s_mov_b64 s[22:23], -1
	s_mov_b64 s[30:31], -1
                                        ; implicit-def: $sgpr28_sgpr29
                                        ; implicit-def: $sgpr72_sgpr73
	s_and_saveexec_b64 s[10:11], s[26:27]
	s_xor_b64 s[26:27], exec, s[10:11]
	s_cbranch_execz .LBB81_244
; %bb.128:                              ;   in Loop: Header=BB81_11 Depth=1
	s_cmp_eq_u32 s13, 1
	s_cselect_b64 s[10:11], -1, 0
	v_cmp_eq_u32_e32 vcc, 1, v4
	s_and_b64 s[76:77], s[10:11], vcc
                                        ; implicit-def: $sgpr72_sgpr73
                                        ; implicit-def: $sgpr28_sgpr29
	s_and_saveexec_b64 s[74:75], s[76:77]
	s_cbranch_execz .LBB81_154
; %bb.129:                              ;   in Loop: Header=BB81_11 Depth=1
	ds_read_b32 v5, v20 offset:4104
	s_waitcnt lgkmcnt(0)
	s_barrier
	v_readfirstlane_b32 s21, v5
	s_and_saveexec_b64 s[10:11], s[24:25]
; %bb.130:                              ;   in Loop: Header=BB81_11 Depth=1
	ds_write_b8 v0, v20 offset:3072
; %bb.131:                              ;   in Loop: Header=BB81_11 Depth=1
	s_or_b64 exec, exec, s[10:11]
	v_and_b32_e32 v5, v33, v3
	v_lshl_or_b32 v33, 1, v37, v5
	v_or_b32_e32 v39, v39, v1
	s_mov_b64 s[28:29], -1
	s_mov_b64 s[72:73], 0
	s_cmp_eq_u32 s21, 0
	s_mov_b64 s[78:79], 0
	s_mov_b64 s[80:81], -1
	s_waitcnt lgkmcnt(0)
	s_barrier
                                        ; implicit-def: $vgpr40
	s_cbranch_scc1 .LBB81_142
; %bb.132:                              ;   in Loop: Header=BB81_11 Depth=1
	s_add_i32 s10, s21, s15
	s_mul_hi_u32 s11, s10, s54
	s_mul_i32 s11, s11, s45
	s_sub_i32 s11, s10, s11
	s_sub_i32 s30, s11, s45
	s_cmp_ge_u32 s11, s45
	s_cselect_b32 s11, s30, s11
	s_sub_i32 s30, s11, s45
	s_cmp_ge_u32 s11, s45
	s_cselect_b32 s11, s30, s11
	s_sub_i32 s82, s10, s11
	v_cmp_gt_u32_e32 vcc, s82, v0
	s_mov_b64 s[80:81], 0
                                        ; implicit-def: $vgpr40
	s_and_saveexec_b64 s[30:31], vcc
	s_cbranch_execz .LBB81_141
; %bb.133:                              ;   in Loop: Header=BB81_11 Depth=1
	s_mov_b64 s[34:35], 0
	v_mov_b32_e32 v5, v0
                                        ; implicit-def: $sgpr78_sgpr79
	s_branch .LBB81_136
.LBB81_134:                             ;   in Loop: Header=BB81_136 Depth=2
	s_or_b64 exec, exec, s[42:43]
	s_waitcnt lgkmcnt(0)
	s_barrier
	ds_read_u16 v6, v20 offset:3072
	s_mov_b64 s[10:11], -1
	s_waitcnt lgkmcnt(0)
	s_barrier
	v_cmp_ne_u32_sdwa s[42:43], v6, v20 src0_sel:BYTE_0 src1_sel:DWORD
	s_and_b64 vcc, exec, s[42:43]
	s_mov_b64 s[42:43], -1
	s_cbranch_vccz .LBB81_139
.LBB81_135:                             ;   in Loop: Header=BB81_136 Depth=2
	s_and_b64 s[10:11], exec, s[10:11]
	s_or_b64 s[34:35], s[10:11], s[34:35]
	s_andn2_b64 s[10:11], s[78:79], exec
	s_and_b64 s[42:43], s[42:43], exec
	s_or_b64 s[78:79], s[10:11], s[42:43]
	s_andn2_b64 exec, exec, s[34:35]
	s_cbranch_execz .LBB81_140
.LBB81_136:                             ;   Parent Loop BB81_11 Depth=1
                                        ; =>  This Inner Loop Header: Depth=2
	v_cmp_gt_u32_e32 vcc, s21, v5
	s_and_saveexec_b64 s[42:43], vcc
	s_cbranch_execz .LBB81_134
; %bb.137:                              ;   in Loop: Header=BB81_136 Depth=2
	ds_read_u8 v6, v5
	s_waitcnt lgkmcnt(0)
	v_add_u32_sdwa v7, sext(v6), s57 dst_sel:DWORD dst_unused:UNUSED_PAD src0_sel:BYTE_0 src1_sel:DWORD
	v_and_b32_e32 v7, v7, v39
	v_cmp_eq_u32_e32 vcc, v7, v33
	s_and_b64 exec, exec, vcc
	s_cbranch_execz .LBB81_134
; %bb.138:                              ;   in Loop: Header=BB81_136 Depth=2
	v_lshlrev_b16_e32 v6, 8, v6
	v_or_b32_e32 v6, 1, v6
	ds_write_b16 v20, v6 offset:3072
	s_branch .LBB81_134
.LBB81_139:                             ;   in Loop: Header=BB81_136 Depth=2
	v_add_u32_e32 v5, s45, v5
	v_cmp_le_u32_e32 vcc, s82, v5
	s_mov_b64 s[42:43], 0
	s_orn2_b64 s[10:11], vcc, exec
	s_branch .LBB81_135
.LBB81_140:                             ;   in Loop: Header=BB81_11 Depth=1
	s_or_b64 exec, exec, s[34:35]
	v_lshrrev_b32_sdwa v40, v38, v6 dst_sel:DWORD dst_unused:UNUSED_PAD src0_sel:DWORD src1_sel:WORD_0
	s_and_b64 s[78:79], s[78:79], exec
.LBB81_141:                             ;   in Loop: Header=BB81_11 Depth=1
	s_or_b64 exec, exec, s[30:31]
.LBB81_142:                             ;   in Loop: Header=BB81_11 Depth=1
	s_and_b64 vcc, exec, s[80:81]
	s_cbranch_vccz .LBB81_153
; %bb.143:                              ;   in Loop: Header=BB81_11 Depth=1
                                        ; implicit-def: $vgpr40
	s_mov_b64 s[28:29], exec
	v_readlane_b32 s10, v52, 32
	v_readlane_b32 s11, v52, 33
	s_and_b64 s[10:11], s[28:29], s[10:11]
	s_mov_b64 exec, s[10:11]
	s_cbranch_execz .LBB81_152
; %bb.144:                              ;   in Loop: Header=BB81_11 Depth=1
	s_mov_b64 s[30:31], 0
	v_mov_b32_e32 v5, v17
	v_mov_b32_e32 v6, v0
                                        ; implicit-def: $sgpr34_sgpr35
	s_branch .LBB81_147
.LBB81_145:                             ;   in Loop: Header=BB81_147 Depth=2
	s_or_b64 exec, exec, s[42:43]
	s_waitcnt lgkmcnt(0)
	s_barrier
	ds_read_u16 v7, v20 offset:3072
	s_mov_b64 s[10:11], -1
	s_waitcnt lgkmcnt(0)
	s_barrier
	v_cmp_eq_u32_sdwa s[42:43], v7, v20 src0_sel:BYTE_0 src1_sel:DWORD
	s_and_b64 vcc, exec, s[42:43]
	s_mov_b64 s[42:43], -1
	s_cbranch_vccnz .LBB81_150
.LBB81_146:                             ;   in Loop: Header=BB81_147 Depth=2
	s_and_b64 s[10:11], exec, s[10:11]
	s_or_b64 s[30:31], s[10:11], s[30:31]
	s_andn2_b64 s[10:11], s[34:35], exec
	s_and_b64 s[34:35], s[42:43], exec
	s_or_b64 s[34:35], s[10:11], s[34:35]
	s_andn2_b64 exec, exec, s[30:31]
	s_cbranch_execz .LBB81_151
.LBB81_147:                             ;   Parent Loop BB81_11 Depth=1
                                        ; =>  This Inner Loop Header: Depth=2
	v_cmp_gt_u32_e32 vcc, s36, v6
	s_and_saveexec_b64 s[42:43], vcc
	s_cbranch_execz .LBB81_145
; %bb.148:                              ;   in Loop: Header=BB81_147 Depth=2
	global_load_ubyte v7, v5, s[40:41]
	s_waitcnt vmcnt(0)
	v_add_u32_sdwa v8, sext(v7), s57 dst_sel:DWORD dst_unused:UNUSED_PAD src0_sel:BYTE_0 src1_sel:DWORD
	v_and_b32_e32 v8, v8, v39
	v_cmp_eq_u32_e32 vcc, v8, v33
	s_and_b64 exec, exec, vcc
	s_cbranch_execz .LBB81_145
; %bb.149:                              ;   in Loop: Header=BB81_147 Depth=2
	v_lshlrev_b16_e32 v7, 8, v7
	v_or_b32_e32 v7, 1, v7
	ds_write_b16 v20, v7 offset:3072
	s_branch .LBB81_145
.LBB81_150:                             ;   in Loop: Header=BB81_147 Depth=2
	v_add_u32_e32 v6, s45, v6
	v_cmp_le_u32_e32 vcc, s55, v6
	v_add_u32_e32 v5, s39, v5
	s_mov_b64 s[42:43], 0
	s_orn2_b64 s[10:11], vcc, exec
	s_branch .LBB81_146
.LBB81_151:                             ;   in Loop: Header=BB81_11 Depth=1
	s_or_b64 exec, exec, s[30:31]
	s_andn2_b64 s[10:11], s[78:79], exec
	s_and_b64 s[30:31], s[34:35], exec
	v_lshrrev_b32_sdwa v40, v38, v7 dst_sel:DWORD dst_unused:UNUSED_PAD src0_sel:DWORD src1_sel:WORD_0
	s_or_b64 s[78:79], s[10:11], s[30:31]
.LBB81_152:                             ;   in Loop: Header=BB81_11 Depth=1
	s_or_b64 exec, exec, s[28:29]
	s_mov_b64 s[28:29], 0
	s_mov_b64 s[72:73], -1
.LBB81_153:                             ;   in Loop: Header=BB81_11 Depth=1
	s_orn2_b64 s[30:31], s[78:79], exec
.LBB81_154:                             ;   in Loop: Header=BB81_11 Depth=1
	s_or_b64 exec, exec, s[74:75]
	s_mov_b64 s[34:35], 0
	s_and_saveexec_b64 s[74:75], s[30:31]
	s_cbranch_execz .LBB81_243
; %bb.155:                              ;   in Loop: Header=BB81_11 Depth=1
	s_xor_b64 s[10:11], s[76:77], -1
	v_mov_b32_e32 v5, 1
	v_mov_b32_e32 v2, 1
	s_and_saveexec_b64 s[76:77], s[10:11]
	s_cbranch_execz .LBB81_161
; %bb.156:                              ;   in Loop: Header=BB81_11 Depth=1
	v_cmp_ge_u32_e32 vcc, s13, v4
	s_and_saveexec_b64 s[10:11], vcc
	s_xor_b64 s[30:31], exec, s[10:11]
	s_cbranch_execz .LBB81_158
; %bb.157:                              ;   in Loop: Header=BB81_11 Depth=1
	v_and_b32_e32 v2, v33, v3
	v_lshl_or_b32 v33, 1, v37, v2
	ds_read_b32 v2, v20 offset:4104
	v_or_b32_e32 v39, v39, v1
	s_waitcnt lgkmcnt(0)
	v_cmp_ne_u32_e32 vcc, 0, v2
	s_cbranch_vccz .LBB81_174
.LBB81_158:                             ;   in Loop: Header=BB81_11 Depth=1
	s_or_saveexec_b64 s[30:31], s[30:31]
	v_mov_b32_e32 v2, 8
	s_xor_b64 exec, exec, s[30:31]
.LBB81_159:                             ;   in Loop: Header=BB81_11 Depth=1
	v_subrev_u32_e32 v4, s13, v4
	v_mov_b32_e32 v2, 0
	s_mov_b64 s[34:35], exec
.LBB81_160:                             ;   in Loop: Header=BB81_11 Depth=1
	s_or_b64 exec, exec, s[30:31]
	s_and_b64 s[34:35], s[34:35], exec
	v_mov_b32_e32 v5, v4
.LBB81_161:                             ;   in Loop: Header=BB81_11 Depth=1
	s_or_b64 exec, exec, s[76:77]
	s_mov_b64 s[30:31], -1
                                        ; implicit-def: $sgpr78_sgpr79
                                        ; implicit-def: $sgpr80_sgpr81
	s_and_saveexec_b64 s[76:77], s[34:35]
	s_cbranch_execz .LBB81_242
; %bb.162:                              ;   in Loop: Header=BB81_11 Depth=1
	s_cmp_eq_u32 s12, 1
	s_cselect_b64 s[10:11], -1, 0
	v_cmp_eq_u32_e32 vcc, 1, v5
	s_and_b64 s[84:85], s[10:11], vcc
                                        ; implicit-def: $sgpr80_sgpr81
                                        ; implicit-def: $sgpr78_sgpr79
	s_and_saveexec_b64 s[82:83], s[84:85]
	s_cbranch_execz .LBB81_191
; %bb.163:                              ;   in Loop: Header=BB81_11 Depth=1
	ds_read_b32 v4, v20 offset:4104
	s_waitcnt lgkmcnt(0)
	s_barrier
	v_readfirstlane_b32 s13, v4
	s_and_saveexec_b64 s[10:11], s[24:25]
; %bb.164:                              ;   in Loop: Header=BB81_11 Depth=1
	ds_write_b8 v0, v20 offset:3072
; %bb.165:                              ;   in Loop: Header=BB81_11 Depth=1
	s_or_b64 exec, exec, s[10:11]
	v_and_b32_e32 v4, v33, v3
	v_lshl_or_b32 v33, 2, v37, v4
	v_or_b32_e32 v39, v39, v1
	s_mov_b64 s[78:79], -1
	s_mov_b64 s[80:81], 0
	s_cmp_eq_u32 s13, 0
	s_mov_b64 s[86:87], 0
	s_mov_b64 s[88:89], -1
	s_waitcnt lgkmcnt(0)
	s_barrier
                                        ; implicit-def: $vgpr40
	s_cbranch_scc1 .LBB81_179
; %bb.166:                              ;   in Loop: Header=BB81_11 Depth=1
	s_add_i32 s10, s13, s15
	s_mul_hi_u32 s11, s10, s54
	s_mul_i32 s11, s11, s45
	s_sub_i32 s11, s10, s11
	s_sub_i32 s21, s11, s45
	s_cmp_ge_u32 s11, s45
	s_cselect_b32 s11, s21, s11
	s_sub_i32 s21, s11, s45
	s_cmp_ge_u32 s11, s45
	s_cselect_b32 s11, s21, s11
	s_sub_i32 s21, s10, s11
	v_cmp_gt_u32_e32 vcc, s21, v0
	s_mov_b64 s[88:89], 0
                                        ; implicit-def: $vgpr40
	s_and_saveexec_b64 s[30:31], vcc
	s_cbranch_execz .LBB81_178
; %bb.167:                              ;   in Loop: Header=BB81_11 Depth=1
	s_mov_b64 s[34:35], 0
	v_mov_b32_e32 v4, v0
                                        ; implicit-def: $sgpr86_sgpr87
	s_branch .LBB81_170
.LBB81_168:                             ;   in Loop: Header=BB81_170 Depth=2
	s_or_b64 exec, exec, s[42:43]
	s_waitcnt lgkmcnt(0)
	s_barrier
	ds_read_u16 v6, v20 offset:3072
	s_mov_b64 s[10:11], -1
	s_waitcnt lgkmcnt(0)
	s_barrier
	v_cmp_ne_u32_sdwa s[42:43], v6, v20 src0_sel:BYTE_0 src1_sel:DWORD
	s_and_b64 vcc, exec, s[42:43]
	s_mov_b64 s[42:43], -1
	s_cbranch_vccz .LBB81_173
.LBB81_169:                             ;   in Loop: Header=BB81_170 Depth=2
	s_and_b64 s[10:11], exec, s[10:11]
	s_or_b64 s[34:35], s[10:11], s[34:35]
	s_andn2_b64 s[10:11], s[86:87], exec
	s_and_b64 s[42:43], s[42:43], exec
	s_or_b64 s[86:87], s[10:11], s[42:43]
	s_andn2_b64 exec, exec, s[34:35]
	s_cbranch_execz .LBB81_177
.LBB81_170:                             ;   Parent Loop BB81_11 Depth=1
                                        ; =>  This Inner Loop Header: Depth=2
	v_cmp_gt_u32_e32 vcc, s13, v4
	s_and_saveexec_b64 s[42:43], vcc
	s_cbranch_execz .LBB81_168
; %bb.171:                              ;   in Loop: Header=BB81_170 Depth=2
	ds_read_u8 v6, v4
	s_waitcnt lgkmcnt(0)
	v_add_u32_sdwa v7, sext(v6), s57 dst_sel:DWORD dst_unused:UNUSED_PAD src0_sel:BYTE_0 src1_sel:DWORD
	v_and_b32_e32 v7, v7, v39
	v_cmp_eq_u32_e32 vcc, v7, v33
	s_and_b64 exec, exec, vcc
	s_cbranch_execz .LBB81_168
; %bb.172:                              ;   in Loop: Header=BB81_170 Depth=2
	v_lshlrev_b16_e32 v6, 8, v6
	v_or_b32_e32 v6, 1, v6
	ds_write_b16 v20, v6 offset:3072
	s_branch .LBB81_168
.LBB81_173:                             ;   in Loop: Header=BB81_170 Depth=2
	v_add_u32_e32 v4, s45, v4
	v_cmp_le_u32_e32 vcc, s21, v4
	s_mov_b64 s[42:43], 0
	s_orn2_b64 s[10:11], vcc, exec
	s_branch .LBB81_169
.LBB81_174:                             ;   in Loop: Header=BB81_11 Depth=1
	s_and_saveexec_b64 s[10:11], s[0:1]
; %bb.175:                              ;   in Loop: Header=BB81_11 Depth=1
	v_mov_b32_e32 v2, s13
	ds_write_b32 v20, v2 offset:4108
; %bb.176:                              ;   in Loop: Header=BB81_11 Depth=1
	s_or_b64 exec, exec, s[10:11]
	s_waitcnt lgkmcnt(0)
	s_barrier
	s_or_saveexec_b64 s[30:31], s[30:31]
	v_mov_b32_e32 v2, 8
	s_xor_b64 exec, exec, s[30:31]
	s_cbranch_execnz .LBB81_159
	s_branch .LBB81_160
.LBB81_177:                             ;   in Loop: Header=BB81_11 Depth=1
	s_or_b64 exec, exec, s[34:35]
	v_lshrrev_b32_sdwa v40, v38, v6 dst_sel:DWORD dst_unused:UNUSED_PAD src0_sel:DWORD src1_sel:WORD_0
	s_and_b64 s[86:87], s[86:87], exec
.LBB81_178:                             ;   in Loop: Header=BB81_11 Depth=1
	s_or_b64 exec, exec, s[30:31]
.LBB81_179:                             ;   in Loop: Header=BB81_11 Depth=1
	s_and_b64 vcc, exec, s[88:89]
	s_cbranch_vccz .LBB81_190
; %bb.180:                              ;   in Loop: Header=BB81_11 Depth=1
                                        ; implicit-def: $vgpr40
	s_mov_b64 s[30:31], exec
	v_readlane_b32 s10, v52, 32
	v_readlane_b32 s11, v52, 33
	s_and_b64 s[10:11], s[30:31], s[10:11]
	s_mov_b64 exec, s[10:11]
	s_cbranch_execz .LBB81_189
; %bb.181:                              ;   in Loop: Header=BB81_11 Depth=1
	s_mov_b64 s[34:35], 0
	v_mov_b32_e32 v4, v17
	v_mov_b32_e32 v6, v0
                                        ; implicit-def: $sgpr78_sgpr79
	s_branch .LBB81_184
.LBB81_182:                             ;   in Loop: Header=BB81_184 Depth=2
	s_or_b64 exec, exec, s[42:43]
	s_waitcnt lgkmcnt(0)
	s_barrier
	ds_read_u16 v7, v20 offset:3072
	s_mov_b64 s[10:11], -1
	s_waitcnt lgkmcnt(0)
	s_barrier
	v_cmp_eq_u32_sdwa s[42:43], v7, v20 src0_sel:BYTE_0 src1_sel:DWORD
	s_and_b64 vcc, exec, s[42:43]
	s_mov_b64 s[42:43], -1
	s_cbranch_vccnz .LBB81_187
.LBB81_183:                             ;   in Loop: Header=BB81_184 Depth=2
	s_and_b64 s[10:11], exec, s[10:11]
	s_or_b64 s[34:35], s[10:11], s[34:35]
	s_andn2_b64 s[10:11], s[78:79], exec
	s_and_b64 s[42:43], s[42:43], exec
	s_or_b64 s[78:79], s[10:11], s[42:43]
	s_andn2_b64 exec, exec, s[34:35]
	s_cbranch_execz .LBB81_188
.LBB81_184:                             ;   Parent Loop BB81_11 Depth=1
                                        ; =>  This Inner Loop Header: Depth=2
	v_cmp_gt_u32_e32 vcc, s36, v6
	s_and_saveexec_b64 s[42:43], vcc
	s_cbranch_execz .LBB81_182
; %bb.185:                              ;   in Loop: Header=BB81_184 Depth=2
	global_load_ubyte v7, v4, s[40:41]
	s_waitcnt vmcnt(0)
	v_add_u32_sdwa v8, sext(v7), s57 dst_sel:DWORD dst_unused:UNUSED_PAD src0_sel:BYTE_0 src1_sel:DWORD
	v_and_b32_e32 v8, v8, v39
	v_cmp_eq_u32_e32 vcc, v8, v33
	s_and_b64 exec, exec, vcc
	s_cbranch_execz .LBB81_182
; %bb.186:                              ;   in Loop: Header=BB81_184 Depth=2
	v_lshlrev_b16_e32 v7, 8, v7
	v_or_b32_e32 v7, 1, v7
	ds_write_b16 v20, v7 offset:3072
	s_branch .LBB81_182
.LBB81_187:                             ;   in Loop: Header=BB81_184 Depth=2
	v_add_u32_e32 v6, s45, v6
	v_cmp_le_u32_e32 vcc, s55, v6
	v_add_u32_e32 v4, s39, v4
	s_mov_b64 s[42:43], 0
	s_orn2_b64 s[10:11], vcc, exec
	s_branch .LBB81_183
.LBB81_188:                             ;   in Loop: Header=BB81_11 Depth=1
	s_or_b64 exec, exec, s[34:35]
	s_andn2_b64 s[10:11], s[86:87], exec
	s_and_b64 s[34:35], s[78:79], exec
	v_lshrrev_b32_sdwa v40, v38, v7 dst_sel:DWORD dst_unused:UNUSED_PAD src0_sel:DWORD src1_sel:WORD_0
	s_or_b64 s[86:87], s[10:11], s[34:35]
.LBB81_189:                             ;   in Loop: Header=BB81_11 Depth=1
	s_or_b64 exec, exec, s[30:31]
	s_mov_b64 s[78:79], 0
	s_mov_b64 s[80:81], -1
.LBB81_190:                             ;   in Loop: Header=BB81_11 Depth=1
	s_orn2_b64 s[30:31], s[86:87], exec
.LBB81_191:                             ;   in Loop: Header=BB81_11 Depth=1
	s_or_b64 exec, exec, s[82:83]
	s_mov_b64 s[34:35], 0
	s_and_saveexec_b64 s[82:83], s[30:31]
	s_cbranch_execz .LBB81_241
; %bb.192:                              ;   in Loop: Header=BB81_11 Depth=1
	s_xor_b64 s[10:11], s[84:85], -1
	v_mov_b32_e32 v4, 1
	v_mov_b32_e32 v2, 1
	s_and_saveexec_b64 s[84:85], s[10:11]
	s_cbranch_execz .LBB81_201
; %bb.193:                              ;   in Loop: Header=BB81_11 Depth=1
	v_cmp_ge_u32_e32 vcc, s12, v5
	s_and_saveexec_b64 s[10:11], vcc
	s_xor_b64 s[30:31], exec, s[10:11]
	s_cbranch_execz .LBB81_198
; %bb.194:                              ;   in Loop: Header=BB81_11 Depth=1
	v_and_b32_e32 v2, v33, v3
	v_lshl_or_b32 v33, 2, v37, v2
	ds_read_b32 v2, v20 offset:4104
	v_or_b32_e32 v39, v39, v1
	s_waitcnt lgkmcnt(0)
	v_cmp_ne_u32_e32 vcc, 0, v2
	s_cbranch_vccnz .LBB81_198
; %bb.195:                              ;   in Loop: Header=BB81_11 Depth=1
	s_and_saveexec_b64 s[10:11], s[0:1]
; %bb.196:                              ;   in Loop: Header=BB81_11 Depth=1
	v_mov_b32_e32 v2, s12
	ds_write_b32 v20, v2 offset:4108
; %bb.197:                              ;   in Loop: Header=BB81_11 Depth=1
	s_or_b64 exec, exec, s[10:11]
	s_waitcnt lgkmcnt(0)
	s_barrier
.LBB81_198:                             ;   in Loop: Header=BB81_11 Depth=1
	s_or_saveexec_b64 s[30:31], s[30:31]
	v_mov_b32_e32 v2, 8
	s_xor_b64 exec, exec, s[30:31]
; %bb.199:                              ;   in Loop: Header=BB81_11 Depth=1
	v_subrev_u32_e32 v5, s12, v5
	v_mov_b32_e32 v2, 0
	s_mov_b64 s[34:35], exec
; %bb.200:                              ;   in Loop: Header=BB81_11 Depth=1
	s_or_b64 exec, exec, s[30:31]
	s_and_b64 s[34:35], s[34:35], exec
	v_mov_b32_e32 v4, v5
.LBB81_201:                             ;   in Loop: Header=BB81_11 Depth=1
	s_or_b64 exec, exec, s[84:85]
	s_mov_b64 s[30:31], -1
                                        ; implicit-def: $sgpr88_sgpr89
                                        ; implicit-def: $sgpr86_sgpr87
	s_and_saveexec_b64 s[84:85], s[34:35]
	s_cbranch_execz .LBB81_240
; %bb.202:                              ;   in Loop: Header=BB81_11 Depth=1
	s_cmp_eq_u32 s20, 1
	s_cselect_b64 s[10:11], -1, 0
	v_cmp_eq_u32_e32 vcc, 1, v4
	s_and_b64 s[90:91], s[10:11], vcc
                                        ; implicit-def: $sgpr88_sgpr89
                                        ; implicit-def: $sgpr86_sgpr87
	s_and_saveexec_b64 s[92:93], s[90:91]
	s_cbranch_execz .LBB81_228
; %bb.203:                              ;   in Loop: Header=BB81_11 Depth=1
	ds_read_b32 v3, v20 offset:4104
	s_waitcnt lgkmcnt(0)
	s_barrier
	v_readfirstlane_b32 s21, v3
	s_and_saveexec_b64 s[10:11], s[24:25]
; %bb.204:                              ;   in Loop: Header=BB81_11 Depth=1
	ds_write_b8 v0, v20 offset:3072
; %bb.205:                              ;   in Loop: Header=BB81_11 Depth=1
	s_or_b64 exec, exec, s[10:11]
	v_or_b32_e32 v33, v33, v1
	v_or_b32_e32 v39, v39, v1
	s_mov_b64 s[86:87], -1
	s_mov_b64 s[88:89], 0
	s_cmp_eq_u32 s21, 0
	s_mov_b64 s[94:95], 0
	s_waitcnt lgkmcnt(0)
	s_barrier
                                        ; implicit-def: $vgpr40
	s_cbranch_scc1 .LBB81_216
; %bb.206:                              ;   in Loop: Header=BB81_11 Depth=1
	s_add_i32 s10, s21, s15
	s_mul_hi_u32 s11, s10, s54
	s_mul_i32 s11, s11, s45
	s_sub_i32 s11, s10, s11
	s_sub_i32 s12, s11, s45
	s_cmp_ge_u32 s11, s45
	s_cselect_b32 s11, s12, s11
	s_sub_i32 s12, s11, s45
	s_cmp_ge_u32 s11, s45
	s_cselect_b32 s11, s12, s11
	s_sub_i32 s48, s10, s11
	v_cmp_gt_u32_e32 vcc, s48, v0
	s_mov_b64 s[30:31], 0
                                        ; implicit-def: $vgpr40
	s_and_saveexec_b64 s[34:35], vcc
	s_cbranch_execz .LBB81_215
; %bb.207:                              ;   in Loop: Header=BB81_11 Depth=1
	v_mov_b32_e32 v3, v0
                                        ; implicit-def: $sgpr42_sgpr43
	s_branch .LBB81_210
.LBB81_208:                             ;   in Loop: Header=BB81_210 Depth=2
	s_or_b64 exec, exec, s[10:11]
	s_waitcnt lgkmcnt(0)
	s_barrier
	ds_read_u16 v5, v20 offset:3072
	s_mov_b64 s[10:11], -1
	s_waitcnt lgkmcnt(0)
	s_barrier
	v_cmp_ne_u32_sdwa s[12:13], v5, v20 src0_sel:BYTE_0 src1_sel:DWORD
	s_and_b64 vcc, exec, s[12:13]
	s_mov_b64 s[12:13], -1
	s_cbranch_vccz .LBB81_213
.LBB81_209:                             ;   in Loop: Header=BB81_210 Depth=2
	s_and_b64 s[10:11], exec, s[10:11]
	s_or_b64 s[94:95], s[10:11], s[94:95]
	s_andn2_b64 s[10:11], s[42:43], exec
	s_and_b64 s[12:13], s[12:13], exec
	s_or_b64 s[42:43], s[10:11], s[12:13]
	s_andn2_b64 exec, exec, s[94:95]
	s_cbranch_execz .LBB81_214
.LBB81_210:                             ;   Parent Loop BB81_11 Depth=1
                                        ; =>  This Inner Loop Header: Depth=2
	v_cmp_gt_u32_e32 vcc, s21, v3
	s_and_saveexec_b64 s[10:11], vcc
	s_cbranch_execz .LBB81_208
; %bb.211:                              ;   in Loop: Header=BB81_210 Depth=2
	ds_read_u8 v5, v3
	s_waitcnt lgkmcnt(0)
	v_add_u32_sdwa v6, sext(v5), s57 dst_sel:DWORD dst_unused:UNUSED_PAD src0_sel:BYTE_0 src1_sel:DWORD
	v_and_b32_e32 v6, v6, v39
	v_cmp_eq_u32_e32 vcc, v6, v33
	s_and_b64 exec, exec, vcc
	s_cbranch_execz .LBB81_208
; %bb.212:                              ;   in Loop: Header=BB81_210 Depth=2
	v_lshlrev_b16_e32 v5, 8, v5
	v_or_b32_e32 v5, 1, v5
	ds_write_b16 v20, v5 offset:3072
	s_branch .LBB81_208
.LBB81_213:                             ;   in Loop: Header=BB81_210 Depth=2
	v_add_u32_e32 v3, s45, v3
	v_cmp_le_u32_e32 vcc, s48, v3
	s_mov_b64 s[12:13], 0
	s_orn2_b64 s[10:11], vcc, exec
	s_branch .LBB81_209
.LBB81_214:                             ;   in Loop: Header=BB81_11 Depth=1
	s_or_b64 exec, exec, s[94:95]
	v_lshrrev_b32_sdwa v40, v38, v5 dst_sel:DWORD dst_unused:UNUSED_PAD src0_sel:DWORD src1_sel:WORD_0
	s_and_b64 s[94:95], s[42:43], exec
.LBB81_215:                             ;   in Loop: Header=BB81_11 Depth=1
	s_or_b64 exec, exec, s[34:35]
.LBB81_216:                             ;   in Loop: Header=BB81_11 Depth=1
	s_and_b64 vcc, exec, s[30:31]
	s_cbranch_vccz .LBB81_227
; %bb.217:                              ;   in Loop: Header=BB81_11 Depth=1
                                        ; implicit-def: $vgpr40
	s_mov_b64 s[30:31], exec
	v_readlane_b32 s10, v52, 32
	v_readlane_b32 s11, v52, 33
	s_and_b64 s[10:11], s[30:31], s[10:11]
	s_mov_b64 exec, s[10:11]
	s_cbranch_execz .LBB81_226
; %bb.218:                              ;   in Loop: Header=BB81_11 Depth=1
	s_mov_b64 s[34:35], 0
	v_mov_b32_e32 v3, v17
	v_mov_b32_e32 v5, v0
                                        ; implicit-def: $sgpr86_sgpr87
	s_branch .LBB81_221
.LBB81_219:                             ;   in Loop: Header=BB81_221 Depth=2
	s_or_b64 exec, exec, s[10:11]
	s_waitcnt lgkmcnt(0)
	s_barrier
	ds_read_u16 v6, v20 offset:3072
	s_mov_b64 s[10:11], -1
	s_mov_b64 s[42:43], -1
	s_waitcnt lgkmcnt(0)
	s_barrier
	v_cmp_eq_u32_sdwa s[12:13], v6, v20 src0_sel:BYTE_0 src1_sel:DWORD
	s_and_b64 vcc, exec, s[12:13]
	s_cbranch_vccnz .LBB81_224
.LBB81_220:                             ;   in Loop: Header=BB81_221 Depth=2
	s_and_b64 s[10:11], exec, s[10:11]
	s_or_b64 s[34:35], s[10:11], s[34:35]
	s_andn2_b64 s[10:11], s[86:87], exec
	s_and_b64 s[12:13], s[42:43], exec
	s_or_b64 s[86:87], s[10:11], s[12:13]
	s_andn2_b64 exec, exec, s[34:35]
	s_cbranch_execz .LBB81_225
.LBB81_221:                             ;   Parent Loop BB81_11 Depth=1
                                        ; =>  This Inner Loop Header: Depth=2
	v_cmp_gt_u32_e32 vcc, s36, v5
	s_and_saveexec_b64 s[10:11], vcc
	s_cbranch_execz .LBB81_219
; %bb.222:                              ;   in Loop: Header=BB81_221 Depth=2
	global_load_ubyte v6, v3, s[40:41]
	s_waitcnt vmcnt(0)
	v_add_u32_sdwa v7, sext(v6), s57 dst_sel:DWORD dst_unused:UNUSED_PAD src0_sel:BYTE_0 src1_sel:DWORD
	v_and_b32_e32 v7, v7, v39
	v_cmp_eq_u32_e32 vcc, v7, v33
	s_and_b64 exec, exec, vcc
	s_cbranch_execz .LBB81_219
; %bb.223:                              ;   in Loop: Header=BB81_221 Depth=2
	v_lshlrev_b16_e32 v6, 8, v6
	v_or_b32_e32 v6, 1, v6
	ds_write_b16 v20, v6 offset:3072
	s_branch .LBB81_219
.LBB81_224:                             ;   in Loop: Header=BB81_221 Depth=2
	v_add_u32_e32 v5, s45, v5
	v_cmp_le_u32_e32 vcc, s55, v5
	v_add_u32_e32 v3, s39, v3
	s_mov_b64 s[42:43], 0
	s_orn2_b64 s[10:11], vcc, exec
	s_branch .LBB81_220
.LBB81_225:                             ;   in Loop: Header=BB81_11 Depth=1
	s_or_b64 exec, exec, s[34:35]
	s_andn2_b64 s[10:11], s[94:95], exec
	s_and_b64 s[12:13], s[86:87], exec
	v_lshrrev_b32_sdwa v40, v38, v6 dst_sel:DWORD dst_unused:UNUSED_PAD src0_sel:DWORD src1_sel:WORD_0
	s_or_b64 s[94:95], s[10:11], s[12:13]
.LBB81_226:                             ;   in Loop: Header=BB81_11 Depth=1
	s_or_b64 exec, exec, s[30:31]
	s_mov_b64 s[86:87], 0
	s_mov_b64 s[88:89], -1
.LBB81_227:                             ;   in Loop: Header=BB81_11 Depth=1
	s_orn2_b64 s[30:31], s[94:95], exec
.LBB81_228:                             ;   in Loop: Header=BB81_11 Depth=1
	s_or_b64 exec, exec, s[92:93]
	s_mov_b64 s[34:35], 0
	s_and_saveexec_b64 s[92:93], s[30:31]
	s_cbranch_execz .LBB81_239
; %bb.229:                              ;   in Loop: Header=BB81_11 Depth=1
	s_xor_b64 s[10:11], s[90:91], -1
	v_mov_b32_e32 v2, 1
	v_mov_b32_e32 v3, 1
	s_and_saveexec_b64 s[30:31], s[10:11]
	s_cbranch_execz .LBB81_238
; %bb.230:                              ;   in Loop: Header=BB81_11 Depth=1
	v_cmp_ge_u32_e32 vcc, s20, v4
	s_and_saveexec_b64 s[10:11], vcc
	s_xor_b64 s[34:35], exec, s[10:11]
	s_cbranch_execz .LBB81_235
; %bb.231:                              ;   in Loop: Header=BB81_11 Depth=1
	v_or_b32_e32 v33, v33, v1
	v_or_b32_e32 v39, v39, v1
	ds_read_b32 v1, v20 offset:4104
	s_waitcnt lgkmcnt(0)
	v_cmp_ne_u32_e32 vcc, 0, v1
	s_cbranch_vccnz .LBB81_235
; %bb.232:                              ;   in Loop: Header=BB81_11 Depth=1
	s_and_saveexec_b64 s[10:11], s[0:1]
; %bb.233:                              ;   in Loop: Header=BB81_11 Depth=1
	v_mov_b32_e32 v1, s20
	ds_write_b32 v20, v1 offset:4108
; %bb.234:                              ;   in Loop: Header=BB81_11 Depth=1
	s_or_b64 exec, exec, s[10:11]
	s_waitcnt lgkmcnt(0)
	s_barrier
.LBB81_235:                             ;   in Loop: Header=BB81_11 Depth=1
	s_andn2_saveexec_b64 s[10:11], s[34:35]
; %bb.236:                              ;   in Loop: Header=BB81_11 Depth=1
	v_subrev_u32_e32 v4, s20, v4
; %bb.237:                              ;   in Loop: Header=BB81_11 Depth=1
	s_or_b64 exec, exec, s[10:11]
	v_mov_b32_e32 v2, 8
	v_mov_b32_e32 v3, v4
.LBB81_238:                             ;   in Loop: Header=BB81_11 Depth=1
	s_or_b64 exec, exec, s[30:31]
	s_mov_b64 s[34:35], exec
	v_mov_b32_e32 v4, v3
.LBB81_239:                             ;   in Loop: Header=BB81_11 Depth=1
	s_or_b64 exec, exec, s[92:93]
	s_orn2_b64 s[30:31], s[34:35], exec
.LBB81_240:                             ;   in Loop: Header=BB81_11 Depth=1
	s_or_b64 exec, exec, s[84:85]
	s_andn2_b64 s[10:11], s[80:81], exec
	s_and_b64 s[12:13], s[88:89], exec
	s_or_b64 s[80:81], s[10:11], s[12:13]
	s_andn2_b64 s[10:11], s[78:79], exec
	s_and_b64 s[12:13], s[86:87], exec
	s_or_b64 s[78:79], s[10:11], s[12:13]
	s_and_b64 s[34:35], s[30:31], exec
	v_mov_b32_e32 v5, v4
.LBB81_241:                             ;   in Loop: Header=BB81_11 Depth=1
	s_or_b64 exec, exec, s[82:83]
	s_orn2_b64 s[30:31], s[34:35], exec
.LBB81_242:                             ;   in Loop: Header=BB81_11 Depth=1
	s_or_b64 exec, exec, s[76:77]
	s_andn2_b64 s[10:11], s[72:73], exec
	s_and_b64 s[12:13], s[80:81], exec
	s_or_b64 s[72:73], s[10:11], s[12:13]
	s_andn2_b64 s[10:11], s[28:29], exec
	s_and_b64 s[12:13], s[78:79], exec
	s_or_b64 s[28:29], s[10:11], s[12:13]
	s_and_b64 s[34:35], s[30:31], exec
	v_mov_b32_e32 v4, v5
.LBB81_243:                             ;   in Loop: Header=BB81_11 Depth=1
	s_or_b64 exec, exec, s[74:75]
	s_orn2_b64 s[30:31], s[34:35], exec
.LBB81_244:                             ;   in Loop: Header=BB81_11 Depth=1
	s_or_b64 exec, exec, s[26:27]
	s_mov_b64 s[34:35], 0
                                        ; implicit-def: $sgpr42
	s_and_saveexec_b64 s[10:11], s[30:31]
	s_xor_b64 s[26:27], exec, s[10:11]
	s_cbranch_execz .LBB81_9
; %bb.245:                              ;   in Loop: Header=BB81_11 Depth=1
	v_and_b32_e32 v1, 7, v2
	v_cmp_eq_u32_e32 vcc, 0, v1
	s_mov_b64 s[22:23], -1
	s_mov_b64 s[30:31], -1
                                        ; implicit-def: $sgpr42
	s_and_saveexec_b64 s[10:11], vcc
	s_cbranch_execz .LBB81_8
; %bb.246:                              ;   in Loop: Header=BB81_11 Depth=1
	v_add_u32_e32 v1, -2, v37
	v_cmp_eq_u32_e32 vcc, 0, v37
	s_xor_b32 s42, s52, 1
	s_xor_b64 s[30:31], exec, -1
	s_orn2_b64 s[22:23], vcc, exec
	v_mov_b32_e32 v37, v1
	s_branch .LBB81_8
.LBB81_247:
	s_or_b64 exec, exec, s[58:59]
	s_xor_b64 s[8:9], s[64:65], -1
	s_xor_b64 s[0:1], s[60:61], -1
	;; [unrolled: 1-line block ×3, first 2 shown]
	s_mov_b64 s[4:5], 0
	s_and_saveexec_b64 s[2:3], s[0:1]
	s_xor_b64 s[0:1], exec, s[2:3]
	s_cbranch_execnz .LBB81_252
; %bb.248:
	s_andn2_saveexec_b64 s[0:1], s[0:1]
	s_cbranch_execnz .LBB81_265
.LBB81_249:
	s_or_b64 exec, exec, s[0:1]
	s_and_saveexec_b64 s[0:1], s[4:5]
.LBB81_250:
	; divergent unreachable
.LBB81_251:
	s_endpgm
.LBB81_252:
	s_and_saveexec_b64 s[2:3], s[8:9]
	s_xor_b64 s[4:5], exec, s[2:3]
	s_cbranch_execz .LBB81_263
; %bb.253:
	s_and_saveexec_b64 s[2:3], s[6:7]
	s_xor_b64 s[6:7], exec, s[2:3]
; %bb.254:
	v_xor_b32_e32 v40, 0xffffff80, v33
; %bb.255:
	s_or_b64 exec, exec, s[6:7]
	v_readlane_b32 s7, v52, 0
	v_readlane_b32 s8, v52, 10
	s_mul_i32 s2, s8, s7
	v_readlane_b32 s18, v52, 12
	s_sub_i32 s2, s18, s2
	s_add_i32 s3, s8, 1
	s_sub_i32 s6, s2, s7
	s_cmp_ge_u32 s2, s7
	s_cselect_b32 s3, s3, s8
	s_cselect_b32 s2, s6, s2
	s_add_i32 s6, s3, 1
	s_cmp_ge_u32 s2, s7
	s_cselect_b32 s2, s6, s3
	s_mul_i32 s3, s2, s7
	v_readlane_b32 s6, v52, 6
	s_sub_i32 s3, s18, s3
	v_readlane_b32 s7, v52, 7
	s_mul_i32 s3, s3, s7
	s_mul_i32 s2, s2, s6
	s_add_i32 s2, s2, s3
	v_mov_b32_e32 v1, s2
	v_readlane_b32 s2, v52, 8
	v_readlane_b32 s3, v52, 9
	s_nop 4
	global_store_byte v1, v40, s[2:3]
	s_mov_b64 s[6:7], exec
	v_readlane_b32 s2, v52, 13
	v_readlane_b32 s3, v52, 14
	s_and_b64 s[2:3], s[6:7], s[2:3]
	s_mov_b64 exec, s[2:3]
	s_cbranch_execz .LBB81_262
; %bb.256:
	s_mov_b64 s[2:3], 0
                                        ; implicit-def: $sgpr8_sgpr9
                                        ; implicit-def: $sgpr12_sgpr13
                                        ; implicit-def: $sgpr10_sgpr11
	s_branch .LBB81_258
.LBB81_257:                             ;   in Loop: Header=BB81_258 Depth=1
	s_or_b64 exec, exec, s[14:15]
	s_and_b64 s[14:15], exec, s[12:13]
	s_or_b64 s[2:3], s[14:15], s[2:3]
	s_andn2_b64 s[8:9], s[8:9], exec
	s_and_b64 s[14:15], s[10:11], exec
	s_or_b64 s[8:9], s[8:9], s[14:15]
	s_andn2_b64 exec, exec, s[2:3]
	s_cbranch_execz .LBB81_260
.LBB81_258:                             ; =>This Inner Loop Header: Depth=1
	global_load_ubyte v2, v17, s[40:41]
	v_mov_b32_e32 v1, v0
	s_or_b64 s[10:11], s[10:11], exec
	s_or_b64 s[12:13], s[12:13], exec
                                        ; implicit-def: $vgpr0
	s_waitcnt vmcnt(0)
	v_cmp_ne_u16_sdwa s[16:17], v2, v40 src0_sel:DWORD src1_sel:BYTE_0
	s_and_saveexec_b64 s[14:15], s[16:17]
	s_cbranch_execz .LBB81_257
; %bb.259:                              ;   in Loop: Header=BB81_258 Depth=1
	v_add_u32_e32 v0, s45, v1
	v_cmp_le_u32_e32 vcc, s36, v0
	s_andn2_b64 s[12:13], s[12:13], exec
	s_and_b64 s[16:17], vcc, exec
	v_add_u32_e32 v17, s39, v17
	s_andn2_b64 s[10:11], s[10:11], exec
	s_or_b64 s[12:13], s[12:13], s[16:17]
	s_branch .LBB81_257
.LBB81_260:
	s_or_b64 exec, exec, s[2:3]
	s_and_saveexec_b64 s[2:3], s[8:9]
	s_xor_b64 s[2:3], exec, s[2:3]
	s_cbranch_execz .LBB81_262
; %bb.261:
	v_readlane_b32 s9, v52, 1
	v_readlane_b32 s10, v52, 11
	s_mul_i32 s2, s10, s9
	s_sub_i32 s2, s18, s2
	s_add_i32 s3, s10, 1
	s_sub_i32 s8, s2, s9
	s_cmp_ge_u32 s2, s9
	s_cselect_b32 s3, s3, s10
	s_cselect_b32 s2, s8, s2
	s_add_i32 s8, s3, 1
	s_cmp_ge_u32 s2, s9
	s_cselect_b32 s2, s8, s3
	s_mul_i32 s3, s2, s9
	v_readlane_b32 s8, v52, 2
	s_sub_i32 s3, s18, s3
	v_readlane_b32 s9, v52, 3
	s_mul_i32 s3, s3, s9
	s_mul_i32 s2, s2, s8
	s_add_i32 s2, s2, s3
	s_mov_b32 s3, 0
	s_lshl_b64 s[2:3], s[2:3], 3
	v_readlane_b32 s8, v52, 4
	v_readlane_b32 s9, v52, 5
	s_add_u32 s2, s8, s2
	s_addc_u32 s3, s9, s3
	v_mov_b32_e32 v2, 0
	global_store_dwordx2 v2, v[1:2], s[2:3]
.LBB81_262:
	s_or_b64 exec, exec, s[6:7]
.LBB81_263:
	s_or_saveexec_b64 s[2:3], s[4:5]
	s_mov_b64 s[4:5], 0
	s_xor_b64 exec, exec, s[2:3]
	s_cbranch_execnz .LBB81_266
.LBB81_264:
	s_or_b64 exec, exec, s[2:3]
	s_and_b64 s[4:5], s[4:5], exec
	s_andn2_saveexec_b64 s[0:1], s[0:1]
	s_cbranch_execz .LBB81_249
.LBB81_265:
	s_or_b64 s[4:5], s[4:5], exec
	s_trap 2
	s_or_b64 exec, exec, s[0:1]
	s_and_saveexec_b64 s[0:1], s[4:5]
	s_cbranch_execnz .LBB81_250
	s_branch .LBB81_251
.LBB81_266:
	s_mov_b64 s[4:5], exec
	s_trap 2
	s_branch .LBB81_264
	.section	.rodata,"a",@progbits
	.p2align	6, 0x0
	.amdhsa_kernel _ZN2at6native12_GLOBAL__N_112gatherMedianIajLi2EEEvNS_4cuda6detail10TensorInfoIT_T0_EENS5_IlS7_EENS5_IKS6_S7_EES7_S7_S7_b
		.amdhsa_group_segment_fixed_size 4120
		.amdhsa_private_segment_fixed_size 0
		.amdhsa_kernarg_size 920
		.amdhsa_user_sgpr_count 6
		.amdhsa_user_sgpr_private_segment_buffer 1
		.amdhsa_user_sgpr_dispatch_ptr 0
		.amdhsa_user_sgpr_queue_ptr 0
		.amdhsa_user_sgpr_kernarg_segment_ptr 1
		.amdhsa_user_sgpr_dispatch_id 0
		.amdhsa_user_sgpr_flat_scratch_init 0
		.amdhsa_user_sgpr_private_segment_size 0
		.amdhsa_uses_dynamic_stack 0
		.amdhsa_system_sgpr_private_segment_wavefront_offset 0
		.amdhsa_system_sgpr_workgroup_id_x 1
		.amdhsa_system_sgpr_workgroup_id_y 1
		.amdhsa_system_sgpr_workgroup_id_z 1
		.amdhsa_system_sgpr_workgroup_info 0
		.amdhsa_system_vgpr_workitem_id 0
		.amdhsa_next_free_vgpr 53
		.amdhsa_next_free_sgpr 96
		.amdhsa_reserve_vcc 1
		.amdhsa_reserve_flat_scratch 0
		.amdhsa_float_round_mode_32 0
		.amdhsa_float_round_mode_16_64 0
		.amdhsa_float_denorm_mode_32 3
		.amdhsa_float_denorm_mode_16_64 3
		.amdhsa_dx10_clamp 1
		.amdhsa_ieee_mode 1
		.amdhsa_fp16_overflow 0
		.amdhsa_exception_fp_ieee_invalid_op 0
		.amdhsa_exception_fp_denorm_src 0
		.amdhsa_exception_fp_ieee_div_zero 0
		.amdhsa_exception_fp_ieee_overflow 0
		.amdhsa_exception_fp_ieee_underflow 0
		.amdhsa_exception_fp_ieee_inexact 0
		.amdhsa_exception_int_div_zero 0
	.end_amdhsa_kernel
	.section	.text._ZN2at6native12_GLOBAL__N_112gatherMedianIajLi2EEEvNS_4cuda6detail10TensorInfoIT_T0_EENS5_IlS7_EENS5_IKS6_S7_EES7_S7_S7_b,"axG",@progbits,_ZN2at6native12_GLOBAL__N_112gatherMedianIajLi2EEEvNS_4cuda6detail10TensorInfoIT_T0_EENS5_IlS7_EENS5_IKS6_S7_EES7_S7_S7_b,comdat
.Lfunc_end81:
	.size	_ZN2at6native12_GLOBAL__N_112gatherMedianIajLi2EEEvNS_4cuda6detail10TensorInfoIT_T0_EENS5_IlS7_EENS5_IKS6_S7_EES7_S7_S7_b, .Lfunc_end81-_ZN2at6native12_GLOBAL__N_112gatherMedianIajLi2EEEvNS_4cuda6detail10TensorInfoIT_T0_EENS5_IlS7_EENS5_IKS6_S7_EES7_S7_S7_b
                                        ; -- End function
	.set _ZN2at6native12_GLOBAL__N_112gatherMedianIajLi2EEEvNS_4cuda6detail10TensorInfoIT_T0_EENS5_IlS7_EENS5_IKS6_S7_EES7_S7_S7_b.num_vgpr, 53
	.set _ZN2at6native12_GLOBAL__N_112gatherMedianIajLi2EEEvNS_4cuda6detail10TensorInfoIT_T0_EENS5_IlS7_EENS5_IKS6_S7_EES7_S7_S7_b.num_agpr, 0
	.set _ZN2at6native12_GLOBAL__N_112gatherMedianIajLi2EEEvNS_4cuda6detail10TensorInfoIT_T0_EENS5_IlS7_EENS5_IKS6_S7_EES7_S7_S7_b.numbered_sgpr, 96
	.set _ZN2at6native12_GLOBAL__N_112gatherMedianIajLi2EEEvNS_4cuda6detail10TensorInfoIT_T0_EENS5_IlS7_EENS5_IKS6_S7_EES7_S7_S7_b.num_named_barrier, 0
	.set _ZN2at6native12_GLOBAL__N_112gatherMedianIajLi2EEEvNS_4cuda6detail10TensorInfoIT_T0_EENS5_IlS7_EENS5_IKS6_S7_EES7_S7_S7_b.private_seg_size, 0
	.set _ZN2at6native12_GLOBAL__N_112gatherMedianIajLi2EEEvNS_4cuda6detail10TensorInfoIT_T0_EENS5_IlS7_EENS5_IKS6_S7_EES7_S7_S7_b.uses_vcc, 1
	.set _ZN2at6native12_GLOBAL__N_112gatherMedianIajLi2EEEvNS_4cuda6detail10TensorInfoIT_T0_EENS5_IlS7_EENS5_IKS6_S7_EES7_S7_S7_b.uses_flat_scratch, 0
	.set _ZN2at6native12_GLOBAL__N_112gatherMedianIajLi2EEEvNS_4cuda6detail10TensorInfoIT_T0_EENS5_IlS7_EENS5_IKS6_S7_EES7_S7_S7_b.has_dyn_sized_stack, 0
	.set _ZN2at6native12_GLOBAL__N_112gatherMedianIajLi2EEEvNS_4cuda6detail10TensorInfoIT_T0_EENS5_IlS7_EENS5_IKS6_S7_EES7_S7_S7_b.has_recursion, 0
	.set _ZN2at6native12_GLOBAL__N_112gatherMedianIajLi2EEEvNS_4cuda6detail10TensorInfoIT_T0_EENS5_IlS7_EENS5_IKS6_S7_EES7_S7_S7_b.has_indirect_call, 0
	.section	.AMDGPU.csdata,"",@progbits
; Kernel info:
; codeLenInByte = 10344
; TotalNumSgprs: 100
; NumVgprs: 53
; ScratchSize: 0
; MemoryBound: 0
; FloatMode: 240
; IeeeMode: 1
; LDSByteSize: 4120 bytes/workgroup (compile time only)
; SGPRBlocks: 12
; VGPRBlocks: 13
; NumSGPRsForWavesPerEU: 100
; NumVGPRsForWavesPerEU: 53
; Occupancy: 4
; WaveLimiterHint : 1
; COMPUTE_PGM_RSRC2:SCRATCH_EN: 0
; COMPUTE_PGM_RSRC2:USER_SGPR: 6
; COMPUTE_PGM_RSRC2:TRAP_HANDLER: 0
; COMPUTE_PGM_RSRC2:TGID_X_EN: 1
; COMPUTE_PGM_RSRC2:TGID_Y_EN: 1
; COMPUTE_PGM_RSRC2:TGID_Z_EN: 1
; COMPUTE_PGM_RSRC2:TIDIG_COMP_CNT: 0
	.section	.text._ZN2at6native12_GLOBAL__N_112gatherMedianIajLi3EEEvNS_4cuda6detail10TensorInfoIT_T0_EENS5_IlS7_EENS5_IKS6_S7_EES7_S7_S7_b,"axG",@progbits,_ZN2at6native12_GLOBAL__N_112gatherMedianIajLi3EEEvNS_4cuda6detail10TensorInfoIT_T0_EENS5_IlS7_EENS5_IKS6_S7_EES7_S7_S7_b,comdat
	.globl	_ZN2at6native12_GLOBAL__N_112gatherMedianIajLi3EEEvNS_4cuda6detail10TensorInfoIT_T0_EENS5_IlS7_EENS5_IKS6_S7_EES7_S7_S7_b ; -- Begin function _ZN2at6native12_GLOBAL__N_112gatherMedianIajLi3EEEvNS_4cuda6detail10TensorInfoIT_T0_EENS5_IlS7_EENS5_IKS6_S7_EES7_S7_S7_b
	.p2align	8
	.type	_ZN2at6native12_GLOBAL__N_112gatherMedianIajLi3EEEvNS_4cuda6detail10TensorInfoIT_T0_EENS5_IlS7_EENS5_IKS6_S7_EES7_S7_S7_b,@function
_ZN2at6native12_GLOBAL__N_112gatherMedianIajLi3EEEvNS_4cuda6detail10TensorInfoIT_T0_EENS5_IlS7_EENS5_IKS6_S7_EES7_S7_S7_b: ; @_ZN2at6native12_GLOBAL__N_112gatherMedianIajLi3EEEvNS_4cuda6detail10TensorInfoIT_T0_EENS5_IlS7_EENS5_IKS6_S7_EES7_S7_S7_b
; %bb.0:
	s_load_dwordx2 s[14:15], s[4:5], 0x298
	s_load_dwordx4 s[36:39], s[4:5], 0x288
	s_add_u32 s12, s4, 0x298
	s_addc_u32 s13, s5, 0
	s_waitcnt lgkmcnt(0)
	s_mul_i32 s0, s15, s8
	s_add_i32 s0, s0, s7
	s_mul_i32 s0, s0, s14
	s_add_i32 s26, s0, s6
	s_cmp_ge_u32 s26, s37
	s_cbranch_scc1 .LBB82_251
; %bb.1:
	s_load_dwordx2 s[16:17], s[4:5], 0xc
	s_load_dwordx2 s[2:3], s[4:5], 0x1bc
	s_load_dwordx2 s[56:57], s[4:5], 0xe4
	s_load_dwordx4 s[8:11], s[4:5], 0x21c
                                        ; implicit-def: $vgpr52 : SGPR spill to VGPR lane
	s_waitcnt lgkmcnt(0)
	v_cvt_f32_u32_e32 v3, s57
	v_cvt_f32_u32_e32 v1, s17
	s_sub_i32 s0, 0, s17
	v_cvt_f32_u32_e32 v2, s16
	v_rcp_iflag_f32_e32 v3, v3
	v_rcp_iflag_f32_e32 v1, v1
	;; [unrolled: 1-line block ×3, first 2 shown]
	v_mul_f32_e32 v1, 0x4f7ffffe, v1
	v_cvt_u32_f32_e32 v1, v1
	v_mul_f32_e32 v2, 0x4f7ffffe, v2
	v_cvt_u32_f32_e32 v2, v2
	v_readfirstlane_b32 s1, v1
	s_mul_i32 s0, s0, s1
	s_mul_hi_u32 s0, s1, s0
	s_add_i32 s1, s1, s0
	s_mul_hi_u32 s0, s26, s1
	s_mul_i32 s1, s0, s17
	s_sub_i32 s1, s26, s1
	s_add_i32 s7, s0, 1
	s_sub_i32 s11, s1, s17
	v_mul_f32_e32 v1, 0x4f7ffffe, v3
	s_cmp_ge_u32 s1, s17
	v_cvt_u32_f32_e32 v1, v1
	s_cselect_b32 s0, s7, s0
	s_cselect_b32 s1, s11, s1
	s_add_i32 s7, s0, 1
	s_cmp_ge_u32 s1, s17
	s_cselect_b32 s0, s7, s0
	v_readfirstlane_b32 s1, v1
	v_cvt_f32_u32_e32 v1, s56
	v_writelane_b32 v52, s0, 0
	v_writelane_b32 v52, s16, 1
	s_sub_i32 s0, 0, s16
	v_readfirstlane_b32 s7, v2
	s_mul_i32 s0, s0, s7
	s_mul_hi_u32 s15, s7, s0
	s_sub_i32 s0, 0, s57
	v_rcp_iflag_f32_e32 v1, v1
	s_mul_i32 s0, s0, s1
	v_cvt_f32_u32_e32 v2, s3
	s_mul_hi_u32 s0, s1, s0
	s_add_i32 s1, s1, s0
	s_mul_hi_u32 s0, s26, s1
	v_mul_f32_e32 v1, 0x4f7ffffe, v1
	s_mul_i32 s1, s0, s57
	v_cvt_u32_f32_e32 v1, v1
	v_rcp_iflag_f32_e32 v2, v2
	s_sub_i32 s1, s26, s1
	v_writelane_b32 v52, s17, 2
	s_add_i32 s11, s0, 1
	s_sub_i32 s16, s1, s57
	s_cmp_ge_u32 s1, s57
	s_cselect_b32 s0, s11, s0
	v_readfirstlane_b32 s18, v1
	v_mul_f32_e32 v1, 0x4f7ffffe, v2
	s_cselect_b32 s1, s16, s1
	s_add_i32 s11, s0, 1
	v_cvt_u32_f32_e32 v1, v1
	s_cmp_ge_u32 s1, s57
	s_cselect_b32 s0, s11, s0
	v_writelane_b32 v52, s0, 3
	s_sub_i32 s0, 0, s56
	s_mul_i32 s0, s0, s18
	v_readfirstlane_b32 s1, v1
	v_cvt_f32_u32_e32 v1, s2
	s_mul_hi_u32 s19, s18, s0
	s_sub_i32 s0, 0, s3
	s_mul_i32 s0, s0, s1
	s_mul_hi_u32 s0, s1, s0
	s_add_i32 s1, s1, s0
	v_rcp_iflag_f32_e32 v1, v1
	s_mul_hi_u32 s0, s26, s1
	s_mul_i32 s1, s0, s3
	s_sub_i32 s1, s26, s1
	s_add_i32 s11, s0, 1
	s_sub_i32 s16, s1, s3
	v_mul_f32_e32 v1, 0x4f7ffffe, v1
	s_cmp_ge_u32 s1, s3
	v_cvt_u32_f32_e32 v1, v1
	s_cselect_b32 s0, s11, s0
	s_cselect_b32 s1, s16, s1
	s_add_i32 s11, s0, 1
	s_cmp_ge_u32 s1, s3
	s_cselect_b32 s11, s11, s0
	s_sub_i32 s0, 0, s2
	v_readfirstlane_b32 s22, v1
	s_mul_i32 s0, s0, s22
	s_mul_hi_u32 s0, s22, s0
	s_add_i32 s22, s22, s0
	v_cmp_eq_u32_e64 s[0:1], 0, v0
	v_writelane_b32 v52, s0, 4
	v_writelane_b32 v52, s1, 5
	s_and_saveexec_b64 s[16:17], s[0:1]
; %bb.2:
	v_mov_b32_e32 v1, 0
	v_mov_b32_e32 v2, v1
	ds_write_b64 v1, v[1:2] offset:4096
; %bb.3:
	s_or_b64 exec, exec, s[16:17]
	s_load_dwordx4 s[28:31], s[4:5], 0x144
	v_mov_b32_e32 v1, 0
	s_waitcnt lgkmcnt(0)
	s_barrier
	v_writelane_b32 v52, s28, 6
	v_writelane_b32 v52, s29, 7
	s_barrier
	ds_read_b64 v[1:2], v1 offset:4096
	v_writelane_b32 v52, s30, 8
	v_writelane_b32 v52, s31, 9
	s_load_dwordx4 s[28:31], s[4:5], 0x6c
	s_load_dwordx2 s[16:17], s[4:5], 0x1b0
	s_add_i32 s20, s7, s15
	s_add_i32 s21, s18, s19
	s_waitcnt lgkmcnt(0)
	v_readfirstlane_b32 s18, v1
	v_readfirstlane_b32 s19, v2
	s_mul_hi_u32 s15, s11, s22
	s_bitcmp1_b32 s39, 0
	v_cmp_lt_i64_e64 s[22:23], s[18:19], 1
	v_writelane_b32 v52, s28, 10
	s_cselect_b64 s[24:25], -1, 0
	v_writelane_b32 v52, s29, 11
	s_or_b64 s[22:23], s[24:25], s[22:23]
	v_writelane_b32 v52, s30, 12
	s_andn2_b64 vcc, exec, s[22:23]
	s_mov_b32 s7, s36
	v_writelane_b32 v52, s31, 13
	s_cbranch_vccnz .LBB82_5
; %bb.4:
	s_not_b64 s[18:19], s[18:19]
	s_add_u32 s7, s18, s36
	s_addc_u32 s19, s19, 0
	s_lshr_b32 s18, s19, 31
	s_add_u32 s18, s7, s18
	s_addc_u32 s19, s19, 0
	s_lshr_b64 s[18:19], s[18:19], 1
	s_add_i32 s7, s18, 1
.LBB82_5:
	s_load_dwordx2 s[0:1], s[4:5], 0xd8
                                        ; kill: killed $sgpr4 killed $sgpr5
	s_waitcnt lgkmcnt(0)
	v_writelane_b32 v52, s0, 14
	v_writelane_b32 v52, s1, 15
	s_load_dwordx2 s[0:1], s[4:5], 0x0
	s_waitcnt lgkmcnt(0)
	v_writelane_b32 v52, s0, 16
	v_writelane_b32 v52, s1, 17
	v_readlane_b32 s0, v52, 0
	s_mul_hi_u32 s0, s0, s20
	v_writelane_b32 v52, s0, 18
	v_readlane_b32 s0, v52, 3
	s_mul_hi_u32 s0, s0, s21
	v_writelane_b32 v52, s0, 19
	v_readlane_b32 s0, v52, 4
	v_readlane_b32 s1, v52, 5
	s_and_saveexec_b64 s[4:5], s[0:1]
	s_cbranch_execz .LBB82_7
; %bb.6:
	v_mov_b32_e32 v1, 0
	v_mov_b32_e32 v2, s36
	ds_write_b32 v1, v1 offset:4112
	ds_write_b64 v1, v[1:2] offset:4104
.LBB82_7:
	s_or_b64 exec, exec, s[4:5]
	s_mul_i32 s3, s11, s3
	s_mul_i32 s4, s15, s2
	s_sub_i32 s3, s26, s3
	s_sub_i32 s4, s11, s4
	s_mul_i32 s3, s3, s10
	s_add_i32 s5, s15, 1
	s_sub_i32 s10, s4, s2
	s_cmp_ge_u32 s4, s2
	s_cselect_b32 s5, s5, s15
	s_cselect_b32 s4, s10, s4
	s_add_i32 s10, s5, 1
	s_cmp_ge_u32 s4, s2
	s_cselect_b32 s4, s10, s5
	s_mul_i32 s2, s4, s2
	s_sub_i32 s2, s11, s2
	s_mul_i32 s2, s2, s9
	s_add_i32 s2, s2, s3
	s_waitcnt lgkmcnt(0)
	s_barrier
	s_load_dword s3, s[12:13], 0xc
	s_mul_i32 s4, s4, s8
	s_add_i32 s2, s2, s4
	v_mbcnt_lo_u32_b32 v1, -1, 0
	s_add_u32 s50, s16, s2
	v_mbcnt_hi_u32_b32 v19, -1, v1
	s_addc_u32 s51, s17, 0
	s_waitcnt lgkmcnt(0)
	s_and_b32 s39, s3, 0xffff
	v_cmp_gt_u32_e32 vcc, 64, v0
	v_cmp_gt_i32_e64 s[8:9], 4, v19
	s_and_b64 s[54:55], vcc, s[8:9]
	s_add_i32 s8, s39, -1
	v_writelane_b32 v52, s26, 20
	v_cmp_gt_u32_e64 s[0:1], s36, v0
	s_lshl_b32 s37, s39, 2
	s_bfe_u32 s10, s3, 0xa0006
	s_add_i32 s11, s8, s36
	v_writelane_b32 v52, s0, 21
	s_cmpk_gt_u32 s36, 0xc00
	v_lshlrev_b64 v[2:3], v19, -1
	v_writelane_b32 v52, s1, 22
	s_cselect_b64 s[0:1], -1, 0
	s_cmp_gt_u32 s39, 63
	s_cselect_b64 s[58:59], -1, 0
	v_not_b32_e32 v23, v2
	v_lshrrev_b32_e32 v2, 2, v0
	s_cmp_lt_u32 s6, s14
	v_writelane_b32 v52, s0, 23
	v_and_b32_e32 v2, 0xf0, v2
	s_cselect_b32 s2, 12, 18
	v_writelane_b32 v52, s1, 24
	v_or_b32_e32 v24, 0xc00, v2
	s_add_u32 s0, s12, s2
	v_add_u32_e32 v2, 2, v0
	s_addc_u32 s1, s13, 0
	v_max_u32_e32 v2, s36, v2
	v_writelane_b32 v52, s0, 25
	v_xad_u32 v2, v0, -1, v2
	v_not_b32_e32 v22, v3
	v_writelane_b32 v52, s1, 26
	v_add_u32_e32 v3, -4, v2
	v_cmp_lt_u32_e64 s[0:1], 31, v2
	v_lshrrev_b32_e32 v4, 2, v3
	v_writelane_b32 v52, s0, 27
	v_add_u32_e32 v4, 1, v4
	v_writelane_b32 v52, s1, 28
	v_cmp_lt_u32_e64 s[0:1], 11, v3
	v_and_b32_e32 v5, 3, v4
	v_writelane_b32 v52, s0, 29
	v_writelane_b32 v52, s1, 30
	v_cmp_ne_u32_e64 s[0:1], 0, v5
	v_and_b32_e32 v25, -4, v2
	v_writelane_b32 v52, s0, 31
	v_writelane_b32 v52, s1, 32
	v_cmp_ne_u32_e64 s[0:1], v2, v25
	v_cvt_f32_u32_e32 v2, s37
	v_writelane_b32 v52, s0, 33
	s_add_i32 s6, s10, -1
	v_writelane_b32 v52, s1, 34
	v_rcp_iflag_f32_e32 v2, v2
	s_bfe_u32 s0, s39, 0x30006
	s_and_b32 s6, s6, 0xffff
	s_cmp_gt_u32 s6, 6
	v_mul_f32_e32 v2, 0x4f7ffffe, v2
	v_cvt_u32_f32_e32 v2, v2
	s_cselect_b64 s[12:13], -1, 0
	v_writelane_b32 v52, s12, 35
	s_and_b32 s60, s10, 0x3f8
	v_writelane_b32 v52, s13, 36
	s_cmp_lg_u32 s0, 0
	v_readfirstlane_b32 s10, v2
	v_cvt_f32_u32_e32 v2, s39
	v_writelane_b32 v52, s0, 37
	s_cselect_b64 s[0:1], -1, 0
	s_sub_i32 s6, 0, s37
	s_mul_i32 s6, s6, s10
	s_mul_hi_u32 s6, s10, s6
	s_add_i32 s61, s10, s6
	v_rcp_iflag_f32_e32 v2, v2
	s_mul_hi_u32 s6, s36, s61
	s_mul_i32 s6, s6, s37
	s_sub_i32 s6, s36, s6
	s_sub_i32 s10, s6, s37
	v_mul_f32_e32 v2, 0x4f7ffffe, v2
	s_cmp_ge_u32 s6, s37
	v_cvt_u32_f32_e32 v2, v2
	s_cselect_b32 s6, s10, s6
	s_sub_i32 s10, s6, s37
	s_cmp_ge_u32 s6, s37
	s_cselect_b32 s6, s10, s6
	s_sub_i32 s10, 0, s39
	v_readfirstlane_b32 s12, v2
	s_mul_i32 s10, s10, s12
	s_mul_hi_u32 s10, s12, s10
	s_add_i32 s64, s12, s10
	s_mul_hi_u32 s10, s11, s64
	s_mul_i32 s10, s10, s39
	s_sub_i32 s10, s11, s10
	v_lshlrev_b32_e32 v18, 2, v0
	s_sub_i32 s63, s36, s6
	s_sub_i32 s12, s10, s39
	s_cmp_ge_u32 s10, s39
	v_mul_lo_u32 v2, s38, v18
	s_cselect_b32 s10, s12, s10
	s_sub_i32 s12, s10, s39
	s_cmp_ge_u32 s10, s39
	v_mul_lo_u32 v17, s38, v0
	s_cselect_b32 s10, s12, s10
	v_add_u32_e32 v30, s38, v2
	v_or_b32_e32 v2, 2, v18
	v_add_u32_e32 v28, s63, v0
	s_sub_i32 s65, s11, s10
	v_mul_lo_u32 v31, s38, v2
	v_or_b32_e32 v2, 3, v18
	s_add_i32 s10, s39, s36
	v_mul_lo_u32 v3, v28, s38
	v_mul_lo_u32 v32, s38, v2
	v_add_u32_e32 v2, s10, v0
	v_subrev_u32_e32 v2, s6, v2
	v_mov_b32_e32 v1, s51
	v_add_co_u32_e32 v13, vcc, s50, v17
	v_mul_lo_u32 v35, s38, v2
	v_addc_co_u32_e32 v14, vcc, 0, v1, vcc
	v_writelane_b32 v52, s0, 38
	v_lshlrev_b32_e32 v1, 2, v19
	v_and_b32_e32 v27, 0x7ffffffc, v4
	v_writelane_b32 v52, s1, 39
	v_mov_b32_e32 v4, s51
	v_add_co_u32_e32 v15, vcc, s50, v3
	v_cmp_gt_u32_e64 s[0:1], s65, v0
	s_mul_i32 s30, s38, s39
	s_mov_b32 s62, 0
	v_cmp_eq_u32_e64 s[4:5], 0, v19
	v_cmp_gt_u32_e64 s[24:25], 2, v0
	v_mov_b32_e32 v20, 0
	v_and_b32_e32 v21, 0x100, v1
	v_add_u32_e32 v26, v0, v25
	s_mov_b32 s9, s38
	s_mov_b32 s31, s38
	;; [unrolled: 1-line block ×4, first 2 shown]
	v_cmp_gt_u32_e64 s[16:17], s63, v18
	v_cmp_gt_u32_e64 s[18:19], s36, v28
	v_addc_co_u32_e32 v16, vcc, 0, v4, vcc
	v_writelane_b32 v52, s0, 40
	v_lshlrev_b32_e32 v29, 2, v5
	s_lshl_b32 s34, s30, 2
	v_lshlrev_b32_e32 v34, 2, v17
	v_or_b32_e32 v36, 0xc00, v1
	s_mov_b64 s[66:67], 0
	v_mov_b32_e32 v37, 6
	v_mov_b32_e32 v41, s7
	s_movk_i32 s35, 0x80
	s_mov_b32 s33, 0xc0c0004
	s_mov_b32 s44, 0xc0c0007
	v_mov_b32_e32 v38, 8
	v_mov_b32_e32 v40, 0
	;; [unrolled: 1-line block ×4, first 2 shown]
	v_writelane_b32 v52, s1, 41
                                        ; implicit-def: $sgpr68_sgpr69
                                        ; implicit-def: $sgpr72_sgpr73
                                        ; implicit-def: $sgpr70_sgpr71
                                        ; implicit-def: $sgpr76_sgpr77
                                        ; implicit-def: $sgpr78_sgpr79
                                        ; implicit-def: $sgpr74_sgpr75
	s_branch .LBB82_11
.LBB82_8:                               ;   in Loop: Header=BB82_11 Depth=1
	s_or_b64 exec, exec, s[22:23]
	s_and_b64 s[12:13], s[12:13], exec
	s_andn2_b64 s[80:81], s[80:81], exec
	s_andn2_b64 s[28:29], s[28:29], exec
	s_orn2_b64 s[22:23], s[14:15], exec
.LBB82_9:                               ;   in Loop: Header=BB82_11 Depth=1
	s_or_b64 exec, exec, s[10:11]
	s_andn2_b64 s[10:11], s[74:75], exec
	s_and_b64 s[12:13], s[12:13], exec
	s_or_b64 s[74:75], s[10:11], s[12:13]
	s_andn2_b64 s[10:11], s[78:79], exec
	s_and_b64 s[12:13], s[80:81], exec
	s_or_b64 s[78:79], s[10:11], s[12:13]
	;; [unrolled: 3-line block ×3, first 2 shown]
	s_orn2_b64 s[22:23], s[22:23], exec
.LBB82_10:                              ;   in Loop: Header=BB82_11 Depth=1
	s_or_b64 exec, exec, s[6:7]
	s_and_b64 s[6:7], exec, s[22:23]
	s_or_b64 s[66:67], s[6:7], s[66:67]
	s_andn2_b64 s[6:7], s[70:71], exec
	s_and_b64 s[10:11], s[74:75], exec
	s_or_b64 s[70:71], s[6:7], s[10:11]
	s_andn2_b64 s[6:7], s[72:73], exec
	s_and_b64 s[10:11], s[78:79], exec
	;; [unrolled: 3-line block ×3, first 2 shown]
	s_or_b64 s[68:69], s[6:7], s[10:11]
	s_mov_b32 s62, s42
	v_mov_b32_e32 v41, v4
	s_andn2_b64 exec, exec, s[66:67]
	s_cbranch_execz .LBB82_247
.LBB82_11:                              ; =>This Loop Header: Depth=1
                                        ;     Child Loop BB82_16 Depth 2
                                        ;     Child Loop BB82_37 Depth 2
	;; [unrolled: 1-line block ×18, first 2 shown]
	ds_read_b64 v[1:2], v20 offset:4104
	s_waitcnt lgkmcnt(0)
	v_readfirstlane_b32 s40, v1
	s_cmp_lg_u32 s40, 0
	s_cbranch_scc1 .LBB82_56
; %bb.12:                               ;   in Loop: Header=BB82_11 Depth=1
	v_readlane_b32 s0, v52, 23
	v_readlane_b32 s1, v52, 24
	s_and_b64 vcc, exec, s[0:1]
	s_cbranch_vccz .LBB82_24
; %bb.13:                               ;   in Loop: Header=BB82_11 Depth=1
	s_movk_i32 s6, 0xc01
	v_cmp_gt_u32_e32 vcc, s6, v2
	s_mov_b64 s[26:27], 0
	s_mov_b64 s[6:7], 0
	s_cbranch_vccz .LBB82_25
; %bb.14:                               ;   in Loop: Header=BB82_11 Depth=1
	v_readlane_b32 s0, v52, 25
	v_readlane_b32 s1, v52, 26
	s_nop 4
	global_load_ushort v1, v20, s[0:1]
	global_load_ubyte v4, v[13:14], off
	s_mov_b64 s[10:11], 0
	v_mov_b32_e32 v5, v0
	s_waitcnt vmcnt(1)
	v_add_u32_e32 v2, v0, v1
	v_mul_lo_u32 v2, s38, v2
	v_mul_lo_u32 v3, s38, v1
	s_branch .LBB82_16
.LBB82_15:                              ;   in Loop: Header=BB82_16 Depth=2
	s_or_b64 exec, exec, s[6:7]
	v_add_u32_e32 v2, v2, v3
	v_mov_b32_e32 v4, v6
	s_andn2_b64 exec, exec, s[10:11]
	s_cbranch_execz .LBB82_31
.LBB82_16:                              ;   Parent Loop BB82_11 Depth=1
                                        ; =>  This Inner Loop Header: Depth=2
	v_add_u32_e32 v5, v5, v1
	v_cmp_gt_u32_e64 s[6:7], s36, v5
	v_cmp_le_u32_e32 vcc, s36, v5
	s_waitcnt lgkmcnt(0)
	v_mov_b32_e32 v7, 0
	v_mov_b32_e32 v6, 0
	s_and_saveexec_b64 s[12:13], s[6:7]
	s_cbranch_execz .LBB82_18
; %bb.17:                               ;   in Loop: Header=BB82_16 Depth=2
	global_load_ubyte v6, v2, s[50:51]
.LBB82_18:                              ;   in Loop: Header=BB82_16 Depth=2
	s_or_b64 exec, exec, s[12:13]
	s_waitcnt vmcnt(0)
	v_add_u32_sdwa v8, sext(v4), s35 dst_sel:DWORD dst_unused:UNUSED_PAD src0_sel:BYTE_0 src1_sel:DWORD
	v_and_b32_e32 v8, v8, v39
	v_cmp_eq_u32_e64 s[22:23], v8, v33
	s_cmp_lg_u64 s[22:23], 0
	s_cselect_b64 s[6:7], -1, 0
	s_and_b64 s[6:7], s[4:5], s[6:7]
	s_and_saveexec_b64 s[12:13], s[6:7]
	s_cbranch_execz .LBB82_22
; %bb.19:                               ;   in Loop: Header=BB82_16 Depth=2
	s_mov_b64 s[28:29], exec
	v_mbcnt_lo_u32_b32 v7, s28, 0
	v_mbcnt_hi_u32_b32 v7, s29, v7
	s_bcnt1_i32_b64 s20, s[22:23]
	v_cmp_eq_u32_e64 s[6:7], 0, v7
                                        ; implicit-def: $vgpr8
	s_and_saveexec_b64 s[14:15], s[6:7]
; %bb.20:                               ;   in Loop: Header=BB82_16 Depth=2
	s_bcnt1_i32_b64 s6, s[28:29]
	s_mul_i32 s6, s20, s6
	v_mov_b32_e32 v8, s6
	ds_add_rtn_u32 v8, v20, v8 offset:4112
; %bb.21:                               ;   in Loop: Header=BB82_16 Depth=2
	s_or_b64 exec, exec, s[14:15]
	s_waitcnt lgkmcnt(0)
	v_readfirstlane_b32 s6, v8
	v_mov_b32_e32 v8, s6
	v_mad_u32_u24 v7, s20, v7, v8
.LBB82_22:                              ;   in Loop: Header=BB82_16 Depth=2
	s_or_b64 exec, exec, s[12:13]
	ds_bpermute_b32 v7, v21, v7
	s_and_b64 s[6:7], exec, vcc
	s_or_b64 s[10:11], s[6:7], s[10:11]
	s_and_saveexec_b64 s[6:7], s[22:23]
	s_cbranch_execz .LBB82_15
; %bb.23:                               ;   in Loop: Header=BB82_16 Depth=2
	v_and_b32_e32 v9, s22, v23
	v_and_b32_e32 v8, s23, v22
	v_bcnt_u32_b32 v9, v9, 0
	v_bcnt_u32_b32 v8, v8, v9
	s_waitcnt lgkmcnt(0)
	v_add_u32_e32 v7, v7, v8
	ds_write_b8 v7, v4
	s_branch .LBB82_15
.LBB82_24:                              ;   in Loop: Header=BB82_11 Depth=1
	s_mov_b64 s[26:27], -1
	s_mov_b64 s[6:7], 0
.LBB82_25:                              ;   in Loop: Header=BB82_11 Depth=1
	s_and_b64 vcc, exec, s[26:27]
	s_cbranch_vccz .LBB82_54
.LBB82_26:                              ;   in Loop: Header=BB82_11 Depth=1
	v_readlane_b32 s0, v52, 21
	v_readlane_b32 s1, v52, 22
	s_and_saveexec_b64 s[22:23], s[0:1]
	s_cbranch_execz .LBB82_51
; %bb.27:                               ;   in Loop: Header=BB82_11 Depth=1
	v_readlane_b32 s0, v52, 25
	v_readlane_b32 s1, v52, 26
	s_nop 4
	global_load_ushort v1, v20, s[0:1]
	global_load_ubyte v43, v[13:14], off
	v_mov_b32_e32 v2, v0
	s_waitcnt vmcnt(1)
	v_readfirstlane_b32 s14, v1
	v_add_u32_e32 v1, v0, v1
	v_cmp_gt_u32_e32 vcc, s36, v1
	s_and_saveexec_b64 s[26:27], vcc
	s_cbranch_execz .LBB82_50
; %bb.28:                               ;   in Loop: Header=BB82_11 Depth=1
	v_readlane_b32 s0, v52, 27
	s_mov_b64 s[10:11], 0
	s_mul_i32 s15, s38, s14
	v_readlane_b32 s1, v52, 28
                                        ; implicit-def: $vgpr2
                                        ; implicit-def: $vgpr5
                                        ; implicit-def: $vgpr4
                                        ; implicit-def: $vgpr3
	s_and_saveexec_b64 s[6:7], s[0:1]
	s_xor_b64 s[28:29], exec, s[6:7]
	s_cbranch_execnz .LBB82_34
; %bb.29:                               ;   in Loop: Header=BB82_11 Depth=1
	s_andn2_saveexec_b64 s[6:7], s[28:29]
	s_cbranch_execnz .LBB82_45
.LBB82_30:                              ;   in Loop: Header=BB82_11 Depth=1
	s_or_b64 exec, exec, s[6:7]
	s_and_saveexec_b64 s[6:7], s[10:11]
	s_cbranch_execnz .LBB82_46
	s_branch .LBB82_49
.LBB82_31:                              ;   in Loop: Header=BB82_11 Depth=1
	s_or_b64 exec, exec, s[10:11]
	v_readlane_b32 s0, v52, 4
	v_readlane_b32 s1, v52, 5
	s_waitcnt lgkmcnt(0)
	s_barrier
	s_and_saveexec_b64 s[6:7], s[0:1]
	s_cbranch_execz .LBB82_33
; %bb.32:                               ;   in Loop: Header=BB82_11 Depth=1
	ds_read_b32 v1, v20 offset:4112
	s_waitcnt lgkmcnt(0)
	ds_write_b32 v20, v1 offset:4104
.LBB82_33:                              ;   in Loop: Header=BB82_11 Depth=1
	s_or_b64 exec, exec, s[6:7]
	s_waitcnt lgkmcnt(0)
	s_barrier
	s_mov_b64 s[6:7], -1
	s_and_b64 vcc, exec, s[26:27]
	s_cbranch_vccnz .LBB82_26
	s_branch .LBB82_54
.LBB82_34:                              ;   in Loop: Header=BB82_11 Depth=1
	v_cvt_f32_u32_e32 v2, s14
	s_sub_i32 s7, 0, s14
	v_add_u32_e32 v3, s14, v1
	v_max_u32_e32 v3, s36, v3
	v_rcp_iflag_f32_e32 v2, v2
	s_lshl_b32 s6, s14, 1
	v_sub_u32_e32 v3, v3, v0
	v_cmp_ne_u32_e32 vcc, s6, v3
	v_mul_f32_e32 v2, 0x4f7ffffe, v2
	v_cvt_u32_f32_e32 v2, v2
	v_cndmask_b32_e64 v6, 0, 1, vcc
	v_or_b32_e32 v6, s6, v6
	v_sub_u32_e32 v3, v3, v6
	v_mul_lo_u32 v4, s7, v2
	s_not_b32 s6, s15
	s_ashr_i32 s20, s6, 31
	s_abs_i32 s12, s15
	v_mul_hi_u32 v4, v2, v4
	v_mul_lo_u32 v5, s38, v1
	s_cmp_eq_u32 s14, 1
	s_mov_b64 s[10:11], -1
	v_add_u32_e32 v2, v2, v4
	v_mul_hi_u32 v4, v3, v2
	v_xor_b32_e32 v5, s20, v5
                                        ; implicit-def: $vgpr2
	v_mul_lo_u32 v6, v4, s14
	v_add_u32_e32 v7, 1, v4
	v_sub_u32_e32 v3, v3, v6
	v_subrev_u32_e32 v6, s14, v3
	v_cmp_le_u32_e64 s[6:7], s14, v3
	v_cndmask_b32_e64 v4, v4, v7, s[6:7]
	v_cndmask_b32_e64 v3, v3, v6, s[6:7]
	v_add_u32_e32 v6, 1, v4
	v_cmp_le_u32_e64 s[6:7], s14, v3
	v_cndmask_b32_e64 v3, v4, v6, s[6:7]
	v_addc_co_u32_e32 v3, vcc, 0, v3, vcc
	v_mul_hi_u32 v4, s12, v3
	v_mul_lo_u32 v3, s12, v3
	s_cselect_b64 s[12:13], -1, 0
	v_cmp_eq_u32_e32 vcc, 0, v4
	v_cmp_le_u32_e64 s[6:7], v3, v5
	s_and_b64 s[12:13], vcc, s[12:13]
	s_and_b64 s[12:13], s[12:13], s[6:7]
	v_mov_b32_e32 v4, v0
	s_and_saveexec_b64 s[6:7], s[12:13]
	s_cbranch_execz .LBB82_44
; %bb.35:                               ;   in Loop: Header=BB82_11 Depth=1
	v_add_u32_e32 v4, 3, v1
	v_add_u32_e32 v3, 2, v1
	;; [unrolled: 1-line block ×3, first 2 shown]
	v_mov_b32_e32 v8, v4
	v_readlane_b32 s0, v52, 29
	s_waitcnt vmcnt(0)
	v_lshlrev_b32_e32 v44, 24, v43
	v_mov_b32_e32 v9, 0
	v_mov_b32_e32 v7, v3
	;; [unrolled: 1-line block ×4, first 2 shown]
	v_readlane_b32 s1, v52, 30
                                        ; implicit-def: $vgpr43
	s_and_saveexec_b64 s[80:81], s[0:1]
	s_cbranch_execz .LBB82_39
; %bb.36:                               ;   in Loop: Header=BB82_11 Depth=1
	v_mov_b32_e32 v8, v4
	s_mov_b32 s10, 0
	s_mov_b64 s[82:83], 0
	v_mov_b32_e32 v42, v27
	v_mov_b32_e32 v7, v3
	;; [unrolled: 1-line block ×4, first 2 shown]
.LBB82_37:                              ;   Parent Loop BB82_11 Depth=1
                                        ; =>  This Inner Loop Header: Depth=2
	v_mul_lo_u32 v2, v5, s9
	v_mul_lo_u32 v9, v6, s31
	;; [unrolled: 1-line block ×3, first 2 shown]
	v_mov_b32_e32 v12, s51
	v_add_co_u32_e32 v2, vcc, s50, v2
	v_addc_co_u32_e32 v3, vcc, 0, v12, vcc
	v_mul_lo_u32 v4, v8, s3
	v_add_co_u32_e32 v9, vcc, s50, v9
	v_addc_co_u32_e32 v10, vcc, 0, v12, vcc
	v_add_co_u32_e32 v45, vcc, s50, v11
	v_addc_co_u32_e32 v46, vcc, 0, v12, vcc
	v_add_co_u32_e32 v47, vcc, s50, v4
	global_load_ubyte v4, v[45:46], off
	s_nop 0
	global_load_ubyte v9, v[9:10], off
	v_add_u32_e32 v10, 4, v7
	global_load_ubyte v2, v[2:3], off
	v_add_u32_e32 v3, 4, v6
	v_mul_lo_u32 v43, v10, s2
	v_mul_lo_u32 v10, v3, s31
	v_addc_co_u32_e32 v48, vcc, 0, v12, vcc
	v_add_u32_e32 v11, 4, v8
	v_mul_lo_u32 v45, v11, s3
	v_add_u32_e32 v42, -4, v42
	s_waitcnt vmcnt(1)
	v_perm_b32 v4, v9, v4, s33
	s_waitcnt vmcnt(0)
	v_perm_b32 v2, v44, v2, s44
	v_lshl_or_b32 v9, v4, 16, v2
	v_add_u32_e32 v2, 4, v5
	v_mul_lo_u32 v2, v2, s9
	v_add_u32_e32 v4, s10, v0
	s_add_i32 s10, s10, 16
	v_add_co_u32_e32 v2, vcc, s50, v2
	v_addc_co_u32_e32 v3, vcc, 0, v12, vcc
	v_add_co_u32_e32 v10, vcc, s50, v10
	v_addc_co_u32_e32 v11, vcc, 0, v12, vcc
	;; [unrolled: 2-line block ×3, first 2 shown]
	global_load_ubyte v47, v[47:48], off
	s_nop 0
	global_load_ubyte v2, v[2:3], off
	s_nop 0
	;; [unrolled: 2-line block ×3, first 2 shown]
	global_load_ubyte v10, v[10:11], off
	v_add_co_u32_e32 v45, vcc, s50, v45
	v_addc_co_u32_e32 v46, vcc, 0, v12, vcc
	v_add_u32_e32 v11, 8, v7
	v_add_u32_e32 v43, 8, v8
	v_mul_lo_u32 v51, v43, s3
	v_mul_lo_u32 v11, v11, s2
	s_waitcnt vmcnt(2)
	v_perm_b32 v2, v47, v2, s33
	s_waitcnt vmcnt(0)
	v_perm_b32 v3, v10, v3, s33
	v_lshl_or_b32 v10, v3, 16, v2
	v_add_u32_e32 v2, 8, v5
	v_mul_lo_u32 v2, v2, s9
	v_add_u32_e32 v3, 8, v6
	v_mul_lo_u32 v3, v3, s31
	v_add_co_u32_e32 v43, vcc, s50, v2
	v_addc_co_u32_e32 v44, vcc, 0, v12, vcc
	v_add_co_u32_e32 v47, vcc, s50, v3
	v_addc_co_u32_e32 v48, vcc, 0, v12, vcc
	v_add_co_u32_e32 v49, vcc, s50, v11
	global_load_ubyte v11, v[43:44], off
	s_nop 0
	global_load_ubyte v43, v[45:46], off
	v_addc_co_u32_e32 v50, vcc, 0, v12, vcc
	v_add_u32_e32 v46, 12, v8
	v_add_co_u32_e32 v2, vcc, s50, v51
	v_addc_co_u32_e32 v3, vcc, 0, v12, vcc
	v_add_u32_e32 v45, 12, v7
	v_add_u32_e32 v8, 16, v8
	;; [unrolled: 1-line block ×3, first 2 shown]
	s_waitcnt vmcnt(0)
	v_perm_b32 v11, v43, v11, s33
	global_load_ubyte v43, v[49:50], off
	global_load_ubyte v44, v[47:48], off
	v_mul_lo_u32 v50, v46, s3
	v_mul_lo_u32 v48, v45, s2
	s_waitcnt vmcnt(0)
	v_perm_b32 v43, v44, v43, s33
	v_lshl_or_b32 v11, v43, 16, v11
	v_add_u32_e32 v43, 12, v5
	v_mul_lo_u32 v43, v43, s9
	v_add_u32_e32 v44, 12, v6
	v_mul_lo_u32 v46, v44, s31
	v_add_u32_e32 v6, 16, v6
	v_add_co_u32_e32 v44, vcc, s50, v43
	v_addc_co_u32_e32 v45, vcc, 0, v12, vcc
	v_add_co_u32_e32 v46, vcc, s50, v46
	v_addc_co_u32_e32 v47, vcc, 0, v12, vcc
	;; [unrolled: 2-line block ×4, first 2 shown]
	global_load_ubyte v43, v[50:51], off
	global_load_ubyte v12, v[46:47], off
	s_nop 0
	global_load_ubyte v45, v[44:45], off
	v_cmp_eq_u32_e32 vcc, 0, v42
	global_load_ubyte v46, v[48:49], off
	v_add_u32_e32 v5, 16, v5
	global_load_ubyte v2, v[2:3], off
	s_or_b64 s[82:83], vcc, s[82:83]
	s_waitcnt vmcnt(2)
	v_perm_b32 v44, v45, v12, s33
	s_waitcnt vmcnt(1)
	v_perm_b32 v3, v12, v46, s33
	v_perm_b32 v47, v46, v43, s33
	s_waitcnt vmcnt(0)
	v_perm_b32 v2, v2, v45, s33
	v_lshl_or_b32 v12, v3, 16, v2
	v_lshl_or_b32 v44, v47, 16, v44
	ds_write_b128 v4, v[9:12]
	v_mov_b32_e32 v9, s10
	s_andn2_b64 exec, exec, s[82:83]
	s_cbranch_execnz .LBB82_37
; %bb.38:                               ;   in Loop: Header=BB82_11 Depth=1
	s_or_b64 exec, exec, s[82:83]
.LBB82_39:                              ;   in Loop: Header=BB82_11 Depth=1
	s_or_b64 exec, exec, s[80:81]
	v_readlane_b32 s0, v52, 31
	v_readlane_b32 s1, v52, 32
	s_and_saveexec_b64 s[10:11], s[0:1]
	s_cbranch_execz .LBB82_43
; %bb.40:                               ;   in Loop: Header=BB82_11 Depth=1
	v_add_u32_e32 v2, v0, v9
	s_mov_b64 s[12:13], 0
	v_mov_b32_e32 v3, v29
.LBB82_41:                              ;   Parent Loop BB82_11 Depth=1
                                        ; =>  This Inner Loop Header: Depth=2
	v_mul_lo_u32 v9, v5, s9
	v_mul_lo_u32 v11, v6, s31
	v_mul_lo_u32 v42, v7, s2
	v_mov_b32_e32 v46, s51
	v_add_co_u32_e32 v9, vcc, s50, v9
	v_addc_co_u32_e32 v10, vcc, 0, v46, vcc
	v_mul_lo_u32 v4, v8, s3
	v_add_co_u32_e32 v11, vcc, s50, v11
	v_addc_co_u32_e32 v12, vcc, 0, v46, vcc
	v_add_co_u32_e32 v42, vcc, s50, v42
	v_addc_co_u32_e32 v43, vcc, 0, v46, vcc
	;; [unrolled: 2-line block ×3, first 2 shown]
	global_load_ubyte v4, v[11:12], off
	s_nop 0
	global_load_ubyte v11, v[42:43], off
	s_nop 0
	;; [unrolled: 2-line block ×3, first 2 shown]
	global_load_ubyte v9, v[9:10], off
	v_add_u32_e32 v3, -4, v3
	v_cmp_eq_u32_e32 vcc, 0, v3
	v_add_u32_e32 v8, 4, v8
	v_add_u32_e32 v7, 4, v7
	;; [unrolled: 1-line block ×4, first 2 shown]
	s_or_b64 s[12:13], vcc, s[12:13]
	s_waitcnt vmcnt(1)
	v_perm_b32 v12, v11, v43, s33
	s_waitcnt vmcnt(0)
	v_perm_b32 v10, v9, v4, s33
	v_perm_b32 v4, v4, v11, s33
	;; [unrolled: 1-line block ×3, first 2 shown]
	v_lshl_or_b32 v4, v4, 16, v9
	v_lshl_or_b32 v44, v12, 16, v10
	ds_write_b32 v2, v4
	v_add_u32_e32 v2, 4, v2
	s_andn2_b64 exec, exec, s[12:13]
	s_cbranch_execnz .LBB82_41
; %bb.42:                               ;   in Loop: Header=BB82_11 Depth=1
	s_or_b64 exec, exec, s[12:13]
.LBB82_43:                              ;   in Loop: Header=BB82_11 Depth=1
	s_or_b64 exec, exec, s[10:11]
	v_readlane_b32 s0, v52, 33
	v_add_u32_e32 v1, v1, v25
	v_readlane_b32 s1, v52, 34
	v_add_u32_e32 v2, -1, v1
	s_orn2_b64 s[10:11], s[0:1], exec
	v_mov_b32_e32 v4, v26
.LBB82_44:                              ;   in Loop: Header=BB82_11 Depth=1
	s_or_b64 exec, exec, s[6:7]
	v_mov_b32_e32 v3, s15
	s_and_b64 s[10:11], s[10:11], exec
	s_waitcnt vmcnt(0)
	v_mov_b32_e32 v5, v43
	s_andn2_saveexec_b64 s[6:7], s[28:29]
	s_cbranch_execz .LBB82_30
.LBB82_45:                              ;   in Loop: Header=BB82_11 Depth=1
	v_mov_b32_e32 v3, s15
	s_or_b64 s[10:11], s[10:11], exec
	s_waitcnt vmcnt(0)
	v_mov_b32_e32 v5, v43
	v_mov_b32_e32 v4, v0
	s_or_b64 exec, exec, s[6:7]
	s_and_saveexec_b64 s[6:7], s[10:11]
	s_cbranch_execz .LBB82_49
.LBB82_46:                              ;   in Loop: Header=BB82_11 Depth=1
	v_mul_lo_u32 v2, s38, v1
	s_sub_i32 s12, 0, s14
	s_mov_b64 s[10:11], 0
.LBB82_47:                              ;   Parent Loop BB82_11 Depth=1
                                        ; =>  This Inner Loop Header: Depth=2
	global_load_ubyte v43, v2, s[50:51]
	v_mov_b32_e32 v6, v1
	v_add_u32_e32 v1, s14, v6
	v_cmp_le_u32_e32 vcc, s36, v1
	ds_write_b8 v4, v5
	v_add_u32_e32 v2, v2, v3
	s_or_b64 s[10:11], vcc, s[10:11]
	v_mov_b32_e32 v4, v6
	s_waitcnt vmcnt(0)
	v_mov_b32_e32 v5, v43
	s_andn2_b64 exec, exec, s[10:11]
	s_cbranch_execnz .LBB82_47
; %bb.48:                               ;   in Loop: Header=BB82_11 Depth=1
	s_or_b64 exec, exec, s[10:11]
	v_add_u32_e32 v2, s12, v1
.LBB82_49:                              ;   in Loop: Header=BB82_11 Depth=1
	s_or_b64 exec, exec, s[6:7]
.LBB82_50:                              ;   in Loop: Header=BB82_11 Depth=1
	s_or_b64 exec, exec, s[26:27]
	s_waitcnt vmcnt(0)
	ds_write_b8 v2, v43
.LBB82_51:                              ;   in Loop: Header=BB82_11 Depth=1
	s_or_b64 exec, exec, s[22:23]
	v_readlane_b32 s0, v52, 4
	v_readlane_b32 s1, v52, 5
	s_waitcnt lgkmcnt(0)
	s_barrier
	s_and_saveexec_b64 s[6:7], s[0:1]
; %bb.52:                               ;   in Loop: Header=BB82_11 Depth=1
	v_mov_b32_e32 v1, s36
	ds_write_b32 v20, v1 offset:4104
; %bb.53:                               ;   in Loop: Header=BB82_11 Depth=1
	s_or_b64 exec, exec, s[6:7]
	s_mov_b64 s[6:7], -1
	s_waitcnt lgkmcnt(0)
	s_barrier
.LBB82_54:                              ;   in Loop: Header=BB82_11 Depth=1
	s_mov_b32 s40, 0
	s_and_b64 vcc, exec, s[6:7]
	s_cbranch_vccz .LBB82_56
; %bb.55:                               ;   in Loop: Header=BB82_11 Depth=1
	ds_read_b32 v1, v20 offset:4104
	s_waitcnt lgkmcnt(0)
	v_readfirstlane_b32 s40, v1
.LBB82_56:                              ;   in Loop: Header=BB82_11 Depth=1
	s_cmp_lt_i32 s40, 1
	s_mov_b64 s[6:7], -1
                                        ; implicit-def: $vgpr4
	s_cbranch_scc1 .LBB82_66
; %bb.57:                               ;   in Loop: Header=BB82_11 Depth=1
	s_and_b64 vcc, exec, s[6:7]
	s_cbranch_vccnz .LBB82_77
.LBB82_58:                              ;   in Loop: Header=BB82_11 Depth=1
	s_lshl_b32 s10, s62, 6
	s_and_saveexec_b64 s[6:7], s[4:5]
.LBB82_59:                              ;   in Loop: Header=BB82_11 Depth=1
	v_lshl_add_u32 v5, s10, 2, v24
	ds_write_b128 v5, v[1:4]
.LBB82_60:                              ;   in Loop: Header=BB82_11 Depth=1
	s_or_b64 exec, exec, s[6:7]
	s_waitcnt lgkmcnt(0)
	s_barrier
	s_and_saveexec_b64 s[6:7], s[54:55]
	s_cbranch_execz .LBB82_91
; %bb.61:                               ;   in Loop: Header=BB82_11 Depth=1
	s_andn2_b64 vcc, exec, s[58:59]
	v_mov_b32_e32 v1, 0
	s_cbranch_vccnz .LBB82_90
; %bb.62:                               ;   in Loop: Header=BB82_11 Depth=1
	v_readlane_b32 s0, v52, 35
	v_readlane_b32 s1, v52, 36
	s_andn2_b64 vcc, exec, s[0:1]
	s_cbranch_vccnz .LBB82_86
; %bb.63:                               ;   in Loop: Header=BB82_11 Depth=1
	v_lshl_add_u32 v2, s62, 8, v36
	s_mov_b32 s11, 0
	v_mov_b32_e32 v1, 0
.LBB82_64:                              ;   Parent Loop BB82_11 Depth=1
                                        ; =>  This Inner Loop Header: Depth=2
	ds_read2_b32 v[3:4], v2 offset1:4
	ds_read2_b32 v[5:6], v2 offset0:8 offset1:12
	ds_read2_b32 v[7:8], v2 offset0:16 offset1:20
	;; [unrolled: 1-line block ×3, first 2 shown]
	s_add_i32 s11, s11, 8
	s_waitcnt lgkmcnt(3)
	v_add3_u32 v1, v3, v1, v4
	s_waitcnt lgkmcnt(2)
	v_add3_u32 v1, v5, v1, v6
	;; [unrolled: 2-line block ×3, first 2 shown]
	v_add_u32_e32 v2, 0x80, v2
	s_cmp_eq_u32 s60, s11
	s_waitcnt lgkmcnt(0)
	v_add3_u32 v1, v9, v1, v10
	s_cbranch_scc0 .LBB82_64
; %bb.65:                               ;   in Loop: Header=BB82_11 Depth=1
	s_mov_b32 s11, s60
	s_branch .LBB82_87
.LBB82_66:                              ;   in Loop: Header=BB82_11 Depth=1
	v_mov_b32_e32 v1, 0
	v_mov_b32_e32 v2, 0
	;; [unrolled: 1-line block ×4, first 2 shown]
	s_and_saveexec_b64 s[80:81], s[16:17]
	s_cbranch_execz .LBB82_70
; %bb.67:                               ;   in Loop: Header=BB82_11 Depth=1
	s_mov_b32 s10, 0
	s_mov_b64 s[82:83], 0
	s_mov_b32 s11, 0
	s_mov_b32 s12, 0
	;; [unrolled: 1-line block ×4, first 2 shown]
	v_mov_b32_e32 v5, v18
.LBB82_68:                              ;   Parent Loop BB82_11 Depth=1
                                        ; =>  This Inner Loop Header: Depth=2
	v_add_u32_e32 v1, s10, v34
	global_load_sbyte v1, v1, s[50:51]
	v_add_u32_e32 v2, s10, v30
	global_load_sbyte v2, v2, s[50:51]
	;; [unrolled: 2-line block ×4, first 2 shown]
	v_add_u32_e32 v5, s37, v5
	s_add_i32 s10, s10, s34
	s_waitcnt vmcnt(3)
	v_add_u32_e32 v1, 0x80, v1
	v_and_b32_e32 v6, v1, v39
	s_waitcnt vmcnt(2)
	v_add_u32_e32 v2, 0x80, v2
	v_bfe_u32 v1, v1, v37, 2
	s_waitcnt vmcnt(1)
	v_add_u32_e32 v3, 0x80, v3
	v_cmp_eq_u32_e32 vcc, v6, v33
	v_and_b32_e32 v6, v2, v39
	v_bfe_u32 v2, v2, v37, 2
	v_cmp_eq_u32_e64 s[28:29], 0, v1
	s_waitcnt vmcnt(0)
	v_add_u32_e32 v4, 0x80, v4
	v_cmp_eq_u32_e64 s[6:7], v6, v33
	v_and_b32_e32 v6, v3, v39
	v_bfe_u32 v3, v3, v37, 2
	s_and_b64 s[20:21], vcc, s[28:29]
	v_cmp_eq_u32_e64 s[28:29], 0, v2
	v_cmp_eq_u32_e64 s[22:23], v6, v33
	v_and_b32_e32 v6, v4, v39
	v_bfe_u32 v4, v4, v37, 2
	s_and_b64 s[42:43], s[6:7], s[28:29]
	v_cmp_eq_u32_e64 s[28:29], 0, v3
	v_cmp_eq_u32_e64 s[26:27], v6, v33
	s_and_b64 s[44:45], s[22:23], s[28:29]
	v_cmp_eq_u32_e64 s[28:29], 0, v4
	v_cndmask_b32_e64 v6, 0, 1, s[20:21]
	s_and_b64 s[46:47], s[26:27], s[28:29]
	v_cmp_ne_u32_e64 s[28:29], 0, v6
	v_cndmask_b32_e64 v6, 0, 1, s[42:43]
	s_bcnt1_i32_b64 s15, s[28:29]
	v_cmp_ne_u32_e64 s[28:29], 0, v6
	v_cndmask_b32_e64 v6, 0, 1, s[44:45]
	s_bcnt1_i32_b64 s20, s[28:29]
	v_cmp_ne_u32_e64 s[28:29], 0, v6
	v_cndmask_b32_e64 v6, 0, 1, s[46:47]
	s_add_i32 s14, s14, s15
	s_bcnt1_i32_b64 s21, s[28:29]
	v_cmp_ne_u32_e64 s[28:29], 0, v6
	s_add_i32 s14, s14, s20
	s_bcnt1_i32_b64 s28, s[28:29]
	s_add_i32 s14, s14, s21
	s_add_i32 s14, s14, s28
	v_cmp_eq_u32_e64 s[28:29], 1, v1
	s_and_b64 s[20:21], vcc, s[28:29]
	v_cmp_eq_u32_e64 s[28:29], 1, v2
	s_and_b64 s[42:43], s[6:7], s[28:29]
	v_cmp_eq_u32_e64 s[28:29], 1, v3
	s_and_b64 s[44:45], s[22:23], s[28:29]
	v_cmp_eq_u32_e64 s[28:29], 1, v4
	v_cndmask_b32_e64 v6, 0, 1, s[20:21]
	s_and_b64 s[46:47], s[26:27], s[28:29]
	v_cmp_ne_u32_e64 s[28:29], 0, v6
	v_cndmask_b32_e64 v6, 0, 1, s[42:43]
	s_bcnt1_i32_b64 s15, s[28:29]
	v_cmp_ne_u32_e64 s[28:29], 0, v6
	v_cndmask_b32_e64 v6, 0, 1, s[44:45]
	s_bcnt1_i32_b64 s20, s[28:29]
	v_cmp_ne_u32_e64 s[28:29], 0, v6
	v_cndmask_b32_e64 v6, 0, 1, s[46:47]
	s_add_i32 s13, s13, s15
	s_bcnt1_i32_b64 s21, s[28:29]
	v_cmp_ne_u32_e64 s[28:29], 0, v6
	s_add_i32 s13, s13, s20
	s_bcnt1_i32_b64 s28, s[28:29]
	s_add_i32 s13, s13, s21
	s_add_i32 s13, s13, s28
	v_cmp_eq_u32_e64 s[28:29], 2, v1
	s_and_b64 s[20:21], vcc, s[28:29]
	v_cmp_eq_u32_e64 s[28:29], 2, v2
	s_and_b64 s[42:43], s[6:7], s[28:29]
	v_cmp_eq_u32_e64 s[28:29], 2, v3
	s_and_b64 s[44:45], s[22:23], s[28:29]
	v_cmp_eq_u32_e64 s[28:29], 2, v4
	v_cndmask_b32_e64 v6, 0, 1, s[20:21]
	s_and_b64 s[46:47], s[26:27], s[28:29]
	v_cmp_ne_u32_e64 s[28:29], 0, v6
	v_cndmask_b32_e64 v6, 0, 1, s[42:43]
	s_bcnt1_i32_b64 s15, s[28:29]
	v_cmp_ne_u32_e64 s[28:29], 0, v6
	v_cndmask_b32_e64 v6, 0, 1, s[44:45]
	s_bcnt1_i32_b64 s20, s[28:29]
	v_cmp_ne_u32_e64 s[28:29], 0, v6
	v_cndmask_b32_e64 v6, 0, 1, s[46:47]
	s_add_i32 s12, s12, s15
	s_bcnt1_i32_b64 s21, s[28:29]
	v_cmp_ne_u32_e64 s[28:29], 0, v6
	s_add_i32 s12, s12, s20
	s_bcnt1_i32_b64 s28, s[28:29]
	s_add_i32 s12, s12, s21
	s_add_i32 s12, s12, s28
	v_cmp_eq_u32_e64 s[28:29], 3, v1
	s_and_b64 s[20:21], vcc, s[28:29]
	v_cmp_eq_u32_e32 vcc, 3, v2
	s_and_b64 s[6:7], s[6:7], vcc
	v_cmp_eq_u32_e32 vcc, 3, v3
	s_and_b64 s[22:23], s[22:23], vcc
	v_cmp_eq_u32_e32 vcc, 3, v4
	v_cndmask_b32_e64 v1, 0, 1, s[20:21]
	s_and_b64 s[26:27], s[26:27], vcc
	v_cmp_ne_u32_e32 vcc, 0, v1
	v_cndmask_b32_e64 v1, 0, 1, s[6:7]
	s_bcnt1_i32_b64 s15, vcc
	v_cmp_ne_u32_e32 vcc, 0, v1
	v_cndmask_b32_e64 v1, 0, 1, s[22:23]
	s_bcnt1_i32_b64 s6, vcc
	v_cmp_ne_u32_e32 vcc, 0, v1
	v_cndmask_b32_e64 v1, 0, 1, s[26:27]
	s_add_i32 s11, s11, s15
	s_bcnt1_i32_b64 s7, vcc
	v_cmp_ne_u32_e32 vcc, 0, v1
	s_add_i32 s6, s11, s6
	s_bcnt1_i32_b64 s20, vcc
	s_add_i32 s6, s6, s7
	s_add_i32 s11, s6, s20
	v_cmp_le_u32_e32 vcc, s63, v5
	s_or_b64 s[82:83], vcc, s[82:83]
	v_mov_b32_e32 v1, s14
	v_mov_b32_e32 v2, s13
	;; [unrolled: 1-line block ×4, first 2 shown]
	s_andn2_b64 exec, exec, s[82:83]
	s_cbranch_execnz .LBB82_68
; %bb.69:                               ;   in Loop: Header=BB82_11 Depth=1
	s_or_b64 exec, exec, s[82:83]
	s_mov_b32 s44, 0xc0c0007
.LBB82_70:                              ;   in Loop: Header=BB82_11 Depth=1
	s_or_b64 exec, exec, s[80:81]
	s_and_saveexec_b64 s[10:11], s[18:19]
	s_cbranch_execz .LBB82_76
; %bb.71:                               ;   in Loop: Header=BB82_11 Depth=1
	global_load_ubyte v8, v[15:16], off
	s_mov_b64 s[12:13], 0
	v_mov_b32_e32 v5, v35
	v_mov_b32_e32 v6, v28
	s_branch .LBB82_73
.LBB82_72:                              ;   in Loop: Header=BB82_73 Depth=2
	s_or_b64 exec, exec, s[14:15]
	s_waitcnt vmcnt(0)
	v_add_u32_sdwa v8, sext(v8), s35 dst_sel:DWORD dst_unused:UNUSED_PAD src0_sel:BYTE_0 src1_sel:DWORD
	s_and_b64 s[6:7], exec, vcc
	v_and_b32_e32 v9, v8, v39
	v_bfe_u32 v8, v8, v37, 2
	s_or_b64 s[12:13], s[6:7], s[12:13]
	v_cmp_eq_u32_e32 vcc, v9, v33
	v_cmp_eq_u32_e64 s[6:7], 0, v8
	s_and_b64 s[6:7], vcc, s[6:7]
	v_cndmask_b32_e64 v9, 0, 1, s[6:7]
	v_cmp_ne_u32_e64 s[6:7], 0, v9
	s_bcnt1_i32_b64 s6, s[6:7]
	v_add_u32_e32 v1, s6, v1
	v_cmp_eq_u32_e64 s[6:7], 1, v8
	s_and_b64 s[6:7], vcc, s[6:7]
	v_cndmask_b32_e64 v9, 0, 1, s[6:7]
	v_cmp_ne_u32_e64 s[6:7], 0, v9
	s_bcnt1_i32_b64 s6, s[6:7]
	v_add_u32_e32 v2, s6, v2
	;; [unrolled: 6-line block ×3, first 2 shown]
	v_cmp_eq_u32_e64 s[6:7], 3, v8
	s_and_b64 s[6:7], vcc, s[6:7]
	v_cndmask_b32_e64 v8, 0, 1, s[6:7]
	v_cmp_ne_u32_e32 vcc, 0, v8
	s_bcnt1_i32_b64 s6, vcc
	v_add_u32_e32 v4, s6, v4
	v_add_u32_e32 v5, s30, v5
	v_mov_b32_e32 v8, v7
	s_andn2_b64 exec, exec, s[12:13]
	s_cbranch_execz .LBB82_75
.LBB82_73:                              ;   Parent Loop BB82_11 Depth=1
                                        ; =>  This Inner Loop Header: Depth=2
	v_add_u32_e32 v6, s39, v6
	v_cmp_gt_u32_e64 s[6:7], s36, v6
	v_cmp_le_u32_e32 vcc, s36, v6
	v_mov_b32_e32 v7, 0
	s_and_saveexec_b64 s[14:15], s[6:7]
	s_cbranch_execz .LBB82_72
; %bb.74:                               ;   in Loop: Header=BB82_73 Depth=2
	global_load_ubyte v7, v5, s[50:51]
	s_branch .LBB82_72
.LBB82_75:                              ;   in Loop: Header=BB82_11 Depth=1
	s_or_b64 exec, exec, s[12:13]
.LBB82_76:                              ;   in Loop: Header=BB82_11 Depth=1
	s_or_b64 exec, exec, s[10:11]
	s_branch .LBB82_58
.LBB82_77:                              ;   in Loop: Header=BB82_11 Depth=1
	s_mul_hi_u32 s6, s40, s61
	s_mul_i32 s6, s6, s37
	s_sub_i32 s6, s40, s6
	s_sub_i32 s7, s6, s37
	s_cmp_ge_u32 s6, s37
	s_cselect_b32 s6, s7, s6
	s_sub_i32 s7, s6, s37
	s_cmp_ge_u32 s6, s37
	s_cselect_b32 s6, s7, s6
	s_sub_i32 s10, s40, s6
	v_cmp_gt_u32_e32 vcc, s10, v18
	v_mov_b32_e32 v1, 0
	v_mov_b32_e32 v2, 0
	;; [unrolled: 1-line block ×4, first 2 shown]
	s_and_saveexec_b64 s[80:81], vcc
	s_cbranch_execz .LBB82_81
; %bb.78:                               ;   in Loop: Header=BB82_11 Depth=1
	s_mov_b32 s11, 0
	s_mov_b64 s[82:83], 0
	s_mov_b32 s12, 0
	s_mov_b32 s13, 0
	;; [unrolled: 1-line block ×3, first 2 shown]
	v_mov_b32_e32 v5, v18
.LBB82_79:                              ;   Parent Loop BB82_11 Depth=1
                                        ; =>  This Inner Loop Header: Depth=2
	ds_read_b32 v1, v5
	v_add_u32_e32 v5, s37, v5
	s_waitcnt lgkmcnt(0)
	v_add_u32_sdwa v2, sext(v1), s35 dst_sel:DWORD dst_unused:UNUSED_PAD src0_sel:BYTE_0 src1_sel:DWORD
	v_add_u32_sdwa v3, sext(v1), s35 dst_sel:DWORD dst_unused:UNUSED_PAD src0_sel:BYTE_1 src1_sel:DWORD
	v_and_b32_e32 v6, v2, v39
	v_bfe_u32 v2, v2, v37, 2
	v_add_u32_sdwa v4, sext(v1), s35 dst_sel:DWORD dst_unused:UNUSED_PAD src0_sel:BYTE_2 src1_sel:DWORD
	v_cmp_eq_u32_e32 vcc, v6, v33
	v_and_b32_e32 v6, v3, v39
	v_bfe_u32 v3, v3, v37, 2
	v_cmp_eq_u32_e64 s[28:29], 0, v2
	v_add_u32_sdwa v1, sext(v1), s35 dst_sel:DWORD dst_unused:UNUSED_PAD src0_sel:BYTE_3 src1_sel:DWORD
	v_cmp_eq_u32_e64 s[6:7], v6, v33
	v_and_b32_e32 v6, v4, v39
	v_bfe_u32 v4, v4, v37, 2
	s_and_b64 s[20:21], vcc, s[28:29]
	v_cmp_eq_u32_e64 s[28:29], 0, v3
	v_cmp_eq_u32_e64 s[22:23], v6, v33
	v_and_b32_e32 v6, v1, v39
	v_bfe_u32 v1, v1, v37, 2
	s_and_b64 s[42:43], s[6:7], s[28:29]
	v_cmp_eq_u32_e64 s[28:29], 0, v4
	v_cmp_eq_u32_e64 s[26:27], v6, v33
	s_and_b64 s[44:45], s[22:23], s[28:29]
	v_cmp_eq_u32_e64 s[28:29], 0, v1
	v_cndmask_b32_e64 v6, 0, 1, s[20:21]
	s_and_b64 s[46:47], s[26:27], s[28:29]
	v_cmp_ne_u32_e64 s[28:29], 0, v6
	v_cndmask_b32_e64 v6, 0, 1, s[42:43]
	s_bcnt1_i32_b64 s15, s[28:29]
	v_cmp_ne_u32_e64 s[28:29], 0, v6
	v_cndmask_b32_e64 v6, 0, 1, s[44:45]
	s_bcnt1_i32_b64 s20, s[28:29]
	v_cmp_ne_u32_e64 s[28:29], 0, v6
	v_cndmask_b32_e64 v6, 0, 1, s[46:47]
	s_add_i32 s14, s14, s15
	s_bcnt1_i32_b64 s21, s[28:29]
	v_cmp_ne_u32_e64 s[28:29], 0, v6
	s_add_i32 s14, s14, s20
	s_bcnt1_i32_b64 s28, s[28:29]
	s_add_i32 s14, s14, s21
	s_add_i32 s14, s14, s28
	v_cmp_eq_u32_e64 s[28:29], 1, v2
	s_and_b64 s[20:21], vcc, s[28:29]
	v_cmp_eq_u32_e64 s[28:29], 1, v3
	s_and_b64 s[42:43], s[6:7], s[28:29]
	v_cmp_eq_u32_e64 s[28:29], 1, v4
	s_and_b64 s[44:45], s[22:23], s[28:29]
	v_cmp_eq_u32_e64 s[28:29], 1, v1
	v_cndmask_b32_e64 v6, 0, 1, s[20:21]
	s_and_b64 s[46:47], s[26:27], s[28:29]
	v_cmp_ne_u32_e64 s[28:29], 0, v6
	v_cndmask_b32_e64 v6, 0, 1, s[42:43]
	s_bcnt1_i32_b64 s15, s[28:29]
	v_cmp_ne_u32_e64 s[28:29], 0, v6
	v_cndmask_b32_e64 v6, 0, 1, s[44:45]
	s_bcnt1_i32_b64 s20, s[28:29]
	v_cmp_ne_u32_e64 s[28:29], 0, v6
	v_cndmask_b32_e64 v6, 0, 1, s[46:47]
	s_add_i32 s13, s13, s15
	s_bcnt1_i32_b64 s21, s[28:29]
	v_cmp_ne_u32_e64 s[28:29], 0, v6
	s_add_i32 s13, s13, s20
	s_bcnt1_i32_b64 s28, s[28:29]
	s_add_i32 s13, s13, s21
	s_add_i32 s13, s13, s28
	v_cmp_eq_u32_e64 s[28:29], 2, v2
	s_and_b64 s[20:21], vcc, s[28:29]
	v_cmp_eq_u32_e64 s[28:29], 2, v3
	s_and_b64 s[42:43], s[6:7], s[28:29]
	v_cmp_eq_u32_e64 s[28:29], 2, v4
	s_and_b64 s[44:45], s[22:23], s[28:29]
	v_cmp_eq_u32_e64 s[28:29], 2, v1
	v_cndmask_b32_e64 v6, 0, 1, s[20:21]
	s_and_b64 s[46:47], s[26:27], s[28:29]
	v_cmp_ne_u32_e64 s[28:29], 0, v6
	v_cndmask_b32_e64 v6, 0, 1, s[42:43]
	s_bcnt1_i32_b64 s15, s[28:29]
	v_cmp_ne_u32_e64 s[28:29], 0, v6
	v_cndmask_b32_e64 v6, 0, 1, s[44:45]
	s_bcnt1_i32_b64 s20, s[28:29]
	v_cmp_ne_u32_e64 s[28:29], 0, v6
	v_cndmask_b32_e64 v6, 0, 1, s[46:47]
	s_add_i32 s12, s12, s15
	s_bcnt1_i32_b64 s21, s[28:29]
	v_cmp_ne_u32_e64 s[28:29], 0, v6
	s_add_i32 s12, s12, s20
	s_bcnt1_i32_b64 s28, s[28:29]
	s_add_i32 s12, s12, s21
	s_add_i32 s12, s12, s28
	v_cmp_eq_u32_e64 s[28:29], 3, v2
	s_and_b64 s[20:21], vcc, s[28:29]
	v_cmp_eq_u32_e32 vcc, 3, v3
	s_and_b64 s[6:7], s[6:7], vcc
	v_cmp_eq_u32_e32 vcc, 3, v4
	s_and_b64 s[22:23], s[22:23], vcc
	v_cmp_eq_u32_e32 vcc, 3, v1
	v_cndmask_b32_e64 v1, 0, 1, s[20:21]
	s_and_b64 s[26:27], s[26:27], vcc
	v_cmp_ne_u32_e32 vcc, 0, v1
	v_cndmask_b32_e64 v1, 0, 1, s[6:7]
	s_bcnt1_i32_b64 s15, vcc
	v_cmp_ne_u32_e32 vcc, 0, v1
	v_cndmask_b32_e64 v1, 0, 1, s[22:23]
	s_bcnt1_i32_b64 s6, vcc
	v_cmp_ne_u32_e32 vcc, 0, v1
	v_cndmask_b32_e64 v1, 0, 1, s[26:27]
	s_add_i32 s11, s11, s15
	s_bcnt1_i32_b64 s7, vcc
	v_cmp_ne_u32_e32 vcc, 0, v1
	s_add_i32 s6, s11, s6
	s_bcnt1_i32_b64 s20, vcc
	s_add_i32 s6, s6, s7
	s_add_i32 s11, s6, s20
	v_cmp_le_u32_e32 vcc, s10, v5
	s_or_b64 s[82:83], vcc, s[82:83]
	v_mov_b32_e32 v1, s14
	v_mov_b32_e32 v2, s13
	;; [unrolled: 1-line block ×4, first 2 shown]
	s_andn2_b64 exec, exec, s[82:83]
	s_cbranch_execnz .LBB82_79
; %bb.80:                               ;   in Loop: Header=BB82_11 Depth=1
	s_or_b64 exec, exec, s[82:83]
	s_mov_b32 s44, 0xc0c0007
.LBB82_81:                              ;   in Loop: Header=BB82_11 Depth=1
	s_or_b64 exec, exec, s[80:81]
	v_add_u32_e32 v5, s10, v0
	v_cmp_gt_u32_e32 vcc, s40, v5
	s_and_saveexec_b64 s[22:23], vcc
	s_cbranch_execz .LBB82_85
; %bb.82:                               ;   in Loop: Header=BB82_11 Depth=1
	s_mov_b64 s[26:27], 0
.LBB82_83:                              ;   Parent Loop BB82_11 Depth=1
                                        ; =>  This Inner Loop Header: Depth=2
	ds_read_i8 v6, v5
	v_add_u32_e32 v5, s39, v5
	s_waitcnt lgkmcnt(0)
	v_add_u32_e32 v6, 0x80, v6
	v_and_b32_e32 v7, v6, v39
	v_bfe_u32 v6, v6, v37, 2
	v_cmp_eq_u32_e32 vcc, v7, v33
	v_cmp_eq_u32_e64 s[6:7], 0, v6
	s_and_b64 s[6:7], vcc, s[6:7]
	v_cndmask_b32_e64 v7, 0, 1, s[6:7]
	v_cmp_ne_u32_e64 s[6:7], 0, v7
	s_bcnt1_i32_b64 s6, s[6:7]
	v_add_u32_e32 v1, s6, v1
	v_cmp_eq_u32_e64 s[6:7], 1, v6
	s_and_b64 s[6:7], vcc, s[6:7]
	v_cndmask_b32_e64 v7, 0, 1, s[6:7]
	v_cmp_ne_u32_e64 s[6:7], 0, v7
	s_bcnt1_i32_b64 s6, s[6:7]
	v_add_u32_e32 v2, s6, v2
	;; [unrolled: 6-line block ×3, first 2 shown]
	v_cmp_eq_u32_e64 s[6:7], 3, v6
	s_and_b64 s[6:7], vcc, s[6:7]
	v_cndmask_b32_e64 v6, 0, 1, s[6:7]
	v_cmp_ne_u32_e32 vcc, 0, v6
	s_bcnt1_i32_b64 s6, vcc
	v_cmp_le_u32_e32 vcc, s40, v5
	v_add_u32_e32 v4, s6, v4
	s_or_b64 s[26:27], vcc, s[26:27]
	s_andn2_b64 exec, exec, s[26:27]
	s_cbranch_execnz .LBB82_83
; %bb.84:                               ;   in Loop: Header=BB82_11 Depth=1
	s_or_b64 exec, exec, s[26:27]
.LBB82_85:                              ;   in Loop: Header=BB82_11 Depth=1
	s_or_b64 exec, exec, s[22:23]
	s_lshl_b32 s10, s62, 6
	s_and_saveexec_b64 s[6:7], s[4:5]
	s_cbranch_execnz .LBB82_59
	s_branch .LBB82_60
.LBB82_86:                              ;   in Loop: Header=BB82_11 Depth=1
	v_mov_b32_e32 v1, 0
	s_mov_b32 s11, 0
.LBB82_87:                              ;   in Loop: Header=BB82_11 Depth=1
	v_readlane_b32 s0, v52, 38
	v_readlane_b32 s1, v52, 39
	s_andn2_b64 vcc, exec, s[0:1]
	s_cbranch_vccnz .LBB82_90
; %bb.88:                               ;   in Loop: Header=BB82_11 Depth=1
	s_lshl_b32 s12, s62, 8
	s_lshl_b32 s11, s11, 4
	s_add_i32 s12, s12, s11
	v_add_u32_e32 v2, s12, v36
	v_readlane_b32 s11, v52, 37
.LBB82_89:                              ;   Parent Loop BB82_11 Depth=1
                                        ; =>  This Inner Loop Header: Depth=2
	ds_read_b32 v3, v2
	s_add_i32 s11, s11, -1
	v_add_u32_e32 v2, 16, v2
	s_cmp_lg_u32 s11, 0
	s_waitcnt lgkmcnt(0)
	v_add_u32_e32 v1, v3, v1
	s_cbranch_scc1 .LBB82_89
.LBB82_90:                              ;   in Loop: Header=BB82_11 Depth=1
	v_add_lshl_u32 v2, s10, v19, 2
	ds_write_b32 v2, v1 offset:3072
.LBB82_91:                              ;   in Loop: Header=BB82_11 Depth=1
	s_or_b64 exec, exec, s[6:7]
	s_lshl_b32 s6, s10, 2
	v_mov_b32_e32 v1, s6
	s_waitcnt lgkmcnt(0)
	s_barrier
	ds_read_b128 v[1:4], v1 offset:3072
	v_cmp_eq_u32_e32 vcc, 1, v41
	s_mov_b64 s[22:23], -1
	s_mov_b64 s[10:11], -1
                                        ; implicit-def: $sgpr40_sgpr41
                                        ; implicit-def: $sgpr28_sgpr29
	s_waitcnt lgkmcnt(0)
	v_readfirstlane_b32 s47, v1
	s_cmp_eq_u32 s47, 1
	v_lshlrev_b32_e64 v1, v37, 3
	s_cselect_b64 s[6:7], -1, 0
	v_readfirstlane_b32 s46, v2
	v_readfirstlane_b32 s21, v3
	;; [unrolled: 1-line block ×3, first 2 shown]
	v_not_b32_e32 v3, v1
	s_and_b64 s[26:27], s[6:7], vcc
	s_and_saveexec_b64 s[6:7], s[26:27]
	s_cbranch_execz .LBB82_117
; %bb.92:                               ;   in Loop: Header=BB82_11 Depth=1
	ds_read_b32 v2, v20 offset:4104
	s_waitcnt lgkmcnt(0)
	s_barrier
	v_readfirstlane_b32 s52, v2
	s_and_saveexec_b64 s[10:11], s[24:25]
; %bb.93:                               ;   in Loop: Header=BB82_11 Depth=1
	ds_write_b8 v0, v20 offset:3072
; %bb.94:                               ;   in Loop: Header=BB82_11 Depth=1
	s_or_b64 exec, exec, s[10:11]
	v_and_b32_e32 v33, v33, v3
	v_or_b32_e32 v39, v39, v1
	s_mov_b64 s[28:29], -1
	s_mov_b64 s[40:41], 0
	s_cmp_eq_u32 s52, 0
	s_mov_b64 s[42:43], 0
	s_mov_b64 s[48:49], -1
	s_waitcnt lgkmcnt(0)
	s_barrier
                                        ; implicit-def: $vgpr40
	s_cbranch_scc1 .LBB82_105
; %bb.95:                               ;   in Loop: Header=BB82_11 Depth=1
	s_add_i32 s10, s52, s8
	s_mul_hi_u32 s11, s10, s64
	s_mul_i32 s11, s11, s39
	s_sub_i32 s11, s10, s11
	s_sub_i32 s12, s11, s39
	s_cmp_ge_u32 s11, s39
	s_cselect_b32 s11, s12, s11
	s_sub_i32 s12, s11, s39
	s_cmp_ge_u32 s11, s39
	s_cselect_b32 s11, s12, s11
	s_sub_i32 s53, s10, s11
	v_cmp_gt_u32_e32 vcc, s53, v0
	s_mov_b64 s[48:49], 0
                                        ; implicit-def: $vgpr40
	s_and_saveexec_b64 s[10:11], vcc
	s_cbranch_execz .LBB82_104
; %bb.96:                               ;   in Loop: Header=BB82_11 Depth=1
	s_mov_b64 s[12:13], 0
	v_mov_b32_e32 v2, v0
                                        ; implicit-def: $sgpr14_sgpr15
	s_branch .LBB82_99
.LBB82_97:                              ;   in Loop: Header=BB82_99 Depth=2
	s_or_b64 exec, exec, s[42:43]
	s_waitcnt lgkmcnt(0)
	s_barrier
	ds_read_u16 v4, v20 offset:3072
	s_mov_b64 s[42:43], -1
	s_waitcnt lgkmcnt(0)
	s_barrier
	v_cmp_ne_u32_sdwa s[44:45], v4, v20 src0_sel:BYTE_0 src1_sel:DWORD
	s_and_b64 vcc, exec, s[44:45]
	s_mov_b64 s[44:45], -1
	s_cbranch_vccz .LBB82_102
.LBB82_98:                              ;   in Loop: Header=BB82_99 Depth=2
	s_and_b64 s[42:43], exec, s[42:43]
	s_or_b64 s[12:13], s[42:43], s[12:13]
	s_andn2_b64 s[14:15], s[14:15], exec
	s_and_b64 s[42:43], s[44:45], exec
	s_or_b64 s[14:15], s[14:15], s[42:43]
	s_andn2_b64 exec, exec, s[12:13]
	s_cbranch_execz .LBB82_103
.LBB82_99:                              ;   Parent Loop BB82_11 Depth=1
                                        ; =>  This Inner Loop Header: Depth=2
	v_cmp_gt_u32_e32 vcc, s52, v2
	s_and_saveexec_b64 s[42:43], vcc
	s_cbranch_execz .LBB82_97
; %bb.100:                              ;   in Loop: Header=BB82_99 Depth=2
	ds_read_u8 v4, v2
	s_waitcnt lgkmcnt(0)
	v_add_u32_sdwa v5, sext(v4), s35 dst_sel:DWORD dst_unused:UNUSED_PAD src0_sel:BYTE_0 src1_sel:DWORD
	v_and_b32_e32 v5, v5, v39
	v_cmp_eq_u32_e32 vcc, v5, v33
	s_and_b64 exec, exec, vcc
	s_cbranch_execz .LBB82_97
; %bb.101:                              ;   in Loop: Header=BB82_99 Depth=2
	v_lshlrev_b16_e32 v4, 8, v4
	v_or_b32_e32 v4, 1, v4
	ds_write_b16 v20, v4 offset:3072
	s_branch .LBB82_97
.LBB82_102:                             ;   in Loop: Header=BB82_99 Depth=2
	v_add_u32_e32 v2, s39, v2
	v_cmp_le_u32_e32 vcc, s53, v2
	s_mov_b64 s[44:45], 0
	s_orn2_b64 s[42:43], vcc, exec
	s_branch .LBB82_98
.LBB82_103:                             ;   in Loop: Header=BB82_11 Depth=1
	s_or_b64 exec, exec, s[12:13]
	v_lshrrev_b32_sdwa v40, v38, v4 dst_sel:DWORD dst_unused:UNUSED_PAD src0_sel:DWORD src1_sel:WORD_0
	s_and_b64 s[42:43], s[14:15], exec
	s_mov_b32 s44, 0xc0c0007
.LBB82_104:                             ;   in Loop: Header=BB82_11 Depth=1
	s_or_b64 exec, exec, s[10:11]
.LBB82_105:                             ;   in Loop: Header=BB82_11 Depth=1
	s_and_b64 vcc, exec, s[48:49]
	s_cbranch_vccz .LBB82_116
; %bb.106:                              ;   in Loop: Header=BB82_11 Depth=1
	v_readlane_b32 s0, v52, 40
	v_readlane_b32 s1, v52, 41
                                        ; implicit-def: $vgpr40
	s_and_saveexec_b64 s[10:11], s[0:1]
	s_cbranch_execz .LBB82_115
; %bb.107:                              ;   in Loop: Header=BB82_11 Depth=1
	s_mov_b64 s[12:13], 0
	v_mov_b32_e32 v2, v17
	v_mov_b32_e32 v4, v0
                                        ; implicit-def: $sgpr28_sgpr29
	s_branch .LBB82_110
.LBB82_108:                             ;   in Loop: Header=BB82_110 Depth=2
	s_or_b64 exec, exec, s[14:15]
	s_waitcnt lgkmcnt(0)
	s_barrier
	ds_read_u16 v5, v20 offset:3072
	s_mov_b64 s[14:15], -1
	s_waitcnt lgkmcnt(0)
	s_barrier
	v_cmp_ne_u32_sdwa s[40:41], v5, v20 src0_sel:BYTE_0 src1_sel:DWORD
	s_and_b64 vcc, exec, s[40:41]
	s_mov_b64 s[40:41], -1
	s_cbranch_vccz .LBB82_113
.LBB82_109:                             ;   in Loop: Header=BB82_110 Depth=2
	s_and_b64 s[14:15], exec, s[14:15]
	s_or_b64 s[12:13], s[14:15], s[12:13]
	s_andn2_b64 s[14:15], s[28:29], exec
	s_and_b64 s[28:29], s[40:41], exec
	s_or_b64 s[28:29], s[14:15], s[28:29]
	s_andn2_b64 exec, exec, s[12:13]
	s_cbranch_execz .LBB82_114
.LBB82_110:                             ;   Parent Loop BB82_11 Depth=1
                                        ; =>  This Inner Loop Header: Depth=2
	v_cmp_gt_u32_e32 vcc, s36, v4
	s_and_saveexec_b64 s[14:15], vcc
	s_cbranch_execz .LBB82_108
; %bb.111:                              ;   in Loop: Header=BB82_110 Depth=2
	global_load_ubyte v5, v2, s[50:51]
	s_waitcnt vmcnt(0)
	v_add_u32_sdwa v6, sext(v5), s35 dst_sel:DWORD dst_unused:UNUSED_PAD src0_sel:BYTE_0 src1_sel:DWORD
	v_and_b32_e32 v6, v6, v39
	v_cmp_eq_u32_e32 vcc, v6, v33
	s_and_b64 exec, exec, vcc
	s_cbranch_execz .LBB82_108
; %bb.112:                              ;   in Loop: Header=BB82_110 Depth=2
	v_lshlrev_b16_e32 v5, 8, v5
	v_or_b32_e32 v5, 1, v5
	ds_write_b16 v20, v5 offset:3072
	s_branch .LBB82_108
.LBB82_113:                             ;   in Loop: Header=BB82_110 Depth=2
	v_add_u32_e32 v4, s39, v4
	v_cmp_le_u32_e32 vcc, s65, v4
	v_add_u32_e32 v2, s30, v2
	s_mov_b64 s[40:41], 0
	s_orn2_b64 s[14:15], vcc, exec
	s_branch .LBB82_109
.LBB82_114:                             ;   in Loop: Header=BB82_11 Depth=1
	s_or_b64 exec, exec, s[12:13]
	s_andn2_b64 s[12:13], s[42:43], exec
	s_and_b64 s[14:15], s[28:29], exec
	v_lshrrev_b32_sdwa v40, v38, v5 dst_sel:DWORD dst_unused:UNUSED_PAD src0_sel:DWORD src1_sel:WORD_0
	s_or_b64 s[42:43], s[12:13], s[14:15]
.LBB82_115:                             ;   in Loop: Header=BB82_11 Depth=1
	s_or_b64 exec, exec, s[10:11]
	s_mov_b64 s[28:29], 0
	s_mov_b64 s[40:41], -1
.LBB82_116:                             ;   in Loop: Header=BB82_11 Depth=1
	s_orn2_b64 s[10:11], s[42:43], exec
.LBB82_117:                             ;   in Loop: Header=BB82_11 Depth=1
	s_or_b64 exec, exec, s[6:7]
	s_andn2_b64 s[6:7], s[78:79], exec
	s_and_b64 s[12:13], s[40:41], exec
	s_or_b64 s[78:79], s[6:7], s[12:13]
	s_andn2_b64 s[6:7], s[76:77], exec
	s_and_b64 s[12:13], s[28:29], exec
	v_readfirstlane_b32 s42, v0
	s_andn2_b64 s[74:75], s[74:75], exec
	s_or_b64 s[76:77], s[6:7], s[12:13]
                                        ; implicit-def: $vgpr4
	s_and_saveexec_b64 s[6:7], s[10:11]
	s_cbranch_execz .LBB82_10
; %bb.118:                              ;   in Loop: Header=BB82_11 Depth=1
	s_xor_b64 s[10:11], s[26:27], -1
	s_mov_b64 s[12:13], 0
	v_mov_b32_e32 v4, 1
	v_mov_b32_e32 v2, 1
	s_and_saveexec_b64 s[22:23], s[10:11]
	s_cbranch_execz .LBB82_127
; %bb.119:                              ;   in Loop: Header=BB82_11 Depth=1
	v_cmp_ge_u32_e32 vcc, s47, v41
	s_and_saveexec_b64 s[10:11], vcc
	s_xor_b64 s[10:11], exec, s[10:11]
	s_cbranch_execz .LBB82_124
; %bb.120:                              ;   in Loop: Header=BB82_11 Depth=1
	ds_read_b32 v2, v20 offset:4104
	v_and_b32_e32 v33, v33, v3
	v_or_b32_e32 v39, v39, v1
	s_waitcnt lgkmcnt(0)
	v_cmp_ne_u32_e32 vcc, 0, v2
	s_cbranch_vccnz .LBB82_124
; %bb.121:                              ;   in Loop: Header=BB82_11 Depth=1
	v_readlane_b32 s0, v52, 4
	v_readlane_b32 s1, v52, 5
	s_and_saveexec_b64 s[12:13], s[0:1]
; %bb.122:                              ;   in Loop: Header=BB82_11 Depth=1
	v_mov_b32_e32 v2, s47
	ds_write_b32 v20, v2 offset:4108
; %bb.123:                              ;   in Loop: Header=BB82_11 Depth=1
	s_or_b64 exec, exec, s[12:13]
	s_waitcnt lgkmcnt(0)
	s_barrier
.LBB82_124:                             ;   in Loop: Header=BB82_11 Depth=1
	s_or_saveexec_b64 s[10:11], s[10:11]
	s_mov_b64 s[12:13], 0
	v_mov_b32_e32 v2, 8
	s_xor_b64 exec, exec, s[10:11]
; %bb.125:                              ;   in Loop: Header=BB82_11 Depth=1
	v_subrev_u32_e32 v41, s47, v41
	v_mov_b32_e32 v2, 0
	s_mov_b64 s[12:13], exec
; %bb.126:                              ;   in Loop: Header=BB82_11 Depth=1
	s_or_b64 exec, exec, s[10:11]
	s_and_b64 s[12:13], s[12:13], exec
	v_mov_b32_e32 v4, v41
.LBB82_127:                             ;   in Loop: Header=BB82_11 Depth=1
	s_or_b64 exec, exec, s[22:23]
	s_mov_b64 s[22:23], -1
	s_mov_b64 s[10:11], -1
                                        ; implicit-def: $sgpr28_sgpr29
                                        ; implicit-def: $sgpr80_sgpr81
	s_and_saveexec_b64 s[14:15], s[12:13]
	s_xor_b64 s[26:27], exec, s[14:15]
	s_cbranch_execz .LBB82_244
; %bb.128:                              ;   in Loop: Header=BB82_11 Depth=1
	s_cmp_eq_u32 s46, 1
	s_cselect_b64 s[10:11], -1, 0
	v_cmp_eq_u32_e32 vcc, 1, v4
	s_and_b64 s[48:49], s[10:11], vcc
	s_mov_b64 s[10:11], -1
                                        ; implicit-def: $sgpr80_sgpr81
                                        ; implicit-def: $sgpr28_sgpr29
	s_and_saveexec_b64 s[40:41], s[48:49]
	s_cbranch_execz .LBB82_154
; %bb.129:                              ;   in Loop: Header=BB82_11 Depth=1
	ds_read_b32 v5, v20 offset:4104
	s_waitcnt lgkmcnt(0)
	s_barrier
	v_readfirstlane_b32 s47, v5
	s_and_saveexec_b64 s[10:11], s[24:25]
; %bb.130:                              ;   in Loop: Header=BB82_11 Depth=1
	ds_write_b8 v0, v20 offset:3072
; %bb.131:                              ;   in Loop: Header=BB82_11 Depth=1
	s_or_b64 exec, exec, s[10:11]
	v_and_b32_e32 v5, v33, v3
	v_lshl_or_b32 v33, 1, v37, v5
	v_or_b32_e32 v39, v39, v1
	s_mov_b64 s[28:29], -1
	s_mov_b64 s[80:81], 0
	s_cmp_eq_u32 s47, 0
	s_mov_b64 s[42:43], 0
	s_mov_b64 s[52:53], -1
	s_waitcnt lgkmcnt(0)
	s_barrier
                                        ; implicit-def: $vgpr40
	s_cbranch_scc1 .LBB82_142
; %bb.132:                              ;   in Loop: Header=BB82_11 Depth=1
	s_add_i32 s10, s47, s8
	s_mul_hi_u32 s11, s10, s64
	s_mul_i32 s11, s11, s39
	s_sub_i32 s11, s10, s11
	s_sub_i32 s12, s11, s39
	s_cmp_ge_u32 s11, s39
	s_cselect_b32 s11, s12, s11
	s_sub_i32 s12, s11, s39
	s_cmp_ge_u32 s11, s39
	s_cselect_b32 s11, s12, s11
	s_sub_i32 s82, s10, s11
	v_cmp_gt_u32_e32 vcc, s82, v0
	s_mov_b64 s[52:53], 0
                                        ; implicit-def: $vgpr40
	s_and_saveexec_b64 s[10:11], vcc
	s_cbranch_execz .LBB82_141
; %bb.133:                              ;   in Loop: Header=BB82_11 Depth=1
	s_mov_b64 s[12:13], 0
	v_mov_b32_e32 v5, v0
                                        ; implicit-def: $sgpr42_sgpr43
	s_branch .LBB82_136
.LBB82_134:                             ;   in Loop: Header=BB82_136 Depth=2
	s_or_b64 exec, exec, s[14:15]
	s_waitcnt lgkmcnt(0)
	s_barrier
	ds_read_u16 v6, v20 offset:3072
	s_mov_b64 s[14:15], -1
	s_waitcnt lgkmcnt(0)
	s_barrier
	v_cmp_ne_u32_sdwa s[44:45], v6, v20 src0_sel:BYTE_0 src1_sel:DWORD
	s_and_b64 vcc, exec, s[44:45]
	s_mov_b64 s[44:45], -1
	s_cbranch_vccz .LBB82_139
.LBB82_135:                             ;   in Loop: Header=BB82_136 Depth=2
	s_and_b64 s[14:15], exec, s[14:15]
	s_or_b64 s[12:13], s[14:15], s[12:13]
	s_andn2_b64 s[14:15], s[42:43], exec
	s_and_b64 s[42:43], s[44:45], exec
	s_or_b64 s[42:43], s[14:15], s[42:43]
	s_andn2_b64 exec, exec, s[12:13]
	s_cbranch_execz .LBB82_140
.LBB82_136:                             ;   Parent Loop BB82_11 Depth=1
                                        ; =>  This Inner Loop Header: Depth=2
	v_cmp_gt_u32_e32 vcc, s47, v5
	s_and_saveexec_b64 s[14:15], vcc
	s_cbranch_execz .LBB82_134
; %bb.137:                              ;   in Loop: Header=BB82_136 Depth=2
	ds_read_u8 v6, v5
	s_waitcnt lgkmcnt(0)
	v_add_u32_sdwa v7, sext(v6), s35 dst_sel:DWORD dst_unused:UNUSED_PAD src0_sel:BYTE_0 src1_sel:DWORD
	v_and_b32_e32 v7, v7, v39
	v_cmp_eq_u32_e32 vcc, v7, v33
	s_and_b64 exec, exec, vcc
	s_cbranch_execz .LBB82_134
; %bb.138:                              ;   in Loop: Header=BB82_136 Depth=2
	v_lshlrev_b16_e32 v6, 8, v6
	v_or_b32_e32 v6, 1, v6
	ds_write_b16 v20, v6 offset:3072
	s_branch .LBB82_134
.LBB82_139:                             ;   in Loop: Header=BB82_136 Depth=2
	v_add_u32_e32 v5, s39, v5
	v_cmp_le_u32_e32 vcc, s82, v5
	s_mov_b64 s[44:45], 0
	s_orn2_b64 s[14:15], vcc, exec
	s_branch .LBB82_135
.LBB82_140:                             ;   in Loop: Header=BB82_11 Depth=1
	s_or_b64 exec, exec, s[12:13]
	v_lshrrev_b32_sdwa v40, v38, v6 dst_sel:DWORD dst_unused:UNUSED_PAD src0_sel:DWORD src1_sel:WORD_0
	s_and_b64 s[42:43], s[42:43], exec
	s_mov_b32 s44, 0xc0c0007
.LBB82_141:                             ;   in Loop: Header=BB82_11 Depth=1
	s_or_b64 exec, exec, s[10:11]
.LBB82_142:                             ;   in Loop: Header=BB82_11 Depth=1
	s_and_b64 vcc, exec, s[52:53]
	s_cbranch_vccz .LBB82_153
; %bb.143:                              ;   in Loop: Header=BB82_11 Depth=1
	v_readlane_b32 s0, v52, 40
	v_readlane_b32 s1, v52, 41
                                        ; implicit-def: $vgpr40
	s_and_saveexec_b64 s[10:11], s[0:1]
	s_cbranch_execz .LBB82_152
; %bb.144:                              ;   in Loop: Header=BB82_11 Depth=1
	s_mov_b64 s[12:13], 0
	v_mov_b32_e32 v5, v17
	v_mov_b32_e32 v6, v0
                                        ; implicit-def: $sgpr28_sgpr29
	s_branch .LBB82_147
.LBB82_145:                             ;   in Loop: Header=BB82_147 Depth=2
	s_or_b64 exec, exec, s[14:15]
	s_waitcnt lgkmcnt(0)
	s_barrier
	ds_read_u16 v7, v20 offset:3072
	s_mov_b64 s[14:15], -1
	s_waitcnt lgkmcnt(0)
	s_barrier
	v_cmp_eq_u32_sdwa s[44:45], v7, v20 src0_sel:BYTE_0 src1_sel:DWORD
	s_and_b64 vcc, exec, s[44:45]
	s_mov_b64 s[44:45], -1
	s_cbranch_vccnz .LBB82_150
.LBB82_146:                             ;   in Loop: Header=BB82_147 Depth=2
	s_and_b64 s[14:15], exec, s[14:15]
	s_or_b64 s[12:13], s[14:15], s[12:13]
	s_andn2_b64 s[14:15], s[28:29], exec
	s_and_b64 s[28:29], s[44:45], exec
	s_or_b64 s[28:29], s[14:15], s[28:29]
	s_andn2_b64 exec, exec, s[12:13]
	s_cbranch_execz .LBB82_151
.LBB82_147:                             ;   Parent Loop BB82_11 Depth=1
                                        ; =>  This Inner Loop Header: Depth=2
	v_cmp_gt_u32_e32 vcc, s36, v6
	s_and_saveexec_b64 s[14:15], vcc
	s_cbranch_execz .LBB82_145
; %bb.148:                              ;   in Loop: Header=BB82_147 Depth=2
	global_load_ubyte v7, v5, s[50:51]
	s_waitcnt vmcnt(0)
	v_add_u32_sdwa v8, sext(v7), s35 dst_sel:DWORD dst_unused:UNUSED_PAD src0_sel:BYTE_0 src1_sel:DWORD
	v_and_b32_e32 v8, v8, v39
	v_cmp_eq_u32_e32 vcc, v8, v33
	s_and_b64 exec, exec, vcc
	s_cbranch_execz .LBB82_145
; %bb.149:                              ;   in Loop: Header=BB82_147 Depth=2
	v_lshlrev_b16_e32 v7, 8, v7
	v_or_b32_e32 v7, 1, v7
	ds_write_b16 v20, v7 offset:3072
	s_branch .LBB82_145
.LBB82_150:                             ;   in Loop: Header=BB82_147 Depth=2
	v_add_u32_e32 v6, s39, v6
	v_cmp_le_u32_e32 vcc, s65, v6
	v_add_u32_e32 v5, s30, v5
	s_mov_b64 s[44:45], 0
	s_orn2_b64 s[14:15], vcc, exec
	s_branch .LBB82_146
.LBB82_151:                             ;   in Loop: Header=BB82_11 Depth=1
	s_or_b64 exec, exec, s[12:13]
	s_andn2_b64 s[12:13], s[42:43], exec
	s_and_b64 s[14:15], s[28:29], exec
	v_lshrrev_b32_sdwa v40, v38, v7 dst_sel:DWORD dst_unused:UNUSED_PAD src0_sel:DWORD src1_sel:WORD_0
	s_or_b64 s[42:43], s[12:13], s[14:15]
	s_mov_b32 s44, 0xc0c0007
.LBB82_152:                             ;   in Loop: Header=BB82_11 Depth=1
	s_or_b64 exec, exec, s[10:11]
	s_mov_b64 s[28:29], 0
	s_mov_b64 s[80:81], -1
.LBB82_153:                             ;   in Loop: Header=BB82_11 Depth=1
	s_orn2_b64 s[10:11], s[42:43], exec
.LBB82_154:                             ;   in Loop: Header=BB82_11 Depth=1
	s_or_b64 exec, exec, s[40:41]
	s_mov_b64 s[12:13], 0
	s_and_saveexec_b64 s[82:83], s[10:11]
	s_cbranch_execz .LBB82_243
; %bb.155:                              ;   in Loop: Header=BB82_11 Depth=1
	s_xor_b64 s[10:11], s[48:49], -1
	v_mov_b32_e32 v5, 1
	v_mov_b32_e32 v2, 1
	s_and_saveexec_b64 s[40:41], s[10:11]
	s_cbranch_execz .LBB82_164
; %bb.156:                              ;   in Loop: Header=BB82_11 Depth=1
	v_cmp_ge_u32_e32 vcc, s46, v4
	s_and_saveexec_b64 s[10:11], vcc
	s_xor_b64 s[10:11], exec, s[10:11]
	s_cbranch_execz .LBB82_161
; %bb.157:                              ;   in Loop: Header=BB82_11 Depth=1
	v_and_b32_e32 v2, v33, v3
	v_lshl_or_b32 v33, 1, v37, v2
	ds_read_b32 v2, v20 offset:4104
	v_or_b32_e32 v39, v39, v1
	s_waitcnt lgkmcnt(0)
	v_cmp_ne_u32_e32 vcc, 0, v2
	s_cbranch_vccnz .LBB82_161
; %bb.158:                              ;   in Loop: Header=BB82_11 Depth=1
	v_readlane_b32 s0, v52, 4
	v_readlane_b32 s1, v52, 5
	s_and_saveexec_b64 s[12:13], s[0:1]
; %bb.159:                              ;   in Loop: Header=BB82_11 Depth=1
	v_mov_b32_e32 v2, s46
	ds_write_b32 v20, v2 offset:4108
; %bb.160:                              ;   in Loop: Header=BB82_11 Depth=1
	s_or_b64 exec, exec, s[12:13]
	s_waitcnt lgkmcnt(0)
	s_barrier
.LBB82_161:                             ;   in Loop: Header=BB82_11 Depth=1
	s_or_saveexec_b64 s[10:11], s[10:11]
	s_mov_b64 s[12:13], 0
	v_mov_b32_e32 v2, 8
	s_xor_b64 exec, exec, s[10:11]
; %bb.162:                              ;   in Loop: Header=BB82_11 Depth=1
	v_subrev_u32_e32 v4, s46, v4
	v_mov_b32_e32 v2, 0
	s_mov_b64 s[12:13], exec
; %bb.163:                              ;   in Loop: Header=BB82_11 Depth=1
	s_or_b64 exec, exec, s[10:11]
	s_and_b64 s[12:13], s[12:13], exec
	v_mov_b32_e32 v5, v4
.LBB82_164:                             ;   in Loop: Header=BB82_11 Depth=1
	s_or_b64 exec, exec, s[40:41]
	s_mov_b64 s[10:11], -1
                                        ; implicit-def: $sgpr86_sgpr87
                                        ; implicit-def: $sgpr88_sgpr89
	s_and_saveexec_b64 s[84:85], s[12:13]
	s_cbranch_execz .LBB82_242
; %bb.165:                              ;   in Loop: Header=BB82_11 Depth=1
	s_cmp_eq_u32 s21, 1
	s_cselect_b64 s[10:11], -1, 0
	v_cmp_eq_u32_e32 vcc, 1, v5
	s_and_b64 s[48:49], s[10:11], vcc
	s_mov_b64 s[10:11], -1
                                        ; implicit-def: $sgpr88_sgpr89
                                        ; implicit-def: $sgpr86_sgpr87
	s_and_saveexec_b64 s[40:41], s[48:49]
	s_cbranch_execz .LBB82_191
; %bb.166:                              ;   in Loop: Header=BB82_11 Depth=1
	ds_read_b32 v4, v20 offset:4104
	s_waitcnt lgkmcnt(0)
	s_barrier
	v_readfirstlane_b32 s46, v4
	s_and_saveexec_b64 s[10:11], s[24:25]
; %bb.167:                              ;   in Loop: Header=BB82_11 Depth=1
	ds_write_b8 v0, v20 offset:3072
; %bb.168:                              ;   in Loop: Header=BB82_11 Depth=1
	s_or_b64 exec, exec, s[10:11]
	v_and_b32_e32 v4, v33, v3
	v_lshl_or_b32 v33, 2, v37, v4
	v_or_b32_e32 v39, v39, v1
	s_mov_b64 s[86:87], -1
	s_mov_b64 s[88:89], 0
	s_cmp_eq_u32 s46, 0
	s_mov_b64 s[42:43], 0
	s_mov_b64 s[52:53], -1
	s_waitcnt lgkmcnt(0)
	s_barrier
                                        ; implicit-def: $vgpr40
	s_cbranch_scc1 .LBB82_179
; %bb.169:                              ;   in Loop: Header=BB82_11 Depth=1
	s_add_i32 s10, s46, s8
	s_mul_hi_u32 s11, s10, s64
	s_mul_i32 s11, s11, s39
	s_sub_i32 s11, s10, s11
	s_sub_i32 s12, s11, s39
	s_cmp_ge_u32 s11, s39
	s_cselect_b32 s11, s12, s11
	s_sub_i32 s12, s11, s39
	s_cmp_ge_u32 s11, s39
	s_cselect_b32 s11, s12, s11
	s_sub_i32 s47, s10, s11
	v_cmp_gt_u32_e32 vcc, s47, v0
	s_mov_b64 s[52:53], 0
                                        ; implicit-def: $vgpr40
	s_and_saveexec_b64 s[10:11], vcc
	s_cbranch_execz .LBB82_178
; %bb.170:                              ;   in Loop: Header=BB82_11 Depth=1
	s_mov_b64 s[12:13], 0
	v_mov_b32_e32 v4, v0
                                        ; implicit-def: $sgpr42_sgpr43
	s_branch .LBB82_173
.LBB82_171:                             ;   in Loop: Header=BB82_173 Depth=2
	s_or_b64 exec, exec, s[14:15]
	s_waitcnt lgkmcnt(0)
	s_barrier
	ds_read_u16 v6, v20 offset:3072
	s_mov_b64 s[14:15], -1
	s_waitcnt lgkmcnt(0)
	s_barrier
	v_cmp_ne_u32_sdwa s[44:45], v6, v20 src0_sel:BYTE_0 src1_sel:DWORD
	s_and_b64 vcc, exec, s[44:45]
	s_mov_b64 s[44:45], -1
	s_cbranch_vccz .LBB82_176
.LBB82_172:                             ;   in Loop: Header=BB82_173 Depth=2
	s_and_b64 s[14:15], exec, s[14:15]
	s_or_b64 s[12:13], s[14:15], s[12:13]
	s_andn2_b64 s[14:15], s[42:43], exec
	s_and_b64 s[42:43], s[44:45], exec
	s_or_b64 s[42:43], s[14:15], s[42:43]
	s_andn2_b64 exec, exec, s[12:13]
	s_cbranch_execz .LBB82_177
.LBB82_173:                             ;   Parent Loop BB82_11 Depth=1
                                        ; =>  This Inner Loop Header: Depth=2
	v_cmp_gt_u32_e32 vcc, s46, v4
	s_and_saveexec_b64 s[14:15], vcc
	s_cbranch_execz .LBB82_171
; %bb.174:                              ;   in Loop: Header=BB82_173 Depth=2
	ds_read_u8 v6, v4
	s_waitcnt lgkmcnt(0)
	v_add_u32_sdwa v7, sext(v6), s35 dst_sel:DWORD dst_unused:UNUSED_PAD src0_sel:BYTE_0 src1_sel:DWORD
	v_and_b32_e32 v7, v7, v39
	v_cmp_eq_u32_e32 vcc, v7, v33
	s_and_b64 exec, exec, vcc
	s_cbranch_execz .LBB82_171
; %bb.175:                              ;   in Loop: Header=BB82_173 Depth=2
	v_lshlrev_b16_e32 v6, 8, v6
	v_or_b32_e32 v6, 1, v6
	ds_write_b16 v20, v6 offset:3072
	s_branch .LBB82_171
.LBB82_176:                             ;   in Loop: Header=BB82_173 Depth=2
	v_add_u32_e32 v4, s39, v4
	v_cmp_le_u32_e32 vcc, s47, v4
	s_mov_b64 s[44:45], 0
	s_orn2_b64 s[14:15], vcc, exec
	s_branch .LBB82_172
.LBB82_177:                             ;   in Loop: Header=BB82_11 Depth=1
	s_or_b64 exec, exec, s[12:13]
	v_lshrrev_b32_sdwa v40, v38, v6 dst_sel:DWORD dst_unused:UNUSED_PAD src0_sel:DWORD src1_sel:WORD_0
	s_and_b64 s[42:43], s[42:43], exec
	s_mov_b32 s44, 0xc0c0007
.LBB82_178:                             ;   in Loop: Header=BB82_11 Depth=1
	s_or_b64 exec, exec, s[10:11]
.LBB82_179:                             ;   in Loop: Header=BB82_11 Depth=1
	s_and_b64 vcc, exec, s[52:53]
	s_cbranch_vccz .LBB82_190
; %bb.180:                              ;   in Loop: Header=BB82_11 Depth=1
	v_readlane_b32 s0, v52, 40
	v_readlane_b32 s1, v52, 41
                                        ; implicit-def: $vgpr40
	s_and_saveexec_b64 s[10:11], s[0:1]
	s_cbranch_execz .LBB82_189
; %bb.181:                              ;   in Loop: Header=BB82_11 Depth=1
	s_mov_b64 s[12:13], 0
	v_mov_b32_e32 v4, v17
	v_mov_b32_e32 v6, v0
                                        ; implicit-def: $sgpr52_sgpr53
	s_branch .LBB82_184
.LBB82_182:                             ;   in Loop: Header=BB82_184 Depth=2
	s_or_b64 exec, exec, s[14:15]
	s_waitcnt lgkmcnt(0)
	s_barrier
	ds_read_u16 v7, v20 offset:3072
	s_mov_b64 s[14:15], -1
	s_waitcnt lgkmcnt(0)
	s_barrier
	v_cmp_eq_u32_sdwa s[44:45], v7, v20 src0_sel:BYTE_0 src1_sel:DWORD
	s_and_b64 vcc, exec, s[44:45]
	s_mov_b64 s[44:45], -1
	s_cbranch_vccnz .LBB82_187
.LBB82_183:                             ;   in Loop: Header=BB82_184 Depth=2
	s_and_b64 s[14:15], exec, s[14:15]
	s_or_b64 s[12:13], s[14:15], s[12:13]
	s_andn2_b64 s[14:15], s[52:53], exec
	s_and_b64 s[44:45], s[44:45], exec
	s_or_b64 s[52:53], s[14:15], s[44:45]
	s_andn2_b64 exec, exec, s[12:13]
	s_cbranch_execz .LBB82_188
.LBB82_184:                             ;   Parent Loop BB82_11 Depth=1
                                        ; =>  This Inner Loop Header: Depth=2
	v_cmp_gt_u32_e32 vcc, s36, v6
	s_and_saveexec_b64 s[14:15], vcc
	s_cbranch_execz .LBB82_182
; %bb.185:                              ;   in Loop: Header=BB82_184 Depth=2
	global_load_ubyte v7, v4, s[50:51]
	s_waitcnt vmcnt(0)
	v_add_u32_sdwa v8, sext(v7), s35 dst_sel:DWORD dst_unused:UNUSED_PAD src0_sel:BYTE_0 src1_sel:DWORD
	v_and_b32_e32 v8, v8, v39
	v_cmp_eq_u32_e32 vcc, v8, v33
	s_and_b64 exec, exec, vcc
	s_cbranch_execz .LBB82_182
; %bb.186:                              ;   in Loop: Header=BB82_184 Depth=2
	v_lshlrev_b16_e32 v7, 8, v7
	v_or_b32_e32 v7, 1, v7
	ds_write_b16 v20, v7 offset:3072
	s_branch .LBB82_182
.LBB82_187:                             ;   in Loop: Header=BB82_184 Depth=2
	v_add_u32_e32 v6, s39, v6
	v_cmp_le_u32_e32 vcc, s65, v6
	v_add_u32_e32 v4, s30, v4
	s_mov_b64 s[44:45], 0
	s_orn2_b64 s[14:15], vcc, exec
	s_branch .LBB82_183
.LBB82_188:                             ;   in Loop: Header=BB82_11 Depth=1
	s_or_b64 exec, exec, s[12:13]
	s_andn2_b64 s[12:13], s[42:43], exec
	s_and_b64 s[14:15], s[52:53], exec
	v_lshrrev_b32_sdwa v40, v38, v7 dst_sel:DWORD dst_unused:UNUSED_PAD src0_sel:DWORD src1_sel:WORD_0
	s_or_b64 s[42:43], s[12:13], s[14:15]
	s_mov_b32 s44, 0xc0c0007
.LBB82_189:                             ;   in Loop: Header=BB82_11 Depth=1
	s_or_b64 exec, exec, s[10:11]
	s_mov_b64 s[86:87], 0
	s_mov_b64 s[88:89], -1
.LBB82_190:                             ;   in Loop: Header=BB82_11 Depth=1
	s_orn2_b64 s[10:11], s[42:43], exec
.LBB82_191:                             ;   in Loop: Header=BB82_11 Depth=1
	s_or_b64 exec, exec, s[40:41]
	s_mov_b64 s[12:13], 0
	s_and_saveexec_b64 s[90:91], s[10:11]
	s_cbranch_execz .LBB82_241
; %bb.192:                              ;   in Loop: Header=BB82_11 Depth=1
	s_xor_b64 s[10:11], s[48:49], -1
	v_mov_b32_e32 v4, 1
	v_mov_b32_e32 v2, 1
	s_and_saveexec_b64 s[40:41], s[10:11]
	s_cbranch_execz .LBB82_201
; %bb.193:                              ;   in Loop: Header=BB82_11 Depth=1
	v_cmp_ge_u32_e32 vcc, s21, v5
	s_and_saveexec_b64 s[10:11], vcc
	s_xor_b64 s[10:11], exec, s[10:11]
	s_cbranch_execz .LBB82_198
; %bb.194:                              ;   in Loop: Header=BB82_11 Depth=1
	v_and_b32_e32 v2, v33, v3
	v_lshl_or_b32 v33, 2, v37, v2
	ds_read_b32 v2, v20 offset:4104
	v_or_b32_e32 v39, v39, v1
	s_waitcnt lgkmcnt(0)
	v_cmp_ne_u32_e32 vcc, 0, v2
	s_cbranch_vccnz .LBB82_198
; %bb.195:                              ;   in Loop: Header=BB82_11 Depth=1
	v_readlane_b32 s0, v52, 4
	v_readlane_b32 s1, v52, 5
	s_and_saveexec_b64 s[12:13], s[0:1]
; %bb.196:                              ;   in Loop: Header=BB82_11 Depth=1
	v_mov_b32_e32 v2, s21
	ds_write_b32 v20, v2 offset:4108
; %bb.197:                              ;   in Loop: Header=BB82_11 Depth=1
	s_or_b64 exec, exec, s[12:13]
	s_waitcnt lgkmcnt(0)
	s_barrier
.LBB82_198:                             ;   in Loop: Header=BB82_11 Depth=1
	s_or_saveexec_b64 s[10:11], s[10:11]
	s_mov_b64 s[12:13], 0
	v_mov_b32_e32 v2, 8
	s_xor_b64 exec, exec, s[10:11]
; %bb.199:                              ;   in Loop: Header=BB82_11 Depth=1
	v_subrev_u32_e32 v5, s21, v5
	v_mov_b32_e32 v2, 0
	s_mov_b64 s[12:13], exec
; %bb.200:                              ;   in Loop: Header=BB82_11 Depth=1
	s_or_b64 exec, exec, s[10:11]
	s_and_b64 s[12:13], s[12:13], exec
	v_mov_b32_e32 v4, v5
.LBB82_201:                             ;   in Loop: Header=BB82_11 Depth=1
	s_or_b64 exec, exec, s[40:41]
	s_mov_b64 s[10:11], -1
                                        ; implicit-def: $sgpr48_sgpr49
                                        ; implicit-def: $sgpr94_sgpr95
	s_and_saveexec_b64 s[92:93], s[12:13]
	s_cbranch_execz .LBB82_240
; %bb.202:                              ;   in Loop: Header=BB82_11 Depth=1
	s_cmp_eq_u32 s20, 1
	s_cselect_b64 s[10:11], -1, 0
	v_cmp_eq_u32_e32 vcc, 1, v4
	s_and_b64 s[40:41], s[10:11], vcc
	s_mov_b64 s[10:11], -1
                                        ; implicit-def: $sgpr48_sgpr49
                                        ; implicit-def: $sgpr94_sgpr95
	s_and_saveexec_b64 s[42:43], s[40:41]
	s_cbranch_execz .LBB82_228
; %bb.203:                              ;   in Loop: Header=BB82_11 Depth=1
	ds_read_b32 v3, v20 offset:4104
	s_waitcnt lgkmcnt(0)
	s_barrier
	v_readfirstlane_b32 s21, v3
	s_and_saveexec_b64 s[10:11], s[24:25]
; %bb.204:                              ;   in Loop: Header=BB82_11 Depth=1
	ds_write_b8 v0, v20 offset:3072
; %bb.205:                              ;   in Loop: Header=BB82_11 Depth=1
	s_or_b64 exec, exec, s[10:11]
	v_or_b32_e32 v33, v33, v1
	v_or_b32_e32 v39, v39, v1
	s_mov_b64 s[94:95], -1
	s_mov_b64 s[48:49], 0
	s_cmp_eq_u32 s21, 0
	s_mov_b64 s[52:53], 0
	s_mov_b64 s[10:11], -1
	s_waitcnt lgkmcnt(0)
	s_barrier
                                        ; implicit-def: $vgpr40
	s_cbranch_scc1 .LBB82_216
; %bb.206:                              ;   in Loop: Header=BB82_11 Depth=1
	s_add_i32 s10, s21, s8
	s_mul_hi_u32 s11, s10, s64
	s_mul_i32 s11, s11, s39
	s_sub_i32 s11, s10, s11
	s_sub_i32 s12, s11, s39
	s_cmp_ge_u32 s11, s39
	s_cselect_b32 s11, s12, s11
	s_sub_i32 s12, s11, s39
	s_cmp_ge_u32 s11, s39
	s_cselect_b32 s11, s12, s11
	s_mov_b64 s[0:1], s[56:57]
	s_sub_i32 s56, s10, s11
	v_cmp_gt_u32_e32 vcc, s56, v0
	s_mov_b64 s[10:11], 0
                                        ; implicit-def: $vgpr40
	s_and_saveexec_b64 s[12:13], vcc
	s_cbranch_execz .LBB82_215
; %bb.207:                              ;   in Loop: Header=BB82_11 Depth=1
	v_mov_b32_e32 v3, v0
                                        ; implicit-def: $sgpr14_sgpr15
	s_branch .LBB82_210
.LBB82_208:                             ;   in Loop: Header=BB82_210 Depth=2
	s_or_b64 exec, exec, s[44:45]
	s_waitcnt lgkmcnt(0)
	s_barrier
	ds_read_u16 v5, v20 offset:3072
	s_mov_b64 s[44:45], -1
	s_waitcnt lgkmcnt(0)
	s_barrier
	v_cmp_ne_u32_sdwa s[46:47], v5, v20 src0_sel:BYTE_0 src1_sel:DWORD
	s_and_b64 vcc, exec, s[46:47]
	s_mov_b64 s[46:47], -1
	s_cbranch_vccz .LBB82_213
.LBB82_209:                             ;   in Loop: Header=BB82_210 Depth=2
	s_and_b64 s[44:45], exec, s[44:45]
	s_or_b64 s[52:53], s[44:45], s[52:53]
	s_andn2_b64 s[14:15], s[14:15], exec
	s_and_b64 s[44:45], s[46:47], exec
	s_or_b64 s[14:15], s[14:15], s[44:45]
	s_andn2_b64 exec, exec, s[52:53]
	s_cbranch_execz .LBB82_214
.LBB82_210:                             ;   Parent Loop BB82_11 Depth=1
                                        ; =>  This Inner Loop Header: Depth=2
	v_cmp_gt_u32_e32 vcc, s21, v3
	s_and_saveexec_b64 s[44:45], vcc
	s_cbranch_execz .LBB82_208
; %bb.211:                              ;   in Loop: Header=BB82_210 Depth=2
	ds_read_u8 v5, v3
	s_waitcnt lgkmcnt(0)
	v_add_u32_sdwa v6, sext(v5), s35 dst_sel:DWORD dst_unused:UNUSED_PAD src0_sel:BYTE_0 src1_sel:DWORD
	v_and_b32_e32 v6, v6, v39
	v_cmp_eq_u32_e32 vcc, v6, v33
	s_and_b64 exec, exec, vcc
	s_cbranch_execz .LBB82_208
; %bb.212:                              ;   in Loop: Header=BB82_210 Depth=2
	v_lshlrev_b16_e32 v5, 8, v5
	v_or_b32_e32 v5, 1, v5
	ds_write_b16 v20, v5 offset:3072
	s_branch .LBB82_208
.LBB82_213:                             ;   in Loop: Header=BB82_210 Depth=2
	v_add_u32_e32 v3, s39, v3
	v_cmp_le_u32_e32 vcc, s56, v3
	s_mov_b64 s[46:47], 0
	s_orn2_b64 s[44:45], vcc, exec
	s_branch .LBB82_209
.LBB82_214:                             ;   in Loop: Header=BB82_11 Depth=1
	s_or_b64 exec, exec, s[52:53]
	v_lshrrev_b32_sdwa v40, v38, v5 dst_sel:DWORD dst_unused:UNUSED_PAD src0_sel:DWORD src1_sel:WORD_0
	s_and_b64 s[52:53], s[14:15], exec
	s_mov_b32 s44, 0xc0c0007
.LBB82_215:                             ;   in Loop: Header=BB82_11 Depth=1
	s_or_b64 exec, exec, s[12:13]
	s_mov_b64 s[56:57], s[0:1]
.LBB82_216:                             ;   in Loop: Header=BB82_11 Depth=1
	s_and_b64 vcc, exec, s[10:11]
	s_cbranch_vccz .LBB82_227
; %bb.217:                              ;   in Loop: Header=BB82_11 Depth=1
	v_readlane_b32 s0, v52, 40
	v_readlane_b32 s1, v52, 41
                                        ; implicit-def: $vgpr40
	s_and_saveexec_b64 s[10:11], s[0:1]
	s_cbranch_execz .LBB82_226
; %bb.218:                              ;   in Loop: Header=BB82_11 Depth=1
	s_mov_b64 s[12:13], 0
	v_mov_b32_e32 v3, v17
	v_mov_b32_e32 v5, v0
                                        ; implicit-def: $sgpr48_sgpr49
	s_branch .LBB82_221
.LBB82_219:                             ;   in Loop: Header=BB82_221 Depth=2
	s_or_b64 exec, exec, s[14:15]
	s_waitcnt lgkmcnt(0)
	s_barrier
	ds_read_u16 v6, v20 offset:3072
	s_mov_b64 s[14:15], -1
	s_waitcnt lgkmcnt(0)
	s_barrier
	v_cmp_eq_u32_sdwa s[44:45], v6, v20 src0_sel:BYTE_0 src1_sel:DWORD
	s_and_b64 vcc, exec, s[44:45]
	s_mov_b64 s[44:45], -1
	s_cbranch_vccnz .LBB82_224
.LBB82_220:                             ;   in Loop: Header=BB82_221 Depth=2
	s_and_b64 s[14:15], exec, s[14:15]
	s_or_b64 s[12:13], s[14:15], s[12:13]
	s_andn2_b64 s[14:15], s[48:49], exec
	s_and_b64 s[44:45], s[44:45], exec
	s_or_b64 s[48:49], s[14:15], s[44:45]
	s_andn2_b64 exec, exec, s[12:13]
	s_cbranch_execz .LBB82_225
.LBB82_221:                             ;   Parent Loop BB82_11 Depth=1
                                        ; =>  This Inner Loop Header: Depth=2
	v_cmp_gt_u32_e32 vcc, s36, v5
	s_and_saveexec_b64 s[14:15], vcc
	s_cbranch_execz .LBB82_219
; %bb.222:                              ;   in Loop: Header=BB82_221 Depth=2
	global_load_ubyte v6, v3, s[50:51]
	s_waitcnt vmcnt(0)
	v_add_u32_sdwa v7, sext(v6), s35 dst_sel:DWORD dst_unused:UNUSED_PAD src0_sel:BYTE_0 src1_sel:DWORD
	v_and_b32_e32 v7, v7, v39
	v_cmp_eq_u32_e32 vcc, v7, v33
	s_and_b64 exec, exec, vcc
	s_cbranch_execz .LBB82_219
; %bb.223:                              ;   in Loop: Header=BB82_221 Depth=2
	v_lshlrev_b16_e32 v6, 8, v6
	v_or_b32_e32 v6, 1, v6
	ds_write_b16 v20, v6 offset:3072
	s_branch .LBB82_219
.LBB82_224:                             ;   in Loop: Header=BB82_221 Depth=2
	v_add_u32_e32 v5, s39, v5
	v_cmp_le_u32_e32 vcc, s65, v5
	v_add_u32_e32 v3, s30, v3
	s_mov_b64 s[44:45], 0
	s_orn2_b64 s[14:15], vcc, exec
	s_branch .LBB82_220
.LBB82_225:                             ;   in Loop: Header=BB82_11 Depth=1
	s_or_b64 exec, exec, s[12:13]
	s_andn2_b64 s[12:13], s[52:53], exec
	s_and_b64 s[14:15], s[48:49], exec
	v_lshrrev_b32_sdwa v40, v38, v6 dst_sel:DWORD dst_unused:UNUSED_PAD src0_sel:DWORD src1_sel:WORD_0
	s_or_b64 s[52:53], s[12:13], s[14:15]
	s_mov_b32 s44, 0xc0c0007
.LBB82_226:                             ;   in Loop: Header=BB82_11 Depth=1
	s_or_b64 exec, exec, s[10:11]
	s_mov_b64 s[94:95], 0
	s_mov_b64 s[48:49], -1
.LBB82_227:                             ;   in Loop: Header=BB82_11 Depth=1
	s_orn2_b64 s[10:11], s[52:53], exec
.LBB82_228:                             ;   in Loop: Header=BB82_11 Depth=1
	s_or_b64 exec, exec, s[42:43]
	s_mov_b64 s[12:13], 0
	s_and_saveexec_b64 s[42:43], s[10:11]
	s_cbranch_execz .LBB82_239
; %bb.229:                              ;   in Loop: Header=BB82_11 Depth=1
	s_xor_b64 s[12:13], s[40:41], -1
	v_mov_b32_e32 v2, 1
	v_mov_b32_e32 v3, 1
	s_and_saveexec_b64 s[10:11], s[12:13]
	s_cbranch_execz .LBB82_238
; %bb.230:                              ;   in Loop: Header=BB82_11 Depth=1
	v_cmp_ge_u32_e32 vcc, s20, v4
	s_and_saveexec_b64 s[12:13], vcc
	s_xor_b64 s[12:13], exec, s[12:13]
	s_cbranch_execz .LBB82_235
; %bb.231:                              ;   in Loop: Header=BB82_11 Depth=1
	v_or_b32_e32 v33, v33, v1
	v_or_b32_e32 v39, v39, v1
	ds_read_b32 v1, v20 offset:4104
	s_waitcnt lgkmcnt(0)
	v_cmp_ne_u32_e32 vcc, 0, v1
	s_cbranch_vccnz .LBB82_235
; %bb.232:                              ;   in Loop: Header=BB82_11 Depth=1
	v_readlane_b32 s0, v52, 4
	v_readlane_b32 s1, v52, 5
	s_and_saveexec_b64 s[14:15], s[0:1]
; %bb.233:                              ;   in Loop: Header=BB82_11 Depth=1
	v_mov_b32_e32 v1, s20
	ds_write_b32 v20, v1 offset:4108
; %bb.234:                              ;   in Loop: Header=BB82_11 Depth=1
	s_or_b64 exec, exec, s[14:15]
	s_waitcnt lgkmcnt(0)
	s_barrier
.LBB82_235:                             ;   in Loop: Header=BB82_11 Depth=1
	s_andn2_saveexec_b64 s[12:13], s[12:13]
; %bb.236:                              ;   in Loop: Header=BB82_11 Depth=1
	v_subrev_u32_e32 v4, s20, v4
; %bb.237:                              ;   in Loop: Header=BB82_11 Depth=1
	s_or_b64 exec, exec, s[12:13]
	v_mov_b32_e32 v2, 8
	v_mov_b32_e32 v3, v4
.LBB82_238:                             ;   in Loop: Header=BB82_11 Depth=1
	s_or_b64 exec, exec, s[10:11]
	s_mov_b64 s[12:13], exec
	v_mov_b32_e32 v4, v3
.LBB82_239:                             ;   in Loop: Header=BB82_11 Depth=1
	s_or_b64 exec, exec, s[42:43]
	s_orn2_b64 s[10:11], s[12:13], exec
.LBB82_240:                             ;   in Loop: Header=BB82_11 Depth=1
	s_or_b64 exec, exec, s[92:93]
	s_andn2_b64 s[12:13], s[88:89], exec
	s_and_b64 s[14:15], s[48:49], exec
	s_or_b64 s[88:89], s[12:13], s[14:15]
	s_andn2_b64 s[12:13], s[86:87], exec
	s_and_b64 s[14:15], s[94:95], exec
	s_or_b64 s[86:87], s[12:13], s[14:15]
	s_and_b64 s[12:13], s[10:11], exec
	v_mov_b32_e32 v5, v4
.LBB82_241:                             ;   in Loop: Header=BB82_11 Depth=1
	s_or_b64 exec, exec, s[90:91]
	s_orn2_b64 s[10:11], s[12:13], exec
.LBB82_242:                             ;   in Loop: Header=BB82_11 Depth=1
	s_or_b64 exec, exec, s[84:85]
	s_andn2_b64 s[12:13], s[80:81], exec
	s_and_b64 s[14:15], s[88:89], exec
	s_or_b64 s[80:81], s[12:13], s[14:15]
	s_andn2_b64 s[12:13], s[28:29], exec
	s_and_b64 s[14:15], s[86:87], exec
	s_or_b64 s[28:29], s[12:13], s[14:15]
	s_and_b64 s[12:13], s[10:11], exec
	v_mov_b32_e32 v4, v5
.LBB82_243:                             ;   in Loop: Header=BB82_11 Depth=1
	s_or_b64 exec, exec, s[82:83]
	s_orn2_b64 s[10:11], s[12:13], exec
.LBB82_244:                             ;   in Loop: Header=BB82_11 Depth=1
	s_or_b64 exec, exec, s[26:27]
	s_mov_b64 s[12:13], 0
                                        ; implicit-def: $sgpr42
	s_and_saveexec_b64 s[14:15], s[10:11]
	s_xor_b64 s[10:11], exec, s[14:15]
	s_cbranch_execz .LBB82_9
; %bb.245:                              ;   in Loop: Header=BB82_11 Depth=1
	v_and_b32_e32 v1, 7, v2
	v_cmp_eq_u32_e32 vcc, 0, v1
	s_mov_b64 s[14:15], -1
	s_mov_b64 s[12:13], -1
                                        ; implicit-def: $sgpr42
	s_and_saveexec_b64 s[22:23], vcc
	s_cbranch_execz .LBB82_8
; %bb.246:                              ;   in Loop: Header=BB82_11 Depth=1
	v_add_u32_e32 v1, -2, v37
	v_cmp_eq_u32_e32 vcc, 0, v37
	s_xor_b32 s42, s62, 1
	s_xor_b64 s[12:13], exec, -1
	s_orn2_b64 s[14:15], vcc, exec
	v_mov_b32_e32 v37, v1
	s_branch .LBB82_8
.LBB82_247:
	s_or_b64 exec, exec, s[66:67]
	s_xor_b64 s[8:9], s[72:73], -1
	s_xor_b64 s[0:1], s[68:69], -1
	;; [unrolled: 1-line block ×3, first 2 shown]
	s_mov_b64 s[4:5], 0
	s_and_saveexec_b64 s[2:3], s[0:1]
	s_xor_b64 s[0:1], exec, s[2:3]
	s_cbranch_execnz .LBB82_252
; %bb.248:
	s_andn2_saveexec_b64 s[0:1], s[0:1]
	s_cbranch_execnz .LBB82_265
.LBB82_249:
	s_or_b64 exec, exec, s[0:1]
	s_and_saveexec_b64 s[0:1], s[4:5]
.LBB82_250:
	; divergent unreachable
.LBB82_251:
	s_endpgm
.LBB82_252:
	s_and_saveexec_b64 s[2:3], s[8:9]
	s_xor_b64 s[4:5], exec, s[2:3]
	s_cbranch_execz .LBB82_263
; %bb.253:
	s_and_saveexec_b64 s[2:3], s[6:7]
	s_xor_b64 s[6:7], exec, s[2:3]
; %bb.254:
	v_xor_b32_e32 v40, 0xffffff80, v33
; %bb.255:
	s_or_b64 exec, exec, s[6:7]
	v_readlane_b32 s8, v52, 1
	v_readlane_b32 s9, v52, 2
	;; [unrolled: 1-line block ×3, first 2 shown]
	s_mul_i32 s2, s10, s9
	v_readlane_b32 s9, v52, 18
	s_mul_i32 s3, s9, s8
	v_readlane_b32 s18, v52, 20
	s_sub_i32 s3, s10, s3
	s_sub_i32 s2, s18, s2
	s_add_i32 s6, s9, 1
	s_sub_i32 s7, s3, s8
	s_cmp_ge_u32 s3, s8
	s_cselect_b32 s6, s6, s9
	s_cselect_b32 s3, s7, s3
	s_add_i32 s7, s6, 1
	s_cmp_ge_u32 s3, s8
	s_cselect_b32 s3, s7, s6
	v_readlane_b32 s12, v52, 10
	s_mul_i32 s6, s3, s8
	v_readlane_b32 s13, v52, 11
	v_readlane_b32 s14, v52, 12
	s_sub_i32 s6, s10, s6
	s_mul_i32 s2, s2, s14
	s_mul_i32 s6, s6, s13
	s_add_i32 s2, s6, s2
	s_mul_i32 s3, s3, s12
	s_add_i32 s2, s2, s3
	v_mov_b32_e32 v1, s2
	v_readlane_b32 s2, v52, 16
	v_readlane_b32 s3, v52, 17
	;; [unrolled: 1-line block ×3, first 2 shown]
	s_nop 3
	global_store_byte v1, v40, s[2:3]
	s_mov_b64 s[6:7], exec
	v_readlane_b32 s2, v52, 21
	v_readlane_b32 s3, v52, 22
	s_and_b64 s[2:3], s[6:7], s[2:3]
	s_mov_b64 exec, s[2:3]
	s_cbranch_execz .LBB82_262
; %bb.256:
	s_mov_b64 s[2:3], 0
                                        ; implicit-def: $sgpr8_sgpr9
                                        ; implicit-def: $sgpr12_sgpr13
                                        ; implicit-def: $sgpr10_sgpr11
	s_branch .LBB82_258
.LBB82_257:                             ;   in Loop: Header=BB82_258 Depth=1
	s_or_b64 exec, exec, s[14:15]
	s_and_b64 s[14:15], exec, s[12:13]
	s_or_b64 s[2:3], s[14:15], s[2:3]
	s_andn2_b64 s[8:9], s[8:9], exec
	s_and_b64 s[14:15], s[10:11], exec
	s_or_b64 s[8:9], s[8:9], s[14:15]
	s_andn2_b64 exec, exec, s[2:3]
	s_cbranch_execz .LBB82_260
.LBB82_258:                             ; =>This Inner Loop Header: Depth=1
	global_load_ubyte v2, v17, s[50:51]
	v_mov_b32_e32 v1, v0
	s_or_b64 s[10:11], s[10:11], exec
	s_or_b64 s[12:13], s[12:13], exec
                                        ; implicit-def: $vgpr0
	s_waitcnt vmcnt(0)
	v_cmp_ne_u16_sdwa s[16:17], v2, v40 src0_sel:DWORD src1_sel:BYTE_0
	s_and_saveexec_b64 s[14:15], s[16:17]
	s_cbranch_execz .LBB82_257
; %bb.259:                              ;   in Loop: Header=BB82_258 Depth=1
	v_add_u32_e32 v0, s39, v1
	v_cmp_le_u32_e32 vcc, s36, v0
	s_andn2_b64 s[12:13], s[12:13], exec
	s_and_b64 s[16:17], vcc, exec
	v_add_u32_e32 v17, s30, v17
	s_andn2_b64 s[10:11], s[10:11], exec
	s_or_b64 s[12:13], s[12:13], s[16:17]
	s_branch .LBB82_257
.LBB82_260:
	s_or_b64 exec, exec, s[2:3]
	s_and_saveexec_b64 s[2:3], s[8:9]
	s_xor_b64 s[2:3], exec, s[2:3]
	s_cbranch_execz .LBB82_262
; %bb.261:
	v_readlane_b32 s11, v52, 19
	v_readlane_b32 s10, v52, 3
	s_mul_i32 s3, s11, s56
	s_mul_i32 s2, s10, s57
	s_sub_i32 s3, s10, s3
	s_sub_i32 s2, s18, s2
	s_add_i32 s8, s11, 1
	s_sub_i32 s9, s3, s56
	s_cmp_ge_u32 s3, s56
	s_cselect_b32 s8, s8, s11
	s_cselect_b32 s3, s9, s3
	s_add_i32 s9, s8, 1
	s_cmp_ge_u32 s3, s56
	s_cselect_b32 s3, s9, s8
	v_readlane_b32 s12, v52, 6
	s_mul_i32 s8, s3, s56
	v_readlane_b32 s13, v52, 7
	v_readlane_b32 s14, v52, 8
	s_sub_i32 s8, s10, s8
	s_mul_i32 s2, s2, s14
	s_mul_i32 s8, s8, s13
	s_add_i32 s2, s8, s2
	s_mul_i32 s3, s3, s12
	s_add_i32 s2, s2, s3
	s_mov_b32 s3, 0
	s_lshl_b64 s[2:3], s[2:3], 3
	v_readlane_b32 s8, v52, 14
	v_readlane_b32 s9, v52, 15
	s_add_u32 s2, s8, s2
	s_addc_u32 s3, s9, s3
	v_mov_b32_e32 v2, 0
	v_readlane_b32 s15, v52, 9
	global_store_dwordx2 v2, v[1:2], s[2:3]
.LBB82_262:
	s_or_b64 exec, exec, s[6:7]
.LBB82_263:
	s_or_saveexec_b64 s[2:3], s[4:5]
	s_mov_b64 s[4:5], 0
	s_xor_b64 exec, exec, s[2:3]
	s_cbranch_execnz .LBB82_266
.LBB82_264:
	s_or_b64 exec, exec, s[2:3]
	s_and_b64 s[4:5], s[4:5], exec
	s_andn2_saveexec_b64 s[0:1], s[0:1]
	s_cbranch_execz .LBB82_249
.LBB82_265:
	s_or_b64 s[4:5], s[4:5], exec
	s_trap 2
	s_or_b64 exec, exec, s[0:1]
	s_and_saveexec_b64 s[0:1], s[4:5]
	s_cbranch_execnz .LBB82_250
	s_branch .LBB82_251
.LBB82_266:
	s_mov_b64 s[4:5], exec
	s_trap 2
	s_branch .LBB82_264
	.section	.rodata,"a",@progbits
	.p2align	6, 0x0
	.amdhsa_kernel _ZN2at6native12_GLOBAL__N_112gatherMedianIajLi3EEEvNS_4cuda6detail10TensorInfoIT_T0_EENS5_IlS7_EENS5_IKS6_S7_EES7_S7_S7_b
		.amdhsa_group_segment_fixed_size 4120
		.amdhsa_private_segment_fixed_size 0
		.amdhsa_kernarg_size 920
		.amdhsa_user_sgpr_count 6
		.amdhsa_user_sgpr_private_segment_buffer 1
		.amdhsa_user_sgpr_dispatch_ptr 0
		.amdhsa_user_sgpr_queue_ptr 0
		.amdhsa_user_sgpr_kernarg_segment_ptr 1
		.amdhsa_user_sgpr_dispatch_id 0
		.amdhsa_user_sgpr_flat_scratch_init 0
		.amdhsa_user_sgpr_private_segment_size 0
		.amdhsa_uses_dynamic_stack 0
		.amdhsa_system_sgpr_private_segment_wavefront_offset 0
		.amdhsa_system_sgpr_workgroup_id_x 1
		.amdhsa_system_sgpr_workgroup_id_y 1
		.amdhsa_system_sgpr_workgroup_id_z 1
		.amdhsa_system_sgpr_workgroup_info 0
		.amdhsa_system_vgpr_workitem_id 0
		.amdhsa_next_free_vgpr 53
		.amdhsa_next_free_sgpr 96
		.amdhsa_reserve_vcc 1
		.amdhsa_reserve_flat_scratch 0
		.amdhsa_float_round_mode_32 0
		.amdhsa_float_round_mode_16_64 0
		.amdhsa_float_denorm_mode_32 3
		.amdhsa_float_denorm_mode_16_64 3
		.amdhsa_dx10_clamp 1
		.amdhsa_ieee_mode 1
		.amdhsa_fp16_overflow 0
		.amdhsa_exception_fp_ieee_invalid_op 0
		.amdhsa_exception_fp_denorm_src 0
		.amdhsa_exception_fp_ieee_div_zero 0
		.amdhsa_exception_fp_ieee_overflow 0
		.amdhsa_exception_fp_ieee_underflow 0
		.amdhsa_exception_fp_ieee_inexact 0
		.amdhsa_exception_int_div_zero 0
	.end_amdhsa_kernel
	.section	.text._ZN2at6native12_GLOBAL__N_112gatherMedianIajLi3EEEvNS_4cuda6detail10TensorInfoIT_T0_EENS5_IlS7_EENS5_IKS6_S7_EES7_S7_S7_b,"axG",@progbits,_ZN2at6native12_GLOBAL__N_112gatherMedianIajLi3EEEvNS_4cuda6detail10TensorInfoIT_T0_EENS5_IlS7_EENS5_IKS6_S7_EES7_S7_S7_b,comdat
.Lfunc_end82:
	.size	_ZN2at6native12_GLOBAL__N_112gatherMedianIajLi3EEEvNS_4cuda6detail10TensorInfoIT_T0_EENS5_IlS7_EENS5_IKS6_S7_EES7_S7_S7_b, .Lfunc_end82-_ZN2at6native12_GLOBAL__N_112gatherMedianIajLi3EEEvNS_4cuda6detail10TensorInfoIT_T0_EENS5_IlS7_EENS5_IKS6_S7_EES7_S7_S7_b
                                        ; -- End function
	.set _ZN2at6native12_GLOBAL__N_112gatherMedianIajLi3EEEvNS_4cuda6detail10TensorInfoIT_T0_EENS5_IlS7_EENS5_IKS6_S7_EES7_S7_S7_b.num_vgpr, 53
	.set _ZN2at6native12_GLOBAL__N_112gatherMedianIajLi3EEEvNS_4cuda6detail10TensorInfoIT_T0_EENS5_IlS7_EENS5_IKS6_S7_EES7_S7_S7_b.num_agpr, 0
	.set _ZN2at6native12_GLOBAL__N_112gatherMedianIajLi3EEEvNS_4cuda6detail10TensorInfoIT_T0_EENS5_IlS7_EENS5_IKS6_S7_EES7_S7_S7_b.numbered_sgpr, 96
	.set _ZN2at6native12_GLOBAL__N_112gatherMedianIajLi3EEEvNS_4cuda6detail10TensorInfoIT_T0_EENS5_IlS7_EENS5_IKS6_S7_EES7_S7_S7_b.num_named_barrier, 0
	.set _ZN2at6native12_GLOBAL__N_112gatherMedianIajLi3EEEvNS_4cuda6detail10TensorInfoIT_T0_EENS5_IlS7_EENS5_IKS6_S7_EES7_S7_S7_b.private_seg_size, 0
	.set _ZN2at6native12_GLOBAL__N_112gatherMedianIajLi3EEEvNS_4cuda6detail10TensorInfoIT_T0_EENS5_IlS7_EENS5_IKS6_S7_EES7_S7_S7_b.uses_vcc, 1
	.set _ZN2at6native12_GLOBAL__N_112gatherMedianIajLi3EEEvNS_4cuda6detail10TensorInfoIT_T0_EENS5_IlS7_EENS5_IKS6_S7_EES7_S7_S7_b.uses_flat_scratch, 0
	.set _ZN2at6native12_GLOBAL__N_112gatherMedianIajLi3EEEvNS_4cuda6detail10TensorInfoIT_T0_EENS5_IlS7_EENS5_IKS6_S7_EES7_S7_S7_b.has_dyn_sized_stack, 0
	.set _ZN2at6native12_GLOBAL__N_112gatherMedianIajLi3EEEvNS_4cuda6detail10TensorInfoIT_T0_EENS5_IlS7_EENS5_IKS6_S7_EES7_S7_S7_b.has_recursion, 0
	.set _ZN2at6native12_GLOBAL__N_112gatherMedianIajLi3EEEvNS_4cuda6detail10TensorInfoIT_T0_EENS5_IlS7_EENS5_IKS6_S7_EES7_S7_S7_b.has_indirect_call, 0
	.section	.AMDGPU.csdata,"",@progbits
; Kernel info:
; codeLenInByte = 10880
; TotalNumSgprs: 100
; NumVgprs: 53
; ScratchSize: 0
; MemoryBound: 0
; FloatMode: 240
; IeeeMode: 1
; LDSByteSize: 4120 bytes/workgroup (compile time only)
; SGPRBlocks: 12
; VGPRBlocks: 13
; NumSGPRsForWavesPerEU: 100
; NumVGPRsForWavesPerEU: 53
; Occupancy: 4
; WaveLimiterHint : 1
; COMPUTE_PGM_RSRC2:SCRATCH_EN: 0
; COMPUTE_PGM_RSRC2:USER_SGPR: 6
; COMPUTE_PGM_RSRC2:TRAP_HANDLER: 0
; COMPUTE_PGM_RSRC2:TGID_X_EN: 1
; COMPUTE_PGM_RSRC2:TGID_Y_EN: 1
; COMPUTE_PGM_RSRC2:TGID_Z_EN: 1
; COMPUTE_PGM_RSRC2:TIDIG_COMP_CNT: 0
	.section	.text._ZN2at6native12_GLOBAL__N_112gatherMedianIajLin1EEEvNS_4cuda6detail10TensorInfoIT_T0_EENS5_IlS7_EENS5_IKS6_S7_EES7_S7_S7_b,"axG",@progbits,_ZN2at6native12_GLOBAL__N_112gatherMedianIajLin1EEEvNS_4cuda6detail10TensorInfoIT_T0_EENS5_IlS7_EENS5_IKS6_S7_EES7_S7_S7_b,comdat
	.globl	_ZN2at6native12_GLOBAL__N_112gatherMedianIajLin1EEEvNS_4cuda6detail10TensorInfoIT_T0_EENS5_IlS7_EENS5_IKS6_S7_EES7_S7_S7_b ; -- Begin function _ZN2at6native12_GLOBAL__N_112gatherMedianIajLin1EEEvNS_4cuda6detail10TensorInfoIT_T0_EENS5_IlS7_EENS5_IKS6_S7_EES7_S7_S7_b
	.p2align	8
	.type	_ZN2at6native12_GLOBAL__N_112gatherMedianIajLin1EEEvNS_4cuda6detail10TensorInfoIT_T0_EENS5_IlS7_EENS5_IKS6_S7_EES7_S7_S7_b,@function
_ZN2at6native12_GLOBAL__N_112gatherMedianIajLin1EEEvNS_4cuda6detail10TensorInfoIT_T0_EENS5_IlS7_EENS5_IKS6_S7_EES7_S7_S7_b: ; @_ZN2at6native12_GLOBAL__N_112gatherMedianIajLin1EEEvNS_4cuda6detail10TensorInfoIT_T0_EENS5_IlS7_EENS5_IKS6_S7_EES7_S7_S7_b
; %bb.0:
	s_load_dwordx2 s[12:13], s[4:5], 0x298
	s_load_dwordx4 s[36:39], s[4:5], 0x288
	s_add_u32 s10, s4, 0x298
	s_addc_u32 s11, s5, 0
	s_waitcnt lgkmcnt(0)
	s_mul_i32 s0, s13, s8
	s_add_i32 s0, s0, s7
	s_mul_i32 s0, s0, s12
	s_add_i32 s7, s0, s6
	s_cmp_ge_u32 s7, s37
	s_cbranch_scc1 .LBB83_260
; %bb.1:
	s_load_dword s0, s[4:5], 0xd0
	s_mov_b32 s35, 0
	s_mov_b32 s33, s7
	s_waitcnt lgkmcnt(0)
	s_cmp_lt_i32 s0, 2
	s_cbranch_scc1 .LBB83_4
; %bb.2:
	s_add_i32 s34, s0, -1
	s_add_i32 s2, s0, 1
	s_lshl_b64 s[0:1], s[34:35], 2
	s_add_u32 s0, s4, s0
	s_addc_u32 s1, s5, s1
	s_add_u32 s0, s0, 8
	s_addc_u32 s1, s1, 0
	s_mov_b32 s33, s7
.LBB83_3:                               ; =>This Inner Loop Header: Depth=1
	s_load_dword s3, s[0:1], 0x0
	s_load_dword s9, s[0:1], 0x64
	s_mov_b32 s8, s33
	s_waitcnt lgkmcnt(0)
	v_cvt_f32_u32_e32 v1, s3
	s_sub_i32 s13, 0, s3
	v_rcp_iflag_f32_e32 v1, v1
	v_mul_f32_e32 v1, 0x4f7ffffe, v1
	v_cvt_u32_f32_e32 v1, v1
	v_readfirstlane_b32 s14, v1
	s_mul_i32 s13, s13, s14
	s_mul_hi_u32 s13, s14, s13
	s_add_i32 s14, s14, s13
	s_mul_hi_u32 s13, s33, s14
	s_mul_i32 s14, s13, s3
	s_sub_i32 s14, s33, s14
	s_add_i32 s15, s13, 1
	s_sub_i32 s16, s14, s3
	s_cmp_ge_u32 s14, s3
	s_cselect_b32 s13, s15, s13
	s_cselect_b32 s14, s16, s14
	s_add_i32 s15, s13, 1
	s_cmp_ge_u32 s14, s3
	s_cselect_b32 s33, s15, s13
	s_mul_i32 s3, s33, s3
	s_sub_i32 s3, s8, s3
	s_mul_i32 s3, s9, s3
	s_add_i32 s2, s2, -1
	s_add_i32 s35, s3, s35
	s_add_u32 s0, s0, -4
	s_addc_u32 s1, s1, -1
	s_cmp_gt_u32 s2, 2
	s_cbranch_scc1 .LBB83_3
.LBB83_4:
	s_load_dword s2, s[4:5], 0x1a8
	s_add_u32 s0, s4, 0xd8
	s_addc_u32 s1, s5, 0
	s_mov_b32 s41, 0
	s_mov_b32 s34, s7
	s_waitcnt lgkmcnt(0)
	s_cmp_lt_i32 s2, 2
	s_cbranch_scc1 .LBB83_7
; %bb.5:
	s_add_i32 s40, s2, -1
	s_add_i32 s8, s2, 1
	s_lshl_b64 s[2:3], s[40:41], 2
	s_add_u32 s2, s0, s2
	s_addc_u32 s3, s1, s3
	s_add_u32 s2, s2, 8
	s_addc_u32 s3, s3, 0
	s_mov_b32 s34, s7
.LBB83_6:                               ; =>This Inner Loop Header: Depth=1
	s_load_dword s9, s[2:3], 0x0
	s_load_dword s14, s[2:3], 0x64
	s_mov_b32 s13, s34
	s_waitcnt lgkmcnt(0)
	v_cvt_f32_u32_e32 v1, s9
	s_sub_i32 s15, 0, s9
	v_rcp_iflag_f32_e32 v1, v1
	v_mul_f32_e32 v1, 0x4f7ffffe, v1
	v_cvt_u32_f32_e32 v1, v1
	v_readfirstlane_b32 s16, v1
	s_mul_i32 s15, s15, s16
	s_mul_hi_u32 s15, s16, s15
	s_add_i32 s16, s16, s15
	s_mul_hi_u32 s15, s34, s16
	s_mul_i32 s16, s15, s9
	s_sub_i32 s16, s34, s16
	s_add_i32 s17, s15, 1
	s_sub_i32 s18, s16, s9
	s_cmp_ge_u32 s16, s9
	s_cselect_b32 s15, s17, s15
	s_cselect_b32 s16, s18, s16
	s_add_i32 s17, s15, 1
	s_cmp_ge_u32 s16, s9
	s_cselect_b32 s34, s17, s15
	s_mul_i32 s9, s34, s9
	s_sub_i32 s9, s13, s9
	s_mul_i32 s9, s14, s9
	s_add_i32 s8, s8, -1
	s_add_i32 s41, s9, s41
	s_add_u32 s2, s2, -4
	s_addc_u32 s3, s3, -1
	s_cmp_gt_u32 s8, 2
	s_cbranch_scc1 .LBB83_6
.LBB83_7:
	s_load_dword s2, s[4:5], 0x6c
                                        ; implicit-def: $vgpr52 : SGPR spill to VGPR lane
	s_add_u32 s8, s4, 0x1b0
	s_addc_u32 s9, s5, 0
	s_mov_b32 s3, 0
	s_waitcnt lgkmcnt(0)
	v_writelane_b32 v52, s2, 0
	s_load_dword s2, s[4:5], 0x280
	s_waitcnt lgkmcnt(0)
	s_cmp_lt_i32 s2, 2
	s_cbranch_scc1 .LBB83_10
; %bb.8:
	s_add_i32 s13, s2, 1
	s_add_i32 s2, s2, -1
	s_lshl_b64 s[14:15], s[2:3], 2
	s_add_u32 s2, s8, s14
	s_addc_u32 s9, s9, s15
	s_add_u32 s8, s2, 8
	s_addc_u32 s9, s9, 0
.LBB83_9:                               ; =>This Inner Loop Header: Depth=1
	s_load_dword s2, s[8:9], 0x0
	s_load_dword s15, s[8:9], 0x64
	s_mov_b32 s14, s7
	s_waitcnt lgkmcnt(0)
	v_cvt_f32_u32_e32 v1, s2
	s_sub_i32 s7, 0, s2
	v_rcp_iflag_f32_e32 v1, v1
	v_mul_f32_e32 v1, 0x4f7ffffe, v1
	v_cvt_u32_f32_e32 v1, v1
	v_readfirstlane_b32 s16, v1
	s_mul_i32 s7, s7, s16
	s_mul_hi_u32 s7, s16, s7
	s_add_i32 s16, s16, s7
	s_mul_hi_u32 s7, s14, s16
	s_mul_i32 s16, s7, s2
	s_sub_i32 s16, s14, s16
	s_add_i32 s17, s7, 1
	s_sub_i32 s18, s16, s2
	s_cmp_ge_u32 s16, s2
	s_cselect_b32 s7, s17, s7
	s_cselect_b32 s16, s18, s16
	s_add_i32 s17, s7, 1
	s_cmp_ge_u32 s16, s2
	s_cselect_b32 s7, s17, s7
	s_mul_i32 s2, s7, s2
	s_sub_i32 s2, s14, s2
	s_mul_i32 s2, s15, s2
	s_add_i32 s13, s13, -1
	s_add_i32 s3, s2, s3
	s_add_u32 s8, s8, -4
	s_addc_u32 s9, s9, -1
	s_cmp_gt_u32 s13, 2
	s_cbranch_scc1 .LBB83_9
.LBB83_10:
	s_load_dword s0, s[0:1], 0x6c
	v_cmp_eq_u32_e64 s[90:91], 0, v0
	s_waitcnt lgkmcnt(0)
	v_writelane_b32 v52, s0, 1
	s_and_saveexec_b64 s[8:9], s[90:91]
; %bb.11:
	v_mov_b32_e32 v1, 0
	v_mov_b32_e32 v2, v1
	ds_write_b64 v1, v[1:2] offset:4096
; %bb.12:
	s_or_b64 exec, exec, s[8:9]
	v_mov_b32_e32 v1, 0
	s_waitcnt lgkmcnt(0)
	s_barrier
	s_barrier
	ds_read_b64 v[1:2], v1 offset:4096
	s_load_dwordx2 s[8:9], s[4:5], 0x1b0
	s_bitcmp1_b32 s39, 0
	s_cselect_b64 s[16:17], -1, 0
	s_waitcnt lgkmcnt(0)
	v_readfirstlane_b32 s14, v1
	v_readfirstlane_b32 s15, v2
	v_cmp_lt_i64_e64 s[0:1], s[14:15], 1
	s_or_b64 s[0:1], s[16:17], s[0:1]
	s_andn2_b64 vcc, exec, s[0:1]
	s_mov_b32 s0, s36
	s_cbranch_vccnz .LBB83_14
; %bb.13:
	s_not_b64 s[0:1], s[14:15]
	s_add_u32 s0, s0, s36
	s_addc_u32 s1, s1, 0
	s_lshr_b32 s2, s1, 31
	s_add_u32 s0, s0, s2
	s_addc_u32 s1, s1, 0
	s_lshr_b64 s[0:1], s[0:1], 1
	s_add_i32 s0, s0, 1
.LBB83_14:
	s_load_dwordx2 s[14:15], s[4:5], 0x0
	s_load_dword s1, s[4:5], 0x21c
                                        ; kill: killed $sgpr4 killed $sgpr5
	s_waitcnt lgkmcnt(0)
	v_writelane_b32 v52, s14, 2
	v_writelane_b32 v52, s15, 3
	s_load_dwordx2 s[14:15], s[4:5], 0xd8
	s_waitcnt lgkmcnt(0)
	v_writelane_b32 v52, s14, 4
	v_writelane_b32 v52, s15, 5
	s_and_saveexec_b64 s[4:5], s[90:91]
	s_cbranch_execz .LBB83_16
; %bb.15:
	v_mov_b32_e32 v1, 0
	v_mov_b32_e32 v2, s36
	ds_write_b32 v1, v1 offset:4112
	ds_write_b64 v1, v[1:2] offset:4104
.LBB83_16:
	s_or_b64 exec, exec, s[4:5]
	s_waitcnt lgkmcnt(0)
	s_barrier
	s_load_dword s2, s[10:11], 0xc
	s_mul_i32 s1, s1, s7
	s_add_i32 s1, s1, s3
	s_add_u32 s44, s8, s1
	v_mbcnt_lo_u32_b32 v1, -1, 0
	s_addc_u32 s45, s9, 0
	s_waitcnt lgkmcnt(0)
	s_and_b32 s39, s2, 0xffff
	v_mbcnt_hi_u32_b32 v19, -1, v1
	v_cmp_gt_u32_e64 s[4:5], s36, v0
	s_bfe_u32 s1, s2, 0xa0006
	v_cmp_gt_u32_e32 vcc, 64, v0
	v_cmp_gt_i32_e64 s[8:9], 4, v19
	s_add_i32 s2, s39, -1
	v_writelane_b32 v52, s4, 6
	s_lshl_b32 s40, s39, 2
	s_and_b64 s[48:49], vcc, s[8:9]
	s_add_i32 s7, s2, s36
	v_writelane_b32 v52, s5, 7
	s_cmpk_gt_u32 s36, 0xc00
	v_lshlrev_b64 v[2:3], v19, -1
	v_writelane_b32 v52, s2, 8
	s_cselect_b64 s[2:3], -1, 0
	s_cmp_gt_u32 s39, 63
	v_writelane_b32 v52, s2, 9
	s_cselect_b64 s[52:53], -1, 0
	v_not_b32_e32 v23, v2
	v_lshrrev_b32_e32 v2, 2, v0
	s_cmp_lt_u32 s6, s12
	v_writelane_b32 v52, s3, 10
	v_and_b32_e32 v2, 0xf0, v2
	s_cselect_b32 s2, 12, 18
	v_or_b32_e32 v24, 0xc00, v2
	s_add_u32 s2, s10, s2
	v_add_u32_e32 v2, 2, v0
	s_addc_u32 s3, s11, 0
	v_max_u32_e32 v2, s36, v2
	v_writelane_b32 v52, s2, 11
	v_xad_u32 v2, v0, -1, v2
	v_not_b32_e32 v22, v3
	v_writelane_b32 v52, s3, 12
	v_add_u32_e32 v3, -4, v2
	v_cmp_lt_u32_e64 s[2:3], 31, v2
	v_lshrrev_b32_e32 v4, 2, v3
	v_writelane_b32 v52, s2, 13
	v_add_u32_e32 v4, 1, v4
	v_writelane_b32 v52, s3, 14
	v_cmp_lt_u32_e64 s[10:11], 11, v3
	v_and_b32_e32 v5, 3, v4
	v_writelane_b32 v52, s10, 15
	v_writelane_b32 v52, s11, 16
	v_cmp_ne_u32_e64 s[10:11], 0, v5
	v_and_b32_e32 v25, -4, v2
	v_writelane_b32 v52, s10, 17
	v_writelane_b32 v52, s11, 18
	v_cmp_ne_u32_e64 s[10:11], v2, v25
	v_cvt_f32_u32_e32 v2, s40
	v_writelane_b32 v52, s10, 19
	s_add_i32 s6, s1, -1
	v_writelane_b32 v52, s11, 20
	v_rcp_iflag_f32_e32 v2, v2
	s_bfe_u32 s10, s39, 0x30006
	s_and_b32 s6, s6, 0xffff
	s_cmp_gt_u32 s6, 6
	v_mul_f32_e32 v2, 0x4f7ffffe, v2
	v_cvt_u32_f32_e32 v2, v2
	s_cselect_b64 s[12:13], -1, 0
	v_writelane_b32 v52, s12, 21
	s_and_b32 s9, s1, 0x3f8
	v_writelane_b32 v52, s13, 22
	s_cmp_lg_u32 s10, 0
	v_readfirstlane_b32 s6, v2
	v_cvt_f32_u32_e32 v2, s39
	v_writelane_b32 v52, s10, 23
	s_cselect_b64 s[10:11], -1, 0
	s_sub_i32 s1, 0, s40
	s_mul_i32 s1, s1, s6
	s_mul_hi_u32 s1, s6, s1
	s_add_i32 s56, s6, s1
	v_rcp_iflag_f32_e32 v2, v2
	s_mul_hi_u32 s1, s36, s56
	s_mul_i32 s1, s1, s40
	s_sub_i32 s1, s36, s1
	s_sub_i32 s6, s1, s40
	v_mul_f32_e32 v2, 0x4f7ffffe, v2
	s_cmp_ge_u32 s1, s40
	v_cvt_u32_f32_e32 v2, v2
	s_cselect_b32 s1, s6, s1
	s_sub_i32 s6, s1, s40
	v_writelane_b32 v52, s10, 24
	s_cmp_ge_u32 s1, s40
	v_writelane_b32 v52, s11, 25
	s_cselect_b32 s1, s6, s1
	s_sub_i32 s6, 0, s39
	v_readfirstlane_b32 s10, v2
	s_mul_i32 s6, s6, s10
	s_mul_hi_u32 s6, s10, s6
	s_add_i32 s59, s10, s6
	s_mul_hi_u32 s6, s7, s59
	s_mul_i32 s6, s6, s39
	s_sub_i32 s6, s7, s6
	s_sub_i32 s58, s36, s1
	s_sub_i32 s10, s6, s39
	s_cmp_ge_u32 s6, s39
	s_cselect_b32 s6, s10, s6
	v_lshlrev_b32_e32 v18, 2, v0
	s_sub_i32 s10, s6, s39
	s_cmp_ge_u32 s6, s39
	v_mul_lo_u32 v2, s38, v18
	s_cselect_b32 s6, s10, s6
	s_sub_i32 s20, s7, s6
	v_cmp_gt_u32_e64 s[6:7], s20, v0
	v_mul_lo_u32 v17, s38, v0
	v_writelane_b32 v52, s6, 26
	v_add_u32_e32 v30, s38, v2
	v_or_b32_e32 v2, 2, v18
	v_add_u32_e32 v28, s58, v0
	v_writelane_b32 v52, s7, 27
	v_mul_lo_u32 v31, s38, v2
	v_or_b32_e32 v2, 3, v18
	s_add_i32 s6, s39, s36
	v_mul_lo_u32 v3, v28, s38
	v_mul_lo_u32 v32, s38, v2
	v_add_u32_e32 v2, s6, v0
	v_subrev_u32_e32 v2, s1, v2
	v_mov_b32_e32 v1, s45
	v_add_co_u32_e32 v13, vcc, s44, v17
	v_mul_lo_u32 v35, s38, v2
	v_addc_co_u32_e32 v14, vcc, 0, v1, vcc
	v_lshlrev_b32_e32 v1, 2, v19
	v_and_b32_e32 v27, 0x7ffffffc, v4
	v_mov_b32_e32 v4, s45
	v_add_co_u32_e32 v15, vcc, s44, v3
	s_mul_i32 s54, s38, s39
	s_mov_b32 s57, 0
	v_cmp_eq_u32_e64 s[4:5], 0, v19
	v_cmp_gt_u32_e64 s[24:25], 2, v0
	v_mov_b32_e32 v20, 0
	v_and_b32_e32 v21, 0x100, v1
	v_add_u32_e32 v26, v0, v25
	s_mov_b32 s55, s38
	s_mov_b32 s2, s38
	;; [unrolled: 1-line block ×4, first 2 shown]
	v_cmp_gt_u32_e64 s[16:17], s58, v18
	v_cmp_gt_u32_e64 s[18:19], s36, v28
	v_addc_co_u32_e32 v16, vcc, 0, v4, vcc
	v_lshlrev_b32_e32 v29, 2, v5
	s_lshl_b32 s21, s54, 2
	v_lshlrev_b32_e32 v34, 2, v17
	v_or_b32_e32 v36, 0xc00, v1
	s_mov_b64 s[60:61], 0
	v_mov_b32_e32 v37, 6
	v_mov_b32_e32 v41, s0
	s_movk_i32 s50, 0x80
	s_mov_b32 s51, 0xc0c0004
	v_mov_b32_e32 v38, 8
	v_mov_b32_e32 v40, 0
	;; [unrolled: 1-line block ×4, first 2 shown]
                                        ; implicit-def: $sgpr62_sgpr63
                                        ; implicit-def: $sgpr66_sgpr67
                                        ; implicit-def: $sgpr64_sgpr65
                                        ; implicit-def: $sgpr70_sgpr71
                                        ; implicit-def: $sgpr72_sgpr73
                                        ; implicit-def: $sgpr68_sgpr69
	s_branch .LBB83_20
.LBB83_17:                              ;   in Loop: Header=BB83_20 Depth=1
	s_or_b64 exec, exec, s[12:13]
	s_and_b64 s[26:27], s[26:27], exec
	s_andn2_b64 s[30:31], s[30:31], exec
	s_andn2_b64 s[28:29], s[28:29], exec
	s_orn2_b64 s[22:23], s[22:23], exec
.LBB83_18:                              ;   in Loop: Header=BB83_20 Depth=1
	s_or_b64 exec, exec, s[10:11]
	s_andn2_b64 s[0:1], s[68:69], exec
	s_and_b64 s[10:11], s[26:27], exec
	s_or_b64 s[68:69], s[0:1], s[10:11]
	s_andn2_b64 s[0:1], s[72:73], exec
	s_and_b64 s[10:11], s[30:31], exec
	s_or_b64 s[72:73], s[0:1], s[10:11]
	;; [unrolled: 3-line block ×3, first 2 shown]
	s_orn2_b64 s[22:23], s[22:23], exec
.LBB83_19:                              ;   in Loop: Header=BB83_20 Depth=1
	s_or_b64 exec, exec, s[6:7]
	s_and_b64 s[0:1], exec, s[22:23]
	s_or_b64 s[60:61], s[0:1], s[60:61]
	s_andn2_b64 s[0:1], s[64:65], exec
	s_and_b64 s[6:7], s[68:69], exec
	s_or_b64 s[64:65], s[0:1], s[6:7]
	s_andn2_b64 s[0:1], s[66:67], exec
	s_and_b64 s[6:7], s[72:73], exec
	s_or_b64 s[66:67], s[0:1], s[6:7]
	s_andn2_b64 s[0:1], s[62:63], exec
	s_and_b64 s[6:7], s[70:71], exec
	s_or_b64 s[62:63], s[0:1], s[6:7]
	s_mov_b32 s57, s42
	v_mov_b32_e32 v41, v4
	s_andn2_b64 exec, exec, s[60:61]
	s_cbranch_execz .LBB83_256
.LBB83_20:                              ; =>This Loop Header: Depth=1
                                        ;     Child Loop BB83_25 Depth 2
                                        ;     Child Loop BB83_46 Depth 2
	;; [unrolled: 1-line block ×18, first 2 shown]
	ds_read_b64 v[1:2], v20 offset:4104
	s_waitcnt lgkmcnt(0)
	v_readfirstlane_b32 s12, v1
	s_cmp_lg_u32 s12, 0
	s_cbranch_scc1 .LBB83_65
; %bb.21:                               ;   in Loop: Header=BB83_20 Depth=1
	v_readlane_b32 s0, v52, 9
	v_readlane_b32 s1, v52, 10
	s_and_b64 vcc, exec, s[0:1]
	s_cbranch_vccz .LBB83_33
; %bb.22:                               ;   in Loop: Header=BB83_20 Depth=1
	s_movk_i32 s0, 0xc01
	v_cmp_gt_u32_e32 vcc, s0, v2
	s_mov_b64 s[26:27], 0
	s_mov_b64 s[6:7], 0
	s_cbranch_vccz .LBB83_34
; %bb.23:                               ;   in Loop: Header=BB83_20 Depth=1
	v_readlane_b32 s0, v52, 11
	v_readlane_b32 s1, v52, 12
	s_nop 4
	global_load_ushort v1, v20, s[0:1]
	global_load_ubyte v4, v[13:14], off
	s_mov_b64 s[28:29], 0
	v_mov_b32_e32 v5, v0
	s_waitcnt vmcnt(1)
	v_add_u32_e32 v2, v0, v1
	v_mul_lo_u32 v2, s38, v2
	v_mul_lo_u32 v3, s38, v1
	s_branch .LBB83_25
.LBB83_24:                              ;   in Loop: Header=BB83_25 Depth=2
	s_or_b64 exec, exec, s[6:7]
	v_add_u32_e32 v2, v2, v3
	v_mov_b32_e32 v4, v6
	s_andn2_b64 exec, exec, s[28:29]
	s_cbranch_execz .LBB83_40
.LBB83_25:                              ;   Parent Loop BB83_20 Depth=1
                                        ; =>  This Inner Loop Header: Depth=2
	v_add_u32_e32 v5, v5, v1
	v_cmp_gt_u32_e64 s[6:7], s36, v5
	v_cmp_le_u32_e32 vcc, s36, v5
	s_waitcnt lgkmcnt(0)
	v_mov_b32_e32 v7, 0
	v_mov_b32_e32 v6, 0
	s_and_saveexec_b64 s[10:11], s[6:7]
	s_cbranch_execz .LBB83_27
; %bb.26:                               ;   in Loop: Header=BB83_25 Depth=2
	global_load_ubyte v6, v2, s[44:45]
.LBB83_27:                              ;   in Loop: Header=BB83_25 Depth=2
	s_or_b64 exec, exec, s[10:11]
	s_waitcnt vmcnt(0)
	v_add_u32_sdwa v8, sext(v4), s50 dst_sel:DWORD dst_unused:UNUSED_PAD src0_sel:BYTE_0 src1_sel:DWORD
	v_and_b32_e32 v8, v8, v39
	v_cmp_eq_u32_e64 s[22:23], v8, v33
	s_cmp_lg_u64 s[22:23], 0
	s_cselect_b64 s[0:1], -1, 0
	s_and_b64 s[0:1], s[4:5], s[0:1]
	s_and_saveexec_b64 s[10:11], s[0:1]
	s_cbranch_execz .LBB83_31
; %bb.28:                               ;   in Loop: Header=BB83_25 Depth=2
	s_mov_b64 s[14:15], exec
	v_mbcnt_lo_u32_b32 v7, s14, 0
	v_mbcnt_hi_u32_b32 v7, s15, v7
	s_bcnt1_i32_b64 s0, s[22:23]
	v_cmp_eq_u32_e64 s[6:7], 0, v7
                                        ; implicit-def: $vgpr8
	s_and_saveexec_b64 s[12:13], s[6:7]
; %bb.29:                               ;   in Loop: Header=BB83_25 Depth=2
	s_bcnt1_i32_b64 s1, s[14:15]
	s_mul_i32 s1, s0, s1
	v_mov_b32_e32 v8, s1
	ds_add_rtn_u32 v8, v20, v8 offset:4112
; %bb.30:                               ;   in Loop: Header=BB83_25 Depth=2
	s_or_b64 exec, exec, s[12:13]
	s_waitcnt lgkmcnt(0)
	v_readfirstlane_b32 s1, v8
	v_mov_b32_e32 v8, s1
	v_mad_u32_u24 v7, s0, v7, v8
.LBB83_31:                              ;   in Loop: Header=BB83_25 Depth=2
	s_or_b64 exec, exec, s[10:11]
	ds_bpermute_b32 v7, v21, v7
	s_and_b64 s[0:1], exec, vcc
	s_or_b64 s[28:29], s[0:1], s[28:29]
	s_and_saveexec_b64 s[6:7], s[22:23]
	s_cbranch_execz .LBB83_24
; %bb.32:                               ;   in Loop: Header=BB83_25 Depth=2
	v_and_b32_e32 v9, s22, v23
	v_and_b32_e32 v8, s23, v22
	v_bcnt_u32_b32 v9, v9, 0
	v_bcnt_u32_b32 v8, v8, v9
	s_waitcnt lgkmcnt(0)
	v_add_u32_e32 v7, v7, v8
	ds_write_b8 v7, v4
	s_branch .LBB83_24
.LBB83_33:                              ;   in Loop: Header=BB83_20 Depth=1
	s_mov_b64 s[26:27], -1
	s_mov_b64 s[6:7], 0
.LBB83_34:                              ;   in Loop: Header=BB83_20 Depth=1
	s_and_b64 vcc, exec, s[26:27]
	s_cbranch_vccz .LBB83_63
.LBB83_35:                              ;   in Loop: Header=BB83_20 Depth=1
	s_mov_b64 s[22:23], exec
	v_readlane_b32 s0, v52, 6
	v_readlane_b32 s1, v52, 7
	s_and_b64 s[0:1], s[22:23], s[0:1]
	s_mov_b64 exec, s[0:1]
	s_cbranch_execz .LBB83_60
; %bb.36:                               ;   in Loop: Header=BB83_20 Depth=1
	v_readlane_b32 s0, v52, 11
	v_readlane_b32 s1, v52, 12
	s_nop 4
	global_load_ushort v1, v20, s[0:1]
	global_load_ubyte v43, v[13:14], off
	v_mov_b32_e32 v2, v0
	s_waitcnt vmcnt(1)
	v_readfirstlane_b32 s0, v1
	v_add_u32_e32 v1, v0, v1
	v_cmp_gt_u32_e32 vcc, s36, v1
	s_and_saveexec_b64 s[26:27], vcc
	s_cbranch_execz .LBB83_59
; %bb.37:                               ;   in Loop: Header=BB83_20 Depth=1
	s_mov_b64 s[6:7], 0
	s_mul_i32 s1, s38, s0
                                        ; implicit-def: $vgpr2
                                        ; implicit-def: $vgpr5
                                        ; implicit-def: $vgpr3
                                        ; implicit-def: $vgpr4
	s_mov_b64 s[10:11], exec
	v_readlane_b32 s12, v52, 13
	v_readlane_b32 s13, v52, 14
	s_and_b64 s[12:13], s[10:11], s[12:13]
	s_xor_b64 s[28:29], s[12:13], s[10:11]
	s_mov_b64 exec, s[12:13]
	s_cbranch_execnz .LBB83_43
; %bb.38:                               ;   in Loop: Header=BB83_20 Depth=1
	s_andn2_saveexec_b64 s[10:11], s[28:29]
	s_cbranch_execnz .LBB83_54
.LBB83_39:                              ;   in Loop: Header=BB83_20 Depth=1
	s_or_b64 exec, exec, s[10:11]
	s_and_saveexec_b64 s[10:11], s[6:7]
	s_cbranch_execnz .LBB83_55
	s_branch .LBB83_58
.LBB83_40:                              ;   in Loop: Header=BB83_20 Depth=1
	s_or_b64 exec, exec, s[28:29]
	s_waitcnt lgkmcnt(0)
	s_barrier
	s_and_saveexec_b64 s[6:7], s[90:91]
	s_cbranch_execz .LBB83_42
; %bb.41:                               ;   in Loop: Header=BB83_20 Depth=1
	ds_read_b32 v1, v20 offset:4112
	s_waitcnt lgkmcnt(0)
	ds_write_b32 v20, v1 offset:4104
.LBB83_42:                              ;   in Loop: Header=BB83_20 Depth=1
	s_or_b64 exec, exec, s[6:7]
	s_waitcnt lgkmcnt(0)
	s_barrier
	s_mov_b64 s[6:7], -1
	s_and_b64 vcc, exec, s[26:27]
	s_cbranch_vccnz .LBB83_35
	s_branch .LBB83_63
.LBB83_43:                              ;   in Loop: Header=BB83_20 Depth=1
	v_cvt_f32_u32_e32 v2, s0
	s_sub_i32 s7, 0, s0
	v_add_u32_e32 v4, s0, v1
	v_max_u32_e32 v4, s36, v4
	v_rcp_iflag_f32_e32 v2, v2
	s_lshl_b32 s6, s0, 1
	v_sub_u32_e32 v4, v4, v0
	v_cmp_ne_u32_e32 vcc, s6, v4
	v_mul_f32_e32 v2, 0x4f7ffffe, v2
	v_cvt_u32_f32_e32 v2, v2
	v_cndmask_b32_e64 v5, 0, 1, vcc
	v_or_b32_e32 v5, s6, v5
	v_sub_u32_e32 v4, v4, v5
	v_mul_lo_u32 v3, s7, v2
	s_not_b32 s6, s1
	s_ashr_i32 s12, s6, 31
	s_abs_i32 s10, s1
	v_mul_hi_u32 v3, v2, v3
	s_cmp_eq_u32 s0, 1
	v_add_u32_e32 v2, v2, v3
	v_mul_hi_u32 v2, v4, v2
	v_mul_lo_u32 v3, s38, v1
	v_mul_lo_u32 v5, v2, s0
	v_add_u32_e32 v6, 1, v2
	v_xor_b32_e32 v3, s12, v3
	v_sub_u32_e32 v4, v4, v5
	v_cmp_le_u32_e64 s[6:7], s0, v4
	v_subrev_u32_e32 v5, s0, v4
	v_cndmask_b32_e64 v2, v2, v6, s[6:7]
	v_cndmask_b32_e64 v4, v4, v5, s[6:7]
	v_add_u32_e32 v5, 1, v2
	v_cmp_le_u32_e64 s[6:7], s0, v4
	v_cndmask_b32_e64 v2, v2, v5, s[6:7]
	v_addc_co_u32_e32 v2, vcc, 0, v2, vcc
	v_mul_hi_u32 v4, s10, v2
	v_mul_lo_u32 v2, s10, v2
	s_cselect_b64 s[10:11], -1, 0
	v_cmp_eq_u32_e32 vcc, 0, v4
	v_cmp_le_u32_e64 s[6:7], v2, v3
	s_and_b64 s[10:11], vcc, s[10:11]
	s_and_b64 s[12:13], s[10:11], s[6:7]
	s_mov_b64 s[10:11], -1
	v_mov_b32_e32 v3, v0
                                        ; implicit-def: $vgpr2
	s_and_saveexec_b64 s[6:7], s[12:13]
	s_cbranch_execz .LBB83_53
; %bb.44:                               ;   in Loop: Header=BB83_20 Depth=1
	v_add_u32_e32 v4, 3, v1
	v_add_u32_e32 v3, 2, v1
	;; [unrolled: 1-line block ×3, first 2 shown]
	v_mov_b32_e32 v8, v4
	s_waitcnt vmcnt(0)
	v_lshlrev_b32_e32 v44, 24, v43
	v_mov_b32_e32 v9, 0
	v_mov_b32_e32 v7, v3
	;; [unrolled: 1-line block ×4, first 2 shown]
                                        ; implicit-def: $vgpr43
	s_mov_b64 s[30:31], exec
	v_readlane_b32 s10, v52, 15
	v_readlane_b32 s11, v52, 16
	s_and_b64 s[10:11], s[30:31], s[10:11]
	s_mov_b64 exec, s[10:11]
	s_cbranch_execz .LBB83_48
; %bb.45:                               ;   in Loop: Header=BB83_20 Depth=1
	v_mov_b32_e32 v8, v4
	s_mov_b32 s10, 0
	s_mov_b64 s[74:75], 0
	v_mov_b32_e32 v42, v27
	v_mov_b32_e32 v7, v3
	;; [unrolled: 1-line block ×4, first 2 shown]
	s_mov_b32 s11, 0xc0c0007
.LBB83_46:                              ;   Parent Loop BB83_20 Depth=1
                                        ; =>  This Inner Loop Header: Depth=2
	v_mul_lo_u32 v2, v5, s55
	v_mul_lo_u32 v9, v6, s2
	;; [unrolled: 1-line block ×3, first 2 shown]
	v_mov_b32_e32 v12, s45
	v_add_co_u32_e32 v2, vcc, s44, v2
	v_addc_co_u32_e32 v3, vcc, 0, v12, vcc
	v_mul_lo_u32 v4, v8, s8
	v_add_co_u32_e32 v9, vcc, s44, v9
	v_addc_co_u32_e32 v10, vcc, 0, v12, vcc
	v_add_co_u32_e32 v45, vcc, s44, v11
	v_addc_co_u32_e32 v46, vcc, 0, v12, vcc
	v_add_co_u32_e32 v47, vcc, s44, v4
	global_load_ubyte v4, v[45:46], off
	s_nop 0
	global_load_ubyte v9, v[9:10], off
	v_add_u32_e32 v10, 4, v7
	global_load_ubyte v2, v[2:3], off
	v_add_u32_e32 v3, 4, v6
	v_mul_lo_u32 v43, v10, s3
	v_mul_lo_u32 v10, v3, s2
	v_addc_co_u32_e32 v48, vcc, 0, v12, vcc
	v_add_u32_e32 v11, 4, v8
	v_mul_lo_u32 v45, v11, s8
	v_add_u32_e32 v42, -4, v42
	s_waitcnt vmcnt(1)
	v_perm_b32 v4, v9, v4, s51
	s_waitcnt vmcnt(0)
	v_perm_b32 v2, v44, v2, s11
	v_lshl_or_b32 v9, v4, 16, v2
	v_add_u32_e32 v2, 4, v5
	v_mul_lo_u32 v2, v2, s55
	v_add_u32_e32 v4, s10, v0
	s_add_i32 s10, s10, 16
	v_add_co_u32_e32 v2, vcc, s44, v2
	v_addc_co_u32_e32 v3, vcc, 0, v12, vcc
	v_add_co_u32_e32 v10, vcc, s44, v10
	v_addc_co_u32_e32 v11, vcc, 0, v12, vcc
	v_add_co_u32_e32 v43, vcc, s44, v43
	v_addc_co_u32_e32 v44, vcc, 0, v12, vcc
	global_load_ubyte v47, v[47:48], off
	s_nop 0
	global_load_ubyte v2, v[2:3], off
	s_nop 0
	;; [unrolled: 2-line block ×3, first 2 shown]
	global_load_ubyte v10, v[10:11], off
	v_add_co_u32_e32 v45, vcc, s44, v45
	v_addc_co_u32_e32 v46, vcc, 0, v12, vcc
	v_add_u32_e32 v11, 8, v7
	v_add_u32_e32 v43, 8, v8
	v_mul_lo_u32 v51, v43, s8
	v_mul_lo_u32 v11, v11, s3
	s_waitcnt vmcnt(2)
	v_perm_b32 v2, v47, v2, s51
	s_waitcnt vmcnt(0)
	v_perm_b32 v3, v10, v3, s51
	v_lshl_or_b32 v10, v3, 16, v2
	v_add_u32_e32 v2, 8, v5
	v_mul_lo_u32 v2, v2, s55
	v_add_u32_e32 v3, 8, v6
	v_mul_lo_u32 v3, v3, s2
	v_add_co_u32_e32 v43, vcc, s44, v2
	v_addc_co_u32_e32 v44, vcc, 0, v12, vcc
	v_add_co_u32_e32 v47, vcc, s44, v3
	v_addc_co_u32_e32 v48, vcc, 0, v12, vcc
	v_add_co_u32_e32 v49, vcc, s44, v11
	global_load_ubyte v11, v[43:44], off
	s_nop 0
	global_load_ubyte v43, v[45:46], off
	v_addc_co_u32_e32 v50, vcc, 0, v12, vcc
	v_add_u32_e32 v46, 12, v8
	v_add_co_u32_e32 v2, vcc, s44, v51
	v_addc_co_u32_e32 v3, vcc, 0, v12, vcc
	v_add_u32_e32 v45, 12, v7
	v_add_u32_e32 v8, 16, v8
	;; [unrolled: 1-line block ×3, first 2 shown]
	s_waitcnt vmcnt(0)
	v_perm_b32 v11, v43, v11, s51
	global_load_ubyte v43, v[49:50], off
	global_load_ubyte v44, v[47:48], off
	v_mul_lo_u32 v50, v46, s8
	v_mul_lo_u32 v48, v45, s3
	s_waitcnt vmcnt(0)
	v_perm_b32 v43, v44, v43, s51
	v_lshl_or_b32 v11, v43, 16, v11
	v_add_u32_e32 v43, 12, v5
	v_mul_lo_u32 v43, v43, s55
	v_add_u32_e32 v44, 12, v6
	v_mul_lo_u32 v46, v44, s2
	v_add_u32_e32 v6, 16, v6
	v_add_co_u32_e32 v44, vcc, s44, v43
	v_addc_co_u32_e32 v45, vcc, 0, v12, vcc
	v_add_co_u32_e32 v46, vcc, s44, v46
	v_addc_co_u32_e32 v47, vcc, 0, v12, vcc
	;; [unrolled: 2-line block ×4, first 2 shown]
	global_load_ubyte v43, v[50:51], off
	global_load_ubyte v12, v[46:47], off
	s_nop 0
	global_load_ubyte v45, v[44:45], off
	v_cmp_eq_u32_e32 vcc, 0, v42
	global_load_ubyte v46, v[48:49], off
	v_add_u32_e32 v5, 16, v5
	global_load_ubyte v2, v[2:3], off
	s_or_b64 s[74:75], vcc, s[74:75]
	s_waitcnt vmcnt(2)
	v_perm_b32 v44, v45, v12, s51
	s_waitcnt vmcnt(1)
	v_perm_b32 v3, v12, v46, s51
	v_perm_b32 v47, v46, v43, s51
	s_waitcnt vmcnt(0)
	v_perm_b32 v2, v2, v45, s51
	v_lshl_or_b32 v12, v3, 16, v2
	v_lshl_or_b32 v44, v47, 16, v44
	ds_write_b128 v4, v[9:12]
	v_mov_b32_e32 v9, s10
	s_andn2_b64 exec, exec, s[74:75]
	s_cbranch_execnz .LBB83_46
; %bb.47:                               ;   in Loop: Header=BB83_20 Depth=1
	s_or_b64 exec, exec, s[74:75]
.LBB83_48:                              ;   in Loop: Header=BB83_20 Depth=1
	s_or_b64 exec, exec, s[30:31]
	s_mov_b64 s[30:31], exec
	v_readlane_b32 s10, v52, 17
	v_readlane_b32 s11, v52, 18
	s_and_b64 s[10:11], s[30:31], s[10:11]
	s_mov_b64 exec, s[10:11]
	s_cbranch_execz .LBB83_52
; %bb.49:                               ;   in Loop: Header=BB83_20 Depth=1
	v_add_u32_e32 v2, v0, v9
	s_mov_b64 s[42:43], 0
	v_mov_b32_e32 v3, v29
	s_mov_b32 s10, 0xc0c0007
.LBB83_50:                              ;   Parent Loop BB83_20 Depth=1
                                        ; =>  This Inner Loop Header: Depth=2
	v_mul_lo_u32 v9, v5, s55
	v_mul_lo_u32 v11, v6, s2
	;; [unrolled: 1-line block ×3, first 2 shown]
	v_mov_b32_e32 v46, s45
	v_add_co_u32_e32 v9, vcc, s44, v9
	v_addc_co_u32_e32 v10, vcc, 0, v46, vcc
	v_mul_lo_u32 v4, v8, s8
	v_add_co_u32_e32 v11, vcc, s44, v11
	v_addc_co_u32_e32 v12, vcc, 0, v46, vcc
	v_add_co_u32_e32 v42, vcc, s44, v42
	v_addc_co_u32_e32 v43, vcc, 0, v46, vcc
	;; [unrolled: 2-line block ×3, first 2 shown]
	global_load_ubyte v4, v[11:12], off
	s_nop 0
	global_load_ubyte v11, v[42:43], off
	s_nop 0
	;; [unrolled: 2-line block ×3, first 2 shown]
	global_load_ubyte v9, v[9:10], off
	v_add_u32_e32 v3, -4, v3
	v_cmp_eq_u32_e32 vcc, 0, v3
	v_add_u32_e32 v8, 4, v8
	v_add_u32_e32 v7, 4, v7
	;; [unrolled: 1-line block ×4, first 2 shown]
	s_or_b64 s[42:43], vcc, s[42:43]
	s_waitcnt vmcnt(1)
	v_perm_b32 v12, v11, v43, s51
	s_waitcnt vmcnt(0)
	v_perm_b32 v10, v9, v4, s51
	v_perm_b32 v4, v4, v11, s51
	v_perm_b32 v9, v44, v9, s10
	v_lshl_or_b32 v4, v4, 16, v9
	v_lshl_or_b32 v44, v12, 16, v10
	ds_write_b32 v2, v4
	v_add_u32_e32 v2, 4, v2
	s_andn2_b64 exec, exec, s[42:43]
	s_cbranch_execnz .LBB83_50
; %bb.51:                               ;   in Loop: Header=BB83_20 Depth=1
	s_or_b64 exec, exec, s[42:43]
.LBB83_52:                              ;   in Loop: Header=BB83_20 Depth=1
	s_or_b64 exec, exec, s[30:31]
	v_readlane_b32 s10, v52, 19
	v_add_u32_e32 v1, v1, v25
	v_readlane_b32 s11, v52, 20
	v_add_u32_e32 v2, -1, v1
	s_orn2_b64 s[10:11], s[10:11], exec
	v_mov_b32_e32 v3, v26
.LBB83_53:                              ;   in Loop: Header=BB83_20 Depth=1
	s_or_b64 exec, exec, s[6:7]
	v_mov_b32_e32 v4, s1
	s_and_b64 s[6:7], s[10:11], exec
	s_waitcnt vmcnt(0)
	v_mov_b32_e32 v5, v43
	s_andn2_saveexec_b64 s[10:11], s[28:29]
	s_cbranch_execz .LBB83_39
.LBB83_54:                              ;   in Loop: Header=BB83_20 Depth=1
	v_mov_b32_e32 v4, s1
	s_or_b64 s[6:7], s[6:7], exec
	s_waitcnt vmcnt(0)
	v_mov_b32_e32 v5, v43
	v_mov_b32_e32 v3, v0
	s_or_b64 exec, exec, s[10:11]
	s_and_saveexec_b64 s[10:11], s[6:7]
	s_cbranch_execz .LBB83_58
.LBB83_55:                              ;   in Loop: Header=BB83_20 Depth=1
	v_mul_lo_u32 v2, s38, v1
	s_sub_i32 s1, 0, s0
	s_mov_b64 s[6:7], 0
.LBB83_56:                              ;   Parent Loop BB83_20 Depth=1
                                        ; =>  This Inner Loop Header: Depth=2
	global_load_ubyte v43, v2, s[44:45]
	v_mov_b32_e32 v6, v1
	v_add_u32_e32 v1, s0, v6
	v_cmp_le_u32_e32 vcc, s36, v1
	ds_write_b8 v3, v5
	v_add_u32_e32 v2, v2, v4
	v_mov_b32_e32 v3, v6
	s_or_b64 s[6:7], vcc, s[6:7]
	s_waitcnt vmcnt(0)
	v_mov_b32_e32 v5, v43
	s_andn2_b64 exec, exec, s[6:7]
	s_cbranch_execnz .LBB83_56
; %bb.57:                               ;   in Loop: Header=BB83_20 Depth=1
	s_or_b64 exec, exec, s[6:7]
	v_add_u32_e32 v2, s1, v1
.LBB83_58:                              ;   in Loop: Header=BB83_20 Depth=1
	s_or_b64 exec, exec, s[10:11]
.LBB83_59:                              ;   in Loop: Header=BB83_20 Depth=1
	s_or_b64 exec, exec, s[26:27]
	s_waitcnt vmcnt(0)
	ds_write_b8 v2, v43
.LBB83_60:                              ;   in Loop: Header=BB83_20 Depth=1
	s_or_b64 exec, exec, s[22:23]
	s_waitcnt lgkmcnt(0)
	s_barrier
	s_and_saveexec_b64 s[6:7], s[90:91]
; %bb.61:                               ;   in Loop: Header=BB83_20 Depth=1
	v_mov_b32_e32 v1, s36
	ds_write_b32 v20, v1 offset:4104
; %bb.62:                               ;   in Loop: Header=BB83_20 Depth=1
	s_or_b64 exec, exec, s[6:7]
	s_mov_b64 s[6:7], -1
	s_waitcnt lgkmcnt(0)
	s_barrier
.LBB83_63:                              ;   in Loop: Header=BB83_20 Depth=1
	s_mov_b32 s12, 0
	s_and_b64 vcc, exec, s[6:7]
	s_cbranch_vccz .LBB83_65
; %bb.64:                               ;   in Loop: Header=BB83_20 Depth=1
	ds_read_b32 v1, v20 offset:4104
	s_waitcnt lgkmcnt(0)
	v_readfirstlane_b32 s12, v1
.LBB83_65:                              ;   in Loop: Header=BB83_20 Depth=1
	s_cmp_lt_i32 s12, 1
	s_mov_b64 s[6:7], -1
                                        ; implicit-def: $vgpr4
	s_cbranch_scc1 .LBB83_75
; %bb.66:                               ;   in Loop: Header=BB83_20 Depth=1
	s_and_b64 vcc, exec, s[6:7]
	s_cbranch_vccnz .LBB83_86
.LBB83_67:                              ;   in Loop: Header=BB83_20 Depth=1
	s_lshl_b32 s0, s57, 6
	s_and_saveexec_b64 s[6:7], s[4:5]
.LBB83_68:                              ;   in Loop: Header=BB83_20 Depth=1
	v_lshl_add_u32 v5, s0, 2, v24
	ds_write_b128 v5, v[1:4]
.LBB83_69:                              ;   in Loop: Header=BB83_20 Depth=1
	s_or_b64 exec, exec, s[6:7]
	s_waitcnt lgkmcnt(0)
	s_barrier
	s_and_saveexec_b64 s[6:7], s[48:49]
	s_cbranch_execz .LBB83_100
; %bb.70:                               ;   in Loop: Header=BB83_20 Depth=1
	s_andn2_b64 vcc, exec, s[52:53]
	v_mov_b32_e32 v1, 0
	s_cbranch_vccnz .LBB83_99
; %bb.71:                               ;   in Loop: Header=BB83_20 Depth=1
	v_readlane_b32 s10, v52, 21
	v_readlane_b32 s11, v52, 22
	s_andn2_b64 vcc, exec, s[10:11]
	s_cbranch_vccnz .LBB83_95
; %bb.72:                               ;   in Loop: Header=BB83_20 Depth=1
	v_lshl_add_u32 v2, s57, 8, v36
	s_mov_b32 s1, 0
	v_mov_b32_e32 v1, 0
.LBB83_73:                              ;   Parent Loop BB83_20 Depth=1
                                        ; =>  This Inner Loop Header: Depth=2
	ds_read2_b32 v[3:4], v2 offset1:4
	ds_read2_b32 v[5:6], v2 offset0:8 offset1:12
	ds_read2_b32 v[7:8], v2 offset0:16 offset1:20
	;; [unrolled: 1-line block ×3, first 2 shown]
	s_add_i32 s1, s1, 8
	s_waitcnt lgkmcnt(3)
	v_add3_u32 v1, v3, v1, v4
	s_waitcnt lgkmcnt(2)
	v_add3_u32 v1, v5, v1, v6
	;; [unrolled: 2-line block ×3, first 2 shown]
	v_add_u32_e32 v2, 0x80, v2
	s_cmp_eq_u32 s9, s1
	s_waitcnt lgkmcnt(0)
	v_add3_u32 v1, v9, v1, v10
	s_cbranch_scc0 .LBB83_73
; %bb.74:                               ;   in Loop: Header=BB83_20 Depth=1
	s_mov_b32 s1, s9
	s_branch .LBB83_96
.LBB83_75:                              ;   in Loop: Header=BB83_20 Depth=1
	v_mov_b32_e32 v1, 0
	v_mov_b32_e32 v2, 0
	;; [unrolled: 1-line block ×4, first 2 shown]
	s_and_saveexec_b64 s[30:31], s[16:17]
	s_cbranch_execz .LBB83_79
; %bb.76:                               ;   in Loop: Header=BB83_20 Depth=1
	s_mov_b32 s0, 0
	s_mov_b64 s[74:75], 0
	s_mov_b32 s1, 0
	s_mov_b32 s10, 0
	;; [unrolled: 1-line block ×4, first 2 shown]
	v_mov_b32_e32 v5, v18
.LBB83_77:                              ;   Parent Loop BB83_20 Depth=1
                                        ; =>  This Inner Loop Header: Depth=2
	v_add_u32_e32 v1, s0, v34
	global_load_sbyte v1, v1, s[44:45]
	v_add_u32_e32 v2, s0, v30
	global_load_sbyte v2, v2, s[44:45]
	;; [unrolled: 2-line block ×4, first 2 shown]
	v_add_u32_e32 v5, s40, v5
	s_add_i32 s0, s0, s21
	s_waitcnt vmcnt(3)
	v_add_u32_e32 v1, 0x80, v1
	v_and_b32_e32 v6, v1, v39
	s_waitcnt vmcnt(2)
	v_add_u32_e32 v2, 0x80, v2
	v_bfe_u32 v1, v1, v37, 2
	s_waitcnt vmcnt(1)
	v_add_u32_e32 v3, 0x80, v3
	v_cmp_eq_u32_e32 vcc, v6, v33
	v_and_b32_e32 v6, v2, v39
	v_bfe_u32 v2, v2, v37, 2
	v_cmp_eq_u32_e64 s[28:29], 0, v1
	s_waitcnt vmcnt(0)
	v_add_u32_e32 v4, 0x80, v4
	v_cmp_eq_u32_e64 s[6:7], v6, v33
	v_and_b32_e32 v6, v3, v39
	v_bfe_u32 v3, v3, v37, 2
	s_and_b64 s[14:15], vcc, s[28:29]
	v_cmp_eq_u32_e64 s[28:29], 0, v2
	v_cmp_eq_u32_e64 s[22:23], v6, v33
	v_and_b32_e32 v6, v4, v39
	v_bfe_u32 v4, v4, v37, 2
	s_and_b64 s[42:43], s[6:7], s[28:29]
	v_cmp_eq_u32_e64 s[28:29], 0, v3
	v_cmp_eq_u32_e64 s[26:27], v6, v33
	s_and_b64 s[46:47], s[22:23], s[28:29]
	v_cmp_eq_u32_e64 s[28:29], 0, v4
	v_cndmask_b32_e64 v6, 0, 1, s[14:15]
	s_and_b64 s[76:77], s[26:27], s[28:29]
	v_cmp_ne_u32_e64 s[28:29], 0, v6
	v_cndmask_b32_e64 v6, 0, 1, s[42:43]
	s_bcnt1_i32_b64 s14, s[28:29]
	v_cmp_ne_u32_e64 s[28:29], 0, v6
	v_cndmask_b32_e64 v6, 0, 1, s[46:47]
	s_bcnt1_i32_b64 s15, s[28:29]
	v_cmp_ne_u32_e64 s[28:29], 0, v6
	v_cndmask_b32_e64 v6, 0, 1, s[76:77]
	s_add_i32 s13, s13, s14
	s_bcnt1_i32_b64 s37, s[28:29]
	v_cmp_ne_u32_e64 s[28:29], 0, v6
	s_add_i32 s13, s13, s15
	s_bcnt1_i32_b64 s28, s[28:29]
	s_add_i32 s13, s13, s37
	s_add_i32 s13, s13, s28
	v_cmp_eq_u32_e64 s[28:29], 1, v1
	s_and_b64 s[14:15], vcc, s[28:29]
	v_cmp_eq_u32_e64 s[28:29], 1, v2
	s_and_b64 s[42:43], s[6:7], s[28:29]
	v_cmp_eq_u32_e64 s[28:29], 1, v3
	s_and_b64 s[46:47], s[22:23], s[28:29]
	v_cmp_eq_u32_e64 s[28:29], 1, v4
	v_cndmask_b32_e64 v6, 0, 1, s[14:15]
	s_and_b64 s[76:77], s[26:27], s[28:29]
	v_cmp_ne_u32_e64 s[28:29], 0, v6
	v_cndmask_b32_e64 v6, 0, 1, s[42:43]
	s_bcnt1_i32_b64 s14, s[28:29]
	v_cmp_ne_u32_e64 s[28:29], 0, v6
	v_cndmask_b32_e64 v6, 0, 1, s[46:47]
	s_bcnt1_i32_b64 s15, s[28:29]
	v_cmp_ne_u32_e64 s[28:29], 0, v6
	v_cndmask_b32_e64 v6, 0, 1, s[76:77]
	s_add_i32 s11, s11, s14
	s_bcnt1_i32_b64 s37, s[28:29]
	v_cmp_ne_u32_e64 s[28:29], 0, v6
	s_add_i32 s11, s11, s15
	s_bcnt1_i32_b64 s28, s[28:29]
	s_add_i32 s11, s11, s37
	s_add_i32 s11, s11, s28
	v_cmp_eq_u32_e64 s[28:29], 2, v1
	s_and_b64 s[14:15], vcc, s[28:29]
	v_cmp_eq_u32_e64 s[28:29], 2, v2
	s_and_b64 s[42:43], s[6:7], s[28:29]
	v_cmp_eq_u32_e64 s[28:29], 2, v3
	s_and_b64 s[46:47], s[22:23], s[28:29]
	v_cmp_eq_u32_e64 s[28:29], 2, v4
	v_cndmask_b32_e64 v6, 0, 1, s[14:15]
	s_and_b64 s[76:77], s[26:27], s[28:29]
	v_cmp_ne_u32_e64 s[28:29], 0, v6
	v_cndmask_b32_e64 v6, 0, 1, s[42:43]
	s_bcnt1_i32_b64 s14, s[28:29]
	v_cmp_ne_u32_e64 s[28:29], 0, v6
	v_cndmask_b32_e64 v6, 0, 1, s[46:47]
	s_bcnt1_i32_b64 s15, s[28:29]
	v_cmp_ne_u32_e64 s[28:29], 0, v6
	v_cndmask_b32_e64 v6, 0, 1, s[76:77]
	s_add_i32 s10, s10, s14
	s_bcnt1_i32_b64 s37, s[28:29]
	v_cmp_ne_u32_e64 s[28:29], 0, v6
	s_add_i32 s10, s10, s15
	s_bcnt1_i32_b64 s28, s[28:29]
	s_add_i32 s10, s10, s37
	s_add_i32 s10, s10, s28
	v_cmp_eq_u32_e64 s[28:29], 3, v1
	s_and_b64 s[14:15], vcc, s[28:29]
	v_cmp_eq_u32_e32 vcc, 3, v2
	s_and_b64 s[6:7], s[6:7], vcc
	v_cmp_eq_u32_e32 vcc, 3, v3
	s_and_b64 s[22:23], s[22:23], vcc
	v_cmp_eq_u32_e32 vcc, 3, v4
	v_cndmask_b32_e64 v1, 0, 1, s[14:15]
	s_and_b64 s[26:27], s[26:27], vcc
	v_cmp_ne_u32_e32 vcc, 0, v1
	v_cndmask_b32_e64 v1, 0, 1, s[6:7]
	s_bcnt1_i32_b64 s14, vcc
	v_cmp_ne_u32_e32 vcc, 0, v1
	v_cndmask_b32_e64 v1, 0, 1, s[22:23]
	s_bcnt1_i32_b64 s6, vcc
	v_cmp_ne_u32_e32 vcc, 0, v1
	v_cndmask_b32_e64 v1, 0, 1, s[26:27]
	s_add_i32 s1, s1, s14
	s_bcnt1_i32_b64 s7, vcc
	v_cmp_ne_u32_e32 vcc, 0, v1
	s_add_i32 s1, s1, s6
	s_bcnt1_i32_b64 s15, vcc
	s_add_i32 s1, s1, s7
	s_add_i32 s1, s1, s15
	v_cmp_le_u32_e32 vcc, s58, v5
	s_or_b64 s[74:75], vcc, s[74:75]
	v_mov_b32_e32 v1, s13
	v_mov_b32_e32 v2, s11
	;; [unrolled: 1-line block ×4, first 2 shown]
	s_andn2_b64 exec, exec, s[74:75]
	s_cbranch_execnz .LBB83_77
; %bb.78:                               ;   in Loop: Header=BB83_20 Depth=1
	s_or_b64 exec, exec, s[74:75]
.LBB83_79:                              ;   in Loop: Header=BB83_20 Depth=1
	s_or_b64 exec, exec, s[30:31]
	s_and_saveexec_b64 s[22:23], s[18:19]
	s_cbranch_execz .LBB83_85
; %bb.80:                               ;   in Loop: Header=BB83_20 Depth=1
	global_load_ubyte v8, v[15:16], off
	s_mov_b64 s[26:27], 0
	v_mov_b32_e32 v5, v35
	v_mov_b32_e32 v6, v28
	s_branch .LBB83_82
.LBB83_81:                              ;   in Loop: Header=BB83_82 Depth=2
	s_or_b64 exec, exec, s[10:11]
	s_waitcnt vmcnt(0)
	v_add_u32_sdwa v8, sext(v8), s50 dst_sel:DWORD dst_unused:UNUSED_PAD src0_sel:BYTE_0 src1_sel:DWORD
	s_and_b64 s[0:1], exec, vcc
	v_and_b32_e32 v9, v8, v39
	v_bfe_u32 v8, v8, v37, 2
	s_or_b64 s[26:27], s[0:1], s[26:27]
	v_cmp_eq_u32_e32 vcc, v9, v33
	v_cmp_eq_u32_e64 s[6:7], 0, v8
	s_and_b64 s[0:1], vcc, s[6:7]
	v_cndmask_b32_e64 v9, 0, 1, s[0:1]
	v_cmp_ne_u32_e64 s[6:7], 0, v9
	s_bcnt1_i32_b64 s0, s[6:7]
	v_cmp_eq_u32_e64 s[6:7], 1, v8
	v_add_u32_e32 v1, s0, v1
	s_and_b64 s[0:1], vcc, s[6:7]
	v_cndmask_b32_e64 v9, 0, 1, s[0:1]
	v_cmp_ne_u32_e64 s[6:7], 0, v9
	s_bcnt1_i32_b64 s0, s[6:7]
	v_cmp_eq_u32_e64 s[6:7], 2, v8
	v_add_u32_e32 v2, s0, v2
	;; [unrolled: 6-line block ×3, first 2 shown]
	s_and_b64 s[0:1], vcc, s[6:7]
	v_cndmask_b32_e64 v8, 0, 1, s[0:1]
	v_cmp_ne_u32_e32 vcc, 0, v8
	s_bcnt1_i32_b64 s0, vcc
	v_add_u32_e32 v4, s0, v4
	v_add_u32_e32 v5, s54, v5
	v_mov_b32_e32 v8, v7
	s_andn2_b64 exec, exec, s[26:27]
	s_cbranch_execz .LBB83_84
.LBB83_82:                              ;   Parent Loop BB83_20 Depth=1
                                        ; =>  This Inner Loop Header: Depth=2
	v_add_u32_e32 v6, s39, v6
	v_cmp_gt_u32_e64 s[6:7], s36, v6
	v_cmp_le_u32_e32 vcc, s36, v6
	v_mov_b32_e32 v7, 0
	s_and_saveexec_b64 s[10:11], s[6:7]
	s_cbranch_execz .LBB83_81
; %bb.83:                               ;   in Loop: Header=BB83_82 Depth=2
	global_load_ubyte v7, v5, s[44:45]
	s_branch .LBB83_81
.LBB83_84:                              ;   in Loop: Header=BB83_20 Depth=1
	s_or_b64 exec, exec, s[26:27]
.LBB83_85:                              ;   in Loop: Header=BB83_20 Depth=1
	s_or_b64 exec, exec, s[22:23]
	s_branch .LBB83_67
.LBB83_86:                              ;   in Loop: Header=BB83_20 Depth=1
	s_mul_hi_u32 s0, s12, s56
	s_mul_i32 s0, s0, s40
	s_sub_i32 s0, s12, s0
	s_sub_i32 s1, s0, s40
	s_cmp_ge_u32 s0, s40
	s_cselect_b32 s0, s1, s0
	s_sub_i32 s1, s0, s40
	s_cmp_ge_u32 s0, s40
	s_cselect_b32 s0, s1, s0
	s_sub_i32 s0, s12, s0
	v_cmp_gt_u32_e32 vcc, s0, v18
	v_mov_b32_e32 v1, 0
	v_mov_b32_e32 v2, 0
	;; [unrolled: 1-line block ×4, first 2 shown]
	s_and_saveexec_b64 s[30:31], vcc
	s_cbranch_execz .LBB83_90
; %bb.87:                               ;   in Loop: Header=BB83_20 Depth=1
	s_mov_b32 s1, 0
	s_mov_b64 s[74:75], 0
	s_mov_b32 s10, 0
	s_mov_b32 s11, 0
	s_mov_b32 s13, 0
	v_mov_b32_e32 v5, v18
.LBB83_88:                              ;   Parent Loop BB83_20 Depth=1
                                        ; =>  This Inner Loop Header: Depth=2
	ds_read_b32 v1, v5
	v_add_u32_e32 v5, s40, v5
	s_waitcnt lgkmcnt(0)
	v_add_u32_sdwa v2, sext(v1), s50 dst_sel:DWORD dst_unused:UNUSED_PAD src0_sel:BYTE_0 src1_sel:DWORD
	v_add_u32_sdwa v3, sext(v1), s50 dst_sel:DWORD dst_unused:UNUSED_PAD src0_sel:BYTE_1 src1_sel:DWORD
	v_and_b32_e32 v6, v2, v39
	v_bfe_u32 v2, v2, v37, 2
	v_add_u32_sdwa v4, sext(v1), s50 dst_sel:DWORD dst_unused:UNUSED_PAD src0_sel:BYTE_2 src1_sel:DWORD
	v_cmp_eq_u32_e32 vcc, v6, v33
	v_and_b32_e32 v6, v3, v39
	v_bfe_u32 v3, v3, v37, 2
	v_cmp_eq_u32_e64 s[28:29], 0, v2
	v_add_u32_sdwa v1, sext(v1), s50 dst_sel:DWORD dst_unused:UNUSED_PAD src0_sel:BYTE_3 src1_sel:DWORD
	v_cmp_eq_u32_e64 s[6:7], v6, v33
	v_and_b32_e32 v6, v4, v39
	v_bfe_u32 v4, v4, v37, 2
	s_and_b64 s[14:15], vcc, s[28:29]
	v_cmp_eq_u32_e64 s[28:29], 0, v3
	v_cmp_eq_u32_e64 s[22:23], v6, v33
	v_and_b32_e32 v6, v1, v39
	v_bfe_u32 v1, v1, v37, 2
	s_and_b64 s[42:43], s[6:7], s[28:29]
	v_cmp_eq_u32_e64 s[28:29], 0, v4
	v_cmp_eq_u32_e64 s[26:27], v6, v33
	s_and_b64 s[46:47], s[22:23], s[28:29]
	v_cmp_eq_u32_e64 s[28:29], 0, v1
	v_cndmask_b32_e64 v6, 0, 1, s[14:15]
	s_and_b64 s[76:77], s[26:27], s[28:29]
	v_cmp_ne_u32_e64 s[28:29], 0, v6
	v_cndmask_b32_e64 v6, 0, 1, s[42:43]
	s_bcnt1_i32_b64 s14, s[28:29]
	v_cmp_ne_u32_e64 s[28:29], 0, v6
	v_cndmask_b32_e64 v6, 0, 1, s[46:47]
	s_bcnt1_i32_b64 s15, s[28:29]
	v_cmp_ne_u32_e64 s[28:29], 0, v6
	v_cndmask_b32_e64 v6, 0, 1, s[76:77]
	s_add_i32 s13, s13, s14
	s_bcnt1_i32_b64 s37, s[28:29]
	v_cmp_ne_u32_e64 s[28:29], 0, v6
	s_add_i32 s13, s13, s15
	s_bcnt1_i32_b64 s28, s[28:29]
	s_add_i32 s13, s13, s37
	s_add_i32 s13, s13, s28
	v_cmp_eq_u32_e64 s[28:29], 1, v2
	s_and_b64 s[14:15], vcc, s[28:29]
	v_cmp_eq_u32_e64 s[28:29], 1, v3
	s_and_b64 s[42:43], s[6:7], s[28:29]
	v_cmp_eq_u32_e64 s[28:29], 1, v4
	s_and_b64 s[46:47], s[22:23], s[28:29]
	v_cmp_eq_u32_e64 s[28:29], 1, v1
	v_cndmask_b32_e64 v6, 0, 1, s[14:15]
	s_and_b64 s[76:77], s[26:27], s[28:29]
	v_cmp_ne_u32_e64 s[28:29], 0, v6
	v_cndmask_b32_e64 v6, 0, 1, s[42:43]
	s_bcnt1_i32_b64 s14, s[28:29]
	v_cmp_ne_u32_e64 s[28:29], 0, v6
	v_cndmask_b32_e64 v6, 0, 1, s[46:47]
	s_bcnt1_i32_b64 s15, s[28:29]
	v_cmp_ne_u32_e64 s[28:29], 0, v6
	v_cndmask_b32_e64 v6, 0, 1, s[76:77]
	s_add_i32 s11, s11, s14
	s_bcnt1_i32_b64 s37, s[28:29]
	v_cmp_ne_u32_e64 s[28:29], 0, v6
	s_add_i32 s11, s11, s15
	s_bcnt1_i32_b64 s28, s[28:29]
	s_add_i32 s11, s11, s37
	s_add_i32 s11, s11, s28
	v_cmp_eq_u32_e64 s[28:29], 2, v2
	s_and_b64 s[14:15], vcc, s[28:29]
	v_cmp_eq_u32_e64 s[28:29], 2, v3
	s_and_b64 s[42:43], s[6:7], s[28:29]
	v_cmp_eq_u32_e64 s[28:29], 2, v4
	s_and_b64 s[46:47], s[22:23], s[28:29]
	v_cmp_eq_u32_e64 s[28:29], 2, v1
	v_cndmask_b32_e64 v6, 0, 1, s[14:15]
	s_and_b64 s[76:77], s[26:27], s[28:29]
	v_cmp_ne_u32_e64 s[28:29], 0, v6
	v_cndmask_b32_e64 v6, 0, 1, s[42:43]
	s_bcnt1_i32_b64 s14, s[28:29]
	v_cmp_ne_u32_e64 s[28:29], 0, v6
	v_cndmask_b32_e64 v6, 0, 1, s[46:47]
	s_bcnt1_i32_b64 s15, s[28:29]
	v_cmp_ne_u32_e64 s[28:29], 0, v6
	v_cndmask_b32_e64 v6, 0, 1, s[76:77]
	s_add_i32 s10, s10, s14
	s_bcnt1_i32_b64 s37, s[28:29]
	v_cmp_ne_u32_e64 s[28:29], 0, v6
	s_add_i32 s10, s10, s15
	s_bcnt1_i32_b64 s28, s[28:29]
	s_add_i32 s10, s10, s37
	s_add_i32 s10, s10, s28
	v_cmp_eq_u32_e64 s[28:29], 3, v2
	s_and_b64 s[14:15], vcc, s[28:29]
	v_cmp_eq_u32_e32 vcc, 3, v3
	s_and_b64 s[6:7], s[6:7], vcc
	v_cmp_eq_u32_e32 vcc, 3, v4
	s_and_b64 s[22:23], s[22:23], vcc
	v_cmp_eq_u32_e32 vcc, 3, v1
	v_cndmask_b32_e64 v1, 0, 1, s[14:15]
	s_and_b64 s[26:27], s[26:27], vcc
	v_cmp_ne_u32_e32 vcc, 0, v1
	v_cndmask_b32_e64 v1, 0, 1, s[6:7]
	s_bcnt1_i32_b64 s14, vcc
	v_cmp_ne_u32_e32 vcc, 0, v1
	v_cndmask_b32_e64 v1, 0, 1, s[22:23]
	s_bcnt1_i32_b64 s6, vcc
	v_cmp_ne_u32_e32 vcc, 0, v1
	v_cndmask_b32_e64 v1, 0, 1, s[26:27]
	s_add_i32 s1, s1, s14
	s_bcnt1_i32_b64 s7, vcc
	v_cmp_ne_u32_e32 vcc, 0, v1
	s_add_i32 s1, s1, s6
	s_bcnt1_i32_b64 s15, vcc
	s_add_i32 s1, s1, s7
	s_add_i32 s1, s1, s15
	v_cmp_le_u32_e32 vcc, s0, v5
	s_or_b64 s[74:75], vcc, s[74:75]
	v_mov_b32_e32 v1, s13
	v_mov_b32_e32 v2, s11
	;; [unrolled: 1-line block ×4, first 2 shown]
	s_andn2_b64 exec, exec, s[74:75]
	s_cbranch_execnz .LBB83_88
; %bb.89:                               ;   in Loop: Header=BB83_20 Depth=1
	s_or_b64 exec, exec, s[74:75]
.LBB83_90:                              ;   in Loop: Header=BB83_20 Depth=1
	s_or_b64 exec, exec, s[30:31]
	v_add_u32_e32 v5, s0, v0
	v_cmp_gt_u32_e32 vcc, s12, v5
	s_and_saveexec_b64 s[42:43], vcc
	s_cbranch_execz .LBB83_94
; %bb.91:                               ;   in Loop: Header=BB83_20 Depth=1
	s_mov_b64 s[46:47], 0
.LBB83_92:                              ;   Parent Loop BB83_20 Depth=1
                                        ; =>  This Inner Loop Header: Depth=2
	ds_read_i8 v6, v5
	v_add_u32_e32 v5, s39, v5
	v_cmp_le_u32_e32 vcc, s12, v5
	s_waitcnt lgkmcnt(0)
	v_add_u32_e32 v6, 0x80, v6
	v_and_b32_e32 v7, v6, v39
	v_bfe_u32 v6, v6, v37, 2
	v_cmp_eq_u32_e64 s[6:7], v7, v33
	v_cmp_eq_u32_e64 s[22:23], 0, v6
	;; [unrolled: 1-line block ×3, first 2 shown]
	s_and_b64 s[0:1], s[6:7], s[22:23]
	v_cmp_eq_u32_e64 s[28:29], 2, v6
	v_cmp_eq_u32_e64 s[30:31], 3, v6
	v_cndmask_b32_e64 v6, 0, 1, s[0:1]
	s_and_b64 s[0:1], s[6:7], s[26:27]
	v_cndmask_b32_e64 v7, 0, 1, s[0:1]
	s_and_b64 s[0:1], s[6:7], s[28:29]
	;; [unrolled: 2-line block ×3, first 2 shown]
	v_cndmask_b32_e64 v9, 0, 1, s[0:1]
	v_cmp_ne_u32_e64 s[6:7], 0, v6
	v_cmp_ne_u32_e64 s[22:23], 0, v7
	;; [unrolled: 1-line block ×4, first 2 shown]
	s_bcnt1_i32_b64 s0, s[6:7]
	s_bcnt1_i32_b64 s1, s[22:23]
	;; [unrolled: 1-line block ×4, first 2 shown]
	v_add_u32_e32 v1, s0, v1
	v_add_u32_e32 v2, s1, v2
	;; [unrolled: 1-line block ×3, first 2 shown]
	s_or_b64 s[46:47], vcc, s[46:47]
	v_add_u32_e32 v4, s7, v4
	s_andn2_b64 exec, exec, s[46:47]
	s_cbranch_execnz .LBB83_92
; %bb.93:                               ;   in Loop: Header=BB83_20 Depth=1
	s_or_b64 exec, exec, s[46:47]
.LBB83_94:                              ;   in Loop: Header=BB83_20 Depth=1
	s_or_b64 exec, exec, s[42:43]
	s_lshl_b32 s0, s57, 6
	s_and_saveexec_b64 s[6:7], s[4:5]
	s_cbranch_execnz .LBB83_68
	s_branch .LBB83_69
.LBB83_95:                              ;   in Loop: Header=BB83_20 Depth=1
	v_mov_b32_e32 v1, 0
	s_mov_b32 s1, 0
.LBB83_96:                              ;   in Loop: Header=BB83_20 Depth=1
	v_readlane_b32 s10, v52, 24
	v_readlane_b32 s11, v52, 25
	s_andn2_b64 vcc, exec, s[10:11]
	s_cbranch_vccnz .LBB83_99
; %bb.97:                               ;   in Loop: Header=BB83_20 Depth=1
	s_lshl_b32 s10, s57, 8
	s_lshl_b32 s1, s1, 4
	s_add_i32 s10, s10, s1
	v_add_u32_e32 v2, s10, v36
	v_readlane_b32 s1, v52, 23
.LBB83_98:                              ;   Parent Loop BB83_20 Depth=1
                                        ; =>  This Inner Loop Header: Depth=2
	ds_read_b32 v3, v2
	s_add_i32 s1, s1, -1
	v_add_u32_e32 v2, 16, v2
	s_cmp_lg_u32 s1, 0
	s_waitcnt lgkmcnt(0)
	v_add_u32_e32 v1, v3, v1
	s_cbranch_scc1 .LBB83_98
.LBB83_99:                              ;   in Loop: Header=BB83_20 Depth=1
	v_add_lshl_u32 v2, s0, v19, 2
	ds_write_b32 v2, v1 offset:3072
.LBB83_100:                             ;   in Loop: Header=BB83_20 Depth=1
	s_or_b64 exec, exec, s[6:7]
	s_lshl_b32 s0, s0, 2
	v_mov_b32_e32 v1, s0
	s_waitcnt lgkmcnt(0)
	s_barrier
	ds_read_b128 v[1:4], v1 offset:3072
	v_cmp_eq_u32_e32 vcc, 1, v41
	s_mov_b64 s[22:23], -1
	s_mov_b64 s[10:11], -1
                                        ; implicit-def: $sgpr30_sgpr31
                                        ; implicit-def: $sgpr28_sgpr29
	s_waitcnt lgkmcnt(0)
	v_readfirstlane_b32 s15, v1
	s_cmp_eq_u32 s15, 1
	v_lshlrev_b32_e64 v1, v37, 3
	s_cselect_b64 s[6:7], -1, 0
	v_readfirstlane_b32 s14, v2
	v_readfirstlane_b32 s1, v3
	;; [unrolled: 1-line block ×3, first 2 shown]
	v_not_b32_e32 v3, v1
	s_and_b64 s[26:27], s[6:7], vcc
	s_and_saveexec_b64 s[6:7], s[26:27]
	s_cbranch_execz .LBB83_126
; %bb.101:                              ;   in Loop: Header=BB83_20 Depth=1
	ds_read_b32 v2, v20 offset:4104
	s_waitcnt lgkmcnt(0)
	s_barrier
	v_readfirstlane_b32 s78, v2
	s_and_saveexec_b64 s[10:11], s[24:25]
; %bb.102:                              ;   in Loop: Header=BB83_20 Depth=1
	ds_write_b8 v0, v20 offset:3072
; %bb.103:                              ;   in Loop: Header=BB83_20 Depth=1
	s_or_b64 exec, exec, s[10:11]
	v_and_b32_e32 v33, v33, v3
	v_or_b32_e32 v39, v39, v1
	s_mov_b64 s[28:29], -1
	s_mov_b64 s[30:31], 0
	s_cmp_eq_u32 s78, 0
	s_mov_b64 s[74:75], 0
	s_mov_b64 s[76:77], -1
	s_waitcnt lgkmcnt(0)
	s_barrier
                                        ; implicit-def: $vgpr40
	s_cbranch_scc1 .LBB83_114
; %bb.104:                              ;   in Loop: Header=BB83_20 Depth=1
	v_readlane_b32 s10, v52, 8
	s_add_i32 s10, s78, s10
	s_mul_hi_u32 s11, s10, s59
	s_mul_i32 s11, s11, s39
	s_sub_i32 s11, s10, s11
	s_sub_i32 s12, s11, s39
	s_cmp_ge_u32 s11, s39
	s_cselect_b32 s11, s12, s11
	s_sub_i32 s12, s11, s39
	s_cmp_ge_u32 s11, s39
	s_cselect_b32 s11, s12, s11
	s_sub_i32 s37, s10, s11
	v_cmp_gt_u32_e32 vcc, s37, v0
	s_mov_b64 s[76:77], 0
                                        ; implicit-def: $vgpr40
	s_and_saveexec_b64 s[42:43], vcc
	s_cbranch_execz .LBB83_113
; %bb.105:                              ;   in Loop: Header=BB83_20 Depth=1
	s_mov_b64 s[46:47], 0
	v_mov_b32_e32 v2, v0
                                        ; implicit-def: $sgpr10_sgpr11
	s_branch .LBB83_108
.LBB83_106:                             ;   in Loop: Header=BB83_108 Depth=2
	s_or_b64 exec, exec, s[12:13]
	s_waitcnt lgkmcnt(0)
	s_barrier
	ds_read_u16 v4, v20 offset:3072
	s_mov_b64 s[12:13], -1
	s_waitcnt lgkmcnt(0)
	s_barrier
	v_cmp_ne_u32_sdwa s[74:75], v4, v20 src0_sel:BYTE_0 src1_sel:DWORD
	s_and_b64 vcc, exec, s[74:75]
	s_mov_b64 s[74:75], -1
	s_cbranch_vccz .LBB83_111
.LBB83_107:                             ;   in Loop: Header=BB83_108 Depth=2
	s_and_b64 s[12:13], exec, s[12:13]
	s_or_b64 s[46:47], s[12:13], s[46:47]
	s_andn2_b64 s[10:11], s[10:11], exec
	s_and_b64 s[12:13], s[74:75], exec
	s_or_b64 s[10:11], s[10:11], s[12:13]
	s_andn2_b64 exec, exec, s[46:47]
	s_cbranch_execz .LBB83_112
.LBB83_108:                             ;   Parent Loop BB83_20 Depth=1
                                        ; =>  This Inner Loop Header: Depth=2
	v_cmp_gt_u32_e32 vcc, s78, v2
	s_and_saveexec_b64 s[12:13], vcc
	s_cbranch_execz .LBB83_106
; %bb.109:                              ;   in Loop: Header=BB83_108 Depth=2
	ds_read_u8 v4, v2
	s_waitcnt lgkmcnt(0)
	v_add_u32_sdwa v5, sext(v4), s50 dst_sel:DWORD dst_unused:UNUSED_PAD src0_sel:BYTE_0 src1_sel:DWORD
	v_and_b32_e32 v5, v5, v39
	v_cmp_eq_u32_e32 vcc, v5, v33
	s_and_b64 exec, exec, vcc
	s_cbranch_execz .LBB83_106
; %bb.110:                              ;   in Loop: Header=BB83_108 Depth=2
	v_lshlrev_b16_e32 v4, 8, v4
	v_or_b32_e32 v4, 1, v4
	ds_write_b16 v20, v4 offset:3072
	s_branch .LBB83_106
.LBB83_111:                             ;   in Loop: Header=BB83_108 Depth=2
	v_add_u32_e32 v2, s39, v2
	v_cmp_le_u32_e32 vcc, s37, v2
	s_mov_b64 s[74:75], 0
	s_orn2_b64 s[12:13], vcc, exec
	s_branch .LBB83_107
.LBB83_112:                             ;   in Loop: Header=BB83_20 Depth=1
	s_or_b64 exec, exec, s[46:47]
	v_lshrrev_b32_sdwa v40, v38, v4 dst_sel:DWORD dst_unused:UNUSED_PAD src0_sel:DWORD src1_sel:WORD_0
	s_and_b64 s[74:75], s[10:11], exec
.LBB83_113:                             ;   in Loop: Header=BB83_20 Depth=1
	s_or_b64 exec, exec, s[42:43]
.LBB83_114:                             ;   in Loop: Header=BB83_20 Depth=1
	s_and_b64 vcc, exec, s[76:77]
	s_cbranch_vccz .LBB83_125
; %bb.115:                              ;   in Loop: Header=BB83_20 Depth=1
                                        ; implicit-def: $vgpr40
	s_mov_b64 s[28:29], exec
	v_readlane_b32 s10, v52, 26
	v_readlane_b32 s11, v52, 27
	s_and_b64 s[10:11], s[28:29], s[10:11]
	s_mov_b64 exec, s[10:11]
	s_cbranch_execz .LBB83_124
; %bb.116:                              ;   in Loop: Header=BB83_20 Depth=1
	s_mov_b64 s[30:31], 0
	v_mov_b32_e32 v2, v17
	v_mov_b32_e32 v4, v0
                                        ; implicit-def: $sgpr42_sgpr43
	s_branch .LBB83_119
.LBB83_117:                             ;   in Loop: Header=BB83_119 Depth=2
	s_or_b64 exec, exec, s[10:11]
	s_waitcnt lgkmcnt(0)
	s_barrier
	ds_read_u16 v5, v20 offset:3072
	s_mov_b64 s[10:11], -1
	s_waitcnt lgkmcnt(0)
	s_barrier
	v_cmp_ne_u32_sdwa s[12:13], v5, v20 src0_sel:BYTE_0 src1_sel:DWORD
	s_and_b64 vcc, exec, s[12:13]
	s_mov_b64 s[12:13], -1
	s_cbranch_vccz .LBB83_122
.LBB83_118:                             ;   in Loop: Header=BB83_119 Depth=2
	s_and_b64 s[10:11], exec, s[10:11]
	s_or_b64 s[30:31], s[10:11], s[30:31]
	s_andn2_b64 s[10:11], s[42:43], exec
	s_and_b64 s[12:13], s[12:13], exec
	s_or_b64 s[42:43], s[10:11], s[12:13]
	s_andn2_b64 exec, exec, s[30:31]
	s_cbranch_execz .LBB83_123
.LBB83_119:                             ;   Parent Loop BB83_20 Depth=1
                                        ; =>  This Inner Loop Header: Depth=2
	v_cmp_gt_u32_e32 vcc, s36, v4
	s_and_saveexec_b64 s[10:11], vcc
	s_cbranch_execz .LBB83_117
; %bb.120:                              ;   in Loop: Header=BB83_119 Depth=2
	global_load_ubyte v5, v2, s[44:45]
	s_waitcnt vmcnt(0)
	v_add_u32_sdwa v6, sext(v5), s50 dst_sel:DWORD dst_unused:UNUSED_PAD src0_sel:BYTE_0 src1_sel:DWORD
	v_and_b32_e32 v6, v6, v39
	v_cmp_eq_u32_e32 vcc, v6, v33
	s_and_b64 exec, exec, vcc
	s_cbranch_execz .LBB83_117
; %bb.121:                              ;   in Loop: Header=BB83_119 Depth=2
	v_lshlrev_b16_e32 v5, 8, v5
	v_or_b32_e32 v5, 1, v5
	ds_write_b16 v20, v5 offset:3072
	s_branch .LBB83_117
.LBB83_122:                             ;   in Loop: Header=BB83_119 Depth=2
	v_add_u32_e32 v4, s39, v4
	v_cmp_le_u32_e32 vcc, s20, v4
	v_add_u32_e32 v2, s54, v2
	s_mov_b64 s[12:13], 0
	s_orn2_b64 s[10:11], vcc, exec
	s_branch .LBB83_118
.LBB83_123:                             ;   in Loop: Header=BB83_20 Depth=1
	s_or_b64 exec, exec, s[30:31]
	s_andn2_b64 s[10:11], s[74:75], exec
	s_and_b64 s[12:13], s[42:43], exec
	v_lshrrev_b32_sdwa v40, v38, v5 dst_sel:DWORD dst_unused:UNUSED_PAD src0_sel:DWORD src1_sel:WORD_0
	s_or_b64 s[74:75], s[10:11], s[12:13]
.LBB83_124:                             ;   in Loop: Header=BB83_20 Depth=1
	s_or_b64 exec, exec, s[28:29]
	s_mov_b64 s[28:29], 0
	s_mov_b64 s[30:31], -1
.LBB83_125:                             ;   in Loop: Header=BB83_20 Depth=1
	s_orn2_b64 s[10:11], s[74:75], exec
.LBB83_126:                             ;   in Loop: Header=BB83_20 Depth=1
	s_or_b64 exec, exec, s[6:7]
	s_andn2_b64 s[6:7], s[72:73], exec
	s_and_b64 s[12:13], s[30:31], exec
	s_or_b64 s[72:73], s[6:7], s[12:13]
	s_andn2_b64 s[6:7], s[70:71], exec
	s_and_b64 s[12:13], s[28:29], exec
	v_readfirstlane_b32 s42, v0
	s_andn2_b64 s[68:69], s[68:69], exec
	s_or_b64 s[70:71], s[6:7], s[12:13]
                                        ; implicit-def: $vgpr4
	s_and_saveexec_b64 s[6:7], s[10:11]
	s_cbranch_execz .LBB83_19
; %bb.127:                              ;   in Loop: Header=BB83_20 Depth=1
	s_xor_b64 s[10:11], s[26:27], -1
	s_mov_b64 s[26:27], 0
	v_mov_b32_e32 v4, 1
	v_mov_b32_e32 v2, 1
	s_and_saveexec_b64 s[22:23], s[10:11]
	s_cbranch_execz .LBB83_133
; %bb.128:                              ;   in Loop: Header=BB83_20 Depth=1
	v_cmp_ge_u32_e32 vcc, s15, v41
	s_and_saveexec_b64 s[10:11], vcc
	s_xor_b64 s[10:11], exec, s[10:11]
	s_cbranch_execz .LBB83_130
; %bb.129:                              ;   in Loop: Header=BB83_20 Depth=1
	ds_read_b32 v2, v20 offset:4104
	v_and_b32_e32 v33, v33, v3
	v_or_b32_e32 v39, v39, v1
	s_waitcnt lgkmcnt(0)
	v_cmp_ne_u32_e32 vcc, 0, v2
	s_cbranch_vccz .LBB83_146
.LBB83_130:                             ;   in Loop: Header=BB83_20 Depth=1
	s_or_saveexec_b64 s[10:11], s[10:11]
	v_mov_b32_e32 v2, 8
	s_xor_b64 exec, exec, s[10:11]
.LBB83_131:                             ;   in Loop: Header=BB83_20 Depth=1
	s_mov_b64 s[26:27], exec
	v_subrev_u32_e32 v41, s15, v41
	v_mov_b32_e32 v2, 0
.LBB83_132:                             ;   in Loop: Header=BB83_20 Depth=1
	s_or_b64 exec, exec, s[10:11]
	s_and_b64 s[26:27], s[26:27], exec
	v_mov_b32_e32 v4, v41
.LBB83_133:                             ;   in Loop: Header=BB83_20 Depth=1
	s_or_b64 exec, exec, s[22:23]
	s_mov_b64 s[22:23], -1
	s_mov_b64 s[10:11], -1
                                        ; implicit-def: $sgpr28_sgpr29
                                        ; implicit-def: $sgpr30_sgpr31
	s_and_saveexec_b64 s[12:13], s[26:27]
	s_xor_b64 s[26:27], exec, s[12:13]
	s_cbranch_execz .LBB83_253
; %bb.134:                              ;   in Loop: Header=BB83_20 Depth=1
	s_cmp_eq_u32 s14, 1
	s_cselect_b64 s[10:11], -1, 0
	v_cmp_eq_u32_e32 vcc, 1, v4
	s_and_b64 s[76:77], s[10:11], vcc
	s_mov_b64 s[10:11], -1
                                        ; implicit-def: $sgpr30_sgpr31
                                        ; implicit-def: $sgpr28_sgpr29
	s_and_saveexec_b64 s[74:75], s[76:77]
	s_cbranch_execz .LBB83_163
; %bb.135:                              ;   in Loop: Header=BB83_20 Depth=1
	ds_read_b32 v5, v20 offset:4104
	s_waitcnt lgkmcnt(0)
	s_barrier
	v_readfirstlane_b32 s15, v5
	s_and_saveexec_b64 s[10:11], s[24:25]
; %bb.136:                              ;   in Loop: Header=BB83_20 Depth=1
	ds_write_b8 v0, v20 offset:3072
; %bb.137:                              ;   in Loop: Header=BB83_20 Depth=1
	s_or_b64 exec, exec, s[10:11]
	v_and_b32_e32 v5, v33, v3
	v_lshl_or_b32 v33, 1, v37, v5
	v_or_b32_e32 v39, v39, v1
	s_mov_b64 s[28:29], -1
	s_mov_b64 s[30:31], 0
	s_cmp_eq_u32 s15, 0
	s_mov_b64 s[78:79], 0
	s_mov_b64 s[80:81], -1
	s_waitcnt lgkmcnt(0)
	s_barrier
                                        ; implicit-def: $vgpr40
	s_cbranch_scc1 .LBB83_151
; %bb.138:                              ;   in Loop: Header=BB83_20 Depth=1
	v_readlane_b32 s10, v52, 8
	s_add_i32 s10, s15, s10
	s_mul_hi_u32 s11, s10, s59
	s_mul_i32 s11, s11, s39
	s_sub_i32 s11, s10, s11
	s_sub_i32 s12, s11, s39
	s_cmp_ge_u32 s11, s39
	s_cselect_b32 s11, s12, s11
	s_sub_i32 s12, s11, s39
	s_cmp_ge_u32 s11, s39
	s_cselect_b32 s11, s12, s11
	s_sub_i32 s82, s10, s11
	v_cmp_gt_u32_e32 vcc, s82, v0
	s_mov_b64 s[80:81], 0
                                        ; implicit-def: $vgpr40
	s_and_saveexec_b64 s[42:43], vcc
	s_cbranch_execz .LBB83_150
; %bb.139:                              ;   in Loop: Header=BB83_20 Depth=1
	s_mov_b64 s[46:47], 0
	v_mov_b32_e32 v5, v0
                                        ; implicit-def: $sgpr78_sgpr79
	s_branch .LBB83_142
.LBB83_140:                             ;   in Loop: Header=BB83_142 Depth=2
	s_or_b64 exec, exec, s[10:11]
	s_waitcnt lgkmcnt(0)
	s_barrier
	ds_read_u16 v6, v20 offset:3072
	s_mov_b64 s[10:11], -1
	s_waitcnt lgkmcnt(0)
	s_barrier
	v_cmp_ne_u32_sdwa s[12:13], v6, v20 src0_sel:BYTE_0 src1_sel:DWORD
	s_and_b64 vcc, exec, s[12:13]
	s_mov_b64 s[12:13], -1
	s_cbranch_vccz .LBB83_145
.LBB83_141:                             ;   in Loop: Header=BB83_142 Depth=2
	s_and_b64 s[10:11], exec, s[10:11]
	s_or_b64 s[46:47], s[10:11], s[46:47]
	s_andn2_b64 s[10:11], s[78:79], exec
	s_and_b64 s[12:13], s[12:13], exec
	s_or_b64 s[78:79], s[10:11], s[12:13]
	s_andn2_b64 exec, exec, s[46:47]
	s_cbranch_execz .LBB83_149
.LBB83_142:                             ;   Parent Loop BB83_20 Depth=1
                                        ; =>  This Inner Loop Header: Depth=2
	v_cmp_gt_u32_e32 vcc, s15, v5
	s_and_saveexec_b64 s[10:11], vcc
	s_cbranch_execz .LBB83_140
; %bb.143:                              ;   in Loop: Header=BB83_142 Depth=2
	ds_read_u8 v6, v5
	s_waitcnt lgkmcnt(0)
	v_add_u32_sdwa v7, sext(v6), s50 dst_sel:DWORD dst_unused:UNUSED_PAD src0_sel:BYTE_0 src1_sel:DWORD
	v_and_b32_e32 v7, v7, v39
	v_cmp_eq_u32_e32 vcc, v7, v33
	s_and_b64 exec, exec, vcc
	s_cbranch_execz .LBB83_140
; %bb.144:                              ;   in Loop: Header=BB83_142 Depth=2
	v_lshlrev_b16_e32 v6, 8, v6
	v_or_b32_e32 v6, 1, v6
	ds_write_b16 v20, v6 offset:3072
	s_branch .LBB83_140
.LBB83_145:                             ;   in Loop: Header=BB83_142 Depth=2
	v_add_u32_e32 v5, s39, v5
	v_cmp_le_u32_e32 vcc, s82, v5
	s_mov_b64 s[12:13], 0
	s_orn2_b64 s[10:11], vcc, exec
	s_branch .LBB83_141
.LBB83_146:                             ;   in Loop: Header=BB83_20 Depth=1
	s_and_saveexec_b64 s[12:13], s[90:91]
; %bb.147:                              ;   in Loop: Header=BB83_20 Depth=1
	v_mov_b32_e32 v2, s15
	ds_write_b32 v20, v2 offset:4108
; %bb.148:                              ;   in Loop: Header=BB83_20 Depth=1
	s_or_b64 exec, exec, s[12:13]
	s_waitcnt lgkmcnt(0)
	s_barrier
	s_or_saveexec_b64 s[10:11], s[10:11]
	v_mov_b32_e32 v2, 8
	s_xor_b64 exec, exec, s[10:11]
	s_cbranch_execnz .LBB83_131
	s_branch .LBB83_132
.LBB83_149:                             ;   in Loop: Header=BB83_20 Depth=1
	s_or_b64 exec, exec, s[46:47]
	v_lshrrev_b32_sdwa v40, v38, v6 dst_sel:DWORD dst_unused:UNUSED_PAD src0_sel:DWORD src1_sel:WORD_0
	s_and_b64 s[78:79], s[78:79], exec
.LBB83_150:                             ;   in Loop: Header=BB83_20 Depth=1
	s_or_b64 exec, exec, s[42:43]
.LBB83_151:                             ;   in Loop: Header=BB83_20 Depth=1
	s_and_b64 vcc, exec, s[80:81]
	s_cbranch_vccz .LBB83_162
; %bb.152:                              ;   in Loop: Header=BB83_20 Depth=1
                                        ; implicit-def: $vgpr40
	s_mov_b64 s[28:29], exec
	v_readlane_b32 s10, v52, 26
	v_readlane_b32 s11, v52, 27
	s_and_b64 s[10:11], s[28:29], s[10:11]
	s_mov_b64 exec, s[10:11]
	s_cbranch_execz .LBB83_161
; %bb.153:                              ;   in Loop: Header=BB83_20 Depth=1
	s_mov_b64 s[30:31], 0
	v_mov_b32_e32 v5, v17
	v_mov_b32_e32 v6, v0
                                        ; implicit-def: $sgpr42_sgpr43
	s_branch .LBB83_156
.LBB83_154:                             ;   in Loop: Header=BB83_156 Depth=2
	s_or_b64 exec, exec, s[10:11]
	s_waitcnt lgkmcnt(0)
	s_barrier
	ds_read_u16 v7, v20 offset:3072
	s_mov_b64 s[10:11], -1
	s_waitcnt lgkmcnt(0)
	s_barrier
	v_cmp_eq_u32_sdwa s[12:13], v7, v20 src0_sel:BYTE_0 src1_sel:DWORD
	s_and_b64 vcc, exec, s[12:13]
	s_mov_b64 s[12:13], -1
	s_cbranch_vccnz .LBB83_159
.LBB83_155:                             ;   in Loop: Header=BB83_156 Depth=2
	s_and_b64 s[10:11], exec, s[10:11]
	s_or_b64 s[30:31], s[10:11], s[30:31]
	s_andn2_b64 s[10:11], s[42:43], exec
	s_and_b64 s[12:13], s[12:13], exec
	s_or_b64 s[42:43], s[10:11], s[12:13]
	s_andn2_b64 exec, exec, s[30:31]
	s_cbranch_execz .LBB83_160
.LBB83_156:                             ;   Parent Loop BB83_20 Depth=1
                                        ; =>  This Inner Loop Header: Depth=2
	v_cmp_gt_u32_e32 vcc, s36, v6
	s_and_saveexec_b64 s[10:11], vcc
	s_cbranch_execz .LBB83_154
; %bb.157:                              ;   in Loop: Header=BB83_156 Depth=2
	global_load_ubyte v7, v5, s[44:45]
	s_waitcnt vmcnt(0)
	v_add_u32_sdwa v8, sext(v7), s50 dst_sel:DWORD dst_unused:UNUSED_PAD src0_sel:BYTE_0 src1_sel:DWORD
	v_and_b32_e32 v8, v8, v39
	v_cmp_eq_u32_e32 vcc, v8, v33
	s_and_b64 exec, exec, vcc
	s_cbranch_execz .LBB83_154
; %bb.158:                              ;   in Loop: Header=BB83_156 Depth=2
	v_lshlrev_b16_e32 v7, 8, v7
	v_or_b32_e32 v7, 1, v7
	ds_write_b16 v20, v7 offset:3072
	s_branch .LBB83_154
.LBB83_159:                             ;   in Loop: Header=BB83_156 Depth=2
	v_add_u32_e32 v6, s39, v6
	v_cmp_le_u32_e32 vcc, s20, v6
	v_add_u32_e32 v5, s54, v5
	s_mov_b64 s[12:13], 0
	s_orn2_b64 s[10:11], vcc, exec
	s_branch .LBB83_155
.LBB83_160:                             ;   in Loop: Header=BB83_20 Depth=1
	s_or_b64 exec, exec, s[30:31]
	s_andn2_b64 s[10:11], s[78:79], exec
	s_and_b64 s[12:13], s[42:43], exec
	v_lshrrev_b32_sdwa v40, v38, v7 dst_sel:DWORD dst_unused:UNUSED_PAD src0_sel:DWORD src1_sel:WORD_0
	s_or_b64 s[78:79], s[10:11], s[12:13]
.LBB83_161:                             ;   in Loop: Header=BB83_20 Depth=1
	s_or_b64 exec, exec, s[28:29]
	s_mov_b64 s[28:29], 0
	s_mov_b64 s[30:31], -1
.LBB83_162:                             ;   in Loop: Header=BB83_20 Depth=1
	s_orn2_b64 s[10:11], s[78:79], exec
.LBB83_163:                             ;   in Loop: Header=BB83_20 Depth=1
	s_or_b64 exec, exec, s[74:75]
	s_mov_b64 s[42:43], 0
	s_and_saveexec_b64 s[74:75], s[10:11]
	s_cbranch_execz .LBB83_252
; %bb.164:                              ;   in Loop: Header=BB83_20 Depth=1
	s_xor_b64 s[10:11], s[76:77], -1
	v_mov_b32_e32 v5, 1
	v_mov_b32_e32 v2, 1
	s_and_saveexec_b64 s[76:77], s[10:11]
	s_cbranch_execz .LBB83_170
; %bb.165:                              ;   in Loop: Header=BB83_20 Depth=1
	v_cmp_ge_u32_e32 vcc, s14, v4
	s_and_saveexec_b64 s[10:11], vcc
	s_xor_b64 s[10:11], exec, s[10:11]
	s_cbranch_execz .LBB83_167
; %bb.166:                              ;   in Loop: Header=BB83_20 Depth=1
	v_and_b32_e32 v2, v33, v3
	v_lshl_or_b32 v33, 1, v37, v2
	ds_read_b32 v2, v20 offset:4104
	v_or_b32_e32 v39, v39, v1
	s_waitcnt lgkmcnt(0)
	v_cmp_ne_u32_e32 vcc, 0, v2
	s_cbranch_vccz .LBB83_183
.LBB83_167:                             ;   in Loop: Header=BB83_20 Depth=1
	s_or_saveexec_b64 s[10:11], s[10:11]
	v_mov_b32_e32 v2, 8
	s_xor_b64 exec, exec, s[10:11]
.LBB83_168:                             ;   in Loop: Header=BB83_20 Depth=1
	v_subrev_u32_e32 v4, s14, v4
	v_mov_b32_e32 v2, 0
	s_mov_b64 s[42:43], exec
.LBB83_169:                             ;   in Loop: Header=BB83_20 Depth=1
	s_or_b64 exec, exec, s[10:11]
	s_and_b64 s[42:43], s[42:43], exec
	v_mov_b32_e32 v5, v4
.LBB83_170:                             ;   in Loop: Header=BB83_20 Depth=1
	s_or_b64 exec, exec, s[76:77]
	s_mov_b64 s[10:11], -1
                                        ; implicit-def: $sgpr78_sgpr79
                                        ; implicit-def: $sgpr80_sgpr81
	s_and_saveexec_b64 s[76:77], s[42:43]
	s_cbranch_execz .LBB83_251
; %bb.171:                              ;   in Loop: Header=BB83_20 Depth=1
	s_cmp_eq_u32 s1, 1
	s_cselect_b64 s[10:11], -1, 0
	v_cmp_eq_u32_e32 vcc, 1, v5
	s_and_b64 s[84:85], s[10:11], vcc
	s_mov_b64 s[10:11], -1
                                        ; implicit-def: $sgpr80_sgpr81
                                        ; implicit-def: $sgpr78_sgpr79
	s_and_saveexec_b64 s[82:83], s[84:85]
	s_cbranch_execz .LBB83_200
; %bb.172:                              ;   in Loop: Header=BB83_20 Depth=1
	ds_read_b32 v4, v20 offset:4104
	s_waitcnt lgkmcnt(0)
	s_barrier
	v_readfirstlane_b32 s14, v4
	s_and_saveexec_b64 s[10:11], s[24:25]
; %bb.173:                              ;   in Loop: Header=BB83_20 Depth=1
	ds_write_b8 v0, v20 offset:3072
; %bb.174:                              ;   in Loop: Header=BB83_20 Depth=1
	s_or_b64 exec, exec, s[10:11]
	v_and_b32_e32 v4, v33, v3
	v_lshl_or_b32 v33, 2, v37, v4
	v_or_b32_e32 v39, v39, v1
	s_mov_b64 s[78:79], -1
	s_mov_b64 s[80:81], 0
	s_cmp_eq_u32 s14, 0
	s_mov_b64 s[86:87], 0
	s_mov_b64 s[88:89], -1
	s_waitcnt lgkmcnt(0)
	s_barrier
                                        ; implicit-def: $vgpr40
	s_cbranch_scc1 .LBB83_188
; %bb.175:                              ;   in Loop: Header=BB83_20 Depth=1
	v_readlane_b32 s10, v52, 8
	s_add_i32 s10, s14, s10
	s_mul_hi_u32 s11, s10, s59
	s_mul_i32 s11, s11, s39
	s_sub_i32 s11, s10, s11
	s_sub_i32 s12, s11, s39
	s_cmp_ge_u32 s11, s39
	s_cselect_b32 s11, s12, s11
	s_sub_i32 s12, s11, s39
	s_cmp_ge_u32 s11, s39
	s_cselect_b32 s11, s12, s11
	s_sub_i32 s15, s10, s11
	v_cmp_gt_u32_e32 vcc, s15, v0
	s_mov_b64 s[88:89], 0
                                        ; implicit-def: $vgpr40
	s_and_saveexec_b64 s[42:43], vcc
	s_cbranch_execz .LBB83_187
; %bb.176:                              ;   in Loop: Header=BB83_20 Depth=1
	s_mov_b64 s[46:47], 0
	v_mov_b32_e32 v4, v0
                                        ; implicit-def: $sgpr86_sgpr87
	s_branch .LBB83_179
.LBB83_177:                             ;   in Loop: Header=BB83_179 Depth=2
	s_or_b64 exec, exec, s[10:11]
	s_waitcnt lgkmcnt(0)
	s_barrier
	ds_read_u16 v6, v20 offset:3072
	s_mov_b64 s[10:11], -1
	s_waitcnt lgkmcnt(0)
	s_barrier
	v_cmp_ne_u32_sdwa s[12:13], v6, v20 src0_sel:BYTE_0 src1_sel:DWORD
	s_and_b64 vcc, exec, s[12:13]
	s_mov_b64 s[12:13], -1
	s_cbranch_vccz .LBB83_182
.LBB83_178:                             ;   in Loop: Header=BB83_179 Depth=2
	s_and_b64 s[10:11], exec, s[10:11]
	s_or_b64 s[46:47], s[10:11], s[46:47]
	s_andn2_b64 s[10:11], s[86:87], exec
	s_and_b64 s[12:13], s[12:13], exec
	s_or_b64 s[86:87], s[10:11], s[12:13]
	s_andn2_b64 exec, exec, s[46:47]
	s_cbranch_execz .LBB83_186
.LBB83_179:                             ;   Parent Loop BB83_20 Depth=1
                                        ; =>  This Inner Loop Header: Depth=2
	v_cmp_gt_u32_e32 vcc, s14, v4
	s_and_saveexec_b64 s[10:11], vcc
	s_cbranch_execz .LBB83_177
; %bb.180:                              ;   in Loop: Header=BB83_179 Depth=2
	ds_read_u8 v6, v4
	s_waitcnt lgkmcnt(0)
	v_add_u32_sdwa v7, sext(v6), s50 dst_sel:DWORD dst_unused:UNUSED_PAD src0_sel:BYTE_0 src1_sel:DWORD
	v_and_b32_e32 v7, v7, v39
	v_cmp_eq_u32_e32 vcc, v7, v33
	s_and_b64 exec, exec, vcc
	s_cbranch_execz .LBB83_177
; %bb.181:                              ;   in Loop: Header=BB83_179 Depth=2
	v_lshlrev_b16_e32 v6, 8, v6
	v_or_b32_e32 v6, 1, v6
	ds_write_b16 v20, v6 offset:3072
	s_branch .LBB83_177
.LBB83_182:                             ;   in Loop: Header=BB83_179 Depth=2
	v_add_u32_e32 v4, s39, v4
	v_cmp_le_u32_e32 vcc, s15, v4
	s_mov_b64 s[12:13], 0
	s_orn2_b64 s[10:11], vcc, exec
	s_branch .LBB83_178
.LBB83_183:                             ;   in Loop: Header=BB83_20 Depth=1
	s_and_saveexec_b64 s[12:13], s[90:91]
; %bb.184:                              ;   in Loop: Header=BB83_20 Depth=1
	v_mov_b32_e32 v2, s14
	ds_write_b32 v20, v2 offset:4108
; %bb.185:                              ;   in Loop: Header=BB83_20 Depth=1
	s_or_b64 exec, exec, s[12:13]
	s_waitcnt lgkmcnt(0)
	s_barrier
	s_or_saveexec_b64 s[10:11], s[10:11]
	v_mov_b32_e32 v2, 8
	s_xor_b64 exec, exec, s[10:11]
	s_cbranch_execnz .LBB83_168
	s_branch .LBB83_169
.LBB83_186:                             ;   in Loop: Header=BB83_20 Depth=1
	s_or_b64 exec, exec, s[46:47]
	v_lshrrev_b32_sdwa v40, v38, v6 dst_sel:DWORD dst_unused:UNUSED_PAD src0_sel:DWORD src1_sel:WORD_0
	s_and_b64 s[86:87], s[86:87], exec
.LBB83_187:                             ;   in Loop: Header=BB83_20 Depth=1
	s_or_b64 exec, exec, s[42:43]
.LBB83_188:                             ;   in Loop: Header=BB83_20 Depth=1
	s_and_b64 vcc, exec, s[88:89]
	s_cbranch_vccz .LBB83_199
; %bb.189:                              ;   in Loop: Header=BB83_20 Depth=1
                                        ; implicit-def: $vgpr40
	s_mov_b64 s[42:43], exec
	v_readlane_b32 s10, v52, 26
	v_readlane_b32 s11, v52, 27
	s_and_b64 s[10:11], s[42:43], s[10:11]
	s_mov_b64 exec, s[10:11]
	s_cbranch_execz .LBB83_198
; %bb.190:                              ;   in Loop: Header=BB83_20 Depth=1
	s_mov_b64 s[46:47], 0
	v_mov_b32_e32 v4, v17
	v_mov_b32_e32 v6, v0
                                        ; implicit-def: $sgpr78_sgpr79
	s_branch .LBB83_193
.LBB83_191:                             ;   in Loop: Header=BB83_193 Depth=2
	s_or_b64 exec, exec, s[10:11]
	s_waitcnt lgkmcnt(0)
	s_barrier
	ds_read_u16 v7, v20 offset:3072
	s_mov_b64 s[10:11], -1
	s_waitcnt lgkmcnt(0)
	s_barrier
	v_cmp_eq_u32_sdwa s[12:13], v7, v20 src0_sel:BYTE_0 src1_sel:DWORD
	s_and_b64 vcc, exec, s[12:13]
	s_mov_b64 s[12:13], -1
	s_cbranch_vccnz .LBB83_196
.LBB83_192:                             ;   in Loop: Header=BB83_193 Depth=2
	s_and_b64 s[10:11], exec, s[10:11]
	s_or_b64 s[46:47], s[10:11], s[46:47]
	s_andn2_b64 s[10:11], s[78:79], exec
	s_and_b64 s[12:13], s[12:13], exec
	s_or_b64 s[78:79], s[10:11], s[12:13]
	s_andn2_b64 exec, exec, s[46:47]
	s_cbranch_execz .LBB83_197
.LBB83_193:                             ;   Parent Loop BB83_20 Depth=1
                                        ; =>  This Inner Loop Header: Depth=2
	v_cmp_gt_u32_e32 vcc, s36, v6
	s_and_saveexec_b64 s[10:11], vcc
	s_cbranch_execz .LBB83_191
; %bb.194:                              ;   in Loop: Header=BB83_193 Depth=2
	global_load_ubyte v7, v4, s[44:45]
	s_waitcnt vmcnt(0)
	v_add_u32_sdwa v8, sext(v7), s50 dst_sel:DWORD dst_unused:UNUSED_PAD src0_sel:BYTE_0 src1_sel:DWORD
	v_and_b32_e32 v8, v8, v39
	v_cmp_eq_u32_e32 vcc, v8, v33
	s_and_b64 exec, exec, vcc
	s_cbranch_execz .LBB83_191
; %bb.195:                              ;   in Loop: Header=BB83_193 Depth=2
	v_lshlrev_b16_e32 v7, 8, v7
	v_or_b32_e32 v7, 1, v7
	ds_write_b16 v20, v7 offset:3072
	s_branch .LBB83_191
.LBB83_196:                             ;   in Loop: Header=BB83_193 Depth=2
	v_add_u32_e32 v6, s39, v6
	v_cmp_le_u32_e32 vcc, s20, v6
	v_add_u32_e32 v4, s54, v4
	s_mov_b64 s[12:13], 0
	s_orn2_b64 s[10:11], vcc, exec
	s_branch .LBB83_192
.LBB83_197:                             ;   in Loop: Header=BB83_20 Depth=1
	s_or_b64 exec, exec, s[46:47]
	s_andn2_b64 s[10:11], s[86:87], exec
	s_and_b64 s[12:13], s[78:79], exec
	v_lshrrev_b32_sdwa v40, v38, v7 dst_sel:DWORD dst_unused:UNUSED_PAD src0_sel:DWORD src1_sel:WORD_0
	s_or_b64 s[86:87], s[10:11], s[12:13]
.LBB83_198:                             ;   in Loop: Header=BB83_20 Depth=1
	s_or_b64 exec, exec, s[42:43]
	s_mov_b64 s[78:79], 0
	s_mov_b64 s[80:81], -1
.LBB83_199:                             ;   in Loop: Header=BB83_20 Depth=1
	s_orn2_b64 s[10:11], s[86:87], exec
.LBB83_200:                             ;   in Loop: Header=BB83_20 Depth=1
	s_or_b64 exec, exec, s[82:83]
	s_mov_b64 s[42:43], 0
	s_and_saveexec_b64 s[82:83], s[10:11]
	s_cbranch_execz .LBB83_250
; %bb.201:                              ;   in Loop: Header=BB83_20 Depth=1
	s_xor_b64 s[10:11], s[84:85], -1
	v_mov_b32_e32 v4, 1
	v_mov_b32_e32 v2, 1
	s_and_saveexec_b64 s[84:85], s[10:11]
	s_cbranch_execz .LBB83_210
; %bb.202:                              ;   in Loop: Header=BB83_20 Depth=1
	v_cmp_ge_u32_e32 vcc, s1, v5
	s_and_saveexec_b64 s[10:11], vcc
	s_xor_b64 s[10:11], exec, s[10:11]
	s_cbranch_execz .LBB83_207
; %bb.203:                              ;   in Loop: Header=BB83_20 Depth=1
	v_and_b32_e32 v2, v33, v3
	v_lshl_or_b32 v33, 2, v37, v2
	ds_read_b32 v2, v20 offset:4104
	v_or_b32_e32 v39, v39, v1
	s_waitcnt lgkmcnt(0)
	v_cmp_ne_u32_e32 vcc, 0, v2
	s_cbranch_vccnz .LBB83_207
; %bb.204:                              ;   in Loop: Header=BB83_20 Depth=1
	s_and_saveexec_b64 s[12:13], s[90:91]
; %bb.205:                              ;   in Loop: Header=BB83_20 Depth=1
	v_mov_b32_e32 v2, s1
	ds_write_b32 v20, v2 offset:4108
; %bb.206:                              ;   in Loop: Header=BB83_20 Depth=1
	s_or_b64 exec, exec, s[12:13]
	s_waitcnt lgkmcnt(0)
	s_barrier
.LBB83_207:                             ;   in Loop: Header=BB83_20 Depth=1
	s_or_saveexec_b64 s[10:11], s[10:11]
	v_mov_b32_e32 v2, 8
	s_xor_b64 exec, exec, s[10:11]
; %bb.208:                              ;   in Loop: Header=BB83_20 Depth=1
	v_subrev_u32_e32 v5, s1, v5
	v_mov_b32_e32 v2, 0
	s_mov_b64 s[42:43], exec
; %bb.209:                              ;   in Loop: Header=BB83_20 Depth=1
	s_or_b64 exec, exec, s[10:11]
	s_and_b64 s[42:43], s[42:43], exec
	v_mov_b32_e32 v4, v5
.LBB83_210:                             ;   in Loop: Header=BB83_20 Depth=1
	s_or_b64 exec, exec, s[84:85]
	s_mov_b64 s[10:11], -1
                                        ; implicit-def: $sgpr88_sgpr89
                                        ; implicit-def: $sgpr86_sgpr87
	s_and_saveexec_b64 s[84:85], s[42:43]
	s_cbranch_execz .LBB83_249
; %bb.211:                              ;   in Loop: Header=BB83_20 Depth=1
	s_cmp_eq_u32 s0, 1
	v_writelane_b32 v52, s90, 28
	s_cselect_b64 s[10:11], -1, 0
	v_cmp_eq_u32_e32 vcc, 1, v4
	v_writelane_b32 v52, s91, 29
	s_and_b64 s[90:91], s[10:11], vcc
	s_mov_b64 s[10:11], -1
                                        ; implicit-def: $sgpr88_sgpr89
                                        ; implicit-def: $sgpr86_sgpr87
	s_and_saveexec_b64 s[92:93], s[90:91]
	s_cbranch_execz .LBB83_237
; %bb.212:                              ;   in Loop: Header=BB83_20 Depth=1
	ds_read_b32 v3, v20 offset:4104
	s_waitcnt lgkmcnt(0)
	s_barrier
	v_readfirstlane_b32 s1, v3
	s_and_saveexec_b64 s[10:11], s[24:25]
; %bb.213:                              ;   in Loop: Header=BB83_20 Depth=1
	ds_write_b8 v0, v20 offset:3072
; %bb.214:                              ;   in Loop: Header=BB83_20 Depth=1
	s_or_b64 exec, exec, s[10:11]
	v_or_b32_e32 v33, v33, v1
	v_or_b32_e32 v39, v39, v1
	s_mov_b64 s[86:87], -1
	s_mov_b64 s[88:89], 0
	s_cmp_eq_u32 s1, 0
	s_mov_b64 s[94:95], 0
	s_mov_b64 s[42:43], -1
	s_waitcnt lgkmcnt(0)
	s_barrier
                                        ; implicit-def: $vgpr40
	s_cbranch_scc1 .LBB83_225
; %bb.215:                              ;   in Loop: Header=BB83_20 Depth=1
	v_readlane_b32 s10, v52, 8
	s_add_i32 s10, s1, s10
	s_mul_hi_u32 s11, s10, s59
	s_mul_i32 s11, s11, s39
	s_sub_i32 s11, s10, s11
	s_sub_i32 s12, s11, s39
	s_cmp_ge_u32 s11, s39
	s_cselect_b32 s11, s12, s11
	s_sub_i32 s12, s11, s39
	s_cmp_ge_u32 s11, s39
	s_cselect_b32 s11, s12, s11
	s_sub_i32 s37, s10, s11
	v_cmp_gt_u32_e32 vcc, s37, v0
	s_mov_b64 s[42:43], 0
                                        ; implicit-def: $vgpr40
	s_and_saveexec_b64 s[46:47], vcc
	s_cbranch_execz .LBB83_224
; %bb.216:                              ;   in Loop: Header=BB83_20 Depth=1
	v_mov_b32_e32 v3, v0
                                        ; implicit-def: $sgpr10_sgpr11
	s_branch .LBB83_219
.LBB83_217:                             ;   in Loop: Header=BB83_219 Depth=2
	s_or_b64 exec, exec, s[12:13]
	s_waitcnt lgkmcnt(0)
	s_barrier
	ds_read_u16 v5, v20 offset:3072
	s_mov_b64 s[12:13], -1
	s_waitcnt lgkmcnt(0)
	s_barrier
	v_cmp_ne_u32_sdwa s[14:15], v5, v20 src0_sel:BYTE_0 src1_sel:DWORD
	s_and_b64 vcc, exec, s[14:15]
	s_mov_b64 s[14:15], -1
	s_cbranch_vccz .LBB83_222
.LBB83_218:                             ;   in Loop: Header=BB83_219 Depth=2
	s_and_b64 s[12:13], exec, s[12:13]
	s_or_b64 s[94:95], s[12:13], s[94:95]
	s_andn2_b64 s[10:11], s[10:11], exec
	s_and_b64 s[12:13], s[14:15], exec
	s_or_b64 s[10:11], s[10:11], s[12:13]
	s_andn2_b64 exec, exec, s[94:95]
	s_cbranch_execz .LBB83_223
.LBB83_219:                             ;   Parent Loop BB83_20 Depth=1
                                        ; =>  This Inner Loop Header: Depth=2
	v_cmp_gt_u32_e32 vcc, s1, v3
	s_and_saveexec_b64 s[12:13], vcc
	s_cbranch_execz .LBB83_217
; %bb.220:                              ;   in Loop: Header=BB83_219 Depth=2
	ds_read_u8 v5, v3
	s_waitcnt lgkmcnt(0)
	v_add_u32_sdwa v6, sext(v5), s50 dst_sel:DWORD dst_unused:UNUSED_PAD src0_sel:BYTE_0 src1_sel:DWORD
	v_and_b32_e32 v6, v6, v39
	v_cmp_eq_u32_e32 vcc, v6, v33
	s_and_b64 exec, exec, vcc
	s_cbranch_execz .LBB83_217
; %bb.221:                              ;   in Loop: Header=BB83_219 Depth=2
	v_lshlrev_b16_e32 v5, 8, v5
	v_or_b32_e32 v5, 1, v5
	ds_write_b16 v20, v5 offset:3072
	s_branch .LBB83_217
.LBB83_222:                             ;   in Loop: Header=BB83_219 Depth=2
	v_add_u32_e32 v3, s39, v3
	v_cmp_le_u32_e32 vcc, s37, v3
	s_mov_b64 s[14:15], 0
	s_orn2_b64 s[12:13], vcc, exec
	s_branch .LBB83_218
.LBB83_223:                             ;   in Loop: Header=BB83_20 Depth=1
	s_or_b64 exec, exec, s[94:95]
	v_lshrrev_b32_sdwa v40, v38, v5 dst_sel:DWORD dst_unused:UNUSED_PAD src0_sel:DWORD src1_sel:WORD_0
	s_and_b64 s[94:95], s[10:11], exec
.LBB83_224:                             ;   in Loop: Header=BB83_20 Depth=1
	s_or_b64 exec, exec, s[46:47]
.LBB83_225:                             ;   in Loop: Header=BB83_20 Depth=1
	s_and_b64 vcc, exec, s[42:43]
	s_cbranch_vccz .LBB83_236
; %bb.226:                              ;   in Loop: Header=BB83_20 Depth=1
                                        ; implicit-def: $vgpr40
	s_mov_b64 s[42:43], exec
	v_readlane_b32 s10, v52, 26
	v_readlane_b32 s11, v52, 27
	s_and_b64 s[10:11], s[42:43], s[10:11]
	s_mov_b64 exec, s[10:11]
	s_cbranch_execz .LBB83_235
; %bb.227:                              ;   in Loop: Header=BB83_20 Depth=1
	s_mov_b64 s[46:47], 0
	v_mov_b32_e32 v3, v17
	v_mov_b32_e32 v5, v0
                                        ; implicit-def: $sgpr86_sgpr87
	s_branch .LBB83_230
.LBB83_228:                             ;   in Loop: Header=BB83_230 Depth=2
	s_or_b64 exec, exec, s[10:11]
	s_waitcnt lgkmcnt(0)
	s_barrier
	ds_read_u16 v6, v20 offset:3072
	s_mov_b64 s[10:11], -1
	s_waitcnt lgkmcnt(0)
	s_barrier
	v_cmp_eq_u32_sdwa s[12:13], v6, v20 src0_sel:BYTE_0 src1_sel:DWORD
	s_and_b64 vcc, exec, s[12:13]
	s_mov_b64 s[12:13], -1
	s_cbranch_vccnz .LBB83_233
.LBB83_229:                             ;   in Loop: Header=BB83_230 Depth=2
	s_and_b64 s[10:11], exec, s[10:11]
	s_or_b64 s[46:47], s[10:11], s[46:47]
	s_andn2_b64 s[10:11], s[86:87], exec
	s_and_b64 s[12:13], s[12:13], exec
	s_or_b64 s[86:87], s[10:11], s[12:13]
	s_andn2_b64 exec, exec, s[46:47]
	s_cbranch_execz .LBB83_234
.LBB83_230:                             ;   Parent Loop BB83_20 Depth=1
                                        ; =>  This Inner Loop Header: Depth=2
	v_cmp_gt_u32_e32 vcc, s36, v5
	s_and_saveexec_b64 s[10:11], vcc
	s_cbranch_execz .LBB83_228
; %bb.231:                              ;   in Loop: Header=BB83_230 Depth=2
	global_load_ubyte v6, v3, s[44:45]
	s_waitcnt vmcnt(0)
	v_add_u32_sdwa v7, sext(v6), s50 dst_sel:DWORD dst_unused:UNUSED_PAD src0_sel:BYTE_0 src1_sel:DWORD
	v_and_b32_e32 v7, v7, v39
	v_cmp_eq_u32_e32 vcc, v7, v33
	s_and_b64 exec, exec, vcc
	s_cbranch_execz .LBB83_228
; %bb.232:                              ;   in Loop: Header=BB83_230 Depth=2
	v_lshlrev_b16_e32 v6, 8, v6
	v_or_b32_e32 v6, 1, v6
	ds_write_b16 v20, v6 offset:3072
	s_branch .LBB83_228
.LBB83_233:                             ;   in Loop: Header=BB83_230 Depth=2
	v_add_u32_e32 v5, s39, v5
	v_cmp_le_u32_e32 vcc, s20, v5
	v_add_u32_e32 v3, s54, v3
	s_mov_b64 s[12:13], 0
	s_orn2_b64 s[10:11], vcc, exec
	s_branch .LBB83_229
.LBB83_234:                             ;   in Loop: Header=BB83_20 Depth=1
	s_or_b64 exec, exec, s[46:47]
	s_andn2_b64 s[10:11], s[94:95], exec
	s_and_b64 s[12:13], s[86:87], exec
	v_lshrrev_b32_sdwa v40, v38, v6 dst_sel:DWORD dst_unused:UNUSED_PAD src0_sel:DWORD src1_sel:WORD_0
	s_or_b64 s[94:95], s[10:11], s[12:13]
.LBB83_235:                             ;   in Loop: Header=BB83_20 Depth=1
	s_or_b64 exec, exec, s[42:43]
	s_mov_b64 s[86:87], 0
	s_mov_b64 s[88:89], -1
.LBB83_236:                             ;   in Loop: Header=BB83_20 Depth=1
	s_orn2_b64 s[10:11], s[94:95], exec
.LBB83_237:                             ;   in Loop: Header=BB83_20 Depth=1
	s_or_b64 exec, exec, s[92:93]
	s_mov_b64 s[42:43], 0
	s_and_saveexec_b64 s[92:93], s[10:11]
	s_cbranch_execz .LBB83_248
; %bb.238:                              ;   in Loop: Header=BB83_20 Depth=1
	s_xor_b64 s[10:11], s[90:91], -1
	v_mov_b32_e32 v2, 1
	v_mov_b32_e32 v3, 1
	s_and_saveexec_b64 s[42:43], s[10:11]
	s_cbranch_execz .LBB83_247
; %bb.239:                              ;   in Loop: Header=BB83_20 Depth=1
	v_cmp_ge_u32_e32 vcc, s0, v4
	s_and_saveexec_b64 s[10:11], vcc
	s_xor_b64 s[10:11], exec, s[10:11]
	s_cbranch_execz .LBB83_244
; %bb.240:                              ;   in Loop: Header=BB83_20 Depth=1
	v_or_b32_e32 v33, v33, v1
	v_or_b32_e32 v39, v39, v1
	ds_read_b32 v1, v20 offset:4104
	v_readlane_b32 s14, v52, 28
	v_readlane_b32 s15, v52, 29
	s_waitcnt lgkmcnt(0)
	v_cmp_ne_u32_e32 vcc, 0, v1
	s_cbranch_vccnz .LBB83_244
; %bb.241:                              ;   in Loop: Header=BB83_20 Depth=1
	s_and_saveexec_b64 s[12:13], s[14:15]
; %bb.242:                              ;   in Loop: Header=BB83_20 Depth=1
	v_mov_b32_e32 v1, s0
	ds_write_b32 v20, v1 offset:4108
; %bb.243:                              ;   in Loop: Header=BB83_20 Depth=1
	s_or_b64 exec, exec, s[12:13]
	s_waitcnt lgkmcnt(0)
	s_barrier
.LBB83_244:                             ;   in Loop: Header=BB83_20 Depth=1
	s_andn2_saveexec_b64 s[10:11], s[10:11]
; %bb.245:                              ;   in Loop: Header=BB83_20 Depth=1
	v_subrev_u32_e32 v4, s0, v4
; %bb.246:                              ;   in Loop: Header=BB83_20 Depth=1
	s_or_b64 exec, exec, s[10:11]
	v_mov_b32_e32 v2, 8
	v_mov_b32_e32 v3, v4
.LBB83_247:                             ;   in Loop: Header=BB83_20 Depth=1
	s_or_b64 exec, exec, s[42:43]
	s_mov_b64 s[42:43], exec
	v_mov_b32_e32 v4, v3
.LBB83_248:                             ;   in Loop: Header=BB83_20 Depth=1
	s_or_b64 exec, exec, s[92:93]
	v_readlane_b32 s90, v52, 28
	s_orn2_b64 s[10:11], s[42:43], exec
	v_readlane_b32 s91, v52, 29
.LBB83_249:                             ;   in Loop: Header=BB83_20 Depth=1
	s_or_b64 exec, exec, s[84:85]
	s_andn2_b64 s[0:1], s[80:81], exec
	s_and_b64 s[12:13], s[88:89], exec
	s_or_b64 s[80:81], s[0:1], s[12:13]
	s_andn2_b64 s[0:1], s[78:79], exec
	s_and_b64 s[12:13], s[86:87], exec
	s_or_b64 s[78:79], s[0:1], s[12:13]
	s_and_b64 s[42:43], s[10:11], exec
	v_mov_b32_e32 v5, v4
.LBB83_250:                             ;   in Loop: Header=BB83_20 Depth=1
	s_or_b64 exec, exec, s[82:83]
	s_orn2_b64 s[10:11], s[42:43], exec
.LBB83_251:                             ;   in Loop: Header=BB83_20 Depth=1
	s_or_b64 exec, exec, s[76:77]
	s_andn2_b64 s[0:1], s[30:31], exec
	s_and_b64 s[12:13], s[80:81], exec
	s_or_b64 s[30:31], s[0:1], s[12:13]
	s_andn2_b64 s[0:1], s[28:29], exec
	s_and_b64 s[12:13], s[78:79], exec
	s_or_b64 s[28:29], s[0:1], s[12:13]
	s_and_b64 s[42:43], s[10:11], exec
	v_mov_b32_e32 v4, v5
.LBB83_252:                             ;   in Loop: Header=BB83_20 Depth=1
	s_or_b64 exec, exec, s[74:75]
	s_orn2_b64 s[10:11], s[42:43], exec
.LBB83_253:                             ;   in Loop: Header=BB83_20 Depth=1
	s_or_b64 exec, exec, s[26:27]
	s_mov_b64 s[26:27], 0
                                        ; implicit-def: $sgpr42
	s_and_saveexec_b64 s[0:1], s[10:11]
	s_xor_b64 s[10:11], exec, s[0:1]
	s_cbranch_execz .LBB83_18
; %bb.254:                              ;   in Loop: Header=BB83_20 Depth=1
	v_and_b32_e32 v1, 7, v2
	v_cmp_eq_u32_e32 vcc, 0, v1
	s_mov_b64 s[22:23], -1
	s_mov_b64 s[26:27], -1
                                        ; implicit-def: $sgpr42
	s_and_saveexec_b64 s[12:13], vcc
	s_cbranch_execz .LBB83_17
; %bb.255:                              ;   in Loop: Header=BB83_20 Depth=1
	v_add_u32_e32 v1, -2, v37
	v_cmp_eq_u32_e32 vcc, 0, v37
	s_xor_b32 s42, s57, 1
	s_xor_b64 s[26:27], exec, -1
	s_orn2_b64 s[22:23], vcc, exec
	v_mov_b32_e32 v37, v1
	s_branch .LBB83_17
.LBB83_256:
	s_or_b64 exec, exec, s[60:61]
	s_xor_b64 s[8:9], s[66:67], -1
	s_xor_b64 s[0:1], s[62:63], -1
	;; [unrolled: 1-line block ×3, first 2 shown]
	s_mov_b64 s[4:5], 0
	s_and_saveexec_b64 s[2:3], s[0:1]
	s_xor_b64 s[0:1], exec, s[2:3]
	s_cbranch_execnz .LBB83_261
; %bb.257:
	s_andn2_saveexec_b64 s[0:1], s[0:1]
	s_cbranch_execnz .LBB83_274
.LBB83_258:
	s_or_b64 exec, exec, s[0:1]
	s_and_saveexec_b64 s[0:1], s[4:5]
.LBB83_259:
	; divergent unreachable
.LBB83_260:
	s_endpgm
.LBB83_261:
	s_and_saveexec_b64 s[2:3], s[8:9]
	s_xor_b64 s[4:5], exec, s[2:3]
	s_cbranch_execz .LBB83_272
; %bb.262:
	s_and_saveexec_b64 s[2:3], s[6:7]
	s_xor_b64 s[6:7], exec, s[2:3]
; %bb.263:
	v_xor_b32_e32 v40, 0xffffff80, v33
; %bb.264:
	s_or_b64 exec, exec, s[6:7]
	v_readlane_b32 s2, v52, 0
	s_mul_i32 s2, s2, s33
	s_add_i32 s2, s2, s35
	v_mov_b32_e32 v1, s2
	v_readlane_b32 s2, v52, 2
	v_readlane_b32 s3, v52, 3
	s_nop 4
	global_store_byte v1, v40, s[2:3]
	s_mov_b64 s[6:7], exec
	v_readlane_b32 s2, v52, 6
	v_readlane_b32 s3, v52, 7
	s_and_b64 s[2:3], s[6:7], s[2:3]
	s_mov_b64 exec, s[2:3]
	s_cbranch_execz .LBB83_271
; %bb.265:
	s_mov_b64 s[2:3], 0
                                        ; implicit-def: $sgpr8_sgpr9
                                        ; implicit-def: $sgpr12_sgpr13
                                        ; implicit-def: $sgpr10_sgpr11
	s_branch .LBB83_267
.LBB83_266:                             ;   in Loop: Header=BB83_267 Depth=1
	s_or_b64 exec, exec, s[14:15]
	s_and_b64 s[14:15], exec, s[12:13]
	s_or_b64 s[2:3], s[14:15], s[2:3]
	s_andn2_b64 s[8:9], s[8:9], exec
	s_and_b64 s[14:15], s[10:11], exec
	s_or_b64 s[8:9], s[8:9], s[14:15]
	s_andn2_b64 exec, exec, s[2:3]
	s_cbranch_execz .LBB83_269
.LBB83_267:                             ; =>This Inner Loop Header: Depth=1
	global_load_ubyte v2, v17, s[44:45]
	v_mov_b32_e32 v1, v0
	s_or_b64 s[10:11], s[10:11], exec
	s_or_b64 s[12:13], s[12:13], exec
                                        ; implicit-def: $vgpr0
	s_waitcnt vmcnt(0)
	v_cmp_ne_u16_sdwa s[16:17], v2, v40 src0_sel:DWORD src1_sel:BYTE_0
	s_and_saveexec_b64 s[14:15], s[16:17]
	s_cbranch_execz .LBB83_266
; %bb.268:                              ;   in Loop: Header=BB83_267 Depth=1
	v_add_u32_e32 v0, s39, v1
	v_cmp_le_u32_e32 vcc, s36, v0
	s_andn2_b64 s[12:13], s[12:13], exec
	s_and_b64 s[16:17], vcc, exec
	v_add_u32_e32 v17, s54, v17
	s_andn2_b64 s[10:11], s[10:11], exec
	s_or_b64 s[12:13], s[12:13], s[16:17]
	s_branch .LBB83_266
.LBB83_269:
	s_or_b64 exec, exec, s[2:3]
	s_and_saveexec_b64 s[2:3], s[8:9]
	s_xor_b64 s[2:3], exec, s[2:3]
	s_cbranch_execz .LBB83_271
; %bb.270:
	v_readlane_b32 s2, v52, 1
	s_mul_i32 s2, s2, s34
	s_add_i32 s2, s2, s41
	s_mov_b32 s3, 0
	s_lshl_b64 s[2:3], s[2:3], 3
	v_readlane_b32 s8, v52, 4
	v_readlane_b32 s9, v52, 5
	s_add_u32 s2, s8, s2
	s_addc_u32 s3, s9, s3
	v_mov_b32_e32 v2, 0
	global_store_dwordx2 v2, v[1:2], s[2:3]
.LBB83_271:
	s_or_b64 exec, exec, s[6:7]
.LBB83_272:
	s_or_saveexec_b64 s[2:3], s[4:5]
	s_mov_b64 s[4:5], 0
	s_xor_b64 exec, exec, s[2:3]
	s_cbranch_execnz .LBB83_275
.LBB83_273:
	s_or_b64 exec, exec, s[2:3]
	s_and_b64 s[4:5], s[4:5], exec
	s_andn2_saveexec_b64 s[0:1], s[0:1]
	s_cbranch_execz .LBB83_258
.LBB83_274:
	s_or_b64 s[4:5], s[4:5], exec
	s_trap 2
	s_or_b64 exec, exec, s[0:1]
	s_and_saveexec_b64 s[0:1], s[4:5]
	s_cbranch_execnz .LBB83_259
	s_branch .LBB83_260
.LBB83_275:
	s_mov_b64 s[4:5], exec
	s_trap 2
	s_branch .LBB83_273
	.section	.rodata,"a",@progbits
	.p2align	6, 0x0
	.amdhsa_kernel _ZN2at6native12_GLOBAL__N_112gatherMedianIajLin1EEEvNS_4cuda6detail10TensorInfoIT_T0_EENS5_IlS7_EENS5_IKS6_S7_EES7_S7_S7_b
		.amdhsa_group_segment_fixed_size 4120
		.amdhsa_private_segment_fixed_size 0
		.amdhsa_kernarg_size 920
		.amdhsa_user_sgpr_count 6
		.amdhsa_user_sgpr_private_segment_buffer 1
		.amdhsa_user_sgpr_dispatch_ptr 0
		.amdhsa_user_sgpr_queue_ptr 0
		.amdhsa_user_sgpr_kernarg_segment_ptr 1
		.amdhsa_user_sgpr_dispatch_id 0
		.amdhsa_user_sgpr_flat_scratch_init 0
		.amdhsa_user_sgpr_private_segment_size 0
		.amdhsa_uses_dynamic_stack 0
		.amdhsa_system_sgpr_private_segment_wavefront_offset 0
		.amdhsa_system_sgpr_workgroup_id_x 1
		.amdhsa_system_sgpr_workgroup_id_y 1
		.amdhsa_system_sgpr_workgroup_id_z 1
		.amdhsa_system_sgpr_workgroup_info 0
		.amdhsa_system_vgpr_workitem_id 0
		.amdhsa_next_free_vgpr 53
		.amdhsa_next_free_sgpr 96
		.amdhsa_reserve_vcc 1
		.amdhsa_reserve_flat_scratch 0
		.amdhsa_float_round_mode_32 0
		.amdhsa_float_round_mode_16_64 0
		.amdhsa_float_denorm_mode_32 3
		.amdhsa_float_denorm_mode_16_64 3
		.amdhsa_dx10_clamp 1
		.amdhsa_ieee_mode 1
		.amdhsa_fp16_overflow 0
		.amdhsa_exception_fp_ieee_invalid_op 0
		.amdhsa_exception_fp_denorm_src 0
		.amdhsa_exception_fp_ieee_div_zero 0
		.amdhsa_exception_fp_ieee_overflow 0
		.amdhsa_exception_fp_ieee_underflow 0
		.amdhsa_exception_fp_ieee_inexact 0
		.amdhsa_exception_int_div_zero 0
	.end_amdhsa_kernel
	.section	.text._ZN2at6native12_GLOBAL__N_112gatherMedianIajLin1EEEvNS_4cuda6detail10TensorInfoIT_T0_EENS5_IlS7_EENS5_IKS6_S7_EES7_S7_S7_b,"axG",@progbits,_ZN2at6native12_GLOBAL__N_112gatherMedianIajLin1EEEvNS_4cuda6detail10TensorInfoIT_T0_EENS5_IlS7_EENS5_IKS6_S7_EES7_S7_S7_b,comdat
.Lfunc_end83:
	.size	_ZN2at6native12_GLOBAL__N_112gatherMedianIajLin1EEEvNS_4cuda6detail10TensorInfoIT_T0_EENS5_IlS7_EENS5_IKS6_S7_EES7_S7_S7_b, .Lfunc_end83-_ZN2at6native12_GLOBAL__N_112gatherMedianIajLin1EEEvNS_4cuda6detail10TensorInfoIT_T0_EENS5_IlS7_EENS5_IKS6_S7_EES7_S7_S7_b
                                        ; -- End function
	.set _ZN2at6native12_GLOBAL__N_112gatherMedianIajLin1EEEvNS_4cuda6detail10TensorInfoIT_T0_EENS5_IlS7_EENS5_IKS6_S7_EES7_S7_S7_b.num_vgpr, 53
	.set _ZN2at6native12_GLOBAL__N_112gatherMedianIajLin1EEEvNS_4cuda6detail10TensorInfoIT_T0_EENS5_IlS7_EENS5_IKS6_S7_EES7_S7_S7_b.num_agpr, 0
	.set _ZN2at6native12_GLOBAL__N_112gatherMedianIajLin1EEEvNS_4cuda6detail10TensorInfoIT_T0_EENS5_IlS7_EENS5_IKS6_S7_EES7_S7_S7_b.numbered_sgpr, 96
	.set _ZN2at6native12_GLOBAL__N_112gatherMedianIajLin1EEEvNS_4cuda6detail10TensorInfoIT_T0_EENS5_IlS7_EENS5_IKS6_S7_EES7_S7_S7_b.num_named_barrier, 0
	.set _ZN2at6native12_GLOBAL__N_112gatherMedianIajLin1EEEvNS_4cuda6detail10TensorInfoIT_T0_EENS5_IlS7_EENS5_IKS6_S7_EES7_S7_S7_b.private_seg_size, 0
	.set _ZN2at6native12_GLOBAL__N_112gatherMedianIajLin1EEEvNS_4cuda6detail10TensorInfoIT_T0_EENS5_IlS7_EENS5_IKS6_S7_EES7_S7_S7_b.uses_vcc, 1
	.set _ZN2at6native12_GLOBAL__N_112gatherMedianIajLin1EEEvNS_4cuda6detail10TensorInfoIT_T0_EENS5_IlS7_EENS5_IKS6_S7_EES7_S7_S7_b.uses_flat_scratch, 0
	.set _ZN2at6native12_GLOBAL__N_112gatherMedianIajLin1EEEvNS_4cuda6detail10TensorInfoIT_T0_EENS5_IlS7_EENS5_IKS6_S7_EES7_S7_S7_b.has_dyn_sized_stack, 0
	.set _ZN2at6native12_GLOBAL__N_112gatherMedianIajLin1EEEvNS_4cuda6detail10TensorInfoIT_T0_EENS5_IlS7_EENS5_IKS6_S7_EES7_S7_S7_b.has_recursion, 0
	.set _ZN2at6native12_GLOBAL__N_112gatherMedianIajLin1EEEvNS_4cuda6detail10TensorInfoIT_T0_EENS5_IlS7_EENS5_IKS6_S7_EES7_S7_S7_b.has_indirect_call, 0
	.section	.AMDGPU.csdata,"",@progbits
; Kernel info:
; codeLenInByte = 10664
; TotalNumSgprs: 100
; NumVgprs: 53
; ScratchSize: 0
; MemoryBound: 0
; FloatMode: 240
; IeeeMode: 1
; LDSByteSize: 4120 bytes/workgroup (compile time only)
; SGPRBlocks: 12
; VGPRBlocks: 13
; NumSGPRsForWavesPerEU: 100
; NumVGPRsForWavesPerEU: 53
; Occupancy: 4
; WaveLimiterHint : 1
; COMPUTE_PGM_RSRC2:SCRATCH_EN: 0
; COMPUTE_PGM_RSRC2:USER_SGPR: 6
; COMPUTE_PGM_RSRC2:TRAP_HANDLER: 0
; COMPUTE_PGM_RSRC2:TGID_X_EN: 1
; COMPUTE_PGM_RSRC2:TGID_Y_EN: 1
; COMPUTE_PGM_RSRC2:TGID_Z_EN: 1
; COMPUTE_PGM_RSRC2:TIDIG_COMP_CNT: 0
	.section	.text._ZN2at6native12_GLOBAL__N_112gatherMedianIamLi1EEEvNS_4cuda6detail10TensorInfoIT_T0_EENS5_IlS7_EENS5_IKS6_S7_EES7_S7_S7_b,"axG",@progbits,_ZN2at6native12_GLOBAL__N_112gatherMedianIamLi1EEEvNS_4cuda6detail10TensorInfoIT_T0_EENS5_IlS7_EENS5_IKS6_S7_EES7_S7_S7_b,comdat
	.globl	_ZN2at6native12_GLOBAL__N_112gatherMedianIamLi1EEEvNS_4cuda6detail10TensorInfoIT_T0_EENS5_IlS7_EENS5_IKS6_S7_EES7_S7_S7_b ; -- Begin function _ZN2at6native12_GLOBAL__N_112gatherMedianIamLi1EEEvNS_4cuda6detail10TensorInfoIT_T0_EENS5_IlS7_EENS5_IKS6_S7_EES7_S7_S7_b
	.p2align	8
	.type	_ZN2at6native12_GLOBAL__N_112gatherMedianIamLi1EEEvNS_4cuda6detail10TensorInfoIT_T0_EENS5_IlS7_EENS5_IKS6_S7_EES7_S7_S7_b,@function
_ZN2at6native12_GLOBAL__N_112gatherMedianIamLi1EEEvNS_4cuda6detail10TensorInfoIT_T0_EENS5_IlS7_EENS5_IKS6_S7_EES7_S7_S7_b: ; @_ZN2at6native12_GLOBAL__N_112gatherMedianIamLi1EEEvNS_4cuda6detail10TensorInfoIT_T0_EENS5_IlS7_EENS5_IKS6_S7_EES7_S7_S7_b
; %bb.0:
	s_load_dwordx2 s[14:15], s[4:5], 0x500
	s_load_dwordx4 s[24:27], s[4:5], 0x4e0
	s_add_u32 s18, s4, 0x500
	s_addc_u32 s19, s5, 0
	s_mov_b32 s11, 0
	s_waitcnt lgkmcnt(0)
	s_mul_i32 s0, s15, s8
	s_add_i32 s0, s0, s7
	s_mul_i32 s0, s0, s14
	s_add_i32 s10, s0, s6
	v_mov_b32_e32 v1, s10
	v_mov_b32_e32 v2, s11
	v_cmp_le_u64_e32 vcc, s[26:27], v[1:2]
	s_cbranch_vccnz .LBB84_278
; %bb.1:
	s_load_dwordx2 s[34:35], s[4:5], 0x4f0
	v_cmp_eq_u32_e64 s[0:1], 0, v0
	s_mov_b64 s[2:3], exec
                                        ; implicit-def: $vgpr61 : SGPR spill to VGPR lane
	v_writelane_b32 v61, s0, 0
	v_writelane_b32 v61, s1, 1
	s_and_b64 s[0:1], s[2:3], s[0:1]
	s_mov_b64 exec, s[0:1]
; %bb.2:
	v_mov_b32_e32 v1, 0
	v_mov_b32_e32 v2, v1
	ds_write_b64 v1, v[1:2] offset:5136
; %bb.3:
	s_or_b64 exec, exec, s[2:3]
	v_mov_b32_e32 v1, 0
	s_load_dword s0, s[4:5], 0x4f8
	s_waitcnt lgkmcnt(0)
	s_barrier
	s_barrier
	ds_read_b64 v[1:2], v1 offset:5136
	s_load_dwordx2 s[8:9], s[4:5], 0x410
	s_load_dwordx2 s[2:3], s[4:5], 0x340
	s_bitcmp1_b32 s0, 0
	s_cselect_b64 s[0:1], -1, 0
	v_mov_b32_e32 v24, s24
	s_waitcnt lgkmcnt(0)
	v_cmp_gt_i64_e32 vcc, 1, v[1:2]
	v_mov_b32_e32 v25, s25
	s_or_b64 s[0:1], s[0:1], vcc
	s_andn2_b64 vcc, exec, s[0:1]
	s_cbranch_vccnz .LBB84_5
; %bb.4:
	v_not_b32_e32 v1, v1
	v_not_b32_e32 v2, v2
	v_mov_b32_e32 v3, s25
	v_add_co_u32_e32 v1, vcc, s24, v1
	v_addc_co_u32_e32 v2, vcc, v3, v2, vcc
	v_lshrrev_b64 v[1:2], 1, v[1:2]
	v_add_co_u32_e32 v24, vcc, 1, v1
	v_addc_co_u32_e32 v25, vcc, 0, v2, vcc
.LBB84_5:
	s_load_dwordx2 s[0:1], s[4:5], 0x270
                                        ; kill: killed $sgpr4 killed $sgpr5
	s_waitcnt lgkmcnt(0)
	v_writelane_b32 v61, s0, 2
	v_writelane_b32 v61, s1, 3
	s_load_dwordx2 s[0:1], s[4:5], 0x1a0
	s_waitcnt lgkmcnt(0)
	v_writelane_b32 v61, s0, 4
	v_writelane_b32 v61, s1, 5
	s_load_dwordx2 s[0:1], s[4:5], 0xd0
	;; [unrolled: 4-line block ×3, first 2 shown]
	s_waitcnt lgkmcnt(0)
	v_writelane_b32 v61, s0, 8
	v_writelane_b32 v61, s1, 9
	s_mov_b64 s[4:5], exec
	v_readlane_b32 s0, v61, 0
	v_readlane_b32 s1, v61, 1
	s_and_b64 s[0:1], s[4:5], s[0:1]
	s_mov_b64 exec, s[0:1]
	s_cbranch_execz .LBB84_7
; %bb.6:
	v_mov_b32_e32 v1, 0
	v_mov_b32_e32 v3, s24
	;; [unrolled: 1-line block ×4, first 2 shown]
	ds_write_b32 v1, v1 offset:5144
	ds_write_b128 v1, v[1:4] offset:5120
.LBB84_7:
	s_or_b64 exec, exec, s[4:5]
	s_mul_i32 s0, s9, s10
	s_mul_hi_u32 s1, s8, s10
	s_add_i32 s4, s1, s0
	s_mov_b32 s0, s10
	v_writelane_b32 v61, s0, 10
	v_writelane_b32 v61, s1, 11
	s_mul_i32 s0, s8, s10
	s_add_u32 s40, s2, s0
	v_mad_u64_u32 v[4:5], s[0:1], s34, v0, 0
	s_addc_u32 s41, s3, s4
	v_mov_b32_e32 v3, 0
	v_mov_b32_e32 v1, v5
	v_mad_u64_u32 v[1:2], s[0:1], s35, v0, v[1:2]
	v_mov_b32_e32 v2, s41
	v_add_co_u32_e32 v12, vcc, s40, v4
	v_mov_b32_e32 v5, 0xc00
	v_addc_co_u32_e32 v13, vcc, v2, v1, vcc
	v_add_u32_e32 v2, 2, v0
	v_mov_b32_e32 v6, 0
	v_cmp_gt_u64_e32 vcc, s[24:25], v[2:3]
	v_cmp_gt_u64_e64 s[0:1], s[24:25], v[5:6]
	v_mov_b32_e32 v5, v1
	v_mov_b32_e32 v1, s25
	v_cndmask_b32_e32 v6, 0, v1, vcc
	v_mov_b32_e32 v1, s24
	v_cndmask_b32_e32 v1, v2, v1, vcc
	v_not_b32_e32 v2, v0
	v_add_co_u32_e32 v1, vcc, v1, v2
	v_writelane_b32 v61, s0, 12
	v_addc_co_u32_e32 v2, vcc, -1, v6, vcc
	v_writelane_b32 v61, s1, 13
	v_cmp_lt_u64_e64 s[0:1], 3, v[1:2]
	v_and_b32_e32 v16, -4, v1
	v_writelane_b32 v61, s0, 14
	v_mov_b32_e32 v17, v2
	v_writelane_b32 v61, s1, 15
	v_cmp_ne_u64_e64 s[0:1], v[1:2], v[16:17]
	v_lshlrev_b32_e32 v14, 2, v0
	v_writelane_b32 v61, s0, 16
	v_or_b32_e32 v2, 3, v14
	v_writelane_b32 v61, s1, 17
	v_mad_u64_u32 v[18:19], s[0:1], s34, v2, 0
	v_or_b32_e32 v10, 2, v14
	v_mad_u64_u32 v[20:21], s[0:1], s34, v10, 0
	v_mov_b32_e32 v1, v19
	v_mov_b32_e32 v8, s34
	v_mad_u64_u32 v[1:2], s[0:1], s35, v2, v[1:2]
	v_mov_b32_e32 v9, s35
	v_mov_b32_e32 v2, v21
	v_mad_u64_u32 v[21:22], s[0:1], s34, v14, v[8:9]
	v_mad_u64_u32 v[8:9], s[0:1], s35, v10, v[2:3]
	v_mov_b32_e32 v2, v22
	v_mad_u64_u32 v[9:10], s[0:1], s35, v14, v[2:3]
	v_mov_b32_e32 v31, v1
	v_mov_b32_e32 v1, v3
	v_cmp_gt_u64_e64 s[0:1], s[24:25], v[0:1]
	s_waitcnt lgkmcnt(0)
	v_writelane_b32 v61, s0, 18
	v_writelane_b32 v61, s1, 19
	s_barrier
	s_load_dword s0, s[18:19], 0xc
	v_mbcnt_lo_u32_b32 v7, -1, 0
	v_mbcnt_hi_u32_b32 v28, -1, v7
	v_cmp_gt_u32_e32 vcc, 64, v0
	v_cmp_gt_i32_e64 s[12:13], 4, v28
	s_and_b64 s[44:45], vcc, s[12:13]
	v_cmp_gt_u32_e64 s[2:3], 2, v0
	s_waitcnt lgkmcnt(0)
	s_and_b32 s29, s0, 0xffff
	s_bfe_u32 s4, s0, 0xa0006
	v_writelane_b32 v61, s2, 20
	s_cmp_gt_u32 s29, 63
	v_writelane_b32 v61, s3, 21
	s_cselect_b64 s[0:1], -1, 0
	v_writelane_b32 v61, s0, 22
	v_writelane_b32 v61, s1, 23
	s_add_u32 s0, s29, -1
	s_addc_u32 s1, 0, -1
	s_add_u32 s55, s0, s24
	s_addc_u32 s49, s1, s25
	s_cmp_lt_u32 s6, s14
	v_writelane_b32 v61, s0, 24
	s_cselect_b32 s0, 12, 18
	s_add_u32 s50, s18, s0
	s_addc_u32 s51, s19, 0
	s_add_i32 s5, s4, -1
	s_bfe_u32 s6, s29, 0x30006
	s_and_b32 s5, s5, 0xffff
	s_cmp_gt_u32 s5, 6
	v_writelane_b32 v61, s1, 25
	s_cselect_b64 s[8:9], -1, 0
	v_writelane_b32 v61, s8, 26
	s_and_b32 s54, s4, 0x3f8
	v_lshlrev_b32_e32 v2, 2, v28
	v_writelane_b32 v61, s9, 27
	s_cmp_lg_u32 s6, 0
	v_and_b32_e32 v34, 0x100, v2
	v_lshrrev_b32_e32 v2, 1, v0
	v_writelane_b32 v61, s6, 28
	s_cselect_b64 s[4:5], -1, 0
	v_lshlrev_b64 v[6:7], v28, -1
	v_and_b32_e32 v2, 0x1e0, v2
	v_writelane_b32 v61, s4, 29
	v_or_b32_e32 v35, 0xc00, v2
	v_writelane_b32 v61, s5, 30
	v_lshlrev_b64 v[22:23], 2, v[4:5]
	v_mov_b32_e32 v2, 0xc00
	s_mul_i32 s4, s35, s29
	s_mul_hi_u32 s5, s34, s29
	v_not_b32_e32 v29, v7
	v_not_b32_e32 v30, v6
	v_mov_b32_e32 v32, v8
	v_mov_b32_e32 v33, v9
	s_mov_b32 s43, 0
	v_cmp_eq_u32_e64 s[10:11], 0, v28
	v_mov_b32_e32 v15, v3
	s_mov_b32 s28, s34
	s_mov_b32 s2, s35
	;; [unrolled: 1-line block ×7, first 2 shown]
	s_lshl_b64 s[56:57], s[34:35], 2
	v_lshl_or_b32 v36, v28, 3, v2
	s_add_i32 s33, s5, s4
	s_mul_i32 s52, s34, s29
	s_mov_b64 s[58:59], 0
	s_movk_i32 s47, 0x80
	s_mov_b32 s92, 0xc0c0004
	s_mov_b32 s93, 0
	v_mov_b32_e32 v38, 0x4f800000
	v_mov_b32_e32 v39, 8
	;; [unrolled: 1-line block ×5, first 2 shown]
	v_add_co_u32_e32 v19, vcc, v16, v0
                                        ; implicit-def: $sgpr60_sgpr61
                                        ; implicit-def: $sgpr64_sgpr65
                                        ; implicit-def: $sgpr62_sgpr63
                                        ; implicit-def: $sgpr68_sgpr69
                                        ; implicit-def: $sgpr70_sgpr71
                                        ; implicit-def: $sgpr66_sgpr67
	s_branch .LBB84_11
.LBB84_8:                               ;   in Loop: Header=BB84_11 Depth=1
	s_or_b64 exec, exec, s[4:5]
	s_and_b64 s[14:15], s[14:15], exec
	s_andn2_b64 s[74:75], s[74:75], exec
	s_andn2_b64 s[6:7], s[6:7], exec
	s_orn2_b64 s[20:21], s[20:21], exec
.LBB84_9:                               ;   in Loop: Header=BB84_11 Depth=1
	s_or_b64 exec, exec, s[8:9]
	s_andn2_b64 s[4:5], s[66:67], exec
	s_and_b64 s[8:9], s[14:15], exec
	s_or_b64 s[66:67], s[4:5], s[8:9]
	s_andn2_b64 s[4:5], s[70:71], exec
	s_and_b64 s[8:9], s[74:75], exec
	s_or_b64 s[70:71], s[4:5], s[8:9]
	;; [unrolled: 3-line block ×3, first 2 shown]
	s_orn2_b64 s[6:7], s[20:21], exec
.LBB84_10:                              ;   in Loop: Header=BB84_11 Depth=1
	s_or_b64 exec, exec, s[18:19]
	s_and_b64 s[4:5], exec, s[6:7]
	s_or_b64 s[58:59], s[4:5], s[58:59]
	s_andn2_b64 s[4:5], s[62:63], exec
	s_and_b64 s[6:7], s[66:67], exec
	s_or_b64 s[62:63], s[4:5], s[6:7]
	s_andn2_b64 s[4:5], s[64:65], exec
	s_and_b64 s[6:7], s[70:71], exec
	;; [unrolled: 3-line block ×3, first 2 shown]
	v_mov_b32_e32 v25, v9
	s_or_b64 s[60:61], s[4:5], s[6:7]
	v_mov_b32_e32 v24, v8
	s_andn2_b64 exec, exec, s[58:59]
	s_cbranch_execz .LBB84_274
.LBB84_11:                              ; =>This Loop Header: Depth=1
                                        ;     Child Loop BB84_16 Depth 2
                                        ;     Child Loop BB84_30 Depth 2
	;; [unrolled: 1-line block ×17, first 2 shown]
	ds_read_b128 v[4:7], v3 offset:5120
	s_waitcnt lgkmcnt(0)
	v_readfirstlane_b32 s23, v5
	v_readfirstlane_b32 s22, v4
	s_cmp_lg_u64 s[22:23], 0
	s_cbranch_scc1 .LBB84_43
; %bb.12:                               ;   in Loop: Header=BB84_11 Depth=1
	v_readlane_b32 s4, v61, 12
	v_readlane_b32 s5, v61, 13
	s_and_b64 vcc, exec, s[4:5]
	s_cbranch_vccz .LBB84_24
; %bb.13:                               ;   in Loop: Header=BB84_11 Depth=1
	s_mov_b64 s[4:5], 0xc01
	v_cmp_gt_u64_e32 vcc, s[4:5], v[6:7]
	s_mov_b64 s[18:19], 0
	s_mov_b64 s[6:7], 0
	s_cbranch_vccz .LBB84_25
; %bb.14:                               ;   in Loop: Header=BB84_11 Depth=1
	global_load_ushort v6, v3, s[50:51]
	global_load_ubyte v2, v[12:13], off
	v_mov_b32_e32 v4, s40
	v_mov_b32_e32 v5, s41
	s_mov_b64 s[20:21], 0
	s_waitcnt vmcnt(1)
	v_and_b32_e32 v8, 0xffff, v6
	v_readfirstlane_b32 s6, v6
	v_add_co_u32_e32 v6, vcc, v0, v8
	v_addc_co_u32_e64 v7, s[4:5], 0, 0, vcc
	v_mul_lo_u32 v7, s34, v7
	v_mul_lo_u32 v9, s35, v6
	v_mad_u64_u32 v[4:5], s[4:5], s34, v6, v[4:5]
	s_and_b32 s6, 0xffff, s6
	s_mul_i32 s4, s35, s6
	s_mul_hi_u32 s5, s34, s6
	v_add3_u32 v5, v9, v5, v7
	v_mov_b32_e32 v7, v1
	s_mul_i32 s12, s34, s6
	s_add_i32 s13, s5, s4
	v_mov_b32_e32 v6, v0
	s_branch .LBB84_16
.LBB84_15:                              ;   in Loop: Header=BB84_16 Depth=2
	s_or_b64 exec, exec, s[4:5]
	v_mov_b32_e32 v2, s13
	v_add_co_u32_e32 v4, vcc, s12, v4
	v_addc_co_u32_e32 v5, vcc, v5, v2, vcc
	v_mov_b32_e32 v2, v9
	s_andn2_b64 exec, exec, s[20:21]
	s_cbranch_execz .LBB84_141
.LBB84_16:                              ;   Parent Loop BB84_11 Depth=1
                                        ; =>  This Inner Loop Header: Depth=2
	v_add_co_u32_e32 v6, vcc, v6, v8
	v_addc_co_u32_e32 v7, vcc, 0, v7, vcc
	v_cmp_gt_u64_e64 s[6:7], s[24:25], v[6:7]
	v_cmp_le_u64_e32 vcc, s[24:25], v[6:7]
	s_waitcnt lgkmcnt(0)
	v_mov_b32_e32 v10, 0
	v_mov_b32_e32 v9, 0
	s_and_saveexec_b64 s[4:5], s[6:7]
	s_cbranch_execz .LBB84_18
; %bb.17:                               ;   in Loop: Header=BB84_16 Depth=2
	global_load_ubyte v9, v[4:5], off
.LBB84_18:                              ;   in Loop: Header=BB84_16 Depth=2
	s_or_b64 exec, exec, s[4:5]
	s_waitcnt vmcnt(0)
	v_add_u32_sdwa v11, sext(v2), s47 dst_sel:DWORD dst_unused:UNUSED_PAD src0_sel:BYTE_0 src1_sel:DWORD
	v_and_b32_e32 v11, v11, v40
	v_cmp_eq_u32_e64 s[14:15], v11, v37
	s_cmp_lg_u64 s[14:15], 0
	s_cselect_b64 s[4:5], -1, 0
	s_and_b64 s[4:5], s[10:11], s[4:5]
	s_and_saveexec_b64 s[8:9], s[4:5]
	s_cbranch_execz .LBB84_22
; %bb.19:                               ;   in Loop: Header=BB84_16 Depth=2
	s_mov_b64 s[16:17], exec
	v_mbcnt_lo_u32_b32 v10, s16, 0
	v_mbcnt_hi_u32_b32 v10, s17, v10
	s_bcnt1_i32_b64 s22, s[14:15]
	v_cmp_eq_u32_e64 s[6:7], 0, v10
                                        ; implicit-def: $vgpr11
	s_and_saveexec_b64 s[4:5], s[6:7]
; %bb.20:                               ;   in Loop: Header=BB84_16 Depth=2
	s_bcnt1_i32_b64 s6, s[16:17]
	s_mul_i32 s6, s22, s6
	v_mov_b32_e32 v11, s6
	ds_add_rtn_u32 v11, v3, v11 offset:5144
; %bb.21:                               ;   in Loop: Header=BB84_16 Depth=2
	s_or_b64 exec, exec, s[4:5]
	s_waitcnt lgkmcnt(0)
	v_readfirstlane_b32 s4, v11
	v_mov_b32_e32 v11, s4
	v_mad_u32_u24 v10, s22, v10, v11
.LBB84_22:                              ;   in Loop: Header=BB84_16 Depth=2
	s_or_b64 exec, exec, s[8:9]
	ds_bpermute_b32 v10, v34, v10
	s_and_b64 s[4:5], exec, vcc
	s_or_b64 s[20:21], s[4:5], s[20:21]
	s_and_saveexec_b64 s[4:5], s[14:15]
	s_cbranch_execz .LBB84_15
; %bb.23:                               ;   in Loop: Header=BB84_16 Depth=2
	v_and_b32_e32 v26, s14, v30
	v_and_b32_e32 v11, s15, v29
	v_bcnt_u32_b32 v26, v26, 0
	v_bcnt_u32_b32 v11, v11, v26
	s_waitcnt lgkmcnt(0)
	v_add_u32_e32 v10, v10, v11
	ds_write_b8 v10, v2
	s_branch .LBB84_15
.LBB84_24:                              ;   in Loop: Header=BB84_11 Depth=1
	s_mov_b64 s[18:19], -1
	s_mov_b64 s[6:7], 0
.LBB84_25:                              ;   in Loop: Header=BB84_11 Depth=1
	s_and_b64 vcc, exec, s[18:19]
	s_cbranch_vccz .LBB84_41
.LBB84_26:                              ;   in Loop: Header=BB84_11 Depth=1
	s_mov_b64 s[18:19], exec
	v_readlane_b32 s4, v61, 18
	v_readlane_b32 s5, v61, 19
	s_and_b64 s[4:5], s[18:19], s[4:5]
	s_mov_b64 exec, s[4:5]
	s_cbranch_execz .LBB84_38
; %bb.27:                               ;   in Loop: Header=BB84_11 Depth=1
	global_load_ushort v2, v3, s[50:51]
	global_load_ubyte v42, v[12:13], off
	v_mov_b32_e32 v6, v0
	s_waitcnt vmcnt(1)
	v_readfirstlane_b32 s4, v2
	v_add_u32_sdwa v2, v2, v0 dst_sel:DWORD dst_unused:UNUSED_PAD src0_sel:WORD_0 src1_sel:DWORD
	v_cmp_gt_u64_e32 vcc, s[24:25], v[2:3]
	s_and_saveexec_b64 s[20:21], vcc
	s_cbranch_execz .LBB84_37
; %bb.28:                               ;   in Loop: Header=BB84_11 Depth=1
	s_and_b32 s4, s4, 0xffff
	s_cmp_eq_u32 s4, 1
	v_readlane_b32 s8, v61, 14
                                        ; implicit-def: $vgpr6_vgpr7
	s_cselect_b64 s[6:7], -1, 0
	v_readlane_b32 s9, v61, 15
	v_mov_b32_e32 v8, v1
	v_mov_b32_e32 v5, v3
	s_and_b64 s[8:9], s[8:9], s[6:7]
	s_mov_b64 s[6:7], -1
	v_mov_b32_e32 v7, v0
	v_mov_b32_e32 v4, v2
	s_and_saveexec_b64 s[22:23], s[8:9]
	s_cbranch_execz .LBB84_32
; %bb.29:                               ;   in Loop: Header=BB84_11 Depth=1
	v_add_co_u32_e32 v8, vcc, 3, v2
	v_addc_co_u32_e64 v9, s[6:7], 0, 0, vcc
	v_add_co_u32_e32 v6, vcc, 2, v2
	v_addc_co_u32_e64 v7, s[6:7], 0, 0, vcc
	;; [unrolled: 2-line block ×3, first 2 shown]
	v_mov_b32_e32 v27, v17
	v_mov_b32_e32 v11, v9
	s_waitcnt vmcnt(0)
	v_lshlrev_b32_e32 v44, 24, v42
	s_mov_b64 s[26:27], 0
	v_mov_b32_e32 v26, v16
	v_mov_b32_e32 v43, v0
	;; [unrolled: 1-line block ×9, first 2 shown]
.LBB84_30:                              ;   Parent Loop BB84_11 Depth=1
                                        ; =>  This Inner Loop Header: Depth=2
	v_mul_lo_u32 v42, v9, s3
	v_mul_lo_u32 v53, v8, s0
	v_mad_u64_u32 v[45:46], s[6:7], v8, s3, 0
	v_mul_lo_u32 v54, v7, s28
	v_mul_lo_u32 v55, v6, s2
	v_mad_u64_u32 v[47:48], s[6:7], v6, s28, 0
	v_mov_b32_e32 v52, s41
	v_mul_lo_u32 v56, v5, s34
	v_mul_lo_u32 v57, v4, s35
	v_mad_u64_u32 v[49:50], s[6:7], v4, s34, 0
	v_mov_b32_e32 v51, s40
	;; [unrolled: 4-line block ×3, first 2 shown]
	v_add3_u32 v42, v46, v53, v42
	v_add3_u32 v55, v48, v55, v54
	v_add_co_u32_e32 v46, vcc, s40, v47
	v_add3_u32 v50, v50, v57, v56
	v_add_co_u32_e64 v48, s[6:7], s40, v45
	v_add_co_u32_e64 v53, s[14:15], s40, v49
	v_addc_co_u32_e32 v47, vcc, v58, v55, vcc
	v_addc_co_u32_e64 v54, s[14:15], v58, v50, s[14:15]
	v_addc_co_u32_e64 v49, vcc, v58, v42, s[6:7]
	v_add3_u32 v52, v60, v52, v59
	global_load_ubyte v45, v[46:47], off
	s_nop 0
	global_load_ubyte v46, v[48:49], off
	global_load_ubyte v42, v[51:52], off
	;; [unrolled: 1-line block ×3, first 2 shown]
	v_add_co_u32_e32 v8, vcc, 4, v8
	v_addc_co_u32_e32 v9, vcc, 0, v9, vcc
	v_add_co_u32_e32 v6, vcc, 4, v6
	v_addc_co_u32_e32 v7, vcc, 0, v7, vcc
	;; [unrolled: 2-line block ×3, first 2 shown]
	v_add_co_u32_e32 v26, vcc, -4, v26
	v_addc_co_u32_e32 v27, vcc, -1, v27, vcc
	s_mov_b32 s5, 0xc0c0007
	v_cmp_eq_u64_e32 vcc, 0, v[26:27]
	v_add_co_u32_e64 v10, s[6:7], 4, v10
	v_addc_co_u32_e64 v11, s[6:7], 0, v11, s[6:7]
	s_or_b64 s[26:27], vcc, s[26:27]
	s_waitcnt vmcnt(1)
	v_perm_b32 v49, v46, v42, s92
	s_waitcnt vmcnt(0)
	v_perm_b32 v48, v47, v45, s92
	v_perm_b32 v45, v45, v46, s92
	;; [unrolled: 1-line block ×3, first 2 shown]
	v_lshl_or_b32 v46, v49, 16, v48
	v_lshl_or_b32 v44, v45, 16, v44
	ds_write_b32 v43, v44
	v_add_u32_e32 v43, 4, v43
	v_mov_b32_e32 v44, v46
	s_andn2_b64 exec, exec, s[26:27]
	s_cbranch_execnz .LBB84_30
; %bb.31:                               ;   in Loop: Header=BB84_11 Depth=1
	s_or_b64 exec, exec, s[26:27]
	v_readlane_b32 s6, v61, 16
	v_add_co_u32_e32 v4, vcc, v2, v16
	v_readlane_b32 s7, v61, 17
	v_addc_co_u32_e32 v5, vcc, 0, v17, vcc
	v_add_co_u32_e32 v6, vcc, -1, v4
	s_orn2_b64 s[6:7], s[6:7], exec
	v_mov_b32_e32 v7, v19
	v_mov_b32_e32 v8, v20
.LBB84_32:                              ;   in Loop: Header=BB84_11 Depth=1
	s_or_b64 exec, exec, s[22:23]
	s_and_saveexec_b64 s[8:9], s[6:7]
	s_cbranch_execz .LBB84_36
; %bb.33:                               ;   in Loop: Header=BB84_11 Depth=1
	v_mov_b32_e32 v8, s40
	v_mov_b32_e32 v9, s41
	v_mad_u64_u32 v[9:10], s[6:7], s34, v4, v[8:9]
	v_mul_lo_u32 v2, s34, v5
	v_mul_lo_u32 v6, s35, v4
	s_mul_i32 s6, s35, s4
	s_mul_hi_u32 s7, s34, s4
	s_mov_b64 s[14:15], 0
	s_sub_u32 s5, 0, s4
	v_add3_u32 v10, v6, v10, v2
	s_add_i32 s12, s7, s6
	s_mul_i32 s13, s34, s4
.LBB84_34:                              ;   Parent Loop BB84_11 Depth=1
                                        ; =>  This Inner Loop Header: Depth=2
	global_load_ubyte v2, v[9:10], off
	v_mov_b32_e32 v27, v5
	v_mov_b32_e32 v26, v4
	;; [unrolled: 1-line block ×3, first 2 shown]
	v_add_co_u32_e32 v9, vcc, s13, v9
	v_add_co_u32_e64 v4, s[6:7], s4, v26
	v_addc_co_u32_e64 v5, s[6:7], 0, v27, s[6:7]
	v_addc_co_u32_e32 v10, vcc, v10, v6, vcc
	v_cmp_le_u64_e32 vcc, s[24:25], v[4:5]
	s_waitcnt vmcnt(1)
	ds_write_b8 v7, v42
	v_mov_b32_e32 v7, v26
	v_add_co_u32_e64 v6, s[6:7], s5, v4
	s_or_b64 s[14:15], vcc, s[14:15]
	v_mov_b32_e32 v8, v27
	s_waitcnt vmcnt(0)
	v_mov_b32_e32 v42, v2
	s_andn2_b64 exec, exec, s[14:15]
	s_cbranch_execnz .LBB84_34
; %bb.35:                               ;   in Loop: Header=BB84_11 Depth=1
	s_or_b64 exec, exec, s[14:15]
	v_mov_b32_e32 v42, v2
.LBB84_36:                              ;   in Loop: Header=BB84_11 Depth=1
	s_or_b64 exec, exec, s[8:9]
.LBB84_37:                              ;   in Loop: Header=BB84_11 Depth=1
	s_or_b64 exec, exec, s[20:21]
	s_waitcnt vmcnt(0)
	ds_write_b8 v6, v42
.LBB84_38:                              ;   in Loop: Header=BB84_11 Depth=1
	s_or_b64 exec, exec, s[18:19]
	s_waitcnt lgkmcnt(0)
	s_barrier
	s_mov_b64 s[4:5], exec
	v_readlane_b32 s6, v61, 0
	v_readlane_b32 s7, v61, 1
	s_and_b64 s[6:7], s[4:5], s[6:7]
	s_mov_b64 exec, s[6:7]
; %bb.39:                               ;   in Loop: Header=BB84_11 Depth=1
	v_mov_b32_e32 v4, s24
	v_mov_b32_e32 v5, s25
	ds_write_b64 v3, v[4:5] offset:5120
; %bb.40:                               ;   in Loop: Header=BB84_11 Depth=1
	s_or_b64 exec, exec, s[4:5]
	s_mov_b64 s[6:7], -1
	s_waitcnt lgkmcnt(0)
	s_barrier
.LBB84_41:                              ;   in Loop: Header=BB84_11 Depth=1
	s_mov_b64 s[22:23], 0
	s_and_b64 vcc, exec, s[6:7]
	s_cbranch_vccz .LBB84_43
; %bb.42:                               ;   in Loop: Header=BB84_11 Depth=1
	ds_read_b64 v[4:5], v3 offset:5120
	s_waitcnt lgkmcnt(0)
	v_readfirstlane_b32 s22, v4
.LBB84_43:                              ;   in Loop: Header=BB84_11 Depth=1
	s_cmp_lt_i32 s22, 1
	s_mov_b64 s[6:7], -1
                                        ; implicit-def: $vgpr10_vgpr11
                                        ; implicit-def: $vgpr6_vgpr7
	s_cbranch_scc1 .LBB84_53
; %bb.44:                               ;   in Loop: Header=BB84_11 Depth=1
	s_and_b64 vcc, exec, s[6:7]
	s_cbranch_vccnz .LBB84_67
.LBB84_45:                              ;   in Loop: Header=BB84_11 Depth=1
	s_lshl_b32 s8, s93, 6
	s_and_saveexec_b64 s[4:5], s[10:11]
	s_cbranch_execz .LBB84_47
.LBB84_46:                              ;   in Loop: Header=BB84_11 Depth=1
	v_lshl_add_u32 v2, s8, 3, v35
	ds_write_b128 v2, v[4:7]
	ds_write_b128 v2, v[8:11] offset:16
.LBB84_47:                              ;   in Loop: Header=BB84_11 Depth=1
	s_or_b64 exec, exec, s[4:5]
	s_waitcnt lgkmcnt(0)
	s_barrier
	s_and_saveexec_b64 s[6:7], s[44:45]
	s_cbranch_execz .LBB84_82
; %bb.48:                               ;   in Loop: Header=BB84_11 Depth=1
	v_readlane_b32 s4, v61, 22
	v_mov_b32_e32 v4, 0
	v_readlane_b32 s5, v61, 23
	v_mov_b32_e32 v5, 0
	s_andn2_b64 vcc, exec, s[4:5]
	s_cbranch_vccnz .LBB84_81
; %bb.49:                               ;   in Loop: Header=BB84_11 Depth=1
	v_readlane_b32 s4, v61, 26
	v_readlane_b32 s5, v61, 27
	s_andn2_b64 vcc, exec, s[4:5]
	s_cbranch_vccnz .LBB84_77
; %bb.50:                               ;   in Loop: Header=BB84_11 Depth=1
	v_mov_b32_e32 v4, 0
	v_lshl_add_u32 v2, s93, 9, v36
	v_mov_b32_e32 v5, 0
	s_mov_b32 s4, 0
.LBB84_51:                              ;   Parent Loop BB84_11 Depth=1
                                        ; =>  This Inner Loop Header: Depth=2
	ds_read2_b64 v[6:9], v2 offset1:4
	ds_read2_b64 v[42:45], v2 offset0:8 offset1:12
	ds_read2_b64 v[46:49], v2 offset0:16 offset1:20
	;; [unrolled: 1-line block ×3, first 2 shown]
	s_add_i32 s4, s4, 8
	s_waitcnt lgkmcnt(3)
	v_add_co_u32_e32 v4, vcc, v6, v4
	v_addc_co_u32_e32 v5, vcc, v7, v5, vcc
	v_add_co_u32_e32 v4, vcc, v8, v4
	v_addc_co_u32_e32 v5, vcc, v9, v5, vcc
	s_waitcnt lgkmcnt(2)
	v_add_co_u32_e32 v4, vcc, v42, v4
	v_addc_co_u32_e32 v5, vcc, v43, v5, vcc
	v_add_co_u32_e32 v4, vcc, v44, v4
	v_addc_co_u32_e32 v5, vcc, v45, v5, vcc
	;; [unrolled: 5-line block ×3, first 2 shown]
	s_waitcnt lgkmcnt(0)
	v_add_co_u32_e32 v4, vcc, v50, v4
	v_addc_co_u32_e32 v5, vcc, v51, v5, vcc
	v_add_co_u32_e32 v4, vcc, v52, v4
	v_add_u32_e32 v2, 0x100, v2
	s_cmp_eq_u32 s54, s4
	v_addc_co_u32_e32 v5, vcc, v53, v5, vcc
	s_cbranch_scc0 .LBB84_51
; %bb.52:                               ;   in Loop: Header=BB84_11 Depth=1
	s_mov_b32 s4, s54
	s_branch .LBB84_78
.LBB84_53:                              ;   in Loop: Header=BB84_11 Depth=1
	global_load_ushort v2, v3, s[50:51]
	s_mov_b32 s4, s43
	s_waitcnt vmcnt(0)
	v_readfirstlane_b32 s5, v2
	s_and_b32 s8, s5, 0xffff
	s_lshl_b32 s9, s8, 2
	s_mov_b32 s5, s25
	s_cmp_lg_u64 s[4:5], 0
	s_cbranch_scc0 .LBB84_76
; %bb.54:                               ;   in Loop: Header=BB84_11 Depth=1
	v_cvt_f32_u32_e32 v2, s9
	s_sub_u32 s6, 0, s9
	s_subb_u32 s7, 0, 0
	v_mac_f32_e32 v2, 0, v38
	v_rcp_f32_e32 v2, v2
	v_mul_f32_e32 v2, 0x5f7ffffc, v2
	v_mul_f32_e32 v4, 0x2f800000, v2
	v_trunc_f32_e32 v4, v4
	v_mac_f32_e32 v2, 0xcf800000, v4
	v_cvt_u32_f32_e32 v4, v4
	v_cvt_u32_f32_e32 v2, v2
	v_readfirstlane_b32 s12, v4
	v_readfirstlane_b32 s4, v2
	s_mul_i32 s5, s6, s12
	s_mul_hi_u32 s14, s6, s4
	s_mul_i32 s13, s7, s4
	s_add_i32 s5, s14, s5
	s_mul_i32 s15, s6, s4
	s_add_i32 s5, s5, s13
	s_mul_hi_u32 s14, s4, s15
	s_mul_i32 s16, s4, s5
	s_mul_hi_u32 s13, s4, s5
	s_add_u32 s14, s14, s16
	s_addc_u32 s13, 0, s13
	s_mul_hi_u32 s17, s12, s15
	s_mul_i32 s15, s12, s15
	s_add_u32 s14, s14, s15
	s_mul_hi_u32 s16, s12, s5
	s_addc_u32 s13, s13, s17
	s_addc_u32 s14, s16, 0
	s_mul_i32 s5, s12, s5
	s_add_u32 s5, s13, s5
	s_addc_u32 s13, 0, s14
	s_add_u32 s14, s4, s5
	s_cselect_b64 s[4:5], -1, 0
	s_cmp_lg_u64 s[4:5], 0
	s_addc_u32 s12, s12, s13
	s_mul_i32 s4, s6, s12
	s_mul_hi_u32 s5, s6, s14
	s_add_i32 s4, s5, s4
	s_mul_i32 s7, s7, s14
	s_add_i32 s4, s4, s7
	s_mul_i32 s6, s6, s14
	s_mul_hi_u32 s7, s12, s6
	s_mul_i32 s13, s12, s6
	s_mul_i32 s16, s14, s4
	s_mul_hi_u32 s6, s14, s6
	s_mul_hi_u32 s15, s14, s4
	s_add_u32 s6, s6, s16
	s_addc_u32 s15, 0, s15
	s_add_u32 s6, s6, s13
	s_mul_hi_u32 s5, s12, s4
	s_addc_u32 s6, s15, s7
	s_addc_u32 s5, s5, 0
	s_mul_i32 s4, s12, s4
	s_add_u32 s4, s6, s4
	s_addc_u32 s6, 0, s5
	s_add_u32 s7, s14, s4
	s_cselect_b64 s[4:5], -1, 0
	s_cmp_lg_u64 s[4:5], 0
	s_addc_u32 s4, s12, s6
	s_mul_i32 s6, s24, s4
	s_mul_hi_u32 s12, s24, s7
	s_mul_hi_u32 s5, s24, s4
	s_add_u32 s6, s12, s6
	s_addc_u32 s5, 0, s5
	s_mul_hi_u32 s13, s25, s7
	s_mul_i32 s7, s25, s7
	s_add_u32 s6, s6, s7
	s_mul_hi_u32 s12, s25, s4
	s_addc_u32 s5, s5, s13
	s_addc_u32 s6, s12, 0
	s_mul_i32 s4, s25, s4
	s_add_u32 s4, s5, s4
	s_addc_u32 s5, 0, s6
	s_mul_i32 s5, s9, s5
	s_mul_hi_u32 s6, s9, s4
	s_add_i32 s6, s6, s5
	s_mul_i32 s4, s9, s4
	s_sub_u32 s12, s24, s4
	s_cselect_b64 s[4:5], -1, 0
	s_cmp_lg_u64 s[4:5], 0
	s_subb_u32 s6, s25, s6
	s_sub_u32 s7, s12, s9
	s_cselect_b64 s[4:5], -1, 0
	s_cmp_lg_u64 s[4:5], 0
	s_subb_u32 s13, s6, 0
	;; [unrolled: 4-line block ×3, first 2 shown]
	s_cmp_ge_u32 s7, s9
	s_cselect_b32 s5, -1, 0
	s_cmp_eq_u32 s13, 0
	s_cselect_b32 s5, s5, -1
	s_cmp_lg_u32 s5, 0
	s_cselect_b32 s4, s4, s13
	s_cselect_b32 s5, s14, s7
	s_cmp_ge_u32 s12, s9
	s_cselect_b32 s7, -1, 0
	s_cmp_eq_u32 s6, 0
	s_cselect_b32 s7, s7, -1
	s_cmp_lg_u32 s7, 0
	s_cselect_b32 s7, s4, s6
	s_cselect_b32 s6, s5, s12
	s_cbranch_execnz .LBB84_56
.LBB84_55:                              ;   in Loop: Header=BB84_11 Depth=1
	v_cvt_f32_u32_e32 v2, s9
	s_sub_i32 s4, 0, s9
	v_rcp_iflag_f32_e32 v2, v2
	v_mul_f32_e32 v2, 0x4f7ffffe, v2
	v_cvt_u32_f32_e32 v2, v2
	v_readfirstlane_b32 s5, v2
	s_mul_i32 s4, s4, s5
	s_mul_hi_u32 s4, s5, s4
	s_add_i32 s5, s5, s4
	s_mul_hi_u32 s4, s24, s5
	s_mul_i32 s4, s4, s9
	s_sub_i32 s4, s24, s4
	s_sub_i32 s5, s4, s9
	s_cmp_ge_u32 s4, s9
	s_cselect_b32 s4, s5, s4
	s_sub_i32 s5, s4, s9
	s_cmp_ge_u32 s4, s9
	s_cselect_b32 s42, s5, s4
	s_mov_b64 s[6:7], s[42:43]
.LBB84_56:                              ;   in Loop: Header=BB84_11 Depth=1
	s_sub_u32 s72, s24, s6
	s_subb_u32 s73, s25, s7
	v_cmp_gt_u64_e32 vcc, s[72:73], v[14:15]
	v_mov_b32_e32 v4, 0
	v_mov_b32_e32 v6, 0
	;; [unrolled: 1-line block ×8, first 2 shown]
	s_and_saveexec_b64 s[74:75], vcc
	s_cbranch_execz .LBB84_60
; %bb.57:                               ;   in Loop: Header=BB84_11 Depth=1
	s_mul_i32 s4, s57, s8
	s_mul_hi_u32 s5, s56, s8
	v_mov_b32_e32 v27, v15
	s_add_i32 s4, s5, s4
	s_mov_b64 s[76:77], 0
	s_mov_b64 s[78:79], s[40:41]
	;; [unrolled: 1-line block ×6, first 2 shown]
	v_mov_b32_e32 v26, v14
.LBB84_58:                              ;   Parent Loop BB84_11 Depth=1
                                        ; =>  This Inner Loop Header: Depth=2
	v_add_co_u32_e32 v4, vcc, s78, v22
	v_mov_b32_e32 v2, s79
	v_addc_co_u32_e32 v5, vcc, v2, v23, vcc
	global_load_sbyte v6, v[4:5], off
	v_add_co_u32_e32 v4, vcc, s78, v21
	v_addc_co_u32_e32 v5, vcc, v2, v33, vcc
	global_load_sbyte v7, v[4:5], off
	v_add_co_u32_e32 v4, vcc, s78, v20
	;; [unrolled: 3-line block ×3, first 2 shown]
	v_addc_co_u32_e32 v5, vcc, v2, v31, vcc
	global_load_sbyte v2, v[4:5], off
	s_waitcnt vmcnt(3)
	v_add_u32_e32 v4, 0x80, v6
	s_waitcnt vmcnt(2)
	v_add_u32_e32 v5, 0x80, v7
	v_and_b32_e32 v7, v4, v40
	v_bfe_u32 v4, v4, s46, 2
	v_cmp_eq_u32_e32 vcc, v7, v37
	v_and_b32_e32 v7, v5, v40
	s_waitcnt vmcnt(1)
	v_add_u32_e32 v6, 0x80, v8
	v_bfe_u32 v5, v5, s46, 2
	v_cmp_eq_u32_e64 s[20:21], 0, v4
	v_cmp_eq_u32_e64 s[6:7], v7, v37
	v_and_b32_e32 v7, v6, v40
	s_waitcnt vmcnt(0)
	v_add_u32_e32 v2, 0x80, v2
	v_bfe_u32 v6, v6, s46, 2
	s_and_b64 s[12:13], vcc, s[20:21]
	v_cmp_eq_u32_e64 s[20:21], 0, v5
	v_cmp_eq_u32_e64 s[14:15], v7, v37
	v_and_b32_e32 v7, v2, v40
	v_bfe_u32 v2, v2, s46, 2
	s_and_b64 s[16:17], s[6:7], s[20:21]
	v_cmp_eq_u32_e64 s[20:21], 0, v6
	v_cmp_eq_u32_e64 s[18:19], v7, v37
	s_and_b64 s[26:27], s[14:15], s[20:21]
	v_cmp_eq_u32_e64 s[20:21], 0, v2
	v_cndmask_b32_e64 v7, 0, 1, s[12:13]
	s_and_b64 s[30:31], s[18:19], s[20:21]
	v_cmp_ne_u32_e64 s[20:21], 0, v7
	v_cndmask_b32_e64 v7, 0, 1, s[16:17]
	s_bcnt1_i32_b64 s5, s[20:21]
	v_cmp_ne_u32_e64 s[20:21], 0, v7
	v_cndmask_b32_e64 v7, 0, 1, s[26:27]
	s_bcnt1_i32_b64 s12, s[20:21]
	;; [unrolled: 3-line block ×3, first 2 shown]
	v_cmp_ne_u32_e64 s[20:21], 0, v7
	s_bcnt1_i32_b64 s16, s[20:21]
	s_add_u32 s5, s5, s86
	s_addc_u32 s17, 0, s87
	s_add_u32 s5, s5, s12
	s_addc_u32 s12, s17, 0
	;; [unrolled: 2-line block ×3, first 2 shown]
	s_add_u32 s86, s5, s16
	v_cmp_eq_u32_e64 s[20:21], 1, v4
	s_addc_u32 s87, s12, 0
	s_and_b64 s[12:13], vcc, s[20:21]
	v_cmp_eq_u32_e64 s[20:21], 1, v5
	s_and_b64 s[16:17], s[6:7], s[20:21]
	v_cmp_eq_u32_e64 s[20:21], 1, v6
	s_and_b64 s[26:27], s[14:15], s[20:21]
	v_cmp_eq_u32_e64 s[20:21], 1, v2
	v_cndmask_b32_e64 v7, 0, 1, s[12:13]
	s_and_b64 s[30:31], s[18:19], s[20:21]
	v_cmp_ne_u32_e64 s[20:21], 0, v7
	v_cndmask_b32_e64 v7, 0, 1, s[16:17]
	s_bcnt1_i32_b64 s5, s[20:21]
	v_cmp_ne_u32_e64 s[20:21], 0, v7
	v_cndmask_b32_e64 v7, 0, 1, s[26:27]
	s_bcnt1_i32_b64 s12, s[20:21]
	;; [unrolled: 3-line block ×3, first 2 shown]
	v_cmp_ne_u32_e64 s[20:21], 0, v7
	s_bcnt1_i32_b64 s16, s[20:21]
	s_add_u32 s5, s5, s84
	s_addc_u32 s17, 0, s85
	s_add_u32 s5, s5, s12
	s_addc_u32 s12, s17, 0
	s_add_u32 s5, s5, s13
	s_addc_u32 s12, s12, 0
	s_add_u32 s84, s5, s16
	v_cmp_eq_u32_e64 s[20:21], 2, v4
	s_addc_u32 s85, s12, 0
	s_and_b64 s[12:13], vcc, s[20:21]
	v_cmp_eq_u32_e64 s[20:21], 2, v5
	s_and_b64 s[16:17], s[6:7], s[20:21]
	v_cmp_eq_u32_e64 s[20:21], 2, v6
	s_and_b64 s[26:27], s[14:15], s[20:21]
	v_cmp_eq_u32_e64 s[20:21], 2, v2
	v_cndmask_b32_e64 v7, 0, 1, s[12:13]
	s_and_b64 s[30:31], s[18:19], s[20:21]
	v_cmp_ne_u32_e64 s[20:21], 0, v7
	v_cndmask_b32_e64 v7, 0, 1, s[16:17]
	s_bcnt1_i32_b64 s5, s[20:21]
	v_cmp_ne_u32_e64 s[20:21], 0, v7
	v_cndmask_b32_e64 v7, 0, 1, s[26:27]
	s_bcnt1_i32_b64 s12, s[20:21]
	;; [unrolled: 3-line block ×3, first 2 shown]
	v_cmp_ne_u32_e64 s[20:21], 0, v7
	s_bcnt1_i32_b64 s16, s[20:21]
	s_add_u32 s5, s5, s82
	s_addc_u32 s17, 0, s83
	s_add_u32 s5, s5, s12
	s_addc_u32 s12, s17, 0
	;; [unrolled: 2-line block ×3, first 2 shown]
	s_add_u32 s82, s5, s16
	v_cmp_eq_u32_e64 s[20:21], 3, v4
	s_addc_u32 s83, s12, 0
	s_and_b64 s[12:13], vcc, s[20:21]
	v_cmp_eq_u32_e32 vcc, 3, v5
	s_and_b64 s[6:7], s[6:7], vcc
	v_cmp_eq_u32_e32 vcc, 3, v6
	s_and_b64 s[14:15], s[14:15], vcc
	v_cmp_eq_u32_e32 vcc, 3, v2
	v_cndmask_b32_e64 v2, 0, 1, s[12:13]
	s_and_b64 s[16:17], s[18:19], vcc
	v_cmp_ne_u32_e32 vcc, 0, v2
	v_cndmask_b32_e64 v2, 0, 1, s[6:7]
	s_bcnt1_i32_b64 s5, vcc
	v_cmp_ne_u32_e32 vcc, 0, v2
	v_cndmask_b32_e64 v2, 0, 1, s[14:15]
	s_bcnt1_i32_b64 s6, vcc
	;; [unrolled: 3-line block ×3, first 2 shown]
	v_cmp_ne_u32_e32 vcc, 0, v2
	s_bcnt1_i32_b64 s12, vcc
	s_add_u32 s5, s5, s80
	s_addc_u32 s13, 0, s81
	s_add_u32 s5, s5, s6
	s_addc_u32 s6, s13, 0
	;; [unrolled: 2-line block ×3, first 2 shown]
	s_add_u32 s80, s5, s12
	v_add_co_u32_e32 v26, vcc, s9, v26
	s_addc_u32 s81, s6, 0
	v_addc_co_u32_e32 v27, vcc, 0, v27, vcc
	s_mul_i32 s5, s56, s8
	s_add_u32 s78, s78, s5
	v_cmp_le_u64_e32 vcc, s[72:73], v[26:27]
	s_addc_u32 s79, s79, s4
	v_mov_b32_e32 v4, s86
	v_mov_b32_e32 v6, s84
	v_mov_b32_e32 v8, s82
	v_mov_b32_e32 v10, s80
	s_or_b64 s[76:77], vcc, s[76:77]
	v_mov_b32_e32 v5, s87
	v_mov_b32_e32 v7, s85
	;; [unrolled: 1-line block ×4, first 2 shown]
	s_andn2_b64 exec, exec, s[76:77]
	s_cbranch_execnz .LBB84_58
; %bb.59:                               ;   in Loop: Header=BB84_11 Depth=1
	s_or_b64 exec, exec, s[76:77]
.LBB84_60:                              ;   in Loop: Header=BB84_11 Depth=1
	s_or_b64 exec, exec, s[74:75]
	v_mov_b32_e32 v2, s73
	v_add_co_u32_e32 v26, vcc, s72, v0
	v_addc_co_u32_e32 v27, vcc, 0, v2, vcc
	v_cmp_gt_u64_e32 vcc, s[24:25], v[26:27]
	s_and_saveexec_b64 s[14:15], vcc
	s_cbranch_execz .LBB84_66
; %bb.61:                               ;   in Loop: Header=BB84_11 Depth=1
	v_mov_b32_e32 v43, s41
	v_mov_b32_e32 v42, s40
	v_mad_u64_u32 v[42:43], s[4:5], v26, s34, v[42:43]
	v_mul_lo_u32 v2, v26, s35
	v_mul_lo_u32 v44, v27, s34
	s_mov_b64 s[18:19], 0
	v_add3_u32 v43, v44, v43, v2
	global_load_ubyte v42, v[42:43], off
	s_branch .LBB84_63
.LBB84_62:                              ;   in Loop: Header=BB84_63 Depth=2
	s_or_b64 exec, exec, s[4:5]
	s_waitcnt vmcnt(0)
	v_add_u32_sdwa v42, sext(v42), s47 dst_sel:DWORD dst_unused:UNUSED_PAD src0_sel:BYTE_0 src1_sel:DWORD
	s_and_b64 s[4:5], exec, vcc
	v_and_b32_e32 v43, v42, v40
	v_bfe_u32 v42, v42, s46, 2
	s_or_b64 s[18:19], s[4:5], s[18:19]
	v_cmp_eq_u32_e32 vcc, v43, v37
	v_cmp_eq_u32_e64 s[6:7], 0, v42
	s_and_b64 s[4:5], vcc, s[6:7]
	v_cndmask_b32_e64 v43, 0, 1, s[4:5]
	v_cmp_ne_u32_e64 s[6:7], 0, v43
	s_bcnt1_i32_b64 s4, s[6:7]
	v_add_co_u32_e64 v4, s[6:7], s4, v4
	v_addc_co_u32_e64 v5, s[6:7], 0, v5, s[6:7]
	v_cmp_eq_u32_e64 s[6:7], 1, v42
	s_and_b64 s[4:5], vcc, s[6:7]
	v_cndmask_b32_e64 v43, 0, 1, s[4:5]
	v_cmp_ne_u32_e64 s[6:7], 0, v43
	s_bcnt1_i32_b64 s4, s[6:7]
	v_add_co_u32_e64 v6, s[6:7], s4, v6
	v_addc_co_u32_e64 v7, s[6:7], 0, v7, s[6:7]
	;; [unrolled: 7-line block ×3, first 2 shown]
	v_cmp_eq_u32_e64 s[6:7], 3, v42
	s_and_b64 s[4:5], vcc, s[6:7]
	v_cndmask_b32_e64 v42, 0, 1, s[4:5]
	v_cmp_ne_u32_e32 vcc, 0, v42
	s_bcnt1_i32_b64 s4, vcc
	v_add_co_u32_e32 v10, vcc, s4, v10
	v_addc_co_u32_e32 v11, vcc, 0, v11, vcc
	v_mov_b32_e32 v42, v2
	s_andn2_b64 exec, exec, s[18:19]
	s_cbranch_execz .LBB84_65
.LBB84_63:                              ;   Parent Loop BB84_11 Depth=1
                                        ; =>  This Inner Loop Header: Depth=2
	v_add_co_u32_e32 v26, vcc, s8, v26
	v_addc_co_u32_e32 v27, vcc, 0, v27, vcc
	v_cmp_gt_u64_e64 s[6:7], s[24:25], v[26:27]
	v_cmp_le_u64_e32 vcc, s[24:25], v[26:27]
	v_mov_b32_e32 v2, 0
	s_and_saveexec_b64 s[4:5], s[6:7]
	s_cbranch_execz .LBB84_62
; %bb.64:                               ;   in Loop: Header=BB84_63 Depth=2
	v_mov_b32_e32 v44, s41
	v_mov_b32_e32 v43, s40
	v_mad_u64_u32 v[43:44], s[6:7], v26, s34, v[43:44]
	v_mul_lo_u32 v2, v26, s35
	v_mul_lo_u32 v45, v27, s34
	v_add3_u32 v44, v45, v44, v2
	global_load_ubyte v2, v[43:44], off
	s_branch .LBB84_62
.LBB84_65:                              ;   in Loop: Header=BB84_11 Depth=1
	s_or_b64 exec, exec, s[18:19]
.LBB84_66:                              ;   in Loop: Header=BB84_11 Depth=1
	s_or_b64 exec, exec, s[14:15]
	s_branch .LBB84_45
.LBB84_67:                              ;   in Loop: Header=BB84_11 Depth=1
	global_load_ushort v2, v3, s[50:51]
	v_mov_b32_e32 v8, 0
	v_mov_b32_e32 v9, 0
	s_waitcnt vmcnt(0)
	v_readfirstlane_b32 s4, v2
	s_and_b32 s4, 0xffff, s4
	s_lshl_b32 s5, s4, 2
	v_cvt_f32_u32_e32 v4, s5
	s_sub_i32 s6, 0, s5
	v_rcp_iflag_f32_e32 v6, v4
	v_mov_b32_e32 v4, 0
	v_mov_b32_e32 v5, 0
	v_mul_f32_e32 v6, 0x4f7ffffe, v6
	v_cvt_u32_f32_e32 v10, v6
	v_mov_b32_e32 v6, 0
	v_mov_b32_e32 v7, 0
	v_readfirstlane_b32 s7, v10
	s_mul_i32 s6, s6, s7
	s_mul_hi_u32 s6, s7, s6
	s_add_i32 s7, s7, s6
	s_mul_hi_u32 s6, s22, s7
	s_mul_i32 s7, s6, s5
	s_sub_i32 s7, s22, s7
	s_add_i32 s8, s6, 1
	s_sub_i32 s9, s7, s5
	s_cmp_ge_u32 s7, s5
	s_cselect_b32 s6, s8, s6
	s_cselect_b32 s7, s9, s7
	s_add_i32 s8, s6, 1
	s_cmp_ge_u32 s7, s5
	s_cselect_b32 s6, s8, s6
	s_mul_hi_u32 s73, s4, s6
	s_mul_i32 s72, s4, s6
	s_lshl_b64 s[74:75], s[72:73], 2
	v_cmp_gt_u64_e32 vcc, s[74:75], v[14:15]
	v_mov_b32_e32 v10, 0
	v_mov_b32_e32 v11, 0
	s_and_saveexec_b64 s[76:77], vcc
	s_cbranch_execz .LBB84_71
; %bb.68:                               ;   in Loop: Header=BB84_11 Depth=1
	v_mov_b32_e32 v27, v15
	s_mov_b64 s[78:79], 0
	v_mov_b32_e32 v42, v14
	s_mov_b64 s[80:81], 0
	s_mov_b64 s[82:83], 0
	;; [unrolled: 1-line block ×4, first 2 shown]
	v_mov_b32_e32 v26, v14
.LBB84_69:                              ;   Parent Loop BB84_11 Depth=1
                                        ; =>  This Inner Loop Header: Depth=2
	ds_read_b32 v4, v42
	v_add_u32_e32 v42, s5, v42
	s_waitcnt lgkmcnt(0)
	v_add_u32_sdwa v5, sext(v4), s47 dst_sel:DWORD dst_unused:UNUSED_PAD src0_sel:BYTE_0 src1_sel:DWORD
	v_add_u32_sdwa v6, sext(v4), s47 dst_sel:DWORD dst_unused:UNUSED_PAD src0_sel:BYTE_1 src1_sel:DWORD
	v_and_b32_e32 v8, v5, v40
	v_bfe_u32 v5, v5, s46, 2
	v_add_u32_sdwa v7, sext(v4), s47 dst_sel:DWORD dst_unused:UNUSED_PAD src0_sel:BYTE_2 src1_sel:DWORD
	v_cmp_eq_u32_e32 vcc, v8, v37
	v_and_b32_e32 v8, v6, v40
	v_bfe_u32 v6, v6, s46, 2
	v_cmp_eq_u32_e64 s[20:21], 0, v5
	v_add_u32_sdwa v4, sext(v4), s47 dst_sel:DWORD dst_unused:UNUSED_PAD src0_sel:BYTE_3 src1_sel:DWORD
	v_cmp_eq_u32_e64 s[6:7], v8, v37
	v_and_b32_e32 v8, v7, v40
	v_bfe_u32 v7, v7, s46, 2
	s_and_b64 s[8:9], vcc, s[20:21]
	v_cmp_eq_u32_e64 s[20:21], 0, v6
	v_cmp_eq_u32_e64 s[14:15], v8, v37
	v_and_b32_e32 v8, v4, v40
	v_bfe_u32 v4, v4, s46, 2
	s_and_b64 s[12:13], s[6:7], s[20:21]
	v_cmp_eq_u32_e64 s[20:21], 0, v7
	v_cmp_eq_u32_e64 s[18:19], v8, v37
	s_and_b64 s[16:17], s[14:15], s[20:21]
	v_cmp_eq_u32_e64 s[20:21], 0, v4
	v_cndmask_b32_e64 v8, 0, 1, s[8:9]
	s_and_b64 s[26:27], s[18:19], s[20:21]
	v_cmp_ne_u32_e64 s[20:21], 0, v8
	v_cndmask_b32_e64 v8, 0, 1, s[12:13]
	s_bcnt1_i32_b64 s8, s[20:21]
	v_cmp_ne_u32_e64 s[20:21], 0, v8
	v_cndmask_b32_e64 v8, 0, 1, s[16:17]
	s_bcnt1_i32_b64 s9, s[20:21]
	;; [unrolled: 3-line block ×3, first 2 shown]
	v_cmp_ne_u32_e64 s[20:21], 0, v8
	s_bcnt1_i32_b64 s13, s[20:21]
	s_add_u32 s8, s8, s86
	s_addc_u32 s16, 0, s87
	s_add_u32 s8, s8, s9
	s_addc_u32 s9, s16, 0
	;; [unrolled: 2-line block ×3, first 2 shown]
	s_add_u32 s86, s8, s13
	v_cmp_eq_u32_e64 s[20:21], 1, v5
	s_addc_u32 s87, s9, 0
	s_and_b64 s[8:9], vcc, s[20:21]
	v_cmp_eq_u32_e64 s[20:21], 1, v6
	s_and_b64 s[12:13], s[6:7], s[20:21]
	v_cmp_eq_u32_e64 s[20:21], 1, v7
	s_and_b64 s[16:17], s[14:15], s[20:21]
	v_cmp_eq_u32_e64 s[20:21], 1, v4
	v_cndmask_b32_e64 v8, 0, 1, s[8:9]
	s_and_b64 s[26:27], s[18:19], s[20:21]
	v_cmp_ne_u32_e64 s[20:21], 0, v8
	v_cndmask_b32_e64 v8, 0, 1, s[12:13]
	s_bcnt1_i32_b64 s8, s[20:21]
	v_cmp_ne_u32_e64 s[20:21], 0, v8
	v_cndmask_b32_e64 v8, 0, 1, s[16:17]
	s_bcnt1_i32_b64 s9, s[20:21]
	;; [unrolled: 3-line block ×3, first 2 shown]
	v_cmp_ne_u32_e64 s[20:21], 0, v8
	s_bcnt1_i32_b64 s13, s[20:21]
	s_add_u32 s8, s8, s84
	s_addc_u32 s16, 0, s85
	s_add_u32 s8, s8, s9
	s_addc_u32 s9, s16, 0
	;; [unrolled: 2-line block ×3, first 2 shown]
	s_add_u32 s84, s8, s13
	v_cmp_eq_u32_e64 s[20:21], 2, v5
	s_addc_u32 s85, s9, 0
	s_and_b64 s[8:9], vcc, s[20:21]
	v_cmp_eq_u32_e64 s[20:21], 2, v6
	s_and_b64 s[12:13], s[6:7], s[20:21]
	v_cmp_eq_u32_e64 s[20:21], 2, v7
	s_and_b64 s[16:17], s[14:15], s[20:21]
	v_cmp_eq_u32_e64 s[20:21], 2, v4
	v_cndmask_b32_e64 v8, 0, 1, s[8:9]
	s_and_b64 s[26:27], s[18:19], s[20:21]
	v_cmp_ne_u32_e64 s[20:21], 0, v8
	v_cndmask_b32_e64 v8, 0, 1, s[12:13]
	s_bcnt1_i32_b64 s8, s[20:21]
	v_cmp_ne_u32_e64 s[20:21], 0, v8
	v_cndmask_b32_e64 v8, 0, 1, s[16:17]
	s_bcnt1_i32_b64 s9, s[20:21]
	;; [unrolled: 3-line block ×3, first 2 shown]
	v_cmp_ne_u32_e64 s[20:21], 0, v8
	s_bcnt1_i32_b64 s13, s[20:21]
	s_add_u32 s8, s8, s82
	s_addc_u32 s16, 0, s83
	s_add_u32 s8, s8, s9
	s_addc_u32 s9, s16, 0
	;; [unrolled: 2-line block ×3, first 2 shown]
	s_add_u32 s82, s8, s13
	v_cmp_eq_u32_e64 s[20:21], 3, v5
	s_addc_u32 s83, s9, 0
	s_and_b64 s[8:9], vcc, s[20:21]
	v_cmp_eq_u32_e32 vcc, 3, v6
	s_and_b64 s[6:7], s[6:7], vcc
	v_cmp_eq_u32_e32 vcc, 3, v7
	s_and_b64 s[12:13], s[14:15], vcc
	v_cmp_eq_u32_e32 vcc, 3, v4
	v_cndmask_b32_e64 v4, 0, 1, s[8:9]
	s_and_b64 s[14:15], s[18:19], vcc
	v_cmp_ne_u32_e32 vcc, 0, v4
	v_cndmask_b32_e64 v4, 0, 1, s[6:7]
	s_bcnt1_i32_b64 s8, vcc
	v_cmp_ne_u32_e32 vcc, 0, v4
	v_cndmask_b32_e64 v4, 0, 1, s[12:13]
	s_bcnt1_i32_b64 s6, vcc
	;; [unrolled: 3-line block ×3, first 2 shown]
	v_cmp_ne_u32_e32 vcc, 0, v4
	s_bcnt1_i32_b64 s9, vcc
	s_add_u32 s8, s8, s80
	s_addc_u32 s12, 0, s81
	s_add_u32 s6, s8, s6
	s_addc_u32 s8, s12, 0
	s_add_u32 s6, s6, s7
	v_add_co_u32_e32 v26, vcc, s5, v26
	s_addc_u32 s7, s8, 0
	v_addc_co_u32_e32 v27, vcc, 0, v27, vcc
	s_add_u32 s80, s6, s9
	v_cmp_le_u64_e32 vcc, s[74:75], v[26:27]
	s_addc_u32 s81, s7, 0
	v_mov_b32_e32 v4, s86
	v_mov_b32_e32 v6, s84
	;; [unrolled: 1-line block ×4, first 2 shown]
	s_or_b64 s[78:79], vcc, s[78:79]
	v_mov_b32_e32 v5, s87
	v_mov_b32_e32 v7, s85
	;; [unrolled: 1-line block ×4, first 2 shown]
	s_andn2_b64 exec, exec, s[78:79]
	s_cbranch_execnz .LBB84_69
; %bb.70:                               ;   in Loop: Header=BB84_11 Depth=1
	s_or_b64 exec, exec, s[78:79]
.LBB84_71:                              ;   in Loop: Header=BB84_11 Depth=1
	s_or_b64 exec, exec, s[76:77]
	v_mov_b32_e32 v27, s75
	v_add_co_u32_e32 v26, vcc, s74, v0
	s_and_b32 s42, s22, 0x7fffffff
	v_addc_co_u32_e32 v27, vcc, 0, v27, vcc
	v_cmp_gt_u64_e32 vcc, s[42:43], v[26:27]
	s_and_saveexec_b64 s[26:27], vcc
	s_cbranch_execz .LBB84_75
; %bb.72:                               ;   in Loop: Header=BB84_11 Depth=1
	v_lshl_add_u32 v42, s72, 2, v0
	s_mov_b64 s[30:31], 0
.LBB84_73:                              ;   Parent Loop BB84_11 Depth=1
                                        ; =>  This Inner Loop Header: Depth=2
	ds_read_i8 v43, v42
	v_add_co_u32_sdwa v26, vcc, v26, v2 dst_sel:DWORD dst_unused:UNUSED_PAD src0_sel:DWORD src1_sel:WORD_0
	v_addc_co_u32_e32 v27, vcc, 0, v27, vcc
	s_waitcnt lgkmcnt(0)
	v_add_u32_e32 v43, 0x80, v43
	v_and_b32_e32 v44, v43, v40
	v_bfe_u32 v43, v43, s46, 2
	v_cmp_eq_u32_e64 s[6:7], v44, v37
	v_cmp_eq_u32_e64 s[14:15], 0, v43
	;; [unrolled: 1-line block ×3, first 2 shown]
	s_and_b64 s[8:9], s[6:7], s[14:15]
	v_cmp_eq_u32_e64 s[20:21], 2, v43
	v_cmp_eq_u32_e64 s[22:23], 3, v43
	v_cndmask_b32_e64 v43, 0, 1, s[8:9]
	s_and_b64 s[8:9], s[6:7], s[18:19]
	v_cndmask_b32_e64 v44, 0, 1, s[8:9]
	s_and_b64 s[8:9], s[6:7], s[20:21]
	s_and_b64 s[6:7], s[6:7], s[22:23]
	v_cndmask_b32_e64 v46, 0, 1, s[6:7]
	v_cmp_ne_u32_e64 s[6:7], 0, v43
	s_bcnt1_i32_b64 s5, s[6:7]
	v_cmp_ne_u32_e64 s[14:15], 0, v44
	v_add_co_u32_e64 v4, s[6:7], s5, v4
	v_cndmask_b32_e64 v45, 0, 1, s[8:9]
	s_bcnt1_i32_b64 s8, s[14:15]
	v_addc_co_u32_e64 v5, s[6:7], 0, v5, s[6:7]
	v_cmp_le_u64_e32 vcc, s[42:43], v[26:27]
	v_cmp_ne_u32_e64 s[18:19], 0, v45
	v_cmp_ne_u32_e64 s[20:21], 0, v46
	v_add_co_u32_e64 v6, s[6:7], s8, v6
	s_bcnt1_i32_b64 s9, s[18:19]
	s_bcnt1_i32_b64 s12, s[20:21]
	v_addc_co_u32_e64 v7, s[6:7], 0, v7, s[6:7]
	v_add_co_u32_e64 v8, s[6:7], s9, v8
	s_or_b64 s[30:31], vcc, s[30:31]
	v_add_co_u32_e32 v10, vcc, s12, v10
	v_add_u32_e32 v42, s4, v42
	v_addc_co_u32_e64 v9, s[6:7], 0, v9, s[6:7]
	v_addc_co_u32_e32 v11, vcc, 0, v11, vcc
	s_andn2_b64 exec, exec, s[30:31]
	s_cbranch_execnz .LBB84_73
; %bb.74:                               ;   in Loop: Header=BB84_11 Depth=1
	s_or_b64 exec, exec, s[30:31]
.LBB84_75:                              ;   in Loop: Header=BB84_11 Depth=1
	s_or_b64 exec, exec, s[26:27]
	s_lshl_b32 s8, s93, 6
	s_and_saveexec_b64 s[4:5], s[10:11]
	s_cbranch_execnz .LBB84_46
	s_branch .LBB84_47
.LBB84_76:                              ;   in Loop: Header=BB84_11 Depth=1
                                        ; implicit-def: $sgpr6_sgpr7
	s_branch .LBB84_55
.LBB84_77:                              ;   in Loop: Header=BB84_11 Depth=1
	v_mov_b32_e32 v4, 0
	v_mov_b32_e32 v5, 0
	s_mov_b32 s4, 0
.LBB84_78:                              ;   in Loop: Header=BB84_11 Depth=1
	v_readlane_b32 s12, v61, 29
	v_readlane_b32 s13, v61, 30
	s_andn2_b64 vcc, exec, s[12:13]
	s_cbranch_vccnz .LBB84_81
; %bb.79:                               ;   in Loop: Header=BB84_11 Depth=1
	s_lshl_b32 s5, s93, 9
	s_lshl_b32 s4, s4, 5
	s_add_i32 s5, s5, s4
	v_add_u32_e32 v2, s5, v36
	v_readlane_b32 s4, v61, 28
.LBB84_80:                              ;   Parent Loop BB84_11 Depth=1
                                        ; =>  This Inner Loop Header: Depth=2
	ds_read_b64 v[6:7], v2
	s_add_i32 s4, s4, -1
	v_add_u32_e32 v2, 32, v2
	s_cmp_lg_u32 s4, 0
	s_waitcnt lgkmcnt(0)
	v_add_co_u32_e32 v4, vcc, v6, v4
	v_addc_co_u32_e32 v5, vcc, v7, v5, vcc
	s_cbranch_scc1 .LBB84_80
.LBB84_81:                              ;   in Loop: Header=BB84_11 Depth=1
	v_add_lshl_u32 v2, s8, v28, 3
	ds_write_b64 v2, v[4:5] offset:3072
.LBB84_82:                              ;   in Loop: Header=BB84_11 Depth=1
	s_or_b64 exec, exec, s[6:7]
	s_lshl_b32 s4, s8, 3
	v_mov_b32_e32 v2, s4
	s_waitcnt lgkmcnt(0)
	s_barrier
	ds_read_b128 v[8:11], v2 offset:3088
	ds_read_b128 v[4:7], v2 offset:3072
	v_cmp_eq_u64_e64 s[6:7], 1, v[24:25]
	s_lshl_b32 s12, 3, s46
	s_not_b32 s13, s12
	s_waitcnt lgkmcnt(1)
	v_readfirstlane_b32 s72, v8
	s_waitcnt lgkmcnt(0)
	v_cmp_eq_u64_e32 vcc, 1, v[4:5]
	v_readfirstlane_b32 s73, v9
	v_readfirstlane_b32 s14, v10
	;; [unrolled: 1-line block ×3, first 2 shown]
	s_and_b64 s[20:21], vcc, s[6:7]
	s_mov_b64 s[6:7], -1
	s_mov_b64 s[8:9], -1
                                        ; implicit-def: $sgpr74_sgpr75
                                        ; implicit-def: $sgpr22_sgpr23
	s_and_saveexec_b64 s[18:19], s[20:21]
	s_cbranch_execz .LBB84_114
; %bb.83:                               ;   in Loop: Header=BB84_11 Depth=1
	ds_read_b64 v[8:9], v3 offset:5120
	s_waitcnt lgkmcnt(0)
	s_barrier
	v_readfirstlane_b32 s26, v8
	v_readfirstlane_b32 s27, v9
	s_mov_b64 s[4:5], exec
	v_readlane_b32 s8, v61, 20
	v_readlane_b32 s9, v61, 21
	s_and_b64 s[8:9], s[4:5], s[8:9]
	s_mov_b64 exec, s[8:9]
; %bb.84:                               ;   in Loop: Header=BB84_11 Depth=1
	ds_write_b8 v0, v3 offset:3072
; %bb.85:                               ;   in Loop: Header=BB84_11 Depth=1
	s_or_b64 exec, exec, s[4:5]
	v_and_b32_e32 v37, s13, v37
	v_or_b32_e32 v40, s12, v40
	s_mov_b64 s[22:23], -1
	s_mov_b64 s[74:75], 0
	s_cmp_eq_u64 s[26:27], 0
	s_mov_b64 s[76:77], 0
	s_mov_b64 s[30:31], -1
	s_waitcnt lgkmcnt(0)
	s_barrier
                                        ; implicit-def: $vgpr41
	s_cbranch_scc1 .LBB84_99
; %bb.86:                               ;   in Loop: Header=BB84_11 Depth=1
	v_readlane_b32 s4, v61, 24
	s_add_u32 s16, s26, s4
	v_readlane_b32 s4, v61, 25
	s_addc_u32 s77, s27, s4
	s_mov_b32 s76, s43
	s_cmp_lg_u64 s[76:77], 0
	s_cbranch_scc0 .LBB84_140
; %bb.87:                               ;   in Loop: Header=BB84_11 Depth=1
	v_cvt_f32_u32_e32 v2, s29
	s_sub_u32 s8, 0, s29
	s_subb_u32 s9, 0, 0
	v_mac_f32_e32 v2, 0, v38
	v_rcp_f32_e32 v2, v2
	v_mul_f32_e32 v2, 0x5f7ffffc, v2
	v_mul_f32_e32 v8, 0x2f800000, v2
	v_trunc_f32_e32 v8, v8
	v_mac_f32_e32 v2, 0xcf800000, v8
	v_cvt_u32_f32_e32 v8, v8
	v_cvt_u32_f32_e32 v2, v2
	v_readfirstlane_b32 s17, v8
	v_readfirstlane_b32 s4, v2
	s_mul_i32 s5, s8, s17
	s_mul_hi_u32 s31, s8, s4
	s_mul_i32 s30, s9, s4
	s_add_i32 s5, s31, s5
	s_mul_i32 s36, s8, s4
	s_add_i32 s5, s5, s30
	s_mul_hi_u32 s31, s4, s36
	s_mul_i32 s37, s4, s5
	s_mul_hi_u32 s30, s4, s5
	s_add_u32 s31, s31, s37
	s_addc_u32 s30, 0, s30
	s_mul_hi_u32 s38, s17, s36
	s_mul_i32 s36, s17, s36
	s_add_u32 s31, s31, s36
	s_mul_hi_u32 s37, s17, s5
	s_addc_u32 s30, s30, s38
	s_addc_u32 s31, s37, 0
	s_mul_i32 s5, s17, s5
	s_add_u32 s5, s30, s5
	s_addc_u32 s30, 0, s31
	s_add_u32 s31, s4, s5
	s_cselect_b64 s[4:5], -1, 0
	s_cmp_lg_u64 s[4:5], 0
	s_addc_u32 s17, s17, s30
	s_mul_i32 s4, s8, s17
	s_mul_hi_u32 s5, s8, s31
	s_add_i32 s4, s5, s4
	s_mul_i32 s9, s9, s31
	s_add_i32 s4, s4, s9
	s_mul_i32 s8, s8, s31
	s_mul_hi_u32 s9, s17, s8
	s_mul_i32 s30, s17, s8
	s_mul_i32 s37, s31, s4
	s_mul_hi_u32 s8, s31, s8
	s_mul_hi_u32 s36, s31, s4
	s_add_u32 s8, s8, s37
	s_addc_u32 s36, 0, s36
	s_add_u32 s8, s8, s30
	s_mul_hi_u32 s5, s17, s4
	s_addc_u32 s8, s36, s9
	s_addc_u32 s5, s5, 0
	s_mul_i32 s4, s17, s4
	s_add_u32 s4, s8, s4
	s_addc_u32 s8, 0, s5
	s_add_u32 s9, s31, s4
	s_cselect_b64 s[4:5], -1, 0
	s_cmp_lg_u64 s[4:5], 0
	s_addc_u32 s4, s17, s8
	s_mul_i32 s8, s16, s4
	s_mul_hi_u32 s17, s16, s9
	s_mul_hi_u32 s5, s16, s4
	s_add_u32 s8, s17, s8
	s_addc_u32 s5, 0, s5
	s_mul_hi_u32 s30, s77, s9
	s_mul_i32 s9, s77, s9
	s_add_u32 s8, s8, s9
	s_mul_hi_u32 s17, s77, s4
	s_addc_u32 s5, s5, s30
	s_addc_u32 s8, s17, 0
	s_mul_i32 s4, s77, s4
	s_add_u32 s4, s5, s4
	s_addc_u32 s5, 0, s8
	s_mul_i32 s5, s29, s5
	s_mul_hi_u32 s8, s29, s4
	s_add_i32 s8, s8, s5
	s_mul_i32 s4, s29, s4
	s_sub_u32 s17, s16, s4
	s_cselect_b64 s[4:5], -1, 0
	s_cmp_lg_u64 s[4:5], 0
	s_subb_u32 s8, s77, s8
	s_sub_u32 s9, s17, s29
	s_cselect_b64 s[4:5], -1, 0
	s_cmp_lg_u64 s[4:5], 0
	s_subb_u32 s30, s8, 0
	;; [unrolled: 4-line block ×3, first 2 shown]
	s_cmp_ge_u32 s9, s29
	s_cselect_b32 s5, -1, 0
	s_cmp_eq_u32 s30, 0
	s_cselect_b32 s5, s5, -1
	s_cmp_lg_u32 s5, 0
	s_cselect_b32 s4, s4, s30
	s_cselect_b32 s5, s31, s9
	s_cmp_ge_u32 s17, s29
	s_cselect_b32 s9, -1, 0
	s_cmp_eq_u32 s8, 0
	s_cselect_b32 s9, s9, -1
	s_cmp_lg_u32 s9, 0
	s_cselect_b32 s9, s4, s8
	s_cselect_b32 s8, s5, s17
	s_cbranch_execnz .LBB84_89
.LBB84_88:                              ;   in Loop: Header=BB84_11 Depth=1
	v_cvt_f32_u32_e32 v2, s29
	s_sub_i32 s4, 0, s29
	v_rcp_iflag_f32_e32 v2, v2
	v_mul_f32_e32 v2, 0x4f7ffffe, v2
	v_cvt_u32_f32_e32 v2, v2
	v_readfirstlane_b32 s5, v2
	s_mul_i32 s4, s4, s5
	s_mul_hi_u32 s4, s5, s4
	s_add_i32 s5, s5, s4
	s_mul_hi_u32 s4, s16, s5
	s_mul_i32 s4, s4, s29
	s_sub_i32 s4, s16, s4
	s_sub_i32 s5, s4, s29
	s_cmp_ge_u32 s4, s29
	s_cselect_b32 s4, s5, s4
	s_sub_i32 s5, s4, s29
	s_cmp_ge_u32 s4, s29
	s_cselect_b32 s42, s5, s4
	s_mov_b64 s[8:9], s[42:43]
.LBB84_89:                              ;   in Loop: Header=BB84_11 Depth=1
	s_sub_u32 s38, s16, s8
	s_subb_u32 s39, s77, s9
	v_cmp_gt_u64_e32 vcc, s[38:39], v[0:1]
	s_mov_b64 s[30:31], 0
	s_mov_b64 s[76:77], 0
                                        ; implicit-def: $vgpr41
	s_and_saveexec_b64 s[36:37], vcc
	s_cbranch_execz .LBB84_98
; %bb.90:                               ;   in Loop: Header=BB84_11 Depth=1
	v_mov_b32_e32 v9, v1
	v_mov_b32_e32 v2, v0
	;; [unrolled: 1-line block ×3, first 2 shown]
                                        ; implicit-def: $sgpr8_sgpr9
	s_branch .LBB84_93
.LBB84_91:                              ;   in Loop: Header=BB84_93 Depth=2
	s_or_b64 exec, exec, s[4:5]
	s_waitcnt lgkmcnt(0)
	s_barrier
	ds_read_u16 v10, v3 offset:3072
	s_mov_b64 s[4:5], -1
	s_mov_b64 s[78:79], -1
	s_waitcnt lgkmcnt(0)
	s_barrier
	v_cmp_ne_u32_sdwa s[16:17], v10, v3 src0_sel:BYTE_0 src1_sel:DWORD
	s_and_b64 vcc, exec, s[16:17]
	s_cbranch_vccz .LBB84_96
.LBB84_92:                              ;   in Loop: Header=BB84_93 Depth=2
	s_and_b64 s[4:5], exec, s[4:5]
	s_or_b64 s[76:77], s[4:5], s[76:77]
	s_andn2_b64 s[4:5], s[8:9], exec
	s_and_b64 s[8:9], s[78:79], exec
	s_or_b64 s[8:9], s[4:5], s[8:9]
	s_andn2_b64 exec, exec, s[76:77]
	s_cbranch_execz .LBB84_97
.LBB84_93:                              ;   Parent Loop BB84_11 Depth=1
                                        ; =>  This Inner Loop Header: Depth=2
	v_cmp_gt_u64_e32 vcc, s[26:27], v[8:9]
	s_and_saveexec_b64 s[4:5], vcc
	s_cbranch_execz .LBB84_91
; %bb.94:                               ;   in Loop: Header=BB84_93 Depth=2
	ds_read_u8 v10, v2
	s_waitcnt lgkmcnt(0)
	v_add_u32_sdwa v11, sext(v10), s47 dst_sel:DWORD dst_unused:UNUSED_PAD src0_sel:BYTE_0 src1_sel:DWORD
	v_and_b32_e32 v11, v11, v40
	v_cmp_eq_u32_e32 vcc, v11, v37
	s_and_b64 exec, exec, vcc
	s_cbranch_execz .LBB84_91
; %bb.95:                               ;   in Loop: Header=BB84_93 Depth=2
	v_lshlrev_b16_e32 v10, 8, v10
	v_or_b32_e32 v10, 1, v10
	ds_write_b16 v3, v10 offset:3072
	s_branch .LBB84_91
.LBB84_96:                              ;   in Loop: Header=BB84_93 Depth=2
	v_add_co_u32_e32 v8, vcc, s29, v8
	v_addc_co_u32_e32 v9, vcc, 0, v9, vcc
	v_cmp_le_u64_e32 vcc, s[38:39], v[8:9]
	v_add_u32_e32 v2, s29, v2
	s_mov_b64 s[78:79], 0
	s_orn2_b64 s[4:5], vcc, exec
	s_branch .LBB84_92
.LBB84_97:                              ;   in Loop: Header=BB84_11 Depth=1
	s_or_b64 exec, exec, s[76:77]
	v_lshrrev_b32_sdwa v41, v39, v10 dst_sel:DWORD dst_unused:UNUSED_PAD src0_sel:DWORD src1_sel:WORD_0
	s_and_b64 s[76:77], s[8:9], exec
.LBB84_98:                              ;   in Loop: Header=BB84_11 Depth=1
	s_or_b64 exec, exec, s[36:37]
.LBB84_99:                              ;   in Loop: Header=BB84_11 Depth=1
	s_and_b64 vcc, exec, s[30:31]
	s_cbranch_vccz .LBB84_113
; %bb.100:                              ;   in Loop: Header=BB84_11 Depth=1
	s_mov_b32 s48, s43
	s_cmp_lg_u64 s[48:49], 0
	s_cbranch_scc0 .LBB84_144
; %bb.101:                              ;   in Loop: Header=BB84_11 Depth=1
	v_cvt_f32_u32_e32 v2, s29
	s_sub_u32 s8, 0, s29
	s_subb_u32 s9, 0, 0
	v_mac_f32_e32 v2, 0, v38
	v_rcp_f32_e32 v2, v2
	v_mul_f32_e32 v2, 0x5f7ffffc, v2
	v_mul_f32_e32 v8, 0x2f800000, v2
	v_trunc_f32_e32 v8, v8
	v_mac_f32_e32 v2, 0xcf800000, v8
	v_cvt_u32_f32_e32 v8, v8
	v_cvt_u32_f32_e32 v2, v2
	v_readfirstlane_b32 s16, v8
	v_readfirstlane_b32 s4, v2
	s_mul_i32 s5, s8, s16
	s_mul_hi_u32 s22, s8, s4
	s_mul_i32 s17, s9, s4
	s_add_i32 s5, s22, s5
	s_mul_i32 s23, s8, s4
	s_add_i32 s5, s5, s17
	s_mul_hi_u32 s22, s4, s23
	s_mul_i32 s26, s4, s5
	s_mul_hi_u32 s17, s4, s5
	s_add_u32 s22, s22, s26
	s_addc_u32 s17, 0, s17
	s_mul_hi_u32 s27, s16, s23
	s_mul_i32 s23, s16, s23
	s_add_u32 s22, s22, s23
	s_mul_hi_u32 s26, s16, s5
	s_addc_u32 s17, s17, s27
	s_addc_u32 s22, s26, 0
	s_mul_i32 s5, s16, s5
	s_add_u32 s5, s17, s5
	s_addc_u32 s17, 0, s22
	s_add_u32 s22, s4, s5
	s_cselect_b64 s[4:5], -1, 0
	s_cmp_lg_u64 s[4:5], 0
	s_addc_u32 s16, s16, s17
	s_mul_i32 s4, s8, s16
	s_mul_hi_u32 s5, s8, s22
	s_add_i32 s4, s5, s4
	s_mul_i32 s9, s9, s22
	s_add_i32 s4, s4, s9
	s_mul_i32 s8, s8, s22
	s_mul_hi_u32 s9, s16, s8
	s_mul_i32 s17, s16, s8
	s_mul_i32 s26, s22, s4
	s_mul_hi_u32 s8, s22, s8
	s_mul_hi_u32 s23, s22, s4
	s_add_u32 s8, s8, s26
	s_addc_u32 s23, 0, s23
	s_add_u32 s8, s8, s17
	s_mul_hi_u32 s5, s16, s4
	s_addc_u32 s8, s23, s9
	s_addc_u32 s5, s5, 0
	s_mul_i32 s4, s16, s4
	s_add_u32 s4, s8, s4
	s_addc_u32 s8, 0, s5
	s_add_u32 s9, s22, s4
	s_cselect_b64 s[4:5], -1, 0
	s_cmp_lg_u64 s[4:5], 0
	s_addc_u32 s4, s16, s8
	s_mul_i32 s8, s55, s4
	s_mul_hi_u32 s16, s55, s9
	s_mul_hi_u32 s5, s55, s4
	s_add_u32 s8, s16, s8
	s_addc_u32 s5, 0, s5
	s_mul_hi_u32 s17, s49, s9
	s_mul_i32 s9, s49, s9
	s_add_u32 s8, s8, s9
	s_mul_hi_u32 s16, s49, s4
	s_addc_u32 s5, s5, s17
	s_addc_u32 s8, s16, 0
	s_mul_i32 s4, s49, s4
	s_add_u32 s4, s5, s4
	s_addc_u32 s5, 0, s8
	s_mul_i32 s5, s29, s5
	s_mul_hi_u32 s8, s29, s4
	s_add_i32 s8, s8, s5
	s_mul_i32 s4, s29, s4
	s_sub_u32 s16, s55, s4
	s_cselect_b64 s[4:5], -1, 0
	s_cmp_lg_u64 s[4:5], 0
	s_subb_u32 s8, s49, s8
	s_sub_u32 s9, s16, s29
	s_cselect_b64 s[4:5], -1, 0
	s_cmp_lg_u64 s[4:5], 0
	s_subb_u32 s17, s8, 0
	;; [unrolled: 4-line block ×3, first 2 shown]
	s_cmp_ge_u32 s9, s29
	s_cselect_b32 s5, -1, 0
	s_cmp_eq_u32 s17, 0
	s_cselect_b32 s5, s5, -1
	s_cmp_lg_u32 s5, 0
	s_cselect_b32 s4, s4, s17
	s_cselect_b32 s5, s22, s9
	s_cmp_ge_u32 s16, s29
	s_cselect_b32 s9, -1, 0
	s_cmp_eq_u32 s8, 0
	s_cselect_b32 s9, s9, -1
	s_cmp_lg_u32 s9, 0
	s_cselect_b32 s9, s4, s8
	s_cselect_b32 s8, s5, s16
	s_cbranch_execnz .LBB84_103
.LBB84_102:                             ;   in Loop: Header=BB84_11 Depth=1
	v_cvt_f32_u32_e32 v2, s29
	s_sub_i32 s4, 0, s29
	v_rcp_iflag_f32_e32 v2, v2
	v_mul_f32_e32 v2, 0x4f7ffffe, v2
	v_cvt_u32_f32_e32 v2, v2
	v_readfirstlane_b32 s5, v2
	s_mul_i32 s4, s4, s5
	s_mul_hi_u32 s4, s5, s4
	s_add_i32 s5, s5, s4
	s_mul_hi_u32 s4, s55, s5
	s_mul_i32 s4, s4, s29
	s_sub_i32 s4, s55, s4
	s_sub_i32 s5, s4, s29
	s_cmp_ge_u32 s4, s29
	s_cselect_b32 s4, s5, s4
	s_sub_i32 s5, s4, s29
	s_cmp_ge_u32 s4, s29
	s_cselect_b32 s42, s5, s4
	s_mov_b64 s[8:9], s[42:43]
.LBB84_103:                             ;   in Loop: Header=BB84_11 Depth=1
	s_sub_u32 s26, s55, s8
	s_subb_u32 s27, s49, s9
	v_cmp_gt_u64_e32 vcc, s[26:27], v[0:1]
                                        ; implicit-def: $vgpr41
	s_and_saveexec_b64 s[22:23], vcc
	s_cbranch_execz .LBB84_112
; %bb.104:                              ;   in Loop: Header=BB84_11 Depth=1
	v_mov_b32_e32 v8, v12
	v_mov_b32_e32 v11, v1
	s_mov_b64 s[30:31], 0
	v_mov_b32_e32 v9, v13
	v_mov_b32_e32 v10, v0
                                        ; implicit-def: $sgpr36_sgpr37
	s_branch .LBB84_107
.LBB84_105:                             ;   in Loop: Header=BB84_107 Depth=2
	s_or_b64 exec, exec, s[4:5]
	s_waitcnt lgkmcnt(0)
	s_barrier
	ds_read_u16 v2, v3 offset:3072
	s_mov_b64 s[4:5], -1
	s_waitcnt lgkmcnt(0)
	s_barrier
	v_cmp_ne_u32_sdwa s[8:9], v2, v3 src0_sel:BYTE_0 src1_sel:DWORD
	s_and_b64 vcc, exec, s[8:9]
	s_mov_b64 s[8:9], -1
	s_cbranch_vccz .LBB84_110
.LBB84_106:                             ;   in Loop: Header=BB84_107 Depth=2
	s_and_b64 s[4:5], exec, s[4:5]
	s_or_b64 s[30:31], s[4:5], s[30:31]
	s_andn2_b64 s[4:5], s[36:37], exec
	s_and_b64 s[8:9], s[8:9], exec
	s_or_b64 s[36:37], s[4:5], s[8:9]
	s_andn2_b64 exec, exec, s[30:31]
	s_cbranch_execz .LBB84_111
.LBB84_107:                             ;   Parent Loop BB84_11 Depth=1
                                        ; =>  This Inner Loop Header: Depth=2
	v_cmp_gt_u64_e32 vcc, s[24:25], v[10:11]
	s_and_saveexec_b64 s[4:5], vcc
	s_cbranch_execz .LBB84_105
; %bb.108:                              ;   in Loop: Header=BB84_107 Depth=2
	global_load_ubyte v2, v[8:9], off
	s_waitcnt vmcnt(0)
	v_add_u32_sdwa v26, sext(v2), s47 dst_sel:DWORD dst_unused:UNUSED_PAD src0_sel:BYTE_0 src1_sel:DWORD
	v_and_b32_e32 v26, v26, v40
	v_cmp_eq_u32_e32 vcc, v26, v37
	s_and_b64 exec, exec, vcc
	s_cbranch_execz .LBB84_105
; %bb.109:                              ;   in Loop: Header=BB84_107 Depth=2
	v_lshlrev_b16_e32 v2, 8, v2
	v_or_b32_e32 v2, 1, v2
	ds_write_b16 v3, v2 offset:3072
	s_branch .LBB84_105
.LBB84_110:                             ;   in Loop: Header=BB84_107 Depth=2
	v_add_co_u32_e32 v10, vcc, s29, v10
	v_addc_co_u32_e32 v11, vcc, 0, v11, vcc
	v_mov_b32_e32 v26, s33
	v_add_co_u32_e32 v8, vcc, s52, v8
	v_addc_co_u32_e32 v9, vcc, v9, v26, vcc
	v_cmp_le_u64_e32 vcc, s[26:27], v[10:11]
	s_mov_b64 s[8:9], 0
	s_orn2_b64 s[4:5], vcc, exec
	s_branch .LBB84_106
.LBB84_111:                             ;   in Loop: Header=BB84_11 Depth=1
	s_or_b64 exec, exec, s[30:31]
	s_andn2_b64 s[4:5], s[76:77], exec
	s_and_b64 s[8:9], s[36:37], exec
	v_lshrrev_b32_sdwa v41, v39, v2 dst_sel:DWORD dst_unused:UNUSED_PAD src0_sel:DWORD src1_sel:WORD_0
	s_or_b64 s[76:77], s[4:5], s[8:9]
.LBB84_112:                             ;   in Loop: Header=BB84_11 Depth=1
	s_or_b64 exec, exec, s[22:23]
	s_mov_b64 s[22:23], 0
	s_mov_b64 s[74:75], -1
.LBB84_113:                             ;   in Loop: Header=BB84_11 Depth=1
	s_orn2_b64 s[8:9], s[76:77], exec
.LBB84_114:                             ;   in Loop: Header=BB84_11 Depth=1
	s_or_b64 exec, exec, s[18:19]
	s_andn2_b64 s[4:5], s[70:71], exec
	s_and_b64 s[16:17], s[74:75], exec
	s_or_b64 s[70:71], s[4:5], s[16:17]
	s_andn2_b64 s[4:5], s[68:69], exec
	s_and_b64 s[16:17], s[22:23], exec
	s_andn2_b64 s[66:67], s[66:67], exec
	s_or_b64 s[68:69], s[4:5], s[16:17]
                                        ; implicit-def: $vgpr8_vgpr9
	s_and_saveexec_b64 s[18:19], s[8:9]
	s_cbranch_execz .LBB84_10
; %bb.115:                              ;   in Loop: Header=BB84_11 Depth=1
	v_mov_b32_e32 v8, 1
	s_xor_b64 s[4:5], s[20:21], -1
	v_mov_b32_e32 v2, 1
	v_mov_b32_e32 v9, 0
	s_mov_b64 s[22:23], 0
	s_and_saveexec_b64 s[6:7], s[4:5]
	s_cbranch_execz .LBB84_124
; %bb.116:                              ;   in Loop: Header=BB84_11 Depth=1
	v_cmp_le_u64_e32 vcc, v[24:25], v[4:5]
	s_and_saveexec_b64 s[4:5], vcc
	s_xor_b64 s[8:9], exec, s[4:5]
	s_cbranch_execz .LBB84_121
; %bb.117:                              ;   in Loop: Header=BB84_11 Depth=1
	ds_read_b64 v[8:9], v3 offset:5120
	v_and_b32_e32 v37, s13, v37
	v_or_b32_e32 v40, s12, v40
	s_waitcnt lgkmcnt(0)
	v_cmp_ne_u64_e32 vcc, 0, v[8:9]
	s_cbranch_vccnz .LBB84_121
; %bb.118:                              ;   in Loop: Header=BB84_11 Depth=1
	s_mov_b64 s[4:5], exec
	v_readlane_b32 s16, v61, 0
	v_readlane_b32 s17, v61, 1
	s_and_b64 s[16:17], s[4:5], s[16:17]
	s_mov_b64 exec, s[16:17]
; %bb.119:                              ;   in Loop: Header=BB84_11 Depth=1
	ds_write_b64 v3, v[4:5] offset:5128
; %bb.120:                              ;   in Loop: Header=BB84_11 Depth=1
	s_or_b64 exec, exec, s[4:5]
	s_waitcnt lgkmcnt(0)
	s_barrier
.LBB84_121:                             ;   in Loop: Header=BB84_11 Depth=1
	s_or_saveexec_b64 s[8:9], s[8:9]
	s_mov_b64 s[20:21], 0
	v_mov_b32_e32 v2, 8
	s_xor_b64 exec, exec, s[8:9]
; %bb.122:                              ;   in Loop: Header=BB84_11 Depth=1
	v_sub_co_u32_e32 v24, vcc, v24, v4
	s_mov_b64 s[20:21], exec
	v_subb_co_u32_e32 v25, vcc, v25, v5, vcc
	v_mov_b32_e32 v2, 0
; %bb.123:                              ;   in Loop: Header=BB84_11 Depth=1
	s_or_b64 exec, exec, s[8:9]
	v_mov_b32_e32 v8, v24
	s_and_b64 s[22:23], s[20:21], exec
	v_mov_b32_e32 v9, v25
.LBB84_124:                             ;   in Loop: Header=BB84_11 Depth=1
	s_or_b64 exec, exec, s[6:7]
	s_mov_b64 s[20:21], -1
	s_mov_b64 s[8:9], -1
                                        ; implicit-def: $sgpr6_sgpr7
                                        ; implicit-def: $sgpr74_sgpr75
	s_and_saveexec_b64 s[4:5], s[22:23]
	s_xor_b64 s[22:23], exec, s[4:5]
	s_cbranch_execz .LBB84_269
; %bb.125:                              ;   in Loop: Header=BB84_11 Depth=1
	v_cmp_eq_u64_e32 vcc, 1, v[6:7]
	v_cmp_eq_u64_e64 s[6:7], 1, v[8:9]
                                        ; implicit-def: $sgpr74_sgpr75
	s_and_b64 s[78:79], vcc, s[6:7]
                                        ; implicit-def: $sgpr6_sgpr7
	s_and_saveexec_b64 s[76:77], s[78:79]
	s_cbranch_execz .LBB84_162
; %bb.126:                              ;   in Loop: Header=BB84_11 Depth=1
	ds_read_b64 v[4:5], v3 offset:5120
	s_waitcnt lgkmcnt(0)
	s_barrier
	v_readfirstlane_b32 s82, v4
	v_readfirstlane_b32 s83, v5
	s_mov_b64 s[4:5], exec
	v_readlane_b32 s6, v61, 20
	v_readlane_b32 s7, v61, 21
	s_and_b64 s[6:7], s[4:5], s[6:7]
	s_mov_b64 exec, s[6:7]
; %bb.127:                              ;   in Loop: Header=BB84_11 Depth=1
	ds_write_b8 v0, v3 offset:3072
; %bb.128:                              ;   in Loop: Header=BB84_11 Depth=1
	s_or_b64 exec, exec, s[4:5]
	v_and_b32_e32 v4, s13, v37
	v_lshl_or_b32 v37, 1, s46, v4
	v_or_b32_e32 v40, s12, v40
	s_mov_b64 s[6:7], -1
	s_mov_b64 s[74:75], 0
	s_cmp_eq_u64 s[82:83], 0
	s_mov_b64 s[80:81], 0
	s_mov_b64 s[26:27], -1
	s_waitcnt lgkmcnt(0)
	s_barrier
                                        ; implicit-def: $vgpr41
	s_cbranch_scc1 .LBB84_147
; %bb.129:                              ;   in Loop: Header=BB84_11 Depth=1
	v_readlane_b32 s4, v61, 24
	s_add_u32 s16, s82, s4
	v_readlane_b32 s4, v61, 25
	s_addc_u32 s27, s83, s4
	s_mov_b32 s26, s43
	s_cmp_lg_u64 s[26:27], 0
	s_cbranch_scc0 .LBB84_189
; %bb.130:                              ;   in Loop: Header=BB84_11 Depth=1
	v_cvt_f32_u32_e32 v4, s29
	s_sub_u32 s8, 0, s29
	s_subb_u32 s9, 0, 0
	v_mac_f32_e32 v4, 0, v38
	v_rcp_f32_e32 v4, v4
	v_mul_f32_e32 v4, 0x5f7ffffc, v4
	v_mul_f32_e32 v5, 0x2f800000, v4
	v_trunc_f32_e32 v5, v5
	v_mac_f32_e32 v4, 0xcf800000, v5
	v_cvt_u32_f32_e32 v5, v5
	v_cvt_u32_f32_e32 v4, v4
	v_readfirstlane_b32 s17, v5
	v_readfirstlane_b32 s4, v4
	s_mul_i32 s5, s8, s17
	s_mul_hi_u32 s30, s8, s4
	s_mul_i32 s26, s9, s4
	s_add_i32 s5, s30, s5
	s_mul_i32 s31, s8, s4
	s_add_i32 s5, s5, s26
	s_mul_hi_u32 s30, s4, s31
	s_mul_i32 s36, s4, s5
	s_mul_hi_u32 s26, s4, s5
	s_add_u32 s30, s30, s36
	s_addc_u32 s26, 0, s26
	s_mul_hi_u32 s37, s17, s31
	s_mul_i32 s31, s17, s31
	s_add_u32 s30, s30, s31
	s_mul_hi_u32 s36, s17, s5
	s_addc_u32 s26, s26, s37
	s_addc_u32 s30, s36, 0
	s_mul_i32 s5, s17, s5
	s_add_u32 s5, s26, s5
	s_addc_u32 s26, 0, s30
	s_add_u32 s30, s4, s5
	s_cselect_b64 s[4:5], -1, 0
	s_cmp_lg_u64 s[4:5], 0
	s_addc_u32 s17, s17, s26
	s_mul_i32 s4, s8, s17
	s_mul_hi_u32 s5, s8, s30
	s_add_i32 s4, s5, s4
	s_mul_i32 s9, s9, s30
	s_add_i32 s4, s4, s9
	s_mul_i32 s8, s8, s30
	s_mul_hi_u32 s9, s17, s8
	s_mul_i32 s26, s17, s8
	s_mul_i32 s36, s30, s4
	s_mul_hi_u32 s8, s30, s8
	s_mul_hi_u32 s31, s30, s4
	s_add_u32 s8, s8, s36
	s_addc_u32 s31, 0, s31
	s_add_u32 s8, s8, s26
	s_mul_hi_u32 s5, s17, s4
	s_addc_u32 s8, s31, s9
	s_addc_u32 s5, s5, 0
	s_mul_i32 s4, s17, s4
	s_add_u32 s4, s8, s4
	s_addc_u32 s8, 0, s5
	s_add_u32 s9, s30, s4
	s_cselect_b64 s[4:5], -1, 0
	s_cmp_lg_u64 s[4:5], 0
	s_addc_u32 s4, s17, s8
	s_mul_i32 s8, s16, s4
	s_mul_hi_u32 s17, s16, s9
	s_mul_hi_u32 s5, s16, s4
	s_add_u32 s8, s17, s8
	s_addc_u32 s5, 0, s5
	s_mul_hi_u32 s26, s27, s9
	s_mul_i32 s9, s27, s9
	s_add_u32 s8, s8, s9
	s_mul_hi_u32 s17, s27, s4
	s_addc_u32 s5, s5, s26
	s_addc_u32 s8, s17, 0
	s_mul_i32 s4, s27, s4
	s_add_u32 s4, s5, s4
	s_addc_u32 s5, 0, s8
	s_mul_i32 s5, s29, s5
	s_mul_hi_u32 s8, s29, s4
	s_add_i32 s8, s8, s5
	s_mul_i32 s4, s29, s4
	s_sub_u32 s17, s16, s4
	s_cselect_b64 s[4:5], -1, 0
	s_cmp_lg_u64 s[4:5], 0
	s_subb_u32 s8, s27, s8
	s_sub_u32 s9, s17, s29
	s_cselect_b64 s[4:5], -1, 0
	s_cmp_lg_u64 s[4:5], 0
	s_subb_u32 s26, s8, 0
	;; [unrolled: 4-line block ×3, first 2 shown]
	s_cmp_ge_u32 s9, s29
	s_cselect_b32 s5, -1, 0
	s_cmp_eq_u32 s26, 0
	s_cselect_b32 s5, s5, -1
	s_cmp_lg_u32 s5, 0
	s_cselect_b32 s4, s4, s26
	s_cselect_b32 s5, s30, s9
	s_cmp_ge_u32 s17, s29
	s_cselect_b32 s9, -1, 0
	s_cmp_eq_u32 s8, 0
	s_cselect_b32 s9, s9, -1
	s_cmp_lg_u32 s9, 0
	s_cselect_b32 s9, s4, s8
	s_cselect_b32 s8, s5, s17
	s_cbranch_execnz .LBB84_132
.LBB84_131:                             ;   in Loop: Header=BB84_11 Depth=1
	v_cvt_f32_u32_e32 v4, s29
	s_sub_i32 s4, 0, s29
	v_rcp_iflag_f32_e32 v4, v4
	v_mul_f32_e32 v4, 0x4f7ffffe, v4
	v_cvt_u32_f32_e32 v4, v4
	v_readfirstlane_b32 s5, v4
	s_mul_i32 s4, s4, s5
	s_mul_hi_u32 s4, s5, s4
	s_add_i32 s5, s5, s4
	s_mul_hi_u32 s4, s16, s5
	s_mul_i32 s4, s4, s29
	s_sub_i32 s4, s16, s4
	s_sub_i32 s5, s4, s29
	s_cmp_ge_u32 s4, s29
	s_cselect_b32 s4, s5, s4
	s_sub_i32 s5, s4, s29
	s_cmp_ge_u32 s4, s29
	s_cselect_b32 s42, s5, s4
	s_mov_b64 s[8:9], s[42:43]
.LBB84_132:                             ;   in Loop: Header=BB84_11 Depth=1
	s_sub_u32 s36, s16, s8
	s_subb_u32 s37, s27, s9
	v_cmp_gt_u64_e32 vcc, s[36:37], v[0:1]
	s_mov_b64 s[26:27], 0
                                        ; implicit-def: $vgpr41
	s_and_saveexec_b64 s[30:31], vcc
	s_cbranch_execz .LBB84_146
; %bb.133:                              ;   in Loop: Header=BB84_11 Depth=1
	v_mov_b32_e32 v5, v1
	s_mov_b64 s[38:39], 0
	v_mov_b32_e32 v10, v0
	v_mov_b32_e32 v4, v0
                                        ; implicit-def: $sgpr80_sgpr81
	s_branch .LBB84_136
.LBB84_134:                             ;   in Loop: Header=BB84_136 Depth=2
	s_or_b64 exec, exec, s[8:9]
	s_waitcnt lgkmcnt(0)
	s_barrier
	ds_read_u16 v11, v3 offset:3072
	s_mov_b64 s[4:5], -1
	s_waitcnt lgkmcnt(0)
	s_barrier
	v_cmp_ne_u32_sdwa s[8:9], v11, v3 src0_sel:BYTE_0 src1_sel:DWORD
	s_and_b64 vcc, exec, s[8:9]
	s_mov_b64 s[8:9], -1
	s_cbranch_vccz .LBB84_139
.LBB84_135:                             ;   in Loop: Header=BB84_136 Depth=2
	s_and_b64 s[4:5], exec, s[4:5]
	s_or_b64 s[38:39], s[4:5], s[38:39]
	s_andn2_b64 s[4:5], s[80:81], exec
	s_and_b64 s[8:9], s[8:9], exec
	s_or_b64 s[80:81], s[4:5], s[8:9]
	s_andn2_b64 exec, exec, s[38:39]
	s_cbranch_execz .LBB84_145
.LBB84_136:                             ;   Parent Loop BB84_11 Depth=1
                                        ; =>  This Inner Loop Header: Depth=2
	v_cmp_gt_u64_e32 vcc, s[82:83], v[4:5]
	s_and_saveexec_b64 s[8:9], vcc
	s_cbranch_execz .LBB84_134
; %bb.137:                              ;   in Loop: Header=BB84_136 Depth=2
	ds_read_u8 v11, v10
	s_waitcnt lgkmcnt(0)
	v_add_u32_sdwa v24, sext(v11), s47 dst_sel:DWORD dst_unused:UNUSED_PAD src0_sel:BYTE_0 src1_sel:DWORD
	v_and_b32_e32 v24, v24, v40
	v_cmp_eq_u32_e32 vcc, v24, v37
	s_and_b64 exec, exec, vcc
	s_cbranch_execz .LBB84_134
; %bb.138:                              ;   in Loop: Header=BB84_136 Depth=2
	v_lshlrev_b16_e32 v11, 8, v11
	v_or_b32_e32 v11, 1, v11
	ds_write_b16 v3, v11 offset:3072
	s_branch .LBB84_134
.LBB84_139:                             ;   in Loop: Header=BB84_136 Depth=2
	v_add_co_u32_e32 v4, vcc, s29, v4
	v_addc_co_u32_e32 v5, vcc, 0, v5, vcc
	v_cmp_le_u64_e32 vcc, s[36:37], v[4:5]
	v_add_u32_e32 v10, s29, v10
	s_mov_b64 s[8:9], 0
	s_orn2_b64 s[4:5], vcc, exec
	s_branch .LBB84_135
.LBB84_140:                             ;   in Loop: Header=BB84_11 Depth=1
                                        ; implicit-def: $sgpr8_sgpr9
	s_branch .LBB84_88
.LBB84_141:                             ;   in Loop: Header=BB84_11 Depth=1
	s_or_b64 exec, exec, s[20:21]
	s_waitcnt lgkmcnt(0)
	s_barrier
	s_mov_b64 s[4:5], exec
	v_readlane_b32 s6, v61, 0
	v_readlane_b32 s7, v61, 1
	s_and_b64 s[6:7], s[4:5], s[6:7]
	s_mov_b64 exec, s[6:7]
	s_cbranch_execz .LBB84_143
; %bb.142:                              ;   in Loop: Header=BB84_11 Depth=1
	ds_read_b32 v4, v3 offset:5144
	s_waitcnt lgkmcnt(0)
	v_ashrrev_i32_e32 v5, 31, v4
	ds_write_b64 v3, v[4:5] offset:5120
.LBB84_143:                             ;   in Loop: Header=BB84_11 Depth=1
	s_or_b64 exec, exec, s[4:5]
	s_waitcnt lgkmcnt(0)
	s_barrier
	s_mov_b64 s[6:7], -1
	s_and_b64 vcc, exec, s[18:19]
	s_cbranch_vccnz .LBB84_26
	s_branch .LBB84_41
.LBB84_144:                             ;   in Loop: Header=BB84_11 Depth=1
                                        ; implicit-def: $sgpr8_sgpr9
	s_branch .LBB84_102
.LBB84_145:                             ;   in Loop: Header=BB84_11 Depth=1
	s_or_b64 exec, exec, s[38:39]
	v_lshrrev_b32_sdwa v41, v39, v11 dst_sel:DWORD dst_unused:UNUSED_PAD src0_sel:DWORD src1_sel:WORD_0
	s_and_b64 s[80:81], s[80:81], exec
.LBB84_146:                             ;   in Loop: Header=BB84_11 Depth=1
	s_or_b64 exec, exec, s[30:31]
.LBB84_147:                             ;   in Loop: Header=BB84_11 Depth=1
	s_and_b64 vcc, exec, s[26:27]
	s_cbranch_vccz .LBB84_161
; %bb.148:                              ;   in Loop: Header=BB84_11 Depth=1
	s_mov_b32 s48, s43
	s_cmp_lg_u64 s[48:49], 0
	s_cbranch_scc0 .LBB84_190
; %bb.149:                              ;   in Loop: Header=BB84_11 Depth=1
	v_cvt_f32_u32_e32 v4, s29
	s_sub_u32 s6, 0, s29
	s_subb_u32 s7, 0, 0
	v_mac_f32_e32 v4, 0, v38
	v_rcp_f32_e32 v4, v4
	v_mul_f32_e32 v4, 0x5f7ffffc, v4
	v_mul_f32_e32 v5, 0x2f800000, v4
	v_trunc_f32_e32 v5, v5
	v_mac_f32_e32 v4, 0xcf800000, v5
	v_cvt_u32_f32_e32 v5, v5
	v_cvt_u32_f32_e32 v4, v4
	v_readfirstlane_b32 s8, v5
	v_readfirstlane_b32 s4, v4
	s_mul_i32 s5, s6, s8
	s_mul_hi_u32 s16, s6, s4
	s_mul_i32 s9, s7, s4
	s_add_i32 s5, s16, s5
	s_mul_i32 s17, s6, s4
	s_add_i32 s5, s5, s9
	s_mul_hi_u32 s16, s4, s17
	s_mul_i32 s26, s4, s5
	s_mul_hi_u32 s9, s4, s5
	s_add_u32 s16, s16, s26
	s_addc_u32 s9, 0, s9
	s_mul_hi_u32 s27, s8, s17
	s_mul_i32 s17, s8, s17
	s_add_u32 s16, s16, s17
	s_mul_hi_u32 s26, s8, s5
	s_addc_u32 s9, s9, s27
	s_addc_u32 s16, s26, 0
	s_mul_i32 s5, s8, s5
	s_add_u32 s5, s9, s5
	s_addc_u32 s9, 0, s16
	s_add_u32 s16, s4, s5
	s_cselect_b64 s[4:5], -1, 0
	s_cmp_lg_u64 s[4:5], 0
	s_addc_u32 s8, s8, s9
	s_mul_i32 s4, s6, s8
	s_mul_hi_u32 s5, s6, s16
	s_add_i32 s4, s5, s4
	s_mul_i32 s7, s7, s16
	s_add_i32 s4, s4, s7
	s_mul_i32 s6, s6, s16
	s_mul_hi_u32 s7, s8, s6
	s_mul_i32 s9, s8, s6
	s_mul_i32 s26, s16, s4
	s_mul_hi_u32 s6, s16, s6
	s_mul_hi_u32 s17, s16, s4
	s_add_u32 s6, s6, s26
	s_addc_u32 s17, 0, s17
	s_add_u32 s6, s6, s9
	s_mul_hi_u32 s5, s8, s4
	s_addc_u32 s6, s17, s7
	s_addc_u32 s5, s5, 0
	s_mul_i32 s4, s8, s4
	s_add_u32 s4, s6, s4
	s_addc_u32 s6, 0, s5
	s_add_u32 s7, s16, s4
	s_cselect_b64 s[4:5], -1, 0
	s_cmp_lg_u64 s[4:5], 0
	s_addc_u32 s4, s8, s6
	s_mul_i32 s6, s55, s4
	s_mul_hi_u32 s8, s55, s7
	s_mul_hi_u32 s5, s55, s4
	s_add_u32 s6, s8, s6
	s_addc_u32 s5, 0, s5
	s_mul_hi_u32 s9, s49, s7
	s_mul_i32 s7, s49, s7
	s_add_u32 s6, s6, s7
	s_mul_hi_u32 s8, s49, s4
	s_addc_u32 s5, s5, s9
	s_addc_u32 s6, s8, 0
	s_mul_i32 s4, s49, s4
	s_add_u32 s4, s5, s4
	s_addc_u32 s5, 0, s6
	s_mul_i32 s5, s29, s5
	s_mul_hi_u32 s6, s29, s4
	s_add_i32 s6, s6, s5
	s_mul_i32 s4, s29, s4
	s_sub_u32 s8, s55, s4
	s_cselect_b64 s[4:5], -1, 0
	s_cmp_lg_u64 s[4:5], 0
	s_subb_u32 s6, s49, s6
	s_sub_u32 s7, s8, s29
	s_cselect_b64 s[4:5], -1, 0
	s_cmp_lg_u64 s[4:5], 0
	s_subb_u32 s9, s6, 0
	;; [unrolled: 4-line block ×3, first 2 shown]
	s_cmp_ge_u32 s7, s29
	s_cselect_b32 s5, -1, 0
	s_cmp_eq_u32 s9, 0
	s_cselect_b32 s5, s5, -1
	s_cmp_lg_u32 s5, 0
	s_cselect_b32 s4, s4, s9
	s_cselect_b32 s5, s16, s7
	s_cmp_ge_u32 s8, s29
	s_cselect_b32 s7, -1, 0
	s_cmp_eq_u32 s6, 0
	s_cselect_b32 s7, s7, -1
	s_cmp_lg_u32 s7, 0
	s_cselect_b32 s7, s4, s6
	s_cselect_b32 s6, s5, s8
	s_cbranch_execnz .LBB84_151
.LBB84_150:                             ;   in Loop: Header=BB84_11 Depth=1
	v_cvt_f32_u32_e32 v4, s29
	s_sub_i32 s4, 0, s29
	v_rcp_iflag_f32_e32 v4, v4
	v_mul_f32_e32 v4, 0x4f7ffffe, v4
	v_cvt_u32_f32_e32 v4, v4
	v_readfirstlane_b32 s5, v4
	s_mul_i32 s4, s4, s5
	s_mul_hi_u32 s4, s5, s4
	s_add_i32 s5, s5, s4
	s_mul_hi_u32 s4, s55, s5
	s_mul_i32 s4, s4, s29
	s_sub_i32 s4, s55, s4
	s_sub_i32 s5, s4, s29
	s_cmp_ge_u32 s4, s29
	s_cselect_b32 s4, s5, s4
	s_sub_i32 s5, s4, s29
	s_cmp_ge_u32 s4, s29
	s_cselect_b32 s42, s5, s4
	s_mov_b64 s[6:7], s[42:43]
.LBB84_151:                             ;   in Loop: Header=BB84_11 Depth=1
	s_sub_u32 s26, s55, s6
	s_subb_u32 s27, s49, s7
	v_cmp_gt_u64_e32 vcc, s[26:27], v[0:1]
                                        ; implicit-def: $vgpr41
	s_and_saveexec_b64 s[6:7], vcc
	s_cbranch_execz .LBB84_160
; %bb.152:                              ;   in Loop: Header=BB84_11 Depth=1
	v_mov_b32_e32 v4, v12
	v_mov_b32_e32 v11, v1
	s_mov_b64 s[30:31], 0
	v_mov_b32_e32 v5, v13
	v_mov_b32_e32 v10, v0
                                        ; implicit-def: $sgpr36_sgpr37
	s_branch .LBB84_155
.LBB84_153:                             ;   in Loop: Header=BB84_155 Depth=2
	s_or_b64 exec, exec, s[8:9]
	s_waitcnt lgkmcnt(0)
	s_barrier
	ds_read_u16 v24, v3 offset:3072
	s_mov_b64 s[4:5], -1
	s_waitcnt lgkmcnt(0)
	s_barrier
	v_cmp_eq_u32_sdwa s[8:9], v24, v3 src0_sel:BYTE_0 src1_sel:DWORD
	s_and_b64 vcc, exec, s[8:9]
	s_mov_b64 s[8:9], -1
	s_cbranch_vccnz .LBB84_158
.LBB84_154:                             ;   in Loop: Header=BB84_155 Depth=2
	s_and_b64 s[4:5], exec, s[4:5]
	s_or_b64 s[30:31], s[4:5], s[30:31]
	s_andn2_b64 s[4:5], s[36:37], exec
	s_and_b64 s[8:9], s[8:9], exec
	s_or_b64 s[36:37], s[4:5], s[8:9]
	s_andn2_b64 exec, exec, s[30:31]
	s_cbranch_execz .LBB84_159
.LBB84_155:                             ;   Parent Loop BB84_11 Depth=1
                                        ; =>  This Inner Loop Header: Depth=2
	v_cmp_gt_u64_e32 vcc, s[24:25], v[10:11]
	s_and_saveexec_b64 s[8:9], vcc
	s_cbranch_execz .LBB84_153
; %bb.156:                              ;   in Loop: Header=BB84_155 Depth=2
	global_load_ubyte v24, v[4:5], off
	s_waitcnt vmcnt(0)
	v_add_u32_sdwa v25, sext(v24), s47 dst_sel:DWORD dst_unused:UNUSED_PAD src0_sel:BYTE_0 src1_sel:DWORD
	v_and_b32_e32 v25, v25, v40
	v_cmp_eq_u32_e32 vcc, v25, v37
	s_and_b64 exec, exec, vcc
	s_cbranch_execz .LBB84_153
; %bb.157:                              ;   in Loop: Header=BB84_155 Depth=2
	v_lshlrev_b16_e32 v24, 8, v24
	v_or_b32_e32 v24, 1, v24
	ds_write_b16 v3, v24 offset:3072
	s_branch .LBB84_153
.LBB84_158:                             ;   in Loop: Header=BB84_155 Depth=2
	v_add_co_u32_e32 v10, vcc, s29, v10
	v_addc_co_u32_e32 v11, vcc, 0, v11, vcc
	v_mov_b32_e32 v25, s33
	v_add_co_u32_e32 v4, vcc, s52, v4
	v_addc_co_u32_e32 v5, vcc, v5, v25, vcc
	v_cmp_le_u64_e32 vcc, s[26:27], v[10:11]
	s_mov_b64 s[8:9], 0
	s_orn2_b64 s[4:5], vcc, exec
	s_branch .LBB84_154
.LBB84_159:                             ;   in Loop: Header=BB84_11 Depth=1
	s_or_b64 exec, exec, s[30:31]
	s_andn2_b64 s[4:5], s[80:81], exec
	s_and_b64 s[8:9], s[36:37], exec
	v_lshrrev_b32_sdwa v41, v39, v24 dst_sel:DWORD dst_unused:UNUSED_PAD src0_sel:DWORD src1_sel:WORD_0
	s_or_b64 s[80:81], s[4:5], s[8:9]
.LBB84_160:                             ;   in Loop: Header=BB84_11 Depth=1
	s_or_b64 exec, exec, s[6:7]
	s_mov_b64 s[6:7], 0
	s_mov_b64 s[74:75], -1
.LBB84_161:                             ;   in Loop: Header=BB84_11 Depth=1
	s_orn2_b64 s[8:9], s[80:81], exec
.LBB84_162:                             ;   in Loop: Header=BB84_11 Depth=1
	s_or_b64 exec, exec, s[76:77]
	s_mov_b64 s[26:27], 0
	s_and_saveexec_b64 s[76:77], s[8:9]
	s_cbranch_execz .LBB84_268
; %bb.163:                              ;   in Loop: Header=BB84_11 Depth=1
	v_mov_b32_e32 v4, 1
	s_xor_b64 s[4:5], s[78:79], -1
	v_mov_b32_e32 v2, 1
	v_mov_b32_e32 v5, 0
	s_mov_b64 s[30:31], 0
	s_and_saveexec_b64 s[26:27], s[4:5]
	s_cbranch_execz .LBB84_173
; %bb.164:                              ;   in Loop: Header=BB84_11 Depth=1
	v_cmp_le_u64_e32 vcc, v[8:9], v[6:7]
	s_and_saveexec_b64 s[4:5], vcc
	s_xor_b64 s[8:9], exec, s[4:5]
	s_cbranch_execz .LBB84_170
; %bb.165:                              ;   in Loop: Header=BB84_11 Depth=1
	ds_read_b64 v[4:5], v3 offset:5120
	v_and_b32_e32 v2, s13, v37
	v_lshl_or_b32 v37, 1, s46, v2
	v_or_b32_e32 v40, s12, v40
	s_waitcnt lgkmcnt(0)
	v_cmp_ne_u64_e32 vcc, 0, v[4:5]
	s_cbranch_vccnz .LBB84_169
; %bb.166:                              ;   in Loop: Header=BB84_11 Depth=1
	s_mov_b64 s[4:5], exec
	v_readlane_b32 s16, v61, 0
	v_readlane_b32 s17, v61, 1
	s_and_b64 s[16:17], s[4:5], s[16:17]
	s_mov_b64 exec, s[16:17]
; %bb.167:                              ;   in Loop: Header=BB84_11 Depth=1
	ds_write_b64 v3, v[6:7] offset:5128
; %bb.168:                              ;   in Loop: Header=BB84_11 Depth=1
	s_or_b64 exec, exec, s[4:5]
	s_waitcnt lgkmcnt(0)
	s_barrier
.LBB84_169:                             ;   in Loop: Header=BB84_11 Depth=1
                                        ; implicit-def: $vgpr4_vgpr5_vgpr6_vgpr7
.LBB84_170:                             ;   in Loop: Header=BB84_11 Depth=1
	s_or_saveexec_b64 s[8:9], s[8:9]
	v_mov_b32_e32 v2, 8
	s_xor_b64 exec, exec, s[8:9]
; %bb.171:                              ;   in Loop: Header=BB84_11 Depth=1
	v_sub_co_u32_e32 v8, vcc, v8, v6
	v_subb_co_u32_e32 v9, vcc, v9, v7, vcc
	v_mov_b32_e32 v2, 0
	s_mov_b64 s[30:31], exec
; %bb.172:                              ;   in Loop: Header=BB84_11 Depth=1
	s_or_b64 exec, exec, s[8:9]
	v_mov_b32_e32 v4, v8
	s_and_b64 s[30:31], s[30:31], exec
	v_mov_b32_e32 v5, v9
.LBB84_173:                             ;   in Loop: Header=BB84_11 Depth=1
	s_or_b64 exec, exec, s[26:27]
	s_mov_b64 s[8:9], -1
                                        ; implicit-def: $sgpr80_sgpr81
                                        ; implicit-def: $sgpr82_sgpr83
	s_and_saveexec_b64 s[78:79], s[30:31]
	s_cbranch_execz .LBB84_267
; %bb.174:                              ;   in Loop: Header=BB84_11 Depth=1
	s_cmp_eq_u64 s[72:73], 1
	v_cmp_eq_u64_e32 vcc, 1, v[4:5]
	s_cselect_b64 s[4:5], -1, 0
	s_and_b64 s[86:87], s[4:5], vcc
                                        ; implicit-def: $sgpr82_sgpr83
                                        ; implicit-def: $sgpr80_sgpr81
	s_and_saveexec_b64 s[84:85], s[86:87]
	s_cbranch_execz .LBB84_208
; %bb.175:                              ;   in Loop: Header=BB84_11 Depth=1
	ds_read_b64 v[6:7], v3 offset:5120
	s_waitcnt lgkmcnt(0)
	s_barrier
	v_readfirstlane_b32 s90, v6
	v_readfirstlane_b32 s91, v7
	s_mov_b64 s[4:5], exec
	v_readlane_b32 s8, v61, 20
	v_readlane_b32 s9, v61, 21
	s_and_b64 s[8:9], s[4:5], s[8:9]
	s_mov_b64 exec, s[8:9]
; %bb.176:                              ;   in Loop: Header=BB84_11 Depth=1
	ds_write_b8 v0, v3 offset:3072
; %bb.177:                              ;   in Loop: Header=BB84_11 Depth=1
	s_or_b64 exec, exec, s[4:5]
	v_and_b32_e32 v6, s13, v37
	v_lshl_or_b32 v37, 2, s46, v6
	v_or_b32_e32 v40, s12, v40
	s_mov_b64 s[80:81], -1
	s_mov_b64 s[82:83], 0
	s_cmp_eq_u64 s[90:91], 0
	s_mov_b64 s[88:89], 0
	s_mov_b64 s[26:27], -1
	s_waitcnt lgkmcnt(0)
	s_barrier
                                        ; implicit-def: $vgpr41
	s_cbranch_scc1 .LBB84_193
; %bb.178:                              ;   in Loop: Header=BB84_11 Depth=1
	v_readlane_b32 s4, v61, 24
	s_add_u32 s16, s90, s4
	v_readlane_b32 s4, v61, 25
	s_addc_u32 s27, s91, s4
	s_mov_b32 s26, s43
	s_cmp_lg_u64 s[26:27], 0
	s_cbranch_scc0 .LBB84_234
; %bb.179:                              ;   in Loop: Header=BB84_11 Depth=1
	v_cvt_f32_u32_e32 v6, s29
	s_sub_u32 s8, 0, s29
	s_subb_u32 s9, 0, 0
	v_mac_f32_e32 v6, 0, v38
	v_rcp_f32_e32 v6, v6
	v_mul_f32_e32 v6, 0x5f7ffffc, v6
	v_mul_f32_e32 v7, 0x2f800000, v6
	v_trunc_f32_e32 v7, v7
	v_mac_f32_e32 v6, 0xcf800000, v7
	v_cvt_u32_f32_e32 v7, v7
	v_cvt_u32_f32_e32 v6, v6
	v_readfirstlane_b32 s17, v7
	v_readfirstlane_b32 s4, v6
	s_mul_i32 s5, s8, s17
	s_mul_hi_u32 s30, s8, s4
	s_mul_i32 s26, s9, s4
	s_add_i32 s5, s30, s5
	s_mul_i32 s31, s8, s4
	s_add_i32 s5, s5, s26
	s_mul_hi_u32 s30, s4, s31
	s_mul_i32 s36, s4, s5
	s_mul_hi_u32 s26, s4, s5
	s_add_u32 s30, s30, s36
	s_addc_u32 s26, 0, s26
	s_mul_hi_u32 s37, s17, s31
	s_mul_i32 s31, s17, s31
	s_add_u32 s30, s30, s31
	s_mul_hi_u32 s36, s17, s5
	s_addc_u32 s26, s26, s37
	s_addc_u32 s30, s36, 0
	s_mul_i32 s5, s17, s5
	s_add_u32 s5, s26, s5
	s_addc_u32 s26, 0, s30
	s_add_u32 s30, s4, s5
	s_cselect_b64 s[4:5], -1, 0
	s_cmp_lg_u64 s[4:5], 0
	s_addc_u32 s17, s17, s26
	s_mul_i32 s4, s8, s17
	s_mul_hi_u32 s5, s8, s30
	s_add_i32 s4, s5, s4
	s_mul_i32 s9, s9, s30
	s_add_i32 s4, s4, s9
	s_mul_i32 s8, s8, s30
	s_mul_hi_u32 s9, s17, s8
	s_mul_i32 s26, s17, s8
	s_mul_i32 s36, s30, s4
	s_mul_hi_u32 s8, s30, s8
	s_mul_hi_u32 s31, s30, s4
	s_add_u32 s8, s8, s36
	s_addc_u32 s31, 0, s31
	s_add_u32 s8, s8, s26
	s_mul_hi_u32 s5, s17, s4
	s_addc_u32 s8, s31, s9
	s_addc_u32 s5, s5, 0
	s_mul_i32 s4, s17, s4
	s_add_u32 s4, s8, s4
	s_addc_u32 s8, 0, s5
	s_add_u32 s9, s30, s4
	s_cselect_b64 s[4:5], -1, 0
	s_cmp_lg_u64 s[4:5], 0
	s_addc_u32 s4, s17, s8
	s_mul_i32 s8, s16, s4
	s_mul_hi_u32 s17, s16, s9
	s_mul_hi_u32 s5, s16, s4
	s_add_u32 s8, s17, s8
	s_addc_u32 s5, 0, s5
	s_mul_hi_u32 s26, s27, s9
	s_mul_i32 s9, s27, s9
	s_add_u32 s8, s8, s9
	s_mul_hi_u32 s17, s27, s4
	s_addc_u32 s5, s5, s26
	s_addc_u32 s8, s17, 0
	s_mul_i32 s4, s27, s4
	s_add_u32 s4, s5, s4
	s_addc_u32 s5, 0, s8
	s_mul_i32 s5, s29, s5
	s_mul_hi_u32 s8, s29, s4
	s_add_i32 s8, s8, s5
	s_mul_i32 s4, s29, s4
	s_sub_u32 s17, s16, s4
	s_cselect_b64 s[4:5], -1, 0
	s_cmp_lg_u64 s[4:5], 0
	s_subb_u32 s8, s27, s8
	s_sub_u32 s9, s17, s29
	s_cselect_b64 s[4:5], -1, 0
	s_cmp_lg_u64 s[4:5], 0
	s_subb_u32 s26, s8, 0
	;; [unrolled: 4-line block ×3, first 2 shown]
	s_cmp_ge_u32 s9, s29
	s_cselect_b32 s5, -1, 0
	s_cmp_eq_u32 s26, 0
	s_cselect_b32 s5, s5, -1
	s_cmp_lg_u32 s5, 0
	s_cselect_b32 s4, s4, s26
	s_cselect_b32 s5, s30, s9
	s_cmp_ge_u32 s17, s29
	s_cselect_b32 s9, -1, 0
	s_cmp_eq_u32 s8, 0
	s_cselect_b32 s9, s9, -1
	s_cmp_lg_u32 s9, 0
	s_cselect_b32 s9, s4, s8
	s_cselect_b32 s8, s5, s17
	s_cbranch_execnz .LBB84_181
.LBB84_180:                             ;   in Loop: Header=BB84_11 Depth=1
	v_cvt_f32_u32_e32 v6, s29
	s_sub_i32 s4, 0, s29
	v_rcp_iflag_f32_e32 v6, v6
	v_mul_f32_e32 v6, 0x4f7ffffe, v6
	v_cvt_u32_f32_e32 v6, v6
	v_readfirstlane_b32 s5, v6
	s_mul_i32 s4, s4, s5
	s_mul_hi_u32 s4, s5, s4
	s_add_i32 s5, s5, s4
	s_mul_hi_u32 s4, s16, s5
	s_mul_i32 s4, s4, s29
	s_sub_i32 s4, s16, s4
	s_sub_i32 s5, s4, s29
	s_cmp_ge_u32 s4, s29
	s_cselect_b32 s4, s5, s4
	s_sub_i32 s5, s4, s29
	s_cmp_ge_u32 s4, s29
	s_cselect_b32 s42, s5, s4
	s_mov_b64 s[8:9], s[42:43]
.LBB84_181:                             ;   in Loop: Header=BB84_11 Depth=1
	s_sub_u32 s36, s16, s8
	s_subb_u32 s37, s27, s9
	v_cmp_gt_u64_e32 vcc, s[36:37], v[0:1]
	s_mov_b64 s[26:27], 0
                                        ; implicit-def: $vgpr41
	s_and_saveexec_b64 s[30:31], vcc
	s_cbranch_execz .LBB84_192
; %bb.182:                              ;   in Loop: Header=BB84_11 Depth=1
	v_mov_b32_e32 v7, v1
	s_mov_b64 s[38:39], 0
	v_mov_b32_e32 v8, v0
	v_mov_b32_e32 v6, v0
                                        ; implicit-def: $sgpr88_sgpr89
	s_branch .LBB84_185
.LBB84_183:                             ;   in Loop: Header=BB84_185 Depth=2
	s_or_b64 exec, exec, s[8:9]
	s_waitcnt lgkmcnt(0)
	s_barrier
	ds_read_u16 v9, v3 offset:3072
	s_mov_b64 s[4:5], -1
	s_waitcnt lgkmcnt(0)
	s_barrier
	v_cmp_ne_u32_sdwa s[8:9], v9, v3 src0_sel:BYTE_0 src1_sel:DWORD
	s_and_b64 vcc, exec, s[8:9]
	s_mov_b64 s[8:9], -1
	s_cbranch_vccz .LBB84_188
.LBB84_184:                             ;   in Loop: Header=BB84_185 Depth=2
	s_and_b64 s[4:5], exec, s[4:5]
	s_or_b64 s[38:39], s[4:5], s[38:39]
	s_andn2_b64 s[4:5], s[88:89], exec
	s_and_b64 s[8:9], s[8:9], exec
	s_or_b64 s[88:89], s[4:5], s[8:9]
	s_andn2_b64 exec, exec, s[38:39]
	s_cbranch_execz .LBB84_191
.LBB84_185:                             ;   Parent Loop BB84_11 Depth=1
                                        ; =>  This Inner Loop Header: Depth=2
	v_cmp_gt_u64_e32 vcc, s[90:91], v[6:7]
	s_and_saveexec_b64 s[8:9], vcc
	s_cbranch_execz .LBB84_183
; %bb.186:                              ;   in Loop: Header=BB84_185 Depth=2
	ds_read_u8 v9, v8
	s_waitcnt lgkmcnt(0)
	v_add_u32_sdwa v10, sext(v9), s47 dst_sel:DWORD dst_unused:UNUSED_PAD src0_sel:BYTE_0 src1_sel:DWORD
	v_and_b32_e32 v10, v10, v40
	v_cmp_eq_u32_e32 vcc, v10, v37
	s_and_b64 exec, exec, vcc
	s_cbranch_execz .LBB84_183
; %bb.187:                              ;   in Loop: Header=BB84_185 Depth=2
	v_lshlrev_b16_e32 v9, 8, v9
	v_or_b32_e32 v9, 1, v9
	ds_write_b16 v3, v9 offset:3072
	s_branch .LBB84_183
.LBB84_188:                             ;   in Loop: Header=BB84_185 Depth=2
	v_add_co_u32_e32 v6, vcc, s29, v6
	v_addc_co_u32_e32 v7, vcc, 0, v7, vcc
	v_cmp_le_u64_e32 vcc, s[36:37], v[6:7]
	v_add_u32_e32 v8, s29, v8
	s_mov_b64 s[8:9], 0
	s_orn2_b64 s[4:5], vcc, exec
	s_branch .LBB84_184
.LBB84_189:                             ;   in Loop: Header=BB84_11 Depth=1
                                        ; implicit-def: $sgpr8_sgpr9
	s_branch .LBB84_131
.LBB84_190:                             ;   in Loop: Header=BB84_11 Depth=1
                                        ; implicit-def: $sgpr6_sgpr7
	s_branch .LBB84_150
.LBB84_191:                             ;   in Loop: Header=BB84_11 Depth=1
	s_or_b64 exec, exec, s[38:39]
	v_lshrrev_b32_sdwa v41, v39, v9 dst_sel:DWORD dst_unused:UNUSED_PAD src0_sel:DWORD src1_sel:WORD_0
	s_and_b64 s[88:89], s[88:89], exec
.LBB84_192:                             ;   in Loop: Header=BB84_11 Depth=1
	s_or_b64 exec, exec, s[30:31]
.LBB84_193:                             ;   in Loop: Header=BB84_11 Depth=1
	s_and_b64 vcc, exec, s[26:27]
	s_cbranch_vccz .LBB84_207
; %bb.194:                              ;   in Loop: Header=BB84_11 Depth=1
	s_mov_b32 s48, s43
	s_cmp_lg_u64 s[48:49], 0
	s_cbranch_scc0 .LBB84_235
; %bb.195:                              ;   in Loop: Header=BB84_11 Depth=1
	v_cvt_f32_u32_e32 v6, s29
	s_sub_u32 s8, 0, s29
	s_subb_u32 s9, 0, 0
	v_mac_f32_e32 v6, 0, v38
	v_rcp_f32_e32 v6, v6
	v_mul_f32_e32 v6, 0x5f7ffffc, v6
	v_mul_f32_e32 v7, 0x2f800000, v6
	v_trunc_f32_e32 v7, v7
	v_mac_f32_e32 v6, 0xcf800000, v7
	v_cvt_u32_f32_e32 v7, v7
	v_cvt_u32_f32_e32 v6, v6
	v_readfirstlane_b32 s16, v7
	v_readfirstlane_b32 s4, v6
	s_mul_i32 s5, s8, s16
	s_mul_hi_u32 s26, s8, s4
	s_mul_i32 s17, s9, s4
	s_add_i32 s5, s26, s5
	s_mul_i32 s27, s8, s4
	s_add_i32 s5, s5, s17
	s_mul_hi_u32 s26, s4, s27
	s_mul_i32 s30, s4, s5
	s_mul_hi_u32 s17, s4, s5
	s_add_u32 s26, s26, s30
	s_addc_u32 s17, 0, s17
	s_mul_hi_u32 s31, s16, s27
	s_mul_i32 s27, s16, s27
	s_add_u32 s26, s26, s27
	s_mul_hi_u32 s30, s16, s5
	s_addc_u32 s17, s17, s31
	s_addc_u32 s26, s30, 0
	s_mul_i32 s5, s16, s5
	s_add_u32 s5, s17, s5
	s_addc_u32 s17, 0, s26
	s_add_u32 s26, s4, s5
	s_cselect_b64 s[4:5], -1, 0
	s_cmp_lg_u64 s[4:5], 0
	s_addc_u32 s16, s16, s17
	s_mul_i32 s4, s8, s16
	s_mul_hi_u32 s5, s8, s26
	s_add_i32 s4, s5, s4
	s_mul_i32 s9, s9, s26
	s_add_i32 s4, s4, s9
	s_mul_i32 s8, s8, s26
	s_mul_hi_u32 s9, s16, s8
	s_mul_i32 s17, s16, s8
	s_mul_i32 s30, s26, s4
	s_mul_hi_u32 s8, s26, s8
	s_mul_hi_u32 s27, s26, s4
	s_add_u32 s8, s8, s30
	s_addc_u32 s27, 0, s27
	s_add_u32 s8, s8, s17
	s_mul_hi_u32 s5, s16, s4
	s_addc_u32 s8, s27, s9
	s_addc_u32 s5, s5, 0
	s_mul_i32 s4, s16, s4
	s_add_u32 s4, s8, s4
	s_addc_u32 s8, 0, s5
	s_add_u32 s9, s26, s4
	s_cselect_b64 s[4:5], -1, 0
	s_cmp_lg_u64 s[4:5], 0
	s_addc_u32 s4, s16, s8
	s_mul_i32 s8, s55, s4
	s_mul_hi_u32 s16, s55, s9
	s_mul_hi_u32 s5, s55, s4
	s_add_u32 s8, s16, s8
	s_addc_u32 s5, 0, s5
	s_mul_hi_u32 s17, s49, s9
	s_mul_i32 s9, s49, s9
	s_add_u32 s8, s8, s9
	s_mul_hi_u32 s16, s49, s4
	s_addc_u32 s5, s5, s17
	s_addc_u32 s8, s16, 0
	s_mul_i32 s4, s49, s4
	s_add_u32 s4, s5, s4
	s_addc_u32 s5, 0, s8
	s_mul_i32 s5, s29, s5
	s_mul_hi_u32 s8, s29, s4
	s_add_i32 s8, s8, s5
	s_mul_i32 s4, s29, s4
	s_sub_u32 s16, s55, s4
	s_cselect_b64 s[4:5], -1, 0
	s_cmp_lg_u64 s[4:5], 0
	s_subb_u32 s8, s49, s8
	s_sub_u32 s9, s16, s29
	s_cselect_b64 s[4:5], -1, 0
	s_cmp_lg_u64 s[4:5], 0
	s_subb_u32 s17, s8, 0
	s_sub_u32 s26, s9, s29
	s_cselect_b64 s[4:5], -1, 0
	s_cmp_lg_u64 s[4:5], 0
	s_subb_u32 s4, s17, 0
	s_cmp_ge_u32 s9, s29
	s_cselect_b32 s5, -1, 0
	s_cmp_eq_u32 s17, 0
	s_cselect_b32 s5, s5, -1
	s_cmp_lg_u32 s5, 0
	s_cselect_b32 s4, s4, s17
	s_cselect_b32 s5, s26, s9
	s_cmp_ge_u32 s16, s29
	s_cselect_b32 s9, -1, 0
	s_cmp_eq_u32 s8, 0
	s_cselect_b32 s9, s9, -1
	s_cmp_lg_u32 s9, 0
	s_cselect_b32 s9, s4, s8
	s_cselect_b32 s8, s5, s16
	s_cbranch_execnz .LBB84_197
.LBB84_196:                             ;   in Loop: Header=BB84_11 Depth=1
	v_cvt_f32_u32_e32 v6, s29
	s_sub_i32 s4, 0, s29
	v_rcp_iflag_f32_e32 v6, v6
	v_mul_f32_e32 v6, 0x4f7ffffe, v6
	v_cvt_u32_f32_e32 v6, v6
	v_readfirstlane_b32 s5, v6
	s_mul_i32 s4, s4, s5
	s_mul_hi_u32 s4, s5, s4
	s_add_i32 s5, s5, s4
	s_mul_hi_u32 s4, s55, s5
	s_mul_i32 s4, s4, s29
	s_sub_i32 s4, s55, s4
	s_sub_i32 s5, s4, s29
	s_cmp_ge_u32 s4, s29
	s_cselect_b32 s4, s5, s4
	s_sub_i32 s5, s4, s29
	s_cmp_ge_u32 s4, s29
	s_cselect_b32 s42, s5, s4
	s_mov_b64 s[8:9], s[42:43]
.LBB84_197:                             ;   in Loop: Header=BB84_11 Depth=1
	s_sub_u32 s30, s55, s8
	s_subb_u32 s31, s49, s9
	v_cmp_gt_u64_e32 vcc, s[30:31], v[0:1]
                                        ; implicit-def: $vgpr41
	s_and_saveexec_b64 s[26:27], vcc
	s_cbranch_execz .LBB84_206
; %bb.198:                              ;   in Loop: Header=BB84_11 Depth=1
	v_mov_b32_e32 v6, v12
	v_mov_b32_e32 v9, v1
	s_mov_b64 s[36:37], 0
	v_mov_b32_e32 v7, v13
	v_mov_b32_e32 v8, v0
                                        ; implicit-def: $sgpr38_sgpr39
	s_branch .LBB84_201
.LBB84_199:                             ;   in Loop: Header=BB84_201 Depth=2
	s_or_b64 exec, exec, s[8:9]
	s_waitcnt lgkmcnt(0)
	s_barrier
	ds_read_u16 v10, v3 offset:3072
	s_mov_b64 s[4:5], -1
	s_waitcnt lgkmcnt(0)
	s_barrier
	v_cmp_eq_u32_sdwa s[8:9], v10, v3 src0_sel:BYTE_0 src1_sel:DWORD
	s_and_b64 vcc, exec, s[8:9]
	s_mov_b64 s[8:9], -1
	s_cbranch_vccnz .LBB84_204
.LBB84_200:                             ;   in Loop: Header=BB84_201 Depth=2
	s_and_b64 s[4:5], exec, s[4:5]
	s_or_b64 s[36:37], s[4:5], s[36:37]
	s_andn2_b64 s[4:5], s[38:39], exec
	s_and_b64 s[8:9], s[8:9], exec
	s_or_b64 s[38:39], s[4:5], s[8:9]
	s_andn2_b64 exec, exec, s[36:37]
	s_cbranch_execz .LBB84_205
.LBB84_201:                             ;   Parent Loop BB84_11 Depth=1
                                        ; =>  This Inner Loop Header: Depth=2
	v_cmp_gt_u64_e32 vcc, s[24:25], v[8:9]
	s_and_saveexec_b64 s[8:9], vcc
	s_cbranch_execz .LBB84_199
; %bb.202:                              ;   in Loop: Header=BB84_201 Depth=2
	global_load_ubyte v10, v[6:7], off
	s_waitcnt vmcnt(0)
	v_add_u32_sdwa v11, sext(v10), s47 dst_sel:DWORD dst_unused:UNUSED_PAD src0_sel:BYTE_0 src1_sel:DWORD
	v_and_b32_e32 v11, v11, v40
	v_cmp_eq_u32_e32 vcc, v11, v37
	s_and_b64 exec, exec, vcc
	s_cbranch_execz .LBB84_199
; %bb.203:                              ;   in Loop: Header=BB84_201 Depth=2
	v_lshlrev_b16_e32 v10, 8, v10
	v_or_b32_e32 v10, 1, v10
	ds_write_b16 v3, v10 offset:3072
	s_branch .LBB84_199
.LBB84_204:                             ;   in Loop: Header=BB84_201 Depth=2
	v_add_co_u32_e32 v8, vcc, s29, v8
	v_addc_co_u32_e32 v9, vcc, 0, v9, vcc
	v_mov_b32_e32 v11, s33
	v_add_co_u32_e32 v6, vcc, s52, v6
	v_addc_co_u32_e32 v7, vcc, v7, v11, vcc
	v_cmp_le_u64_e32 vcc, s[30:31], v[8:9]
	s_mov_b64 s[8:9], 0
	s_orn2_b64 s[4:5], vcc, exec
	s_branch .LBB84_200
.LBB84_205:                             ;   in Loop: Header=BB84_11 Depth=1
	s_or_b64 exec, exec, s[36:37]
	s_andn2_b64 s[4:5], s[88:89], exec
	s_and_b64 s[8:9], s[38:39], exec
	v_lshrrev_b32_sdwa v41, v39, v10 dst_sel:DWORD dst_unused:UNUSED_PAD src0_sel:DWORD src1_sel:WORD_0
	s_or_b64 s[88:89], s[4:5], s[8:9]
.LBB84_206:                             ;   in Loop: Header=BB84_11 Depth=1
	s_or_b64 exec, exec, s[26:27]
	s_mov_b64 s[80:81], 0
	s_mov_b64 s[82:83], -1
.LBB84_207:                             ;   in Loop: Header=BB84_11 Depth=1
	s_orn2_b64 s[8:9], s[88:89], exec
.LBB84_208:                             ;   in Loop: Header=BB84_11 Depth=1
	s_or_b64 exec, exec, s[84:85]
	s_mov_b64 s[26:27], 0
	s_and_saveexec_b64 s[84:85], s[8:9]
	s_cbranch_execz .LBB84_266
; %bb.209:                              ;   in Loop: Header=BB84_11 Depth=1
	v_mov_b32_e32 v6, 1
	s_xor_b64 s[4:5], s[86:87], -1
	v_mov_b32_e32 v2, 1
	v_mov_b32_e32 v7, 0
	s_mov_b64 s[30:31], 0
	s_and_saveexec_b64 s[26:27], s[4:5]
	s_cbranch_execz .LBB84_218
; %bb.210:                              ;   in Loop: Header=BB84_11 Depth=1
	v_cmp_ge_u64_e32 vcc, s[72:73], v[4:5]
	s_and_saveexec_b64 s[4:5], vcc
	s_xor_b64 s[8:9], exec, s[4:5]
	s_cbranch_execz .LBB84_215
; %bb.211:                              ;   in Loop: Header=BB84_11 Depth=1
	ds_read_b64 v[6:7], v3 offset:5120
	v_and_b32_e32 v2, s13, v37
	v_lshl_or_b32 v37, 2, s46, v2
	v_or_b32_e32 v40, s12, v40
	s_waitcnt lgkmcnt(0)
	v_cmp_ne_u64_e32 vcc, 0, v[6:7]
	s_cbranch_vccnz .LBB84_215
; %bb.212:                              ;   in Loop: Header=BB84_11 Depth=1
	s_mov_b64 s[4:5], exec
	v_readlane_b32 s16, v61, 0
	v_readlane_b32 s17, v61, 1
	s_and_b64 s[16:17], s[4:5], s[16:17]
	s_mov_b64 exec, s[16:17]
; %bb.213:                              ;   in Loop: Header=BB84_11 Depth=1
	v_mov_b32_e32 v6, s72
	v_mov_b32_e32 v7, s73
	ds_write_b64 v3, v[6:7] offset:5128
; %bb.214:                              ;   in Loop: Header=BB84_11 Depth=1
	s_or_b64 exec, exec, s[4:5]
	s_waitcnt lgkmcnt(0)
	s_barrier
.LBB84_215:                             ;   in Loop: Header=BB84_11 Depth=1
	s_or_saveexec_b64 s[8:9], s[8:9]
	v_mov_b32_e32 v2, 8
	s_xor_b64 exec, exec, s[8:9]
; %bb.216:                              ;   in Loop: Header=BB84_11 Depth=1
	v_subrev_co_u32_e32 v4, vcc, s72, v4
	v_mov_b32_e32 v2, s73
	v_subb_co_u32_e32 v5, vcc, v5, v2, vcc
	v_mov_b32_e32 v2, 0
	s_mov_b64 s[30:31], exec
; %bb.217:                              ;   in Loop: Header=BB84_11 Depth=1
	s_or_b64 exec, exec, s[8:9]
	v_mov_b32_e32 v7, v5
	s_and_b64 s[30:31], s[30:31], exec
	v_mov_b32_e32 v6, v4
.LBB84_218:                             ;   in Loop: Header=BB84_11 Depth=1
	s_or_b64 exec, exec, s[26:27]
	s_mov_b64 s[8:9], -1
                                        ; implicit-def: $sgpr86_sgpr87
                                        ; implicit-def: $sgpr90_sgpr91
	s_and_saveexec_b64 s[72:73], s[30:31]
	s_cbranch_execz .LBB84_265
; %bb.219:                              ;   in Loop: Header=BB84_11 Depth=1
	s_cmp_eq_u64 s[14:15], 1
	v_cmp_eq_u64_e32 vcc, 1, v[6:7]
	s_cselect_b64 s[4:5], -1, 0
	s_and_b64 s[16:17], s[4:5], vcc
                                        ; implicit-def: $sgpr86_sgpr87
                                        ; implicit-def: $sgpr90_sgpr91
	s_and_saveexec_b64 s[88:89], s[16:17]
	s_cbranch_execz .LBB84_253
; %bb.220:                              ;   in Loop: Header=BB84_11 Depth=1
	ds_read_b64 v[4:5], v3 offset:5120
	s_waitcnt lgkmcnt(0)
	s_barrier
	v_readfirstlane_b32 s26, v4
	v_readfirstlane_b32 s27, v5
	s_mov_b64 s[4:5], exec
	v_readlane_b32 s8, v61, 20
	v_readlane_b32 s9, v61, 21
	s_and_b64 s[8:9], s[4:5], s[8:9]
	s_mov_b64 exec, s[8:9]
; %bb.221:                              ;   in Loop: Header=BB84_11 Depth=1
	ds_write_b8 v0, v3 offset:3072
; %bb.222:                              ;   in Loop: Header=BB84_11 Depth=1
	s_or_b64 exec, exec, s[4:5]
	v_or_b32_e32 v37, s12, v37
	v_or_b32_e32 v40, s12, v40
	s_mov_b64 s[90:91], -1
	s_mov_b64 s[86:87], 0
	s_cmp_eq_u64 s[26:27], 0
	s_mov_b64 s[94:95], 0
	s_mov_b64 s[30:31], -1
	s_waitcnt lgkmcnt(0)
	s_barrier
                                        ; implicit-def: $vgpr41
	s_cbranch_scc1 .LBB84_238
; %bb.223:                              ;   in Loop: Header=BB84_11 Depth=1
	v_writelane_b32 v61, s16, 31
	v_writelane_b32 v61, s17, 32
	v_readlane_b32 s4, v61, 24
	s_add_u32 s13, s26, s4
	v_readlane_b32 s4, v61, 25
	s_addc_u32 s95, s27, s4
	s_mov_b32 s94, s43
	s_cmp_lg_u64 s[94:95], 0
	s_cbranch_scc0 .LBB84_272
; %bb.224:                              ;   in Loop: Header=BB84_11 Depth=1
	v_cvt_f32_u32_e32 v4, s29
	s_sub_u32 s8, 0, s29
	s_subb_u32 s9, 0, 0
	v_mac_f32_e32 v4, 0, v38
	v_rcp_f32_e32 v4, v4
	v_mul_f32_e32 v4, 0x5f7ffffc, v4
	v_mul_f32_e32 v5, 0x2f800000, v4
	v_trunc_f32_e32 v5, v5
	v_mac_f32_e32 v4, 0xcf800000, v5
	v_cvt_u32_f32_e32 v5, v5
	v_cvt_u32_f32_e32 v4, v4
	v_readfirstlane_b32 s16, v5
	v_readfirstlane_b32 s4, v4
	s_mul_i32 s5, s8, s16
	s_mul_hi_u32 s30, s8, s4
	s_mul_i32 s17, s9, s4
	s_add_i32 s5, s30, s5
	s_mul_i32 s31, s8, s4
	s_add_i32 s5, s5, s17
	s_mul_hi_u32 s30, s4, s31
	s_mul_i32 s36, s4, s5
	s_mul_hi_u32 s17, s4, s5
	s_add_u32 s30, s30, s36
	s_addc_u32 s17, 0, s17
	s_mul_hi_u32 s37, s16, s31
	s_mul_i32 s31, s16, s31
	s_add_u32 s30, s30, s31
	s_mul_hi_u32 s36, s16, s5
	s_addc_u32 s17, s17, s37
	s_addc_u32 s30, s36, 0
	s_mul_i32 s5, s16, s5
	s_add_u32 s5, s17, s5
	s_addc_u32 s17, 0, s30
	s_add_u32 s30, s4, s5
	s_cselect_b64 s[4:5], -1, 0
	s_cmp_lg_u64 s[4:5], 0
	s_addc_u32 s16, s16, s17
	s_mul_i32 s4, s8, s16
	s_mul_hi_u32 s5, s8, s30
	s_add_i32 s4, s5, s4
	s_mul_i32 s9, s9, s30
	s_add_i32 s4, s4, s9
	s_mul_i32 s8, s8, s30
	s_mul_hi_u32 s9, s16, s8
	s_mul_i32 s17, s16, s8
	s_mul_i32 s36, s30, s4
	s_mul_hi_u32 s8, s30, s8
	s_mul_hi_u32 s31, s30, s4
	s_add_u32 s8, s8, s36
	s_addc_u32 s31, 0, s31
	s_add_u32 s8, s8, s17
	s_mul_hi_u32 s5, s16, s4
	s_addc_u32 s8, s31, s9
	s_addc_u32 s5, s5, 0
	s_mul_i32 s4, s16, s4
	s_add_u32 s4, s8, s4
	s_addc_u32 s8, 0, s5
	s_add_u32 s9, s30, s4
	s_cselect_b64 s[4:5], -1, 0
	s_cmp_lg_u64 s[4:5], 0
	s_addc_u32 s4, s16, s8
	s_mul_i32 s8, s13, s4
	s_mul_hi_u32 s16, s13, s9
	s_mul_hi_u32 s5, s13, s4
	s_add_u32 s8, s16, s8
	s_addc_u32 s5, 0, s5
	s_mul_hi_u32 s17, s95, s9
	s_mul_i32 s9, s95, s9
	s_add_u32 s8, s8, s9
	s_mul_hi_u32 s16, s95, s4
	s_addc_u32 s5, s5, s17
	s_addc_u32 s8, s16, 0
	s_mul_i32 s4, s95, s4
	s_add_u32 s4, s5, s4
	s_addc_u32 s5, 0, s8
	s_mul_i32 s5, s29, s5
	s_mul_hi_u32 s8, s29, s4
	s_add_i32 s8, s8, s5
	s_mul_i32 s4, s29, s4
	s_sub_u32 s16, s13, s4
	s_cselect_b64 s[4:5], -1, 0
	s_cmp_lg_u64 s[4:5], 0
	s_subb_u32 s8, s95, s8
	s_sub_u32 s9, s16, s29
	s_cselect_b64 s[4:5], -1, 0
	s_cmp_lg_u64 s[4:5], 0
	s_subb_u32 s17, s8, 0
	;; [unrolled: 4-line block ×3, first 2 shown]
	s_cmp_ge_u32 s9, s29
	s_cselect_b32 s5, -1, 0
	s_cmp_eq_u32 s17, 0
	s_cselect_b32 s5, s5, -1
	s_cmp_lg_u32 s5, 0
	s_cselect_b32 s4, s4, s17
	s_cselect_b32 s5, s30, s9
	s_cmp_ge_u32 s16, s29
	s_cselect_b32 s9, -1, 0
	s_cmp_eq_u32 s8, 0
	s_cselect_b32 s9, s9, -1
	s_cmp_lg_u32 s9, 0
	s_cselect_b32 s9, s4, s8
	s_cselect_b32 s8, s5, s16
	s_cbranch_execnz .LBB84_226
.LBB84_225:                             ;   in Loop: Header=BB84_11 Depth=1
	v_cvt_f32_u32_e32 v4, s29
	s_sub_i32 s4, 0, s29
	v_rcp_iflag_f32_e32 v4, v4
	v_mul_f32_e32 v4, 0x4f7ffffe, v4
	v_cvt_u32_f32_e32 v4, v4
	v_readfirstlane_b32 s5, v4
	s_mul_i32 s4, s4, s5
	s_mul_hi_u32 s4, s5, s4
	s_add_i32 s5, s5, s4
	s_mul_hi_u32 s4, s13, s5
	s_mul_i32 s4, s4, s29
	s_sub_i32 s4, s13, s4
	s_sub_i32 s5, s4, s29
	s_cmp_ge_u32 s4, s29
	s_cselect_b32 s4, s5, s4
	s_sub_i32 s5, s4, s29
	s_cmp_ge_u32 s4, s29
	s_cselect_b32 s42, s5, s4
	s_mov_b64 s[8:9], s[42:43]
.LBB84_226:                             ;   in Loop: Header=BB84_11 Depth=1
	s_sub_u32 s38, s13, s8
	s_subb_u32 s39, s95, s9
	v_cmp_gt_u64_e32 vcc, s[38:39], v[0:1]
	s_mov_b64 s[30:31], 0
	s_mov_b64 s[94:95], 0
                                        ; implicit-def: $vgpr41
	s_and_saveexec_b64 s[36:37], vcc
	s_cbranch_execz .LBB84_237
; %bb.227:                              ;   in Loop: Header=BB84_11 Depth=1
	v_mov_b32_e32 v5, v1
	v_mov_b32_e32 v8, v0
	;; [unrolled: 1-line block ×3, first 2 shown]
                                        ; implicit-def: $sgpr8_sgpr9
	s_branch .LBB84_230
.LBB84_228:                             ;   in Loop: Header=BB84_230 Depth=2
	s_or_b64 exec, exec, s[4:5]
	s_waitcnt lgkmcnt(0)
	s_barrier
	ds_read_u16 v9, v3 offset:3072
	s_mov_b64 s[4:5], -1
	s_waitcnt lgkmcnt(0)
	s_barrier
	v_cmp_ne_u32_sdwa s[16:17], v9, v3 src0_sel:BYTE_0 src1_sel:DWORD
	s_and_b64 vcc, exec, s[16:17]
	s_mov_b64 s[16:17], -1
	s_cbranch_vccz .LBB84_233
.LBB84_229:                             ;   in Loop: Header=BB84_230 Depth=2
	s_and_b64 s[4:5], exec, s[4:5]
	s_or_b64 s[94:95], s[4:5], s[94:95]
	s_andn2_b64 s[4:5], s[8:9], exec
	s_and_b64 s[8:9], s[16:17], exec
	s_or_b64 s[8:9], s[4:5], s[8:9]
	s_andn2_b64 exec, exec, s[94:95]
	s_cbranch_execz .LBB84_236
.LBB84_230:                             ;   Parent Loop BB84_11 Depth=1
                                        ; =>  This Inner Loop Header: Depth=2
	v_cmp_gt_u64_e32 vcc, s[26:27], v[4:5]
	s_and_saveexec_b64 s[4:5], vcc
	s_cbranch_execz .LBB84_228
; %bb.231:                              ;   in Loop: Header=BB84_230 Depth=2
	ds_read_u8 v9, v8
	s_waitcnt lgkmcnt(0)
	v_add_u32_sdwa v10, sext(v9), s47 dst_sel:DWORD dst_unused:UNUSED_PAD src0_sel:BYTE_0 src1_sel:DWORD
	v_and_b32_e32 v10, v10, v40
	v_cmp_eq_u32_e32 vcc, v10, v37
	s_and_b64 exec, exec, vcc
	s_cbranch_execz .LBB84_228
; %bb.232:                              ;   in Loop: Header=BB84_230 Depth=2
	v_lshlrev_b16_e32 v9, 8, v9
	v_or_b32_e32 v9, 1, v9
	ds_write_b16 v3, v9 offset:3072
	s_branch .LBB84_228
.LBB84_233:                             ;   in Loop: Header=BB84_230 Depth=2
	v_add_co_u32_e32 v4, vcc, s29, v4
	v_addc_co_u32_e32 v5, vcc, 0, v5, vcc
	v_cmp_le_u64_e32 vcc, s[38:39], v[4:5]
	v_add_u32_e32 v8, s29, v8
	s_mov_b64 s[16:17], 0
	s_orn2_b64 s[4:5], vcc, exec
	s_branch .LBB84_229
.LBB84_234:                             ;   in Loop: Header=BB84_11 Depth=1
                                        ; implicit-def: $sgpr8_sgpr9
	s_branch .LBB84_180
.LBB84_235:                             ;   in Loop: Header=BB84_11 Depth=1
                                        ; implicit-def: $sgpr8_sgpr9
	s_branch .LBB84_196
.LBB84_236:                             ;   in Loop: Header=BB84_11 Depth=1
	s_or_b64 exec, exec, s[94:95]
	v_lshrrev_b32_sdwa v41, v39, v9 dst_sel:DWORD dst_unused:UNUSED_PAD src0_sel:DWORD src1_sel:WORD_0
	s_and_b64 s[94:95], s[8:9], exec
.LBB84_237:                             ;   in Loop: Header=BB84_11 Depth=1
	s_or_b64 exec, exec, s[36:37]
	v_readlane_b32 s16, v61, 31
	v_readlane_b32 s17, v61, 32
.LBB84_238:                             ;   in Loop: Header=BB84_11 Depth=1
	s_and_b64 vcc, exec, s[30:31]
	s_cbranch_vccz .LBB84_252
; %bb.239:                              ;   in Loop: Header=BB84_11 Depth=1
	s_mov_b32 s48, s43
	s_cmp_lg_u64 s[48:49], 0
	s_cbranch_scc0 .LBB84_273
; %bb.240:                              ;   in Loop: Header=BB84_11 Depth=1
	v_cvt_f32_u32_e32 v4, s29
	s_sub_u32 s8, 0, s29
	s_subb_u32 s9, 0, 0
	s_mov_b64 s[36:37], s[16:17]
	v_mac_f32_e32 v4, 0, v38
	v_rcp_f32_e32 v4, v4
	v_mul_f32_e32 v4, 0x5f7ffffc, v4
	v_mul_f32_e32 v5, 0x2f800000, v4
	v_trunc_f32_e32 v5, v5
	v_mac_f32_e32 v4, 0xcf800000, v5
	v_cvt_u32_f32_e32 v5, v5
	v_cvt_u32_f32_e32 v4, v4
	v_readfirstlane_b32 s13, v5
	v_readfirstlane_b32 s4, v4
	s_mul_i32 s5, s8, s13
	s_mul_hi_u32 s17, s8, s4
	s_mul_i32 s16, s9, s4
	s_add_i32 s5, s17, s5
	s_mul_i32 s26, s8, s4
	s_add_i32 s5, s5, s16
	s_mul_hi_u32 s17, s4, s26
	s_mul_i32 s27, s4, s5
	s_mul_hi_u32 s16, s4, s5
	s_add_u32 s17, s17, s27
	s_addc_u32 s16, 0, s16
	s_mul_hi_u32 s30, s13, s26
	s_mul_i32 s26, s13, s26
	s_add_u32 s17, s17, s26
	s_mul_hi_u32 s27, s13, s5
	s_addc_u32 s16, s16, s30
	s_addc_u32 s17, s27, 0
	s_mul_i32 s5, s13, s5
	s_add_u32 s5, s16, s5
	s_addc_u32 s16, 0, s17
	s_add_u32 s17, s4, s5
	s_cselect_b64 s[4:5], -1, 0
	s_cmp_lg_u64 s[4:5], 0
	s_addc_u32 s13, s13, s16
	s_mul_i32 s4, s8, s13
	s_mul_hi_u32 s5, s8, s17
	s_add_i32 s4, s5, s4
	s_mul_i32 s9, s9, s17
	s_add_i32 s4, s4, s9
	s_mul_i32 s8, s8, s17
	s_mul_hi_u32 s9, s13, s8
	s_mul_i32 s16, s13, s8
	s_mul_i32 s27, s17, s4
	s_mul_hi_u32 s8, s17, s8
	s_mul_hi_u32 s26, s17, s4
	s_add_u32 s8, s8, s27
	s_addc_u32 s26, 0, s26
	s_add_u32 s8, s8, s16
	s_mul_hi_u32 s5, s13, s4
	s_addc_u32 s8, s26, s9
	s_addc_u32 s5, s5, 0
	s_mul_i32 s4, s13, s4
	s_add_u32 s4, s8, s4
	s_addc_u32 s8, 0, s5
	s_add_u32 s9, s17, s4
	s_cselect_b64 s[4:5], -1, 0
	s_cmp_lg_u64 s[4:5], 0
	s_addc_u32 s4, s13, s8
	s_mul_i32 s8, s55, s4
	s_mul_hi_u32 s13, s55, s9
	s_mul_hi_u32 s5, s55, s4
	s_add_u32 s8, s13, s8
	s_addc_u32 s5, 0, s5
	s_mul_hi_u32 s16, s49, s9
	s_mul_i32 s9, s49, s9
	s_add_u32 s8, s8, s9
	s_mul_hi_u32 s13, s49, s4
	s_addc_u32 s5, s5, s16
	s_addc_u32 s8, s13, 0
	s_mul_i32 s4, s49, s4
	s_add_u32 s4, s5, s4
	s_addc_u32 s5, 0, s8
	s_mul_i32 s5, s29, s5
	s_mul_hi_u32 s8, s29, s4
	s_add_i32 s8, s8, s5
	s_mul_i32 s4, s29, s4
	s_sub_u32 s13, s55, s4
	s_cselect_b64 s[4:5], -1, 0
	s_cmp_lg_u64 s[4:5], 0
	s_subb_u32 s8, s49, s8
	s_sub_u32 s9, s13, s29
	s_cselect_b64 s[4:5], -1, 0
	s_cmp_lg_u64 s[4:5], 0
	s_subb_u32 s16, s8, 0
	;; [unrolled: 4-line block ×3, first 2 shown]
	s_cmp_ge_u32 s9, s29
	s_cselect_b32 s5, -1, 0
	s_cmp_eq_u32 s16, 0
	s_cselect_b32 s5, s5, -1
	s_cmp_lg_u32 s5, 0
	s_cselect_b32 s4, s4, s16
	s_cselect_b32 s5, s17, s9
	s_cmp_ge_u32 s13, s29
	s_cselect_b32 s9, -1, 0
	s_cmp_eq_u32 s8, 0
	s_cselect_b32 s9, s9, -1
	s_cmp_lg_u32 s9, 0
	s_mov_b64 s[16:17], s[36:37]
	s_cselect_b32 s9, s4, s8
	s_cselect_b32 s8, s5, s13
	s_cbranch_execnz .LBB84_242
.LBB84_241:                             ;   in Loop: Header=BB84_11 Depth=1
	v_cvt_f32_u32_e32 v4, s29
	s_sub_i32 s4, 0, s29
	v_rcp_iflag_f32_e32 v4, v4
	v_mul_f32_e32 v4, 0x4f7ffffe, v4
	v_cvt_u32_f32_e32 v4, v4
	v_readfirstlane_b32 s5, v4
	s_mul_i32 s4, s4, s5
	s_mul_hi_u32 s4, s5, s4
	s_add_i32 s5, s5, s4
	s_mul_hi_u32 s4, s55, s5
	s_mul_i32 s4, s4, s29
	s_sub_i32 s4, s55, s4
	s_sub_i32 s5, s4, s29
	s_cmp_ge_u32 s4, s29
	s_cselect_b32 s4, s5, s4
	s_sub_i32 s5, s4, s29
	s_cmp_ge_u32 s4, s29
	s_cselect_b32 s42, s5, s4
	s_mov_b64 s[8:9], s[42:43]
.LBB84_242:                             ;   in Loop: Header=BB84_11 Depth=1
	s_sub_u32 s30, s55, s8
	s_subb_u32 s31, s49, s9
	v_cmp_gt_u64_e32 vcc, s[30:31], v[0:1]
                                        ; implicit-def: $vgpr41
	s_and_saveexec_b64 s[26:27], vcc
	s_cbranch_execz .LBB84_251
; %bb.243:                              ;   in Loop: Header=BB84_11 Depth=1
	v_mov_b32_e32 v4, v12
	v_mov_b32_e32 v9, v1
	s_mov_b64 s[36:37], 0
	v_mov_b32_e32 v5, v13
	v_mov_b32_e32 v8, v0
                                        ; implicit-def: $sgpr38_sgpr39
	s_branch .LBB84_246
.LBB84_244:                             ;   in Loop: Header=BB84_246 Depth=2
	s_or_b64 exec, exec, s[4:5]
	s_waitcnt lgkmcnt(0)
	s_barrier
	ds_read_u16 v10, v3 offset:3072
	s_mov_b64 s[4:5], -1
	s_waitcnt lgkmcnt(0)
	s_barrier
	v_cmp_eq_u32_sdwa s[8:9], v10, v3 src0_sel:BYTE_0 src1_sel:DWORD
	s_and_b64 vcc, exec, s[8:9]
	s_mov_b64 s[8:9], -1
	s_cbranch_vccnz .LBB84_249
.LBB84_245:                             ;   in Loop: Header=BB84_246 Depth=2
	s_and_b64 s[4:5], exec, s[4:5]
	s_or_b64 s[36:37], s[4:5], s[36:37]
	s_andn2_b64 s[4:5], s[38:39], exec
	s_and_b64 s[8:9], s[8:9], exec
	s_or_b64 s[38:39], s[4:5], s[8:9]
	s_andn2_b64 exec, exec, s[36:37]
	s_cbranch_execz .LBB84_250
.LBB84_246:                             ;   Parent Loop BB84_11 Depth=1
                                        ; =>  This Inner Loop Header: Depth=2
	v_cmp_gt_u64_e32 vcc, s[24:25], v[8:9]
	s_and_saveexec_b64 s[4:5], vcc
	s_cbranch_execz .LBB84_244
; %bb.247:                              ;   in Loop: Header=BB84_246 Depth=2
	global_load_ubyte v10, v[4:5], off
	s_waitcnt vmcnt(0)
	v_add_u32_sdwa v11, sext(v10), s47 dst_sel:DWORD dst_unused:UNUSED_PAD src0_sel:BYTE_0 src1_sel:DWORD
	v_and_b32_e32 v11, v11, v40
	v_cmp_eq_u32_e32 vcc, v11, v37
	s_and_b64 exec, exec, vcc
	s_cbranch_execz .LBB84_244
; %bb.248:                              ;   in Loop: Header=BB84_246 Depth=2
	v_lshlrev_b16_e32 v10, 8, v10
	v_or_b32_e32 v10, 1, v10
	ds_write_b16 v3, v10 offset:3072
	s_branch .LBB84_244
.LBB84_249:                             ;   in Loop: Header=BB84_246 Depth=2
	v_add_co_u32_e32 v8, vcc, s29, v8
	v_addc_co_u32_e32 v9, vcc, 0, v9, vcc
	v_mov_b32_e32 v11, s33
	v_add_co_u32_e32 v4, vcc, s52, v4
	v_addc_co_u32_e32 v5, vcc, v5, v11, vcc
	v_cmp_le_u64_e32 vcc, s[30:31], v[8:9]
	s_mov_b64 s[8:9], 0
	s_orn2_b64 s[4:5], vcc, exec
	s_branch .LBB84_245
.LBB84_250:                             ;   in Loop: Header=BB84_11 Depth=1
	s_or_b64 exec, exec, s[36:37]
	s_andn2_b64 s[4:5], s[94:95], exec
	s_and_b64 s[8:9], s[38:39], exec
	v_lshrrev_b32_sdwa v41, v39, v10 dst_sel:DWORD dst_unused:UNUSED_PAD src0_sel:DWORD src1_sel:WORD_0
	s_or_b64 s[94:95], s[4:5], s[8:9]
.LBB84_251:                             ;   in Loop: Header=BB84_11 Depth=1
	s_or_b64 exec, exec, s[26:27]
	s_mov_b64 s[90:91], 0
	s_mov_b64 s[86:87], -1
.LBB84_252:                             ;   in Loop: Header=BB84_11 Depth=1
	s_orn2_b64 s[8:9], s[94:95], exec
.LBB84_253:                             ;   in Loop: Header=BB84_11 Depth=1
	s_or_b64 exec, exec, s[88:89]
	s_mov_b64 s[30:31], 0
	s_and_saveexec_b64 s[26:27], s[8:9]
	s_cbranch_execz .LBB84_264
; %bb.254:                              ;   in Loop: Header=BB84_11 Depth=1
	v_mov_b32_e32 v4, 1
	s_xor_b64 s[4:5], s[16:17], -1
	v_mov_b32_e32 v5, 0
	v_mov_b32_e32 v2, 1
	s_and_saveexec_b64 s[30:31], s[4:5]
	s_cbranch_execz .LBB84_263
; %bb.255:                              ;   in Loop: Header=BB84_11 Depth=1
	v_cmp_ge_u64_e32 vcc, s[14:15], v[6:7]
	s_and_saveexec_b64 s[4:5], vcc
	s_xor_b64 s[8:9], exec, s[4:5]
	s_cbranch_execz .LBB84_260
; %bb.256:                              ;   in Loop: Header=BB84_11 Depth=1
	ds_read_b64 v[4:5], v3 offset:5120
	v_or_b32_e32 v37, s12, v37
	v_or_b32_e32 v40, s12, v40
	s_waitcnt lgkmcnt(0)
	v_cmp_ne_u64_e32 vcc, 0, v[4:5]
	s_cbranch_vccnz .LBB84_260
; %bb.257:                              ;   in Loop: Header=BB84_11 Depth=1
	s_mov_b64 s[4:5], exec
	v_readlane_b32 s12, v61, 0
	v_readlane_b32 s13, v61, 1
	s_and_b64 s[12:13], s[4:5], s[12:13]
	s_mov_b64 exec, s[12:13]
; %bb.258:                              ;   in Loop: Header=BB84_11 Depth=1
	v_mov_b32_e32 v4, s14
	v_mov_b32_e32 v5, s15
	ds_write_b64 v3, v[4:5] offset:5128
; %bb.259:                              ;   in Loop: Header=BB84_11 Depth=1
	s_or_b64 exec, exec, s[4:5]
	s_waitcnt lgkmcnt(0)
	s_barrier
.LBB84_260:                             ;   in Loop: Header=BB84_11 Depth=1
	s_andn2_saveexec_b64 s[8:9], s[8:9]
; %bb.261:                              ;   in Loop: Header=BB84_11 Depth=1
	v_mov_b32_e32 v2, s15
	v_subrev_co_u32_e32 v6, vcc, s14, v6
	v_subb_co_u32_e32 v7, vcc, v7, v2, vcc
; %bb.262:                              ;   in Loop: Header=BB84_11 Depth=1
	s_or_b64 exec, exec, s[8:9]
	v_mov_b32_e32 v4, v6
	v_mov_b32_e32 v2, 8
	;; [unrolled: 1-line block ×3, first 2 shown]
.LBB84_263:                             ;   in Loop: Header=BB84_11 Depth=1
	s_or_b64 exec, exec, s[30:31]
	v_mov_b32_e32 v7, v5
	s_mov_b64 s[30:31], exec
	v_mov_b32_e32 v6, v4
.LBB84_264:                             ;   in Loop: Header=BB84_11 Depth=1
	s_or_b64 exec, exec, s[26:27]
	s_orn2_b64 s[8:9], s[30:31], exec
.LBB84_265:                             ;   in Loop: Header=BB84_11 Depth=1
	s_or_b64 exec, exec, s[72:73]
	s_andn2_b64 s[4:5], s[82:83], exec
	s_and_b64 s[12:13], s[86:87], exec
	s_or_b64 s[82:83], s[4:5], s[12:13]
	s_andn2_b64 s[4:5], s[80:81], exec
	s_and_b64 s[12:13], s[90:91], exec
	v_mov_b32_e32 v4, v6
	s_or_b64 s[80:81], s[4:5], s[12:13]
	s_and_b64 s[26:27], s[8:9], exec
	v_mov_b32_e32 v5, v7
.LBB84_266:                             ;   in Loop: Header=BB84_11 Depth=1
	s_or_b64 exec, exec, s[84:85]
	s_orn2_b64 s[8:9], s[26:27], exec
.LBB84_267:                             ;   in Loop: Header=BB84_11 Depth=1
	s_or_b64 exec, exec, s[78:79]
	s_andn2_b64 s[4:5], s[74:75], exec
	s_and_b64 s[12:13], s[82:83], exec
	s_or_b64 s[74:75], s[4:5], s[12:13]
	s_andn2_b64 s[4:5], s[6:7], exec
	s_and_b64 s[6:7], s[80:81], exec
	v_mov_b32_e32 v9, v5
	s_or_b64 s[6:7], s[4:5], s[6:7]
	s_and_b64 s[26:27], s[8:9], exec
	v_mov_b32_e32 v8, v4
.LBB84_268:                             ;   in Loop: Header=BB84_11 Depth=1
	s_or_b64 exec, exec, s[76:77]
	s_orn2_b64 s[8:9], s[26:27], exec
.LBB84_269:                             ;   in Loop: Header=BB84_11 Depth=1
	s_or_b64 exec, exec, s[22:23]
	s_mov_b64 s[14:15], 0
	s_and_saveexec_b64 s[4:5], s[8:9]
	s_xor_b64 s[8:9], exec, s[4:5]
	s_cbranch_execz .LBB84_9
; %bb.270:                              ;   in Loop: Header=BB84_11 Depth=1
	v_and_b32_e32 v2, 7, v2
	v_cmp_eq_u32_e32 vcc, 0, v2
	s_mov_b64 s[20:21], -1
	s_mov_b64 s[14:15], -1
	s_and_saveexec_b64 s[4:5], vcc
	s_cbranch_execz .LBB84_8
; %bb.271:                              ;   in Loop: Header=BB84_11 Depth=1
	s_xor_b32 s93, s93, 1
	s_add_i32 s16, s46, -2
	s_cmp_eq_u32 s46, 0
	s_cselect_b64 s[12:13], -1, 0
	s_xor_b64 s[14:15], exec, -1
	s_orn2_b64 s[20:21], s[12:13], exec
	s_mov_b32 s46, s16
	s_branch .LBB84_8
.LBB84_272:                             ;   in Loop: Header=BB84_11 Depth=1
                                        ; implicit-def: $sgpr8_sgpr9
	s_branch .LBB84_225
.LBB84_273:                             ;   in Loop: Header=BB84_11 Depth=1
                                        ; implicit-def: $sgpr8_sgpr9
	s_branch .LBB84_241
.LBB84_274:
	s_or_b64 exec, exec, s[58:59]
	s_xor_b64 s[6:7], s[64:65], -1
	s_xor_b64 s[0:1], s[60:61], -1
	;; [unrolled: 1-line block ×3, first 2 shown]
	s_mov_b64 s[2:3], 0
	s_and_saveexec_b64 s[8:9], s[0:1]
	s_xor_b64 s[0:1], exec, s[8:9]
	s_cbranch_execnz .LBB84_279
; %bb.275:
	s_andn2_saveexec_b64 s[0:1], s[0:1]
	s_cbranch_execnz .LBB84_292
.LBB84_276:
	s_or_b64 exec, exec, s[0:1]
	s_and_saveexec_b64 s[0:1], s[2:3]
.LBB84_277:
	; divergent unreachable
.LBB84_278:
	s_endpgm
.LBB84_279:
	s_and_saveexec_b64 s[2:3], s[6:7]
	s_xor_b64 s[2:3], exec, s[2:3]
	s_cbranch_execz .LBB84_290
; %bb.280:
	s_and_saveexec_b64 s[6:7], s[4:5]
	s_xor_b64 s[4:5], exec, s[6:7]
; %bb.281:
	v_xor_b32_e32 v41, 0xffffff80, v37
; %bb.282:
	s_or_b64 exec, exec, s[4:5]
	v_readlane_b32 s6, v61, 6
	v_readlane_b32 s18, v61, 10
	;; [unrolled: 1-line block ×3, first 2 shown]
	s_mul_i32 s4, s7, s18
	s_mul_hi_u32 s5, s6, s18
	s_add_i32 s5, s5, s4
	s_mul_i32 s4, s6, s18
	v_readlane_b32 s6, v61, 8
	v_readlane_b32 s7, v61, 9
	s_add_u32 s4, s6, s4
	s_addc_u32 s5, s7, s5
	v_mov_b32_e32 v2, 0
	v_readlane_b32 s19, v61, 11
	global_store_byte v2, v41, s[4:5]
	s_mov_b64 s[4:5], exec
	v_readlane_b32 s6, v61, 18
	v_readlane_b32 s7, v61, 19
	s_and_b64 s[6:7], s[4:5], s[6:7]
	s_mov_b64 exec, s[6:7]
	s_cbranch_execz .LBB84_289
; %bb.283:
	s_mov_b64 s[6:7], 0
                                        ; implicit-def: $sgpr8_sgpr9
                                        ; implicit-def: $sgpr12_sgpr13
                                        ; implicit-def: $sgpr10_sgpr11
	s_branch .LBB84_285
.LBB84_284:                             ;   in Loop: Header=BB84_285 Depth=1
	s_or_b64 exec, exec, s[14:15]
	s_and_b64 s[14:15], exec, s[12:13]
	s_or_b64 s[6:7], s[14:15], s[6:7]
	s_andn2_b64 s[8:9], s[8:9], exec
	s_and_b64 s[14:15], s[10:11], exec
	s_or_b64 s[8:9], s[8:9], s[14:15]
	s_andn2_b64 exec, exec, s[6:7]
	s_cbranch_execz .LBB84_287
.LBB84_285:                             ; =>This Inner Loop Header: Depth=1
	global_load_ubyte v4, v[12:13], off
	v_mov_b32_e32 v3, v1
	v_mov_b32_e32 v2, v0
	s_or_b64 s[10:11], s[10:11], exec
	s_or_b64 s[12:13], s[12:13], exec
                                        ; implicit-def: $vgpr0_vgpr1
	s_waitcnt vmcnt(0)
	v_cmp_ne_u16_sdwa s[16:17], v4, v41 src0_sel:DWORD src1_sel:BYTE_0
	s_and_saveexec_b64 s[14:15], s[16:17]
	s_cbranch_execz .LBB84_284
; %bb.286:                              ;   in Loop: Header=BB84_285 Depth=1
	v_add_co_u32_e32 v0, vcc, s29, v2
	v_addc_co_u32_e32 v1, vcc, 0, v3, vcc
	v_mov_b32_e32 v4, s33
	v_add_co_u32_e32 v12, vcc, s52, v12
	v_addc_co_u32_e32 v13, vcc, v13, v4, vcc
	v_cmp_le_u64_e32 vcc, s[24:25], v[0:1]
	s_andn2_b64 s[12:13], s[12:13], exec
	s_and_b64 s[16:17], vcc, exec
	s_andn2_b64 s[10:11], s[10:11], exec
	s_or_b64 s[12:13], s[12:13], s[16:17]
	s_branch .LBB84_284
.LBB84_287:
	s_or_b64 exec, exec, s[6:7]
	s_and_saveexec_b64 s[6:7], s[8:9]
	s_xor_b64 s[6:7], exec, s[6:7]
	s_cbranch_execz .LBB84_289
; %bb.288:
	v_readlane_b32 s8, v61, 2
	v_readlane_b32 s9, v61, 3
	s_mul_i32 s6, s9, s18
	s_mul_hi_u32 s7, s8, s18
	s_add_i32 s7, s7, s6
	s_mul_i32 s6, s8, s18
	s_lshl_b64 s[6:7], s[6:7], 3
	v_readlane_b32 s8, v61, 4
	v_readlane_b32 s9, v61, 5
	s_add_u32 s6, s8, s6
	s_addc_u32 s7, s9, s7
	v_mov_b32_e32 v0, 0
	global_store_dwordx2 v0, v[2:3], s[6:7]
.LBB84_289:
	s_or_b64 exec, exec, s[4:5]
.LBB84_290:
	s_or_saveexec_b64 s[2:3], s[2:3]
	s_mov_b64 s[4:5], 0
	s_xor_b64 exec, exec, s[2:3]
	s_cbranch_execnz .LBB84_293
.LBB84_291:
	s_or_b64 exec, exec, s[2:3]
	s_and_b64 s[2:3], s[4:5], exec
	s_andn2_saveexec_b64 s[0:1], s[0:1]
	s_cbranch_execz .LBB84_276
.LBB84_292:
	s_or_b64 s[2:3], s[2:3], exec
	s_trap 2
	s_or_b64 exec, exec, s[0:1]
	s_and_saveexec_b64 s[0:1], s[2:3]
	s_cbranch_execnz .LBB84_277
	s_branch .LBB84_278
.LBB84_293:
	s_mov_b64 s[4:5], exec
	s_trap 2
	s_branch .LBB84_291
	.section	.rodata,"a",@progbits
	.p2align	6, 0x0
	.amdhsa_kernel _ZN2at6native12_GLOBAL__N_112gatherMedianIamLi1EEEvNS_4cuda6detail10TensorInfoIT_T0_EENS5_IlS7_EENS5_IKS6_S7_EES7_S7_S7_b
		.amdhsa_group_segment_fixed_size 5152
		.amdhsa_private_segment_fixed_size 0
		.amdhsa_kernarg_size 1536
		.amdhsa_user_sgpr_count 6
		.amdhsa_user_sgpr_private_segment_buffer 1
		.amdhsa_user_sgpr_dispatch_ptr 0
		.amdhsa_user_sgpr_queue_ptr 0
		.amdhsa_user_sgpr_kernarg_segment_ptr 1
		.amdhsa_user_sgpr_dispatch_id 0
		.amdhsa_user_sgpr_flat_scratch_init 0
		.amdhsa_user_sgpr_private_segment_size 0
		.amdhsa_uses_dynamic_stack 0
		.amdhsa_system_sgpr_private_segment_wavefront_offset 0
		.amdhsa_system_sgpr_workgroup_id_x 1
		.amdhsa_system_sgpr_workgroup_id_y 1
		.amdhsa_system_sgpr_workgroup_id_z 1
		.amdhsa_system_sgpr_workgroup_info 0
		.amdhsa_system_vgpr_workitem_id 0
		.amdhsa_next_free_vgpr 62
		.amdhsa_next_free_sgpr 96
		.amdhsa_reserve_vcc 1
		.amdhsa_reserve_flat_scratch 0
		.amdhsa_float_round_mode_32 0
		.amdhsa_float_round_mode_16_64 0
		.amdhsa_float_denorm_mode_32 3
		.amdhsa_float_denorm_mode_16_64 3
		.amdhsa_dx10_clamp 1
		.amdhsa_ieee_mode 1
		.amdhsa_fp16_overflow 0
		.amdhsa_exception_fp_ieee_invalid_op 0
		.amdhsa_exception_fp_denorm_src 0
		.amdhsa_exception_fp_ieee_div_zero 0
		.amdhsa_exception_fp_ieee_overflow 0
		.amdhsa_exception_fp_ieee_underflow 0
		.amdhsa_exception_fp_ieee_inexact 0
		.amdhsa_exception_int_div_zero 0
	.end_amdhsa_kernel
	.section	.text._ZN2at6native12_GLOBAL__N_112gatherMedianIamLi1EEEvNS_4cuda6detail10TensorInfoIT_T0_EENS5_IlS7_EENS5_IKS6_S7_EES7_S7_S7_b,"axG",@progbits,_ZN2at6native12_GLOBAL__N_112gatherMedianIamLi1EEEvNS_4cuda6detail10TensorInfoIT_T0_EENS5_IlS7_EENS5_IKS6_S7_EES7_S7_S7_b,comdat
.Lfunc_end84:
	.size	_ZN2at6native12_GLOBAL__N_112gatherMedianIamLi1EEEvNS_4cuda6detail10TensorInfoIT_T0_EENS5_IlS7_EENS5_IKS6_S7_EES7_S7_S7_b, .Lfunc_end84-_ZN2at6native12_GLOBAL__N_112gatherMedianIamLi1EEEvNS_4cuda6detail10TensorInfoIT_T0_EENS5_IlS7_EENS5_IKS6_S7_EES7_S7_S7_b
                                        ; -- End function
	.set _ZN2at6native12_GLOBAL__N_112gatherMedianIamLi1EEEvNS_4cuda6detail10TensorInfoIT_T0_EENS5_IlS7_EENS5_IKS6_S7_EES7_S7_S7_b.num_vgpr, 62
	.set _ZN2at6native12_GLOBAL__N_112gatherMedianIamLi1EEEvNS_4cuda6detail10TensorInfoIT_T0_EENS5_IlS7_EENS5_IKS6_S7_EES7_S7_S7_b.num_agpr, 0
	.set _ZN2at6native12_GLOBAL__N_112gatherMedianIamLi1EEEvNS_4cuda6detail10TensorInfoIT_T0_EENS5_IlS7_EENS5_IKS6_S7_EES7_S7_S7_b.numbered_sgpr, 96
	.set _ZN2at6native12_GLOBAL__N_112gatherMedianIamLi1EEEvNS_4cuda6detail10TensorInfoIT_T0_EENS5_IlS7_EENS5_IKS6_S7_EES7_S7_S7_b.num_named_barrier, 0
	.set _ZN2at6native12_GLOBAL__N_112gatherMedianIamLi1EEEvNS_4cuda6detail10TensorInfoIT_T0_EENS5_IlS7_EENS5_IKS6_S7_EES7_S7_S7_b.private_seg_size, 0
	.set _ZN2at6native12_GLOBAL__N_112gatherMedianIamLi1EEEvNS_4cuda6detail10TensorInfoIT_T0_EENS5_IlS7_EENS5_IKS6_S7_EES7_S7_S7_b.uses_vcc, 1
	.set _ZN2at6native12_GLOBAL__N_112gatherMedianIamLi1EEEvNS_4cuda6detail10TensorInfoIT_T0_EENS5_IlS7_EENS5_IKS6_S7_EES7_S7_S7_b.uses_flat_scratch, 0
	.set _ZN2at6native12_GLOBAL__N_112gatherMedianIamLi1EEEvNS_4cuda6detail10TensorInfoIT_T0_EENS5_IlS7_EENS5_IKS6_S7_EES7_S7_S7_b.has_dyn_sized_stack, 0
	.set _ZN2at6native12_GLOBAL__N_112gatherMedianIamLi1EEEvNS_4cuda6detail10TensorInfoIT_T0_EENS5_IlS7_EENS5_IKS6_S7_EES7_S7_S7_b.has_recursion, 0
	.set _ZN2at6native12_GLOBAL__N_112gatherMedianIamLi1EEEvNS_4cuda6detail10TensorInfoIT_T0_EENS5_IlS7_EENS5_IKS6_S7_EES7_S7_S7_b.has_indirect_call, 0
	.section	.AMDGPU.csdata,"",@progbits
; Kernel info:
; codeLenInByte = 15100
; TotalNumSgprs: 100
; NumVgprs: 62
; ScratchSize: 0
; MemoryBound: 0
; FloatMode: 240
; IeeeMode: 1
; LDSByteSize: 5152 bytes/workgroup (compile time only)
; SGPRBlocks: 12
; VGPRBlocks: 15
; NumSGPRsForWavesPerEU: 100
; NumVGPRsForWavesPerEU: 62
; Occupancy: 4
; WaveLimiterHint : 1
; COMPUTE_PGM_RSRC2:SCRATCH_EN: 0
; COMPUTE_PGM_RSRC2:USER_SGPR: 6
; COMPUTE_PGM_RSRC2:TRAP_HANDLER: 0
; COMPUTE_PGM_RSRC2:TGID_X_EN: 1
; COMPUTE_PGM_RSRC2:TGID_Y_EN: 1
; COMPUTE_PGM_RSRC2:TGID_Z_EN: 1
; COMPUTE_PGM_RSRC2:TIDIG_COMP_CNT: 0
	.section	.text._ZN2at6native12_GLOBAL__N_112gatherMedianIamLi2EEEvNS_4cuda6detail10TensorInfoIT_T0_EENS5_IlS7_EENS5_IKS6_S7_EES7_S7_S7_b,"axG",@progbits,_ZN2at6native12_GLOBAL__N_112gatherMedianIamLi2EEEvNS_4cuda6detail10TensorInfoIT_T0_EENS5_IlS7_EENS5_IKS6_S7_EES7_S7_S7_b,comdat
	.globl	_ZN2at6native12_GLOBAL__N_112gatherMedianIamLi2EEEvNS_4cuda6detail10TensorInfoIT_T0_EENS5_IlS7_EENS5_IKS6_S7_EES7_S7_S7_b ; -- Begin function _ZN2at6native12_GLOBAL__N_112gatherMedianIamLi2EEEvNS_4cuda6detail10TensorInfoIT_T0_EENS5_IlS7_EENS5_IKS6_S7_EES7_S7_S7_b
	.p2align	8
	.type	_ZN2at6native12_GLOBAL__N_112gatherMedianIamLi2EEEvNS_4cuda6detail10TensorInfoIT_T0_EENS5_IlS7_EENS5_IKS6_S7_EES7_S7_S7_b,@function
_ZN2at6native12_GLOBAL__N_112gatherMedianIamLi2EEEvNS_4cuda6detail10TensorInfoIT_T0_EENS5_IlS7_EENS5_IKS6_S7_EES7_S7_S7_b: ; @_ZN2at6native12_GLOBAL__N_112gatherMedianIamLi2EEEvNS_4cuda6detail10TensorInfoIT_T0_EENS5_IlS7_EENS5_IKS6_S7_EES7_S7_S7_b
; %bb.0:
	s_load_dwordx2 s[12:13], s[4:5], 0x500
	s_load_dwordx4 s[24:27], s[4:5], 0x4e0
	s_add_u32 s14, s4, 0x500
	s_addc_u32 s15, s5, 0
	s_mov_b32 s23, 0
	s_waitcnt lgkmcnt(0)
	s_mul_i32 s0, s13, s8
	s_add_i32 s0, s0, s7
	s_mul_i32 s0, s0, s12
	s_add_i32 s22, s0, s6
	v_mov_b32_e32 v1, s22
	v_mov_b32_e32 v2, s23
	v_cmp_le_u64_e32 vcc, s[26:27], v[1:2]
	s_cbranch_vccnz .LBB85_284
; %bb.1:
	s_load_dwordx2 s[10:11], s[4:5], 0x10
	s_load_dwordx2 s[2:3], s[4:5], 0x350
	;; [unrolled: 1-line block ×3, first 2 shown]
                                        ; implicit-def: $vgpr55 : SGPR spill to VGPR lane
	s_waitcnt lgkmcnt(0)
	v_mov_b32_e32 v1, s10
	v_mov_b32_e32 v2, s11
	v_writelane_b32 v55, s0, 0
	v_writelane_b32 v55, s1, 1
	v_cmp_lt_u64_e32 vcc, s[22:23], v[1:2]
	s_mov_b64 s[0:1], 0
	v_writelane_b32 v55, s0, 2
	v_writelane_b32 v55, s1, 3
	s_mov_b64 s[0:1], 0
	s_cbranch_vccnz .LBB85_3
; %bb.2:
	v_cvt_f32_u32_e32 v1, s10
	s_sub_i32 s0, 0, s10
	v_rcp_iflag_f32_e32 v1, v1
	v_mul_f32_e32 v1, 0x4f7ffffe, v1
	v_cvt_u32_f32_e32 v1, v1
	v_readfirstlane_b32 s1, v1
	s_mul_i32 s0, s0, s1
	s_mul_hi_u32 s0, s1, s0
	s_add_i32 s1, s1, s0
	s_mul_hi_u32 s0, s22, s1
	s_mul_i32 s7, s0, s10
	s_sub_i32 s7, s22, s7
	s_add_i32 s1, s0, 1
	s_sub_i32 s8, s7, s10
	s_cmp_ge_u32 s7, s10
	s_cselect_b32 s0, s1, s0
	s_cselect_b32 s7, s8, s7
	s_add_i32 s1, s0, 1
	s_cmp_ge_u32 s7, s10
	s_cselect_b32 s0, s1, s0
.LBB85_3:
	v_writelane_b32 v55, s0, 4
	v_writelane_b32 v55, s1, 5
	s_load_dwordx2 s[40:41], s[4:5], 0x4f0
	s_load_dwordx2 s[0:1], s[4:5], 0x1b0
	v_writelane_b32 v55, s10, 6
	v_writelane_b32 v55, s11, 7
	s_waitcnt lgkmcnt(0)
	v_mov_b32_e32 v2, s1
	v_mov_b32_e32 v1, s0
	v_cmp_lt_u64_e32 vcc, s[22:23], v[1:2]
	s_cbranch_vccnz .LBB85_5
; %bb.4:
	s_load_dwordx2 s[10:11], s[4:5], 0x1b0
	s_waitcnt lgkmcnt(0)
	v_cvt_f32_u32_e32 v1, s10
	s_sub_i32 s0, 0, s10
	v_rcp_iflag_f32_e32 v1, v1
	v_mul_f32_e32 v1, 0x4f7ffffe, v1
	v_cvt_u32_f32_e32 v1, v1
	v_readfirstlane_b32 s1, v1
	s_mul_i32 s0, s0, s1
	s_mul_hi_u32 s0, s1, s0
	s_add_i32 s1, s1, s0
	s_mul_hi_u32 s0, s22, s1
	s_mul_i32 s7, s0, s10
	s_sub_i32 s7, s22, s7
	s_add_i32 s1, s0, 1
	s_sub_i32 s8, s7, s10
	s_cmp_ge_u32 s7, s10
	s_cselect_b32 s0, s1, s0
	s_cselect_b32 s7, s8, s7
	s_add_i32 s1, s0, 1
	s_cmp_ge_u32 s7, s10
	s_cselect_b32 s0, s1, s0
	v_writelane_b32 v55, s0, 2
	v_writelane_b32 v55, s1, 3
.LBB85_5:
	v_mov_b32_e32 v1, s2
	v_mov_b32_e32 v2, s3
	v_cmp_lt_u64_e32 vcc, s[22:23], v[1:2]
	s_mov_b64 s[16:17], 0
	s_cbranch_vccnz .LBB85_7
; %bb.6:
	v_cvt_f32_u32_e32 v1, s2
	s_sub_i32 s0, 0, s2
	v_rcp_iflag_f32_e32 v1, v1
	v_mul_f32_e32 v1, 0x4f7ffffe, v1
	v_cvt_u32_f32_e32 v1, v1
	v_readfirstlane_b32 s1, v1
	s_mul_i32 s0, s0, s1
	s_mul_hi_u32 s0, s1, s0
	s_add_i32 s1, s1, s0
	s_mul_hi_u32 s0, s22, s1
	s_mul_i32 s7, s0, s2
	s_sub_i32 s7, s22, s7
	s_add_i32 s1, s0, 1
	s_sub_i32 s8, s7, s2
	s_cmp_ge_u32 s7, s2
	s_cselect_b32 s0, s1, s0
	s_cselect_b32 s7, s8, s7
	s_add_i32 s1, s0, 1
	s_cmp_ge_u32 s7, s2
	s_cselect_b32 s16, s1, s0
.LBB85_7:
	v_cmp_eq_u32_e64 s[0:1], 0, v0
	s_mov_b64 s[8:9], exec
	v_writelane_b32 v55, s0, 8
	v_writelane_b32 v55, s1, 9
	s_and_b64 s[0:1], s[8:9], s[0:1]
	s_mov_b64 exec, s[0:1]
; %bb.8:
	v_mov_b32_e32 v1, 0
	v_mov_b32_e32 v2, v1
	ds_write_b64 v1, v[1:2] offset:5136
; %bb.9:
	s_or_b64 exec, exec, s[8:9]
	v_mov_b32_e32 v1, 0
	s_load_dword s0, s[4:5], 0x4f8
	s_load_dwordx2 s[18:19], s[4:5], 0x340
	s_waitcnt lgkmcnt(0)
	s_barrier
	s_barrier
	ds_read_b64 v[1:2], v1 offset:5136
	s_bitcmp1_b32 s0, 0
	s_cselect_b64 s[0:1], -1, 0
	v_mov_b32_e32 v19, s24
	v_mov_b32_e32 v20, s25
	s_waitcnt lgkmcnt(0)
	v_cmp_gt_i64_e32 vcc, 1, v[1:2]
	s_or_b64 s[0:1], s[0:1], vcc
	s_andn2_b64 vcc, exec, s[0:1]
	s_cbranch_vccnz .LBB85_11
; %bb.10:
	v_not_b32_e32 v1, v1
	v_not_b32_e32 v2, v2
	v_mov_b32_e32 v3, s25
	v_add_co_u32_e32 v1, vcc, s24, v1
	v_addc_co_u32_e32 v2, vcc, v3, v2, vcc
	v_lshrrev_b64 v[1:2], 1, v[1:2]
	v_add_co_u32_e32 v19, vcc, 1, v1
	v_addc_co_u32_e32 v20, vcc, 0, v2, vcc
.LBB85_11:
	s_load_dwordx2 s[0:1], s[4:5], 0x1a0
	s_load_dwordx4 s[8:11], s[4:5], 0x410
	s_waitcnt lgkmcnt(0)
	v_writelane_b32 v55, s0, 10
	v_writelane_b32 v55, s1, 11
	s_load_dwordx2 s[0:1], s[4:5], 0x0
	s_waitcnt lgkmcnt(0)
	v_writelane_b32 v55, s0, 12
	v_writelane_b32 v55, s1, 13
	s_mov_b64 s[20:21], exec
	v_readlane_b32 s0, v55, 8
	v_readlane_b32 s1, v55, 9
	s_and_b64 s[0:1], s[20:21], s[0:1]
	s_mov_b64 exec, s[0:1]
	s_cbranch_execz .LBB85_13
; %bb.12:
	v_mov_b32_e32 v1, 0
	v_mov_b32_e32 v3, s24
	;; [unrolled: 1-line block ×4, first 2 shown]
	ds_write_b32 v1, v1 offset:5144
	ds_write_b128 v1, v[1:4] offset:5120
.LBB85_13:
	s_or_b64 exec, exec, s[20:21]
	s_load_dwordx4 s[28:31], s[4:5], 0x270
	s_mul_i32 s0, s16, s3
	s_mul_hi_u32 s1, s16, s2
	s_add_i32 s1, s1, s0
	s_mul_i32 s0, s16, s2
	s_waitcnt lgkmcnt(0)
	v_writelane_b32 v55, s28, 14
	v_writelane_b32 v55, s29, 15
	;; [unrolled: 1-line block ×4, first 2 shown]
	s_load_dwordx4 s[28:31], s[4:5], 0xd0
	s_mov_b32 s2, s22
	s_sub_u32 s0, s22, s0
	s_subb_u32 s1, 0, s1
	s_mul_i32 s1, s1, s10
	s_waitcnt lgkmcnt(0)
	v_writelane_b32 v55, s28, 18
	v_writelane_b32 v55, s29, 19
	;; [unrolled: 1-line block ×6, first 2 shown]
	s_mul_i32 s2, s0, s11
	s_mul_hi_u32 s3, s0, s10
	s_add_i32 s2, s3, s2
	s_add_i32 s2, s2, s1
	s_mul_i32 s1, s16, s9
	s_mul_hi_u32 s3, s16, s8
	s_add_i32 s3, s3, s1
	s_mul_i32 s1, s16, s8
	s_add_u32 s1, s18, s1
	v_mov_b32_e32 v3, 0
	s_mul_i32 s0, s0, s10
	s_addc_u32 s3, s19, s3
	v_mov_b32_e32 v1, v3
	s_add_u32 s50, s1, s0
	v_cmp_gt_u64_e64 s[0:1], s[24:25], v[0:1]
	s_addc_u32 s51, s3, s2
	v_mov_b32_e32 v4, s50
	v_writelane_b32 v55, s0, 24
	v_mov_b32_e32 v5, s51
	v_writelane_b32 v55, s1, 25
	v_mad_u64_u32 v[12:13], s[0:1], s40, v0, v[4:5]
	v_mbcnt_lo_u32_b32 v2, -1, 0
	v_mbcnt_hi_u32_b32 v23, -1, v2
	v_mov_b32_e32 v2, v13
	v_mad_u64_u32 v[4:5], s[0:1], s41, v0, v[2:3]
	v_mov_b32_e32 v5, 0xc00
	v_mov_b32_e32 v6, 0
	v_cmp_gt_u64_e64 s[0:1], s[24:25], v[5:6]
	v_writelane_b32 v55, s0, 26
	s_barrier
	v_writelane_b32 v55, s1, 27
	s_load_dword s0, s[14:15], 0xc
	v_lshlrev_b32_e32 v2, 2, v23
	v_and_b32_e32 v24, 0x100, v2
	v_lshrrev_b32_e32 v2, 1, v0
	v_and_b32_e32 v2, 0x1e0, v2
	v_cmp_gt_u32_e32 vcc, 64, v0
	v_cmp_gt_i32_e64 s[8:9], 4, v23
	v_mov_b32_e32 v13, v4
	v_lshlrev_b64 v[4:5], v23, -1
	v_or_b32_e32 v27, 0xc00, v2
	v_add_u32_e32 v2, 2, v0
	s_and_b64 s[54:55], vcc, s[8:9]
	s_waitcnt lgkmcnt(0)
	s_and_b32 s23, s0, 0xffff
	s_bfe_u32 s0, s0, 0xa0006
	v_cmp_gt_u64_e32 vcc, s[24:25], v[2:3]
	v_not_b32_e32 v26, v4
	s_cmp_gt_u32 s23, 63
	v_mov_b32_e32 v4, s25
	v_not_b32_e32 v25, v5
	s_cselect_b64 s[2:3], -1, 0
	s_add_u32 s57, s23, -1
	v_cndmask_b32_e32 v5, 0, v4, vcc
	v_mov_b32_e32 v4, s24
	v_writelane_b32 v55, s2, 28
	s_addc_u32 s1, 0, -1
	v_cndmask_b32_e32 v2, v2, v4, vcc
	v_not_b32_e32 v4, v0
	v_writelane_b32 v55, s3, 29
	s_add_u32 s3, s57, s24
	v_add_co_u32_e32 v4, vcc, v2, v4
	s_addc_u32 s59, s1, s25
	v_addc_co_u32_e32 v5, vcc, -1, v5, vcc
	s_cmp_lt_u32 s6, s12
	v_cmp_lt_u64_e64 s[6:7], 3, v[4:5]
	v_writelane_b32 v55, s1, 30
	v_writelane_b32 v55, s6, 31
	v_and_b32_e32 v16, -4, v4
	v_mov_b32_e32 v17, v5
	s_cselect_b32 s1, 12, 18
	v_writelane_b32 v55, s7, 32
	v_cmp_ne_u64_e64 s[6:7], v[4:5], v[16:17]
	s_add_u32 s60, s14, s1
	s_addc_u32 s61, s15, 0
	v_writelane_b32 v55, s6, 33
	s_add_i32 s1, s0, -1
	v_writelane_b32 v55, s7, 34
	s_bfe_u32 s6, s23, 0x30006
	s_and_b32 s2, s1, 0xffff
	s_cmp_gt_u32 s2, 6
	s_cselect_b64 s[10:11], -1, 0
	v_writelane_b32 v55, s10, 35
	s_and_b32 s0, s0, 0x3f8
	v_writelane_b32 v55, s11, 36
	s_cmp_lg_u32 s6, 0
	v_writelane_b32 v55, s6, 37
	s_cselect_b64 s[6:7], -1, 0
	v_mov_b32_e32 v2, 0xc00
                                        ; kill: killed $sgpr4 killed $sgpr5
	s_mov_b32 s53, 0
	v_cmp_eq_u32_e64 s[4:5], 0, v23
	v_cmp_gt_u32_e64 s[16:17], 2, v0
	v_lshlrev_b32_e32 v14, 2, v0
	v_mov_b32_e32 v15, v3
	v_add_co_u32_e32 v18, vcc, v16, v0
	s_mov_b32 s62, s40
	s_mov_b32 s63, s41
	;; [unrolled: 1-line block ×7, first 2 shown]
	v_writelane_b32 v55, s6, 38
	v_lshl_or_b32 v29, v23, 3, v2
	s_mov_b64 s[66:67], 0
	s_movk_i32 s22, 0x80
	s_mov_b32 s33, 0xc0c0004
	v_mov_b32_e32 v30, 0x4f800000
	v_mov_b32_e32 v31, 8
	;; [unrolled: 1-line block ×5, first 2 shown]
	s_mov_b32 s2, 0
	v_writelane_b32 v55, s7, 39
                                        ; implicit-def: $sgpr68_sgpr69
                                        ; implicit-def: $sgpr72_sgpr73
                                        ; implicit-def: $sgpr70_sgpr71
                                        ; implicit-def: $sgpr76_sgpr77
                                        ; implicit-def: $sgpr78_sgpr79
                                        ; implicit-def: $sgpr74_sgpr75
	s_branch .LBB85_17
.LBB85_14:                              ;   in Loop: Header=BB85_17 Depth=1
	s_or_b64 exec, exec, s[20:21]
	s_and_b64 s[12:13], s[12:13], exec
	s_andn2_b64 s[84:85], s[84:85], exec
	s_andn2_b64 s[6:7], s[6:7], exec
	s_orn2_b64 s[20:21], s[14:15], exec
.LBB85_15:                              ;   in Loop: Header=BB85_17 Depth=1
	s_or_b64 exec, exec, s[10:11]
	s_andn2_b64 s[10:11], s[74:75], exec
	s_and_b64 s[12:13], s[12:13], exec
	s_or_b64 s[74:75], s[10:11], s[12:13]
	s_andn2_b64 s[10:11], s[78:79], exec
	s_and_b64 s[12:13], s[84:85], exec
	s_or_b64 s[78:79], s[10:11], s[12:13]
	;; [unrolled: 3-line block ×3, first 2 shown]
	s_orn2_b64 s[6:7], s[20:21], exec
.LBB85_16:                              ;   in Loop: Header=BB85_17 Depth=1
	s_or_b64 exec, exec, s[18:19]
	s_and_b64 s[6:7], exec, s[6:7]
	s_or_b64 s[66:67], s[6:7], s[66:67]
	s_andn2_b64 s[6:7], s[70:71], exec
	s_and_b64 s[10:11], s[74:75], exec
	s_or_b64 s[70:71], s[6:7], s[10:11]
	s_andn2_b64 s[6:7], s[72:73], exec
	s_and_b64 s[10:11], s[78:79], exec
	;; [unrolled: 3-line block ×3, first 2 shown]
	v_mov_b32_e32 v20, v9
	s_or_b64 s[68:69], s[6:7], s[10:11]
	v_mov_b32_e32 v19, v8
	s_andn2_b64 exec, exec, s[66:67]
	s_cbranch_execz .LBB85_280
.LBB85_17:                              ; =>This Loop Header: Depth=1
                                        ;     Child Loop BB85_22 Depth 2
                                        ;     Child Loop BB85_36 Depth 2
	;; [unrolled: 1-line block ×17, first 2 shown]
	ds_read_b128 v[4:7], v3 offset:5120
	s_waitcnt lgkmcnt(0)
	v_readfirstlane_b32 s81, v5
	v_readfirstlane_b32 s80, v4
	s_cmp_lg_u64 s[80:81], 0
	s_cbranch_scc1 .LBB85_49
; %bb.18:                               ;   in Loop: Header=BB85_17 Depth=1
	v_readlane_b32 s6, v55, 26
	v_readlane_b32 s7, v55, 27
	s_and_b64 vcc, exec, s[6:7]
	s_cbranch_vccz .LBB85_30
; %bb.19:                               ;   in Loop: Header=BB85_17 Depth=1
	s_mov_b64 s[6:7], 0xc01
	v_cmp_gt_u64_e32 vcc, s[6:7], v[6:7]
	s_mov_b64 s[12:13], 0
	s_mov_b64 s[6:7], 0
	s_cbranch_vccz .LBB85_31
; %bb.20:                               ;   in Loop: Header=BB85_17 Depth=1
	global_load_ubyte v6, v[12:13], off
	global_load_ushort v2, v3, s[60:61]
	v_mov_b32_e32 v5, v1
	s_mov_b64 s[10:11], 0
	v_mov_b32_e32 v4, v0
	s_branch .LBB85_22
.LBB85_21:                              ;   in Loop: Header=BB85_22 Depth=2
	s_or_b64 exec, exec, s[6:7]
	s_waitcnt vmcnt(0)
	v_mov_b32_e32 v6, v7
	s_andn2_b64 exec, exec, s[10:11]
	s_cbranch_execz .LBB85_147
.LBB85_22:                              ;   Parent Loop BB85_17 Depth=1
                                        ; =>  This Inner Loop Header: Depth=2
	s_waitcnt vmcnt(0)
	v_add_co_u32_sdwa v4, vcc, v4, v2 dst_sel:DWORD dst_unused:UNUSED_PAD src0_sel:DWORD src1_sel:WORD_0
	v_addc_co_u32_e32 v5, vcc, 0, v5, vcc
	v_cmp_gt_u64_e64 s[6:7], s[24:25], v[4:5]
	v_cmp_le_u64_e32 vcc, s[24:25], v[4:5]
	s_waitcnt lgkmcnt(0)
	v_mov_b32_e32 v8, 0
	v_mov_b32_e32 v7, 0
	s_and_saveexec_b64 s[14:15], s[6:7]
	s_cbranch_execz .LBB85_24
; %bb.23:                               ;   in Loop: Header=BB85_22 Depth=2
	v_mov_b32_e32 v9, s50
	v_mov_b32_e32 v10, s51
	v_mad_u64_u32 v[9:10], s[6:7], v4, s40, v[9:10]
	v_mul_lo_u32 v7, v4, s41
	v_mul_lo_u32 v11, v5, s40
	v_add3_u32 v10, v11, v10, v7
	global_load_ubyte v7, v[9:10], off
.LBB85_24:                              ;   in Loop: Header=BB85_22 Depth=2
	s_or_b64 exec, exec, s[14:15]
	v_add_u32_sdwa v9, sext(v6), s22 dst_sel:DWORD dst_unused:UNUSED_PAD src0_sel:BYTE_0 src1_sel:DWORD
	v_and_b32_e32 v9, v9, v32
	v_cmp_eq_u32_e64 s[14:15], v9, v28
	s_cmp_lg_u64 s[14:15], 0
	s_cselect_b64 s[6:7], -1, 0
	s_and_b64 s[6:7], s[4:5], s[6:7]
	s_and_saveexec_b64 s[18:19], s[6:7]
	s_cbranch_execz .LBB85_28
; %bb.25:                               ;   in Loop: Header=BB85_22 Depth=2
	s_mov_b64 s[26:27], exec
	v_mbcnt_lo_u32_b32 v8, s26, 0
	v_mbcnt_hi_u32_b32 v8, s27, v8
	s_bcnt1_i32_b64 s28, s[14:15]
	v_cmp_eq_u32_e64 s[6:7], 0, v8
                                        ; implicit-def: $vgpr9
	s_and_saveexec_b64 s[20:21], s[6:7]
; %bb.26:                               ;   in Loop: Header=BB85_22 Depth=2
	s_bcnt1_i32_b64 s6, s[26:27]
	s_mul_i32 s6, s28, s6
	v_mov_b32_e32 v9, s6
	ds_add_rtn_u32 v9, v3, v9 offset:5144
; %bb.27:                               ;   in Loop: Header=BB85_22 Depth=2
	s_or_b64 exec, exec, s[20:21]
	s_waitcnt lgkmcnt(0)
	v_readfirstlane_b32 s6, v9
	v_mov_b32_e32 v9, s6
	v_mad_u32_u24 v8, s28, v8, v9
.LBB85_28:                              ;   in Loop: Header=BB85_22 Depth=2
	s_or_b64 exec, exec, s[18:19]
	ds_bpermute_b32 v8, v24, v8
	s_and_b64 s[6:7], exec, vcc
	s_or_b64 s[10:11], s[6:7], s[10:11]
	s_and_saveexec_b64 s[6:7], s[14:15]
	s_cbranch_execz .LBB85_21
; %bb.29:                               ;   in Loop: Header=BB85_22 Depth=2
	v_and_b32_e32 v10, s14, v26
	v_and_b32_e32 v9, s15, v25
	v_bcnt_u32_b32 v10, v10, 0
	v_bcnt_u32_b32 v9, v9, v10
	s_waitcnt lgkmcnt(0)
	v_add_u32_e32 v8, v8, v9
	ds_write_b8 v8, v6
	s_branch .LBB85_21
.LBB85_30:                              ;   in Loop: Header=BB85_17 Depth=1
	s_mov_b64 s[12:13], -1
	s_mov_b64 s[6:7], 0
.LBB85_31:                              ;   in Loop: Header=BB85_17 Depth=1
	s_and_b64 vcc, exec, s[12:13]
	s_cbranch_vccz .LBB85_47
.LBB85_32:                              ;   in Loop: Header=BB85_17 Depth=1
	s_mov_b64 s[12:13], exec
	v_readlane_b32 s6, v55, 24
	v_readlane_b32 s7, v55, 25
	s_and_b64 s[6:7], s[12:13], s[6:7]
	s_mov_b64 exec, s[6:7]
	s_cbranch_execz .LBB85_44
; %bb.33:                               ;   in Loop: Header=BB85_17 Depth=1
	global_load_ushort v2, v3, s[60:61]
	global_load_ubyte v34, v[12:13], off
	v_mov_b32_e32 v4, v0
	s_waitcnt vmcnt(1)
	v_readfirstlane_b32 s6, v2
	v_add_u32_sdwa v2, v2, v0 dst_sel:DWORD dst_unused:UNUSED_PAD src0_sel:WORD_0 src1_sel:DWORD
	v_cmp_gt_u64_e32 vcc, s[24:25], v[2:3]
	s_and_saveexec_b64 s[18:19], vcc
	s_cbranch_execz .LBB85_43
; %bb.34:                               ;   in Loop: Header=BB85_17 Depth=1
	s_and_b32 s26, s6, 0xffff
	s_cmp_eq_u32 s26, 1
	v_readlane_b32 s10, v55, 31
                                        ; implicit-def: $vgpr4_vgpr5
	s_cselect_b64 s[6:7], -1, 0
	v_readlane_b32 s11, v55, 32
	v_mov_b32_e32 v8, v1
	v_mov_b32_e32 v6, v3
	s_and_b64 s[10:11], s[10:11], s[6:7]
	s_mov_b64 s[6:7], -1
	v_mov_b32_e32 v7, v0
	v_mov_b32_e32 v5, v2
	s_and_saveexec_b64 s[20:21], s[10:11]
	s_cbranch_execz .LBB85_38
; %bb.35:                               ;   in Loop: Header=BB85_17 Depth=1
	v_add_co_u32_e32 v8, vcc, 3, v2
	v_addc_co_u32_e64 v9, s[6:7], 0, 0, vcc
	v_add_co_u32_e32 v6, vcc, 2, v2
	v_addc_co_u32_e64 v7, s[6:7], 0, 0, vcc
	;; [unrolled: 2-line block ×3, first 2 shown]
	v_mov_b32_e32 v22, v17
	v_mov_b32_e32 v11, v9
	s_waitcnt vmcnt(0)
	v_lshlrev_b32_e32 v36, 24, v34
	s_mov_b64 s[28:29], 0
	v_mov_b32_e32 v21, v16
	v_mov_b32_e32 v35, v0
	;; [unrolled: 1-line block ×9, first 2 shown]
.LBB85_36:                              ;   Parent Loop BB85_17 Depth=1
                                        ; =>  This Inner Loop Header: Depth=2
	v_mul_lo_u32 v34, v9, s64
	v_mul_lo_u32 v45, v8, s65
	v_mad_u64_u32 v[37:38], s[6:7], v8, s64, 0
	v_mul_lo_u32 v46, v7, s62
	v_mul_lo_u32 v47, v6, s63
	v_mad_u64_u32 v[39:40], s[6:7], v6, s62, 0
	v_mov_b32_e32 v43, s50
	v_mul_lo_u32 v48, v5, s40
	v_mul_lo_u32 v49, v4, s41
	v_mad_u64_u32 v[41:42], s[6:7], v4, s40, 0
	v_mov_b32_e32 v44, s51
	;; [unrolled: 4-line block ×3, first 2 shown]
	v_add3_u32 v34, v38, v45, v34
	v_add3_u32 v47, v40, v47, v46
	v_add_co_u32_e32 v38, vcc, s50, v39
	v_mov_b32_e32 v50, s51
	v_mov_b32_e32 v52, s51
	v_add3_u32 v42, v42, v49, v48
	v_add_co_u32_e64 v40, s[6:7], s50, v37
	v_add_co_u32_e64 v45, s[14:15], s50, v41
	v_addc_co_u32_e32 v39, vcc, v51, v47, vcc
	v_addc_co_u32_e64 v46, s[14:15], v50, v42, s[14:15]
	v_addc_co_u32_e64 v41, vcc, v52, v34, s[6:7]
	v_add3_u32 v44, v54, v44, v53
	global_load_ubyte v37, v[38:39], off
	s_nop 0
	global_load_ubyte v38, v[40:41], off
	global_load_ubyte v34, v[43:44], off
	;; [unrolled: 1-line block ×3, first 2 shown]
	v_add_co_u32_e32 v8, vcc, 4, v8
	v_addc_co_u32_e32 v9, vcc, 0, v9, vcc
	v_add_co_u32_e32 v6, vcc, 4, v6
	v_addc_co_u32_e32 v7, vcc, 0, v7, vcc
	;; [unrolled: 2-line block ×3, first 2 shown]
	v_add_co_u32_e64 v10, s[6:7], 4, v10
	v_add_co_u32_e32 v21, vcc, -4, v21
	v_addc_co_u32_e64 v11, s[6:7], 0, v11, s[6:7]
	v_addc_co_u32_e32 v22, vcc, -1, v22, vcc
	s_mov_b32 s6, 0xc0c0007
	v_cmp_eq_u64_e32 vcc, 0, v[21:22]
	s_or_b64 s[28:29], vcc, s[28:29]
	s_waitcnt vmcnt(1)
	v_perm_b32 v41, v38, v34, s33
	s_waitcnt vmcnt(0)
	v_perm_b32 v40, v39, v37, s33
	v_perm_b32 v37, v37, v38, s33
	;; [unrolled: 1-line block ×3, first 2 shown]
	v_lshl_or_b32 v38, v41, 16, v40
	v_lshl_or_b32 v36, v37, 16, v36
	ds_write_b32 v35, v36
	v_add_u32_e32 v35, 4, v35
	v_mov_b32_e32 v36, v38
	s_andn2_b64 exec, exec, s[28:29]
	s_cbranch_execnz .LBB85_36
; %bb.37:                               ;   in Loop: Header=BB85_17 Depth=1
	s_or_b64 exec, exec, s[28:29]
	v_readlane_b32 s6, v55, 33
	v_add_co_u32_e32 v5, vcc, v2, v16
	v_readlane_b32 s7, v55, 34
	v_addc_co_u32_e32 v6, vcc, 0, v17, vcc
	v_add_co_u32_e32 v4, vcc, -1, v5
	s_orn2_b64 s[6:7], s[6:7], exec
	v_mov_b32_e32 v7, v18
	v_mov_b32_e32 v8, v19
.LBB85_38:                              ;   in Loop: Header=BB85_17 Depth=1
	s_or_b64 exec, exec, s[20:21]
	s_and_saveexec_b64 s[10:11], s[6:7]
	s_cbranch_execz .LBB85_42
; %bb.39:                               ;   in Loop: Header=BB85_17 Depth=1
	s_mov_b64 s[14:15], 0
	s_sub_u32 s20, 0, s26
.LBB85_40:                              ;   Parent Loop BB85_17 Depth=1
                                        ; =>  This Inner Loop Header: Depth=2
	v_mov_b32_e32 v9, v6
	v_mov_b32_e32 v8, v5
	;; [unrolled: 1-line block ×4, first 2 shown]
	v_mad_u64_u32 v[4:5], s[6:7], v8, s40, v[4:5]
	v_mul_lo_u32 v2, v8, s41
	v_mul_lo_u32 v6, v9, s40
	s_waitcnt vmcnt(0)
	ds_write_b8 v7, v34
	v_add3_u32 v5, v6, v5, v2
	global_load_ubyte v2, v[4:5], off
	v_add_co_u32_e32 v5, vcc, s26, v8
	v_addc_co_u32_e32 v6, vcc, 0, v9, vcc
	v_cmp_le_u64_e32 vcc, s[24:25], v[5:6]
	v_mov_b32_e32 v7, v8
	v_add_co_u32_e64 v4, s[6:7], s20, v5
	s_or_b64 s[14:15], vcc, s[14:15]
	v_mov_b32_e32 v8, v9
	s_waitcnt vmcnt(0)
	v_mov_b32_e32 v34, v2
	s_andn2_b64 exec, exec, s[14:15]
	s_cbranch_execnz .LBB85_40
; %bb.41:                               ;   in Loop: Header=BB85_17 Depth=1
	s_or_b64 exec, exec, s[14:15]
	v_mov_b32_e32 v34, v2
.LBB85_42:                              ;   in Loop: Header=BB85_17 Depth=1
	s_or_b64 exec, exec, s[10:11]
.LBB85_43:                              ;   in Loop: Header=BB85_17 Depth=1
	s_or_b64 exec, exec, s[18:19]
	s_waitcnt vmcnt(0)
	ds_write_b8 v4, v34
.LBB85_44:                              ;   in Loop: Header=BB85_17 Depth=1
	s_or_b64 exec, exec, s[12:13]
	s_waitcnt lgkmcnt(0)
	s_barrier
	s_mov_b64 s[6:7], exec
	v_readlane_b32 s10, v55, 8
	v_readlane_b32 s11, v55, 9
	s_and_b64 s[10:11], s[6:7], s[10:11]
	s_mov_b64 exec, s[10:11]
; %bb.45:                               ;   in Loop: Header=BB85_17 Depth=1
	v_mov_b32_e32 v4, s24
	v_mov_b32_e32 v5, s25
	ds_write_b64 v3, v[4:5] offset:5120
; %bb.46:                               ;   in Loop: Header=BB85_17 Depth=1
	s_or_b64 exec, exec, s[6:7]
	s_mov_b64 s[6:7], -1
	s_waitcnt lgkmcnt(0)
	s_barrier
.LBB85_47:                              ;   in Loop: Header=BB85_17 Depth=1
	s_mov_b64 s[80:81], 0
	s_and_b64 vcc, exec, s[6:7]
	s_cbranch_vccz .LBB85_49
; %bb.48:                               ;   in Loop: Header=BB85_17 Depth=1
	ds_read_b64 v[4:5], v3 offset:5120
	s_waitcnt lgkmcnt(0)
	v_readfirstlane_b32 s80, v4
.LBB85_49:                              ;   in Loop: Header=BB85_17 Depth=1
	s_cmp_lt_i32 s80, 1
	s_mov_b64 s[6:7], -1
                                        ; implicit-def: $vgpr10_vgpr11
                                        ; implicit-def: $vgpr6_vgpr7
	s_cbranch_scc1 .LBB85_59
; %bb.50:                               ;   in Loop: Header=BB85_17 Depth=1
	s_and_b64 vcc, exec, s[6:7]
	s_cbranch_vccnz .LBB85_73
.LBB85_51:                              ;   in Loop: Header=BB85_17 Depth=1
	s_lshl_b32 s10, s2, 6
	s_and_saveexec_b64 s[6:7], s[4:5]
	s_cbranch_execz .LBB85_53
.LBB85_52:                              ;   in Loop: Header=BB85_17 Depth=1
	v_lshl_add_u32 v2, s10, 3, v27
	ds_write_b128 v2, v[4:7]
	ds_write_b128 v2, v[8:11] offset:16
.LBB85_53:                              ;   in Loop: Header=BB85_17 Depth=1
	s_or_b64 exec, exec, s[6:7]
	s_waitcnt lgkmcnt(0)
	s_barrier
	s_and_saveexec_b64 s[6:7], s[54:55]
	s_cbranch_execz .LBB85_88
; %bb.54:                               ;   in Loop: Header=BB85_17 Depth=1
	v_readlane_b32 s12, v55, 28
	v_mov_b32_e32 v4, 0
	v_readlane_b32 s13, v55, 29
	v_mov_b32_e32 v5, 0
	s_andn2_b64 vcc, exec, s[12:13]
	s_cbranch_vccnz .LBB85_87
; %bb.55:                               ;   in Loop: Header=BB85_17 Depth=1
	v_readlane_b32 s12, v55, 35
	v_readlane_b32 s13, v55, 36
	s_andn2_b64 vcc, exec, s[12:13]
	s_cbranch_vccnz .LBB85_83
; %bb.56:                               ;   in Loop: Header=BB85_17 Depth=1
	v_mov_b32_e32 v4, 0
	v_lshl_add_u32 v2, s2, 9, v29
	v_mov_b32_e32 v5, 0
	s_mov_b32 s11, 0
.LBB85_57:                              ;   Parent Loop BB85_17 Depth=1
                                        ; =>  This Inner Loop Header: Depth=2
	ds_read2_b64 v[6:9], v2 offset1:4
	ds_read2_b64 v[34:37], v2 offset0:8 offset1:12
	ds_read2_b64 v[38:41], v2 offset0:16 offset1:20
	;; [unrolled: 1-line block ×3, first 2 shown]
	s_add_i32 s11, s11, 8
	s_waitcnt lgkmcnt(3)
	v_add_co_u32_e32 v4, vcc, v6, v4
	v_addc_co_u32_e32 v5, vcc, v7, v5, vcc
	v_add_co_u32_e32 v4, vcc, v8, v4
	v_addc_co_u32_e32 v5, vcc, v9, v5, vcc
	s_waitcnt lgkmcnt(2)
	v_add_co_u32_e32 v4, vcc, v34, v4
	v_addc_co_u32_e32 v5, vcc, v35, v5, vcc
	v_add_co_u32_e32 v4, vcc, v36, v4
	v_addc_co_u32_e32 v5, vcc, v37, v5, vcc
	;; [unrolled: 5-line block ×3, first 2 shown]
	s_waitcnt lgkmcnt(0)
	v_add_co_u32_e32 v4, vcc, v42, v4
	v_addc_co_u32_e32 v5, vcc, v43, v5, vcc
	v_add_co_u32_e32 v4, vcc, v44, v4
	v_add_u32_e32 v2, 0x100, v2
	s_cmp_eq_u32 s0, s11
	v_addc_co_u32_e32 v5, vcc, v45, v5, vcc
	s_cbranch_scc0 .LBB85_57
; %bb.58:                               ;   in Loop: Header=BB85_17 Depth=1
	s_mov_b32 s11, s0
	s_branch .LBB85_84
.LBB85_59:                              ;   in Loop: Header=BB85_17 Depth=1
	global_load_ushort v2, v3, s[60:61]
	s_mov_b32 s6, s53
	s_waitcnt vmcnt(0)
	v_readfirstlane_b32 s7, v2
	s_and_b32 s7, 0xffff, s7
	s_lshl_b32 s12, s7, 2
	s_mov_b32 s7, s25
	s_cmp_lg_u64 s[6:7], 0
	s_cbranch_scc0 .LBB85_82
; %bb.60:                               ;   in Loop: Header=BB85_17 Depth=1
	v_cvt_f32_u32_e32 v4, s12
	s_sub_u32 s10, 0, s12
	s_subb_u32 s11, 0, 0
	v_mac_f32_e32 v4, 0, v30
	v_rcp_f32_e32 v4, v4
	v_mul_f32_e32 v4, 0x5f7ffffc, v4
	v_mul_f32_e32 v5, 0x2f800000, v4
	v_trunc_f32_e32 v5, v5
	v_mac_f32_e32 v4, 0xcf800000, v5
	v_cvt_u32_f32_e32 v5, v5
	v_cvt_u32_f32_e32 v4, v4
	v_readfirstlane_b32 s13, v5
	v_readfirstlane_b32 s6, v4
	s_mul_i32 s7, s10, s13
	s_mul_hi_u32 s15, s10, s6
	s_mul_i32 s14, s11, s6
	s_add_i32 s7, s15, s7
	s_mul_i32 s18, s10, s6
	s_add_i32 s7, s7, s14
	s_mul_hi_u32 s15, s6, s18
	s_mul_i32 s19, s6, s7
	s_mul_hi_u32 s14, s6, s7
	s_add_u32 s15, s15, s19
	s_addc_u32 s14, 0, s14
	s_mul_hi_u32 s20, s13, s18
	s_mul_i32 s18, s13, s18
	s_add_u32 s15, s15, s18
	s_mul_hi_u32 s19, s13, s7
	s_addc_u32 s14, s14, s20
	s_addc_u32 s15, s19, 0
	s_mul_i32 s7, s13, s7
	s_add_u32 s7, s14, s7
	s_addc_u32 s14, 0, s15
	s_add_u32 s15, s6, s7
	s_cselect_b64 s[6:7], -1, 0
	s_cmp_lg_u64 s[6:7], 0
	s_addc_u32 s13, s13, s14
	s_mul_i32 s6, s10, s13
	s_mul_hi_u32 s7, s10, s15
	s_add_i32 s6, s7, s6
	s_mul_i32 s11, s11, s15
	s_add_i32 s6, s6, s11
	s_mul_i32 s10, s10, s15
	s_mul_hi_u32 s11, s13, s10
	s_mul_i32 s14, s13, s10
	s_mul_i32 s19, s15, s6
	s_mul_hi_u32 s10, s15, s10
	s_mul_hi_u32 s18, s15, s6
	s_add_u32 s10, s10, s19
	s_addc_u32 s18, 0, s18
	s_add_u32 s10, s10, s14
	s_mul_hi_u32 s7, s13, s6
	s_addc_u32 s10, s18, s11
	s_addc_u32 s7, s7, 0
	s_mul_i32 s6, s13, s6
	s_add_u32 s6, s10, s6
	s_addc_u32 s10, 0, s7
	s_add_u32 s11, s15, s6
	s_cselect_b64 s[6:7], -1, 0
	s_cmp_lg_u64 s[6:7], 0
	s_addc_u32 s6, s13, s10
	s_mul_i32 s10, s24, s6
	s_mul_hi_u32 s13, s24, s11
	s_mul_hi_u32 s7, s24, s6
	s_add_u32 s10, s13, s10
	s_addc_u32 s7, 0, s7
	s_mul_hi_u32 s14, s25, s11
	s_mul_i32 s11, s25, s11
	s_add_u32 s10, s10, s11
	s_mul_hi_u32 s13, s25, s6
	s_addc_u32 s7, s7, s14
	s_addc_u32 s10, s13, 0
	s_mul_i32 s6, s25, s6
	s_add_u32 s6, s7, s6
	s_addc_u32 s7, 0, s10
	s_mul_i32 s7, s12, s7
	s_mul_hi_u32 s10, s12, s6
	s_add_i32 s10, s10, s7
	s_mul_i32 s6, s12, s6
	s_sub_u32 s11, s24, s6
	s_cselect_b64 s[6:7], -1, 0
	s_cmp_lg_u64 s[6:7], 0
	s_subb_u32 s10, s25, s10
	s_sub_u32 s13, s11, s12
	s_cselect_b64 s[6:7], -1, 0
	s_cmp_lg_u64 s[6:7], 0
	s_subb_u32 s14, s10, 0
	;; [unrolled: 4-line block ×3, first 2 shown]
	s_cmp_ge_u32 s13, s12
	s_cselect_b32 s7, -1, 0
	s_cmp_eq_u32 s14, 0
	s_cselect_b32 s7, s7, -1
	s_cmp_lg_u32 s7, 0
	s_cselect_b32 s6, s6, s14
	s_cselect_b32 s13, s15, s13
	s_cmp_ge_u32 s11, s12
	s_cselect_b32 s7, -1, 0
	s_cmp_eq_u32 s10, 0
	s_cselect_b32 s7, s7, -1
	s_cmp_lg_u32 s7, 0
	s_cselect_b32 s7, s6, s10
	s_cselect_b32 s6, s13, s11
	s_cbranch_execnz .LBB85_62
.LBB85_61:                              ;   in Loop: Header=BB85_17 Depth=1
	v_cvt_f32_u32_e32 v4, s12
	s_sub_i32 s6, 0, s12
	v_rcp_iflag_f32_e32 v4, v4
	v_mul_f32_e32 v4, 0x4f7ffffe, v4
	v_cvt_u32_f32_e32 v4, v4
	v_readfirstlane_b32 s7, v4
	s_mul_i32 s6, s6, s7
	s_mul_hi_u32 s6, s7, s6
	s_add_i32 s7, s7, s6
	s_mul_hi_u32 s6, s24, s7
	s_mul_i32 s6, s6, s12
	s_sub_i32 s6, s24, s6
	s_sub_i32 s7, s6, s12
	s_cmp_ge_u32 s6, s12
	s_cselect_b32 s6, s7, s6
	s_sub_i32 s7, s6, s12
	s_cmp_ge_u32 s6, s12
	s_cselect_b32 s52, s7, s6
	s_mov_b64 s[6:7], s[52:53]
.LBB85_62:                              ;   in Loop: Header=BB85_17 Depth=1
	s_sub_u32 s82, s24, s6
	s_subb_u32 s83, s25, s7
	v_cmp_gt_u64_e32 vcc, s[82:83], v[14:15]
	v_mov_b32_e32 v4, 0
	v_mov_b32_e32 v6, 0
	;; [unrolled: 1-line block ×8, first 2 shown]
	s_and_saveexec_b64 s[84:85], vcc
	s_cbranch_execz .LBB85_66
; %bb.63:                               ;   in Loop: Header=BB85_17 Depth=1
	v_mov_b32_e32 v22, v15
	s_mov_b64 s[86:87], 0
	s_mov_b64 s[88:89], 0
	;; [unrolled: 1-line block ×5, first 2 shown]
	v_mov_b32_e32 v21, v14
.LBB85_64:                              ;   Parent Loop BB85_17 Depth=1
                                        ; =>  This Inner Loop Header: Depth=2
	v_mov_b32_e32 v4, s50
	v_mov_b32_e32 v5, s51
	v_mad_u64_u32 v[4:5], s[6:7], v21, s40, v[4:5]
	v_mul_lo_u32 v6, v21, s41
	v_mul_lo_u32 v7, v22, s40
	v_mov_b32_e32 v8, s41
	v_mov_b32_e32 v9, s41
	v_add3_u32 v5, v7, v5, v6
	global_load_sbyte v6, v[4:5], off
	v_add_co_u32_e32 v4, vcc, s40, v4
	v_mov_b32_e32 v7, s41
	v_addc_co_u32_e32 v5, vcc, v5, v7, vcc
	global_load_sbyte v7, v[4:5], off
	v_add_co_u32_e32 v4, vcc, s40, v4
	v_addc_co_u32_e32 v5, vcc, v5, v8, vcc
	global_load_sbyte v8, v[4:5], off
	v_add_co_u32_e32 v4, vcc, s40, v4
	v_addc_co_u32_e32 v5, vcc, v5, v9, vcc
	global_load_sbyte v4, v[4:5], off
	s_waitcnt vmcnt(3)
	v_add_u32_e32 v5, 0x80, v6
	s_waitcnt vmcnt(2)
	v_add_u32_e32 v6, 0x80, v7
	;; [unrolled: 2-line block ×3, first 2 shown]
	v_and_b32_e32 v8, v5, v32
	v_bfe_u32 v5, v5, s1, 2
	v_cmp_eq_u32_e32 vcc, v8, v28
	v_and_b32_e32 v8, v6, v32
	v_bfe_u32 v6, v6, s1, 2
	v_cmp_eq_u32_e64 s[20:21], 0, v5
	s_waitcnt vmcnt(0)
	v_add_u32_e32 v4, 0x80, v4
	v_cmp_eq_u32_e64 s[6:7], v8, v28
	v_and_b32_e32 v8, v7, v32
	v_bfe_u32 v7, v7, s1, 2
	s_and_b64 s[10:11], vcc, s[20:21]
	v_cmp_eq_u32_e64 s[20:21], 0, v6
	v_cmp_eq_u32_e64 s[14:15], v8, v28
	v_and_b32_e32 v8, v4, v32
	v_bfe_u32 v4, v4, s1, 2
	s_and_b64 s[26:27], s[6:7], s[20:21]
	v_cmp_eq_u32_e64 s[20:21], 0, v7
	v_cmp_eq_u32_e64 s[18:19], v8, v28
	s_and_b64 s[28:29], s[14:15], s[20:21]
	v_cmp_eq_u32_e64 s[20:21], 0, v4
	v_cndmask_b32_e64 v8, 0, 1, s[10:11]
	s_and_b64 s[30:31], s[18:19], s[20:21]
	v_cmp_ne_u32_e64 s[20:21], 0, v8
	v_cndmask_b32_e64 v8, 0, 1, s[26:27]
	s_bcnt1_i32_b64 s10, s[20:21]
	v_cmp_ne_u32_e64 s[20:21], 0, v8
	v_cndmask_b32_e64 v8, 0, 1, s[28:29]
	s_bcnt1_i32_b64 s11, s[20:21]
	v_cmp_ne_u32_e64 s[20:21], 0, v8
	v_cndmask_b32_e64 v8, 0, 1, s[30:31]
	s_bcnt1_i32_b64 s13, s[20:21]
	v_cmp_ne_u32_e64 s[20:21], 0, v8
	s_bcnt1_i32_b64 s20, s[20:21]
	s_add_u32 s10, s10, s94
	s_addc_u32 s21, 0, s95
	s_add_u32 s10, s10, s11
	s_addc_u32 s11, s21, 0
	;; [unrolled: 2-line block ×3, first 2 shown]
	s_add_u32 s94, s10, s20
	v_cmp_eq_u32_e64 s[20:21], 1, v5
	s_addc_u32 s95, s11, 0
	s_and_b64 s[10:11], vcc, s[20:21]
	v_cmp_eq_u32_e64 s[20:21], 1, v6
	s_and_b64 s[26:27], s[6:7], s[20:21]
	v_cmp_eq_u32_e64 s[20:21], 1, v7
	s_and_b64 s[28:29], s[14:15], s[20:21]
	v_cmp_eq_u32_e64 s[20:21], 1, v4
	v_cndmask_b32_e64 v8, 0, 1, s[10:11]
	s_and_b64 s[30:31], s[18:19], s[20:21]
	v_cmp_ne_u32_e64 s[20:21], 0, v8
	v_cndmask_b32_e64 v8, 0, 1, s[26:27]
	s_bcnt1_i32_b64 s10, s[20:21]
	v_cmp_ne_u32_e64 s[20:21], 0, v8
	v_cndmask_b32_e64 v8, 0, 1, s[28:29]
	s_bcnt1_i32_b64 s11, s[20:21]
	;; [unrolled: 3-line block ×3, first 2 shown]
	v_cmp_ne_u32_e64 s[20:21], 0, v8
	s_bcnt1_i32_b64 s20, s[20:21]
	s_add_u32 s10, s10, s92
	s_addc_u32 s21, 0, s93
	s_add_u32 s10, s10, s11
	s_addc_u32 s11, s21, 0
	;; [unrolled: 2-line block ×3, first 2 shown]
	s_add_u32 s92, s10, s20
	v_cmp_eq_u32_e64 s[20:21], 2, v5
	s_addc_u32 s93, s11, 0
	s_and_b64 s[10:11], vcc, s[20:21]
	v_cmp_eq_u32_e64 s[20:21], 2, v6
	s_and_b64 s[26:27], s[6:7], s[20:21]
	v_cmp_eq_u32_e64 s[20:21], 2, v7
	s_and_b64 s[28:29], s[14:15], s[20:21]
	v_cmp_eq_u32_e64 s[20:21], 2, v4
	v_cndmask_b32_e64 v8, 0, 1, s[10:11]
	s_and_b64 s[30:31], s[18:19], s[20:21]
	v_cmp_ne_u32_e64 s[20:21], 0, v8
	v_cndmask_b32_e64 v8, 0, 1, s[26:27]
	s_bcnt1_i32_b64 s10, s[20:21]
	v_cmp_ne_u32_e64 s[20:21], 0, v8
	v_cndmask_b32_e64 v8, 0, 1, s[28:29]
	s_bcnt1_i32_b64 s11, s[20:21]
	;; [unrolled: 3-line block ×3, first 2 shown]
	v_cmp_ne_u32_e64 s[20:21], 0, v8
	s_bcnt1_i32_b64 s20, s[20:21]
	s_add_u32 s10, s10, s90
	s_addc_u32 s21, 0, s91
	s_add_u32 s10, s10, s11
	s_addc_u32 s11, s21, 0
	;; [unrolled: 2-line block ×3, first 2 shown]
	s_add_u32 s90, s10, s20
	v_cmp_eq_u32_e64 s[20:21], 3, v5
	s_addc_u32 s91, s11, 0
	s_and_b64 s[10:11], vcc, s[20:21]
	v_cmp_eq_u32_e32 vcc, 3, v6
	s_and_b64 s[6:7], s[6:7], vcc
	v_cmp_eq_u32_e32 vcc, 3, v7
	s_and_b64 s[14:15], s[14:15], vcc
	v_cmp_eq_u32_e32 vcc, 3, v4
	v_cndmask_b32_e64 v4, 0, 1, s[10:11]
	s_and_b64 s[18:19], s[18:19], vcc
	v_cmp_ne_u32_e32 vcc, 0, v4
	v_cndmask_b32_e64 v4, 0, 1, s[6:7]
	s_bcnt1_i32_b64 s10, vcc
	v_cmp_ne_u32_e32 vcc, 0, v4
	v_cndmask_b32_e64 v4, 0, 1, s[14:15]
	s_bcnt1_i32_b64 s6, vcc
	;; [unrolled: 3-line block ×3, first 2 shown]
	v_cmp_ne_u32_e32 vcc, 0, v4
	s_bcnt1_i32_b64 s11, vcc
	s_add_u32 s10, s10, s88
	s_addc_u32 s13, 0, s89
	s_add_u32 s6, s10, s6
	s_addc_u32 s10, s13, 0
	s_add_u32 s6, s6, s7
	v_add_co_u32_e32 v21, vcc, s12, v21
	s_addc_u32 s7, s10, 0
	v_addc_co_u32_e32 v22, vcc, 0, v22, vcc
	s_add_u32 s88, s6, s11
	v_cmp_le_u64_e32 vcc, s[82:83], v[21:22]
	s_addc_u32 s89, s7, 0
	v_mov_b32_e32 v4, s94
	v_mov_b32_e32 v6, s92
	;; [unrolled: 1-line block ×4, first 2 shown]
	s_or_b64 s[86:87], vcc, s[86:87]
	v_mov_b32_e32 v5, s95
	v_mov_b32_e32 v7, s93
	;; [unrolled: 1-line block ×4, first 2 shown]
	s_andn2_b64 exec, exec, s[86:87]
	s_cbranch_execnz .LBB85_64
; %bb.65:                               ;   in Loop: Header=BB85_17 Depth=1
	s_or_b64 exec, exec, s[86:87]
.LBB85_66:                              ;   in Loop: Header=BB85_17 Depth=1
	s_or_b64 exec, exec, s[84:85]
	v_mov_b32_e32 v22, s83
	v_add_co_u32_e32 v21, vcc, s82, v0
	v_addc_co_u32_e32 v22, vcc, 0, v22, vcc
	v_cmp_gt_u64_e32 vcc, s[24:25], v[21:22]
	s_and_saveexec_b64 s[12:13], vcc
	s_cbranch_execz .LBB85_72
; %bb.67:                               ;   in Loop: Header=BB85_17 Depth=1
	v_mov_b32_e32 v34, s50
	v_mov_b32_e32 v35, s51
	v_mad_u64_u32 v[34:35], s[6:7], v21, s40, v[34:35]
	v_mul_lo_u32 v36, v21, s41
	v_mul_lo_u32 v37, v22, s40
	s_mov_b64 s[10:11], 0
	v_add3_u32 v35, v37, v35, v36
	global_load_ubyte v35, v[34:35], off
	s_branch .LBB85_69
.LBB85_68:                              ;   in Loop: Header=BB85_69 Depth=2
	s_or_b64 exec, exec, s[14:15]
	s_waitcnt vmcnt(0)
	v_add_u32_sdwa v35, sext(v35), s22 dst_sel:DWORD dst_unused:UNUSED_PAD src0_sel:BYTE_0 src1_sel:DWORD
	s_and_b64 s[6:7], exec, vcc
	v_and_b32_e32 v36, v35, v32
	v_bfe_u32 v35, v35, s1, 2
	s_or_b64 s[10:11], s[6:7], s[10:11]
	v_cmp_eq_u32_e32 vcc, v36, v28
	v_cmp_eq_u32_e64 s[6:7], 0, v35
	s_and_b64 s[6:7], vcc, s[6:7]
	v_cndmask_b32_e64 v36, 0, 1, s[6:7]
	v_cmp_ne_u32_e64 s[6:7], 0, v36
	s_bcnt1_i32_b64 s6, s[6:7]
	v_add_co_u32_e64 v4, s[6:7], s6, v4
	v_addc_co_u32_e64 v5, s[6:7], 0, v5, s[6:7]
	v_cmp_eq_u32_e64 s[6:7], 1, v35
	s_and_b64 s[6:7], vcc, s[6:7]
	v_cndmask_b32_e64 v36, 0, 1, s[6:7]
	v_cmp_ne_u32_e64 s[6:7], 0, v36
	s_bcnt1_i32_b64 s6, s[6:7]
	v_add_co_u32_e64 v6, s[6:7], s6, v6
	v_addc_co_u32_e64 v7, s[6:7], 0, v7, s[6:7]
	;; [unrolled: 7-line block ×3, first 2 shown]
	v_cmp_eq_u32_e64 s[6:7], 3, v35
	s_and_b64 s[6:7], vcc, s[6:7]
	v_cndmask_b32_e64 v35, 0, 1, s[6:7]
	v_cmp_ne_u32_e32 vcc, 0, v35
	s_bcnt1_i32_b64 s6, vcc
	v_add_co_u32_e32 v10, vcc, s6, v10
	v_addc_co_u32_e32 v11, vcc, 0, v11, vcc
	v_mov_b32_e32 v35, v34
	s_andn2_b64 exec, exec, s[10:11]
	s_cbranch_execz .LBB85_71
.LBB85_69:                              ;   Parent Loop BB85_17 Depth=1
                                        ; =>  This Inner Loop Header: Depth=2
	v_add_co_u32_sdwa v21, vcc, v21, v2 dst_sel:DWORD dst_unused:UNUSED_PAD src0_sel:DWORD src1_sel:WORD_0
	v_addc_co_u32_e32 v22, vcc, 0, v22, vcc
	v_cmp_gt_u64_e64 s[6:7], s[24:25], v[21:22]
	v_cmp_le_u64_e32 vcc, s[24:25], v[21:22]
	v_mov_b32_e32 v34, 0
	s_and_saveexec_b64 s[14:15], s[6:7]
	s_cbranch_execz .LBB85_68
; %bb.70:                               ;   in Loop: Header=BB85_69 Depth=2
	v_mov_b32_e32 v36, s50
	v_mov_b32_e32 v37, s51
	v_mad_u64_u32 v[36:37], s[6:7], v21, s40, v[36:37]
	v_mul_lo_u32 v34, v21, s41
	v_mul_lo_u32 v38, v22, s40
	v_add3_u32 v37, v38, v37, v34
	global_load_ubyte v34, v[36:37], off
	s_branch .LBB85_68
.LBB85_71:                              ;   in Loop: Header=BB85_17 Depth=1
	s_or_b64 exec, exec, s[10:11]
.LBB85_72:                              ;   in Loop: Header=BB85_17 Depth=1
	s_or_b64 exec, exec, s[12:13]
	s_branch .LBB85_51
.LBB85_73:                              ;   in Loop: Header=BB85_17 Depth=1
	global_load_ushort v2, v3, s[60:61]
	v_mov_b32_e32 v8, 0
	v_mov_b32_e32 v9, 0
	s_waitcnt vmcnt(0)
	v_readfirstlane_b32 s6, v2
	s_and_b32 s10, 0xffff, s6
	s_lshl_b32 s11, s10, 2
	v_cvt_f32_u32_e32 v4, s11
	s_sub_i32 s6, 0, s11
	v_rcp_iflag_f32_e32 v6, v4
	v_mov_b32_e32 v4, 0
	v_mov_b32_e32 v5, 0
	v_mul_f32_e32 v6, 0x4f7ffffe, v6
	v_cvt_u32_f32_e32 v10, v6
	v_mov_b32_e32 v6, 0
	v_mov_b32_e32 v7, 0
	v_readfirstlane_b32 s7, v10
	s_mul_i32 s6, s6, s7
	s_mul_hi_u32 s6, s7, s6
	s_add_i32 s7, s7, s6
	s_mul_hi_u32 s6, s80, s7
	s_mul_i32 s7, s6, s11
	s_sub_i32 s7, s80, s7
	s_add_i32 s12, s6, 1
	s_sub_i32 s13, s7, s11
	s_cmp_ge_u32 s7, s11
	s_cselect_b32 s6, s12, s6
	s_cselect_b32 s7, s13, s7
	s_add_i32 s12, s6, 1
	s_cmp_ge_u32 s7, s11
	s_cselect_b32 s6, s12, s6
	s_mul_hi_u32 s83, s10, s6
	s_mul_i32 s82, s10, s6
	s_lshl_b64 s[84:85], s[82:83], 2
	v_cmp_gt_u64_e32 vcc, s[84:85], v[14:15]
	v_mov_b32_e32 v10, 0
	v_mov_b32_e32 v11, 0
	s_and_saveexec_b64 s[86:87], vcc
	s_cbranch_execz .LBB85_77
; %bb.74:                               ;   in Loop: Header=BB85_17 Depth=1
	v_mov_b32_e32 v22, v15
	s_mov_b64 s[88:89], 0
	v_mov_b32_e32 v34, v14
	s_mov_b64 s[90:91], 0
	s_mov_b64 s[92:93], 0
	;; [unrolled: 1-line block ×4, first 2 shown]
	v_mov_b32_e32 v21, v14
.LBB85_75:                              ;   Parent Loop BB85_17 Depth=1
                                        ; =>  This Inner Loop Header: Depth=2
	ds_read_b32 v4, v34
	v_add_u32_e32 v34, s11, v34
	s_waitcnt lgkmcnt(0)
	v_add_u32_sdwa v5, sext(v4), s22 dst_sel:DWORD dst_unused:UNUSED_PAD src0_sel:BYTE_0 src1_sel:DWORD
	v_add_u32_sdwa v6, sext(v4), s22 dst_sel:DWORD dst_unused:UNUSED_PAD src0_sel:BYTE_1 src1_sel:DWORD
	v_and_b32_e32 v8, v5, v32
	v_bfe_u32 v5, v5, s1, 2
	v_add_u32_sdwa v7, sext(v4), s22 dst_sel:DWORD dst_unused:UNUSED_PAD src0_sel:BYTE_2 src1_sel:DWORD
	v_cmp_eq_u32_e32 vcc, v8, v28
	v_and_b32_e32 v8, v6, v32
	v_bfe_u32 v6, v6, s1, 2
	v_cmp_eq_u32_e64 s[20:21], 0, v5
	v_add_u32_sdwa v4, sext(v4), s22 dst_sel:DWORD dst_unused:UNUSED_PAD src0_sel:BYTE_3 src1_sel:DWORD
	v_cmp_eq_u32_e64 s[6:7], v8, v28
	v_and_b32_e32 v8, v7, v32
	v_bfe_u32 v7, v7, s1, 2
	s_and_b64 s[12:13], vcc, s[20:21]
	v_cmp_eq_u32_e64 s[20:21], 0, v6
	v_cmp_eq_u32_e64 s[14:15], v8, v28
	v_and_b32_e32 v8, v4, v32
	v_bfe_u32 v4, v4, s1, 2
	s_and_b64 s[26:27], s[6:7], s[20:21]
	v_cmp_eq_u32_e64 s[20:21], 0, v7
	v_cmp_eq_u32_e64 s[18:19], v8, v28
	s_and_b64 s[28:29], s[14:15], s[20:21]
	v_cmp_eq_u32_e64 s[20:21], 0, v4
	v_cndmask_b32_e64 v8, 0, 1, s[12:13]
	s_and_b64 s[30:31], s[18:19], s[20:21]
	v_cmp_ne_u32_e64 s[20:21], 0, v8
	v_cndmask_b32_e64 v8, 0, 1, s[26:27]
	s_bcnt1_i32_b64 s12, s[20:21]
	v_cmp_ne_u32_e64 s[20:21], 0, v8
	v_cndmask_b32_e64 v8, 0, 1, s[28:29]
	s_bcnt1_i32_b64 s13, s[20:21]
	v_cmp_ne_u32_e64 s[20:21], 0, v8
	v_cndmask_b32_e64 v8, 0, 1, s[30:31]
	s_bcnt1_i32_b64 s26, s[20:21]
	v_cmp_ne_u32_e64 s[20:21], 0, v8
	s_bcnt1_i32_b64 s20, s[20:21]
	s_add_u32 s12, s12, s46
	s_addc_u32 s21, 0, s47
	s_add_u32 s12, s12, s13
	s_addc_u32 s13, s21, 0
	;; [unrolled: 2-line block ×3, first 2 shown]
	s_add_u32 s46, s12, s20
	v_cmp_eq_u32_e64 s[20:21], 1, v5
	s_addc_u32 s47, s13, 0
	s_and_b64 s[12:13], vcc, s[20:21]
	v_cmp_eq_u32_e64 s[20:21], 1, v6
	s_and_b64 s[26:27], s[6:7], s[20:21]
	v_cmp_eq_u32_e64 s[20:21], 1, v7
	s_and_b64 s[28:29], s[14:15], s[20:21]
	v_cmp_eq_u32_e64 s[20:21], 1, v4
	v_cndmask_b32_e64 v8, 0, 1, s[12:13]
	s_and_b64 s[30:31], s[18:19], s[20:21]
	v_cmp_ne_u32_e64 s[20:21], 0, v8
	v_cndmask_b32_e64 v8, 0, 1, s[26:27]
	s_bcnt1_i32_b64 s12, s[20:21]
	v_cmp_ne_u32_e64 s[20:21], 0, v8
	v_cndmask_b32_e64 v8, 0, 1, s[28:29]
	s_bcnt1_i32_b64 s13, s[20:21]
	;; [unrolled: 3-line block ×3, first 2 shown]
	v_cmp_ne_u32_e64 s[20:21], 0, v8
	s_bcnt1_i32_b64 s20, s[20:21]
	s_add_u32 s12, s12, s94
	s_addc_u32 s21, 0, s95
	s_add_u32 s12, s12, s13
	s_addc_u32 s13, s21, 0
	;; [unrolled: 2-line block ×3, first 2 shown]
	s_add_u32 s94, s12, s20
	v_cmp_eq_u32_e64 s[20:21], 2, v5
	s_addc_u32 s95, s13, 0
	s_and_b64 s[12:13], vcc, s[20:21]
	v_cmp_eq_u32_e64 s[20:21], 2, v6
	s_and_b64 s[26:27], s[6:7], s[20:21]
	v_cmp_eq_u32_e64 s[20:21], 2, v7
	s_and_b64 s[28:29], s[14:15], s[20:21]
	v_cmp_eq_u32_e64 s[20:21], 2, v4
	v_cndmask_b32_e64 v8, 0, 1, s[12:13]
	s_and_b64 s[30:31], s[18:19], s[20:21]
	v_cmp_ne_u32_e64 s[20:21], 0, v8
	v_cndmask_b32_e64 v8, 0, 1, s[26:27]
	s_bcnt1_i32_b64 s12, s[20:21]
	v_cmp_ne_u32_e64 s[20:21], 0, v8
	v_cndmask_b32_e64 v8, 0, 1, s[28:29]
	s_bcnt1_i32_b64 s13, s[20:21]
	;; [unrolled: 3-line block ×3, first 2 shown]
	v_cmp_ne_u32_e64 s[20:21], 0, v8
	s_bcnt1_i32_b64 s20, s[20:21]
	s_add_u32 s12, s12, s92
	s_addc_u32 s21, 0, s93
	s_add_u32 s12, s12, s13
	s_addc_u32 s13, s21, 0
	;; [unrolled: 2-line block ×3, first 2 shown]
	s_add_u32 s92, s12, s20
	v_cmp_eq_u32_e64 s[20:21], 3, v5
	s_addc_u32 s93, s13, 0
	s_and_b64 s[12:13], vcc, s[20:21]
	v_cmp_eq_u32_e32 vcc, 3, v6
	s_and_b64 s[6:7], s[6:7], vcc
	v_cmp_eq_u32_e32 vcc, 3, v7
	s_and_b64 s[14:15], s[14:15], vcc
	v_cmp_eq_u32_e32 vcc, 3, v4
	v_cndmask_b32_e64 v4, 0, 1, s[12:13]
	s_and_b64 s[18:19], s[18:19], vcc
	v_cmp_ne_u32_e32 vcc, 0, v4
	v_cndmask_b32_e64 v4, 0, 1, s[6:7]
	s_bcnt1_i32_b64 s12, vcc
	v_cmp_ne_u32_e32 vcc, 0, v4
	v_cndmask_b32_e64 v4, 0, 1, s[14:15]
	s_bcnt1_i32_b64 s6, vcc
	;; [unrolled: 3-line block ×3, first 2 shown]
	v_cmp_ne_u32_e32 vcc, 0, v4
	s_bcnt1_i32_b64 s13, vcc
	s_add_u32 s12, s12, s90
	s_addc_u32 s14, 0, s91
	s_add_u32 s6, s12, s6
	s_addc_u32 s12, s14, 0
	s_add_u32 s6, s6, s7
	v_add_co_u32_e32 v21, vcc, s11, v21
	s_addc_u32 s7, s12, 0
	v_addc_co_u32_e32 v22, vcc, 0, v22, vcc
	s_add_u32 s90, s6, s13
	v_cmp_le_u64_e32 vcc, s[84:85], v[21:22]
	s_addc_u32 s91, s7, 0
	v_mov_b32_e32 v4, s46
	v_mov_b32_e32 v6, s94
	;; [unrolled: 1-line block ×4, first 2 shown]
	s_or_b64 s[88:89], vcc, s[88:89]
	v_mov_b32_e32 v5, s47
	v_mov_b32_e32 v7, s95
	;; [unrolled: 1-line block ×4, first 2 shown]
	s_andn2_b64 exec, exec, s[88:89]
	s_cbranch_execnz .LBB85_75
; %bb.76:                               ;   in Loop: Header=BB85_17 Depth=1
	s_or_b64 exec, exec, s[88:89]
.LBB85_77:                              ;   in Loop: Header=BB85_17 Depth=1
	s_or_b64 exec, exec, s[86:87]
	v_mov_b32_e32 v22, s85
	v_add_co_u32_e32 v21, vcc, s84, v0
	s_and_b32 s52, s80, 0x7fffffff
	v_addc_co_u32_e32 v22, vcc, 0, v22, vcc
	v_cmp_gt_u64_e32 vcc, s[52:53], v[21:22]
	s_and_saveexec_b64 s[14:15], vcc
	s_cbranch_execz .LBB85_81
; %bb.78:                               ;   in Loop: Header=BB85_17 Depth=1
	v_lshl_add_u32 v34, s82, 2, v0
	s_mov_b64 s[18:19], 0
.LBB85_79:                              ;   Parent Loop BB85_17 Depth=1
                                        ; =>  This Inner Loop Header: Depth=2
	ds_read_i8 v35, v34
	v_add_u32_e32 v34, s10, v34
	s_waitcnt lgkmcnt(0)
	v_add_u32_e32 v35, 0x80, v35
	v_and_b32_e32 v36, v35, v32
	v_bfe_u32 v35, v35, s1, 2
	v_cmp_eq_u32_e32 vcc, v36, v28
	v_cmp_eq_u32_e64 s[6:7], 0, v35
	s_and_b64 s[6:7], vcc, s[6:7]
	v_cndmask_b32_e64 v36, 0, 1, s[6:7]
	v_cmp_ne_u32_e64 s[6:7], 0, v36
	s_bcnt1_i32_b64 s6, s[6:7]
	v_add_co_u32_e64 v4, s[6:7], s6, v4
	v_addc_co_u32_e64 v5, s[6:7], 0, v5, s[6:7]
	v_cmp_eq_u32_e64 s[6:7], 1, v35
	s_and_b64 s[6:7], vcc, s[6:7]
	v_cndmask_b32_e64 v36, 0, 1, s[6:7]
	v_cmp_ne_u32_e64 s[6:7], 0, v36
	s_bcnt1_i32_b64 s6, s[6:7]
	v_add_co_u32_e64 v6, s[6:7], s6, v6
	v_addc_co_u32_e64 v7, s[6:7], 0, v7, s[6:7]
	;; [unrolled: 7-line block ×3, first 2 shown]
	v_cmp_eq_u32_e64 s[6:7], 3, v35
	s_and_b64 s[6:7], vcc, s[6:7]
	v_cndmask_b32_e64 v35, 0, 1, s[6:7]
	v_cmp_ne_u32_e32 vcc, 0, v35
	s_bcnt1_i32_b64 s6, vcc
	v_add_co_u32_e32 v10, vcc, s6, v10
	v_addc_co_u32_e32 v11, vcc, 0, v11, vcc
	v_add_co_u32_sdwa v21, vcc, v21, v2 dst_sel:DWORD dst_unused:UNUSED_PAD src0_sel:DWORD src1_sel:WORD_0
	v_addc_co_u32_e32 v22, vcc, 0, v22, vcc
	v_cmp_le_u64_e32 vcc, s[52:53], v[21:22]
	s_or_b64 s[18:19], vcc, s[18:19]
	s_andn2_b64 exec, exec, s[18:19]
	s_cbranch_execnz .LBB85_79
; %bb.80:                               ;   in Loop: Header=BB85_17 Depth=1
	s_or_b64 exec, exec, s[18:19]
.LBB85_81:                              ;   in Loop: Header=BB85_17 Depth=1
	s_or_b64 exec, exec, s[14:15]
	s_lshl_b32 s10, s2, 6
	s_and_saveexec_b64 s[6:7], s[4:5]
	s_cbranch_execnz .LBB85_52
	s_branch .LBB85_53
.LBB85_82:                              ;   in Loop: Header=BB85_17 Depth=1
                                        ; implicit-def: $sgpr6_sgpr7
	s_branch .LBB85_61
.LBB85_83:                              ;   in Loop: Header=BB85_17 Depth=1
	v_mov_b32_e32 v4, 0
	v_mov_b32_e32 v5, 0
	s_mov_b32 s11, 0
.LBB85_84:                              ;   in Loop: Header=BB85_17 Depth=1
	v_readlane_b32 s12, v55, 38
	v_readlane_b32 s13, v55, 39
	s_andn2_b64 vcc, exec, s[12:13]
	s_cbranch_vccnz .LBB85_87
; %bb.85:                               ;   in Loop: Header=BB85_17 Depth=1
	s_lshl_b32 s12, s2, 9
	s_lshl_b32 s11, s11, 5
	s_add_i32 s12, s12, s11
	v_add_u32_e32 v2, s12, v29
	v_readlane_b32 s11, v55, 37
.LBB85_86:                              ;   Parent Loop BB85_17 Depth=1
                                        ; =>  This Inner Loop Header: Depth=2
	ds_read_b64 v[6:7], v2
	s_add_i32 s11, s11, -1
	v_add_u32_e32 v2, 32, v2
	s_cmp_lg_u32 s11, 0
	s_waitcnt lgkmcnt(0)
	v_add_co_u32_e32 v4, vcc, v6, v4
	v_addc_co_u32_e32 v5, vcc, v7, v5, vcc
	s_cbranch_scc1 .LBB85_86
.LBB85_87:                              ;   in Loop: Header=BB85_17 Depth=1
	v_add_lshl_u32 v2, s10, v23, 3
	ds_write_b64 v2, v[4:5] offset:3072
.LBB85_88:                              ;   in Loop: Header=BB85_17 Depth=1
	s_or_b64 exec, exec, s[6:7]
	s_lshl_b32 s6, s10, 3
	v_mov_b32_e32 v2, s6
	s_waitcnt lgkmcnt(0)
	s_barrier
	ds_read_b128 v[8:11], v2 offset:3088
	ds_read_b128 v[4:7], v2 offset:3072
	v_cmp_eq_u64_e64 s[6:7], 1, v[19:20]
	s_lshl_b32 s56, 3, s1
	s_not_b32 s42, s56
	s_waitcnt lgkmcnt(1)
	v_readfirstlane_b32 s82, v8
	s_waitcnt lgkmcnt(0)
	v_cmp_eq_u64_e32 vcc, 1, v[4:5]
	v_readfirstlane_b32 s83, v9
	v_readfirstlane_b32 s14, v10
	;; [unrolled: 1-line block ×3, first 2 shown]
	s_and_b64 s[20:21], vcc, s[6:7]
	s_mov_b64 s[6:7], -1
	s_mov_b64 s[10:11], -1
                                        ; implicit-def: $sgpr30_sgpr31
                                        ; implicit-def: $sgpr28_sgpr29
	s_and_saveexec_b64 s[18:19], s[20:21]
	s_cbranch_execz .LBB85_120
; %bb.89:                               ;   in Loop: Header=BB85_17 Depth=1
	ds_read_b64 v[8:9], v3 offset:5120
	s_waitcnt lgkmcnt(0)
	s_barrier
	v_readfirstlane_b32 s34, v8
	v_readfirstlane_b32 s35, v9
	s_and_saveexec_b64 s[10:11], s[16:17]
; %bb.90:                               ;   in Loop: Header=BB85_17 Depth=1
	ds_write_b8 v0, v3 offset:3072
; %bb.91:                               ;   in Loop: Header=BB85_17 Depth=1
	s_or_b64 exec, exec, s[10:11]
	v_and_b32_e32 v28, s42, v28
	v_or_b32_e32 v32, s56, v32
	s_mov_b64 s[28:29], -1
	s_mov_b64 s[30:31], 0
	s_cmp_eq_u64 s[34:35], 0
	s_mov_b64 s[12:13], 0
	s_mov_b64 s[10:11], -1
	s_waitcnt lgkmcnt(0)
	s_barrier
                                        ; implicit-def: $vgpr33
	s_cbranch_scc1 .LBB85_105
; %bb.92:                               ;   in Loop: Header=BB85_17 Depth=1
	s_add_u32 s36, s34, s57
	v_readlane_b32 s10, v55, 30
	s_addc_u32 s13, s35, s10
	s_mov_b32 s12, s53
	s_cmp_lg_u64 s[12:13], 0
	s_cbranch_scc0 .LBB85_146
; %bb.93:                               ;   in Loop: Header=BB85_17 Depth=1
	v_cvt_f32_u32_e32 v2, s23
	s_sub_u32 s12, 0, s23
	s_subb_u32 s26, 0, 0
	v_mac_f32_e32 v2, 0, v30
	v_rcp_f32_e32 v2, v2
	v_mul_f32_e32 v2, 0x5f7ffffc, v2
	v_mul_f32_e32 v8, 0x2f800000, v2
	v_trunc_f32_e32 v8, v8
	v_mac_f32_e32 v2, 0xcf800000, v8
	v_cvt_u32_f32_e32 v8, v8
	v_cvt_u32_f32_e32 v2, v2
	v_readfirstlane_b32 s27, v8
	v_readfirstlane_b32 s10, v2
	s_mul_i32 s11, s12, s27
	s_mul_hi_u32 s38, s12, s10
	s_mul_i32 s37, s26, s10
	s_add_i32 s11, s38, s11
	s_mul_i32 s39, s12, s10
	s_add_i32 s11, s11, s37
	s_mul_hi_u32 s38, s10, s39
	s_mul_i32 s43, s10, s11
	s_mul_hi_u32 s37, s10, s11
	s_add_u32 s38, s38, s43
	s_addc_u32 s37, 0, s37
	s_mul_hi_u32 s44, s27, s39
	s_mul_i32 s39, s27, s39
	s_add_u32 s38, s38, s39
	s_mul_hi_u32 s43, s27, s11
	s_addc_u32 s37, s37, s44
	s_addc_u32 s38, s43, 0
	s_mul_i32 s11, s27, s11
	s_add_u32 s11, s37, s11
	s_addc_u32 s37, 0, s38
	s_add_u32 s38, s10, s11
	s_cselect_b64 s[10:11], -1, 0
	s_cmp_lg_u64 s[10:11], 0
	s_addc_u32 s27, s27, s37
	s_mul_i32 s10, s12, s27
	s_mul_hi_u32 s11, s12, s38
	s_add_i32 s10, s11, s10
	s_mul_i32 s26, s26, s38
	s_add_i32 s10, s10, s26
	s_mul_i32 s12, s12, s38
	s_mul_hi_u32 s26, s27, s12
	s_mul_i32 s37, s27, s12
	s_mul_i32 s43, s38, s10
	s_mul_hi_u32 s12, s38, s12
	s_mul_hi_u32 s39, s38, s10
	s_add_u32 s12, s12, s43
	s_addc_u32 s39, 0, s39
	s_add_u32 s12, s12, s37
	s_mul_hi_u32 s11, s27, s10
	s_addc_u32 s12, s39, s26
	s_addc_u32 s11, s11, 0
	s_mul_i32 s10, s27, s10
	s_add_u32 s10, s12, s10
	s_addc_u32 s12, 0, s11
	s_add_u32 s26, s38, s10
	s_cselect_b64 s[10:11], -1, 0
	s_cmp_lg_u64 s[10:11], 0
	s_addc_u32 s10, s27, s12
	s_mul_i32 s12, s36, s10
	s_mul_hi_u32 s27, s36, s26
	s_mul_hi_u32 s11, s36, s10
	s_add_u32 s12, s27, s12
	s_addc_u32 s11, 0, s11
	s_mul_hi_u32 s37, s13, s26
	s_mul_i32 s26, s13, s26
	s_add_u32 s12, s12, s26
	s_mul_hi_u32 s27, s13, s10
	s_addc_u32 s11, s11, s37
	s_addc_u32 s12, s27, 0
	s_mul_i32 s10, s13, s10
	s_add_u32 s10, s11, s10
	s_addc_u32 s11, 0, s12
	s_mul_i32 s11, s23, s11
	s_mul_hi_u32 s12, s23, s10
	s_add_i32 s12, s12, s11
	s_mul_i32 s10, s23, s10
	s_sub_u32 s26, s36, s10
	s_cselect_b64 s[10:11], -1, 0
	s_cmp_lg_u64 s[10:11], 0
	s_subb_u32 s12, s13, s12
	s_sub_u32 s27, s26, s23
	s_cselect_b64 s[10:11], -1, 0
	s_cmp_lg_u64 s[10:11], 0
	s_subb_u32 s37, s12, 0
	s_sub_u32 s38, s27, s23
	s_cselect_b64 s[10:11], -1, 0
	s_cmp_lg_u64 s[10:11], 0
	s_subb_u32 s10, s37, 0
	s_cmp_ge_u32 s27, s23
	s_cselect_b32 s11, -1, 0
	s_cmp_eq_u32 s37, 0
	s_cselect_b32 s11, s11, -1
	s_cmp_lg_u32 s11, 0
	s_cselect_b32 s10, s10, s37
	s_cselect_b32 s27, s38, s27
	s_cmp_ge_u32 s26, s23
	s_cselect_b32 s11, -1, 0
	s_cmp_eq_u32 s12, 0
	s_cselect_b32 s11, s11, -1
	s_cmp_lg_u32 s11, 0
	s_cselect_b32 s11, s10, s12
	s_cselect_b32 s10, s27, s26
	s_cbranch_execnz .LBB85_95
.LBB85_94:                              ;   in Loop: Header=BB85_17 Depth=1
	v_cvt_f32_u32_e32 v2, s23
	s_sub_i32 s10, 0, s23
	v_rcp_iflag_f32_e32 v2, v2
	v_mul_f32_e32 v2, 0x4f7ffffe, v2
	v_cvt_u32_f32_e32 v2, v2
	v_readfirstlane_b32 s11, v2
	s_mul_i32 s10, s10, s11
	s_mul_hi_u32 s10, s11, s10
	s_add_i32 s11, s11, s10
	s_mul_hi_u32 s10, s36, s11
	s_mul_i32 s10, s10, s23
	s_sub_i32 s10, s36, s10
	s_sub_i32 s11, s10, s23
	s_cmp_ge_u32 s10, s23
	s_cselect_b32 s10, s11, s10
	s_sub_i32 s11, s10, s23
	s_cmp_ge_u32 s10, s23
	s_cselect_b32 s52, s11, s10
	s_mov_b64 s[10:11], s[52:53]
.LBB85_95:                              ;   in Loop: Header=BB85_17 Depth=1
	s_sub_u32 s38, s36, s10
	s_subb_u32 s39, s13, s11
	v_cmp_gt_u64_e32 vcc, s[38:39], v[0:1]
	s_mov_b64 s[10:11], 0
	s_mov_b64 s[12:13], 0
                                        ; implicit-def: $vgpr33
	s_and_saveexec_b64 s[36:37], vcc
	s_cbranch_execz .LBB85_104
; %bb.96:                               ;   in Loop: Header=BB85_17 Depth=1
	v_mov_b32_e32 v9, v1
	v_mov_b32_e32 v2, v0
	;; [unrolled: 1-line block ×3, first 2 shown]
                                        ; implicit-def: $sgpr44_sgpr45
	s_branch .LBB85_99
.LBB85_97:                              ;   in Loop: Header=BB85_99 Depth=2
	s_or_b64 exec, exec, s[26:27]
	s_waitcnt lgkmcnt(0)
	s_barrier
	ds_read_u16 v10, v3 offset:3072
	s_mov_b64 s[26:27], -1
	s_waitcnt lgkmcnt(0)
	s_barrier
	v_cmp_ne_u32_sdwa s[46:47], v10, v3 src0_sel:BYTE_0 src1_sel:DWORD
	s_and_b64 vcc, exec, s[46:47]
	s_mov_b64 s[46:47], -1
	s_cbranch_vccz .LBB85_102
.LBB85_98:                              ;   in Loop: Header=BB85_99 Depth=2
	s_and_b64 s[26:27], exec, s[26:27]
	s_or_b64 s[12:13], s[26:27], s[12:13]
	s_andn2_b64 s[26:27], s[44:45], exec
	s_and_b64 s[44:45], s[46:47], exec
	s_or_b64 s[44:45], s[26:27], s[44:45]
	s_andn2_b64 exec, exec, s[12:13]
	s_cbranch_execz .LBB85_103
.LBB85_99:                              ;   Parent Loop BB85_17 Depth=1
                                        ; =>  This Inner Loop Header: Depth=2
	v_cmp_gt_u64_e32 vcc, s[34:35], v[8:9]
	s_and_saveexec_b64 s[26:27], vcc
	s_cbranch_execz .LBB85_97
; %bb.100:                              ;   in Loop: Header=BB85_99 Depth=2
	ds_read_u8 v10, v2
	s_waitcnt lgkmcnt(0)
	v_add_u32_sdwa v11, sext(v10), s22 dst_sel:DWORD dst_unused:UNUSED_PAD src0_sel:BYTE_0 src1_sel:DWORD
	v_and_b32_e32 v11, v11, v32
	v_cmp_eq_u32_e32 vcc, v11, v28
	s_and_b64 exec, exec, vcc
	s_cbranch_execz .LBB85_97
; %bb.101:                              ;   in Loop: Header=BB85_99 Depth=2
	v_lshlrev_b16_e32 v10, 8, v10
	v_or_b32_e32 v10, 1, v10
	ds_write_b16 v3, v10 offset:3072
	s_branch .LBB85_97
.LBB85_102:                             ;   in Loop: Header=BB85_99 Depth=2
	v_add_co_u32_e32 v8, vcc, s23, v8
	v_addc_co_u32_e32 v9, vcc, 0, v9, vcc
	v_cmp_le_u64_e32 vcc, s[38:39], v[8:9]
	v_add_u32_e32 v2, s23, v2
	s_mov_b64 s[46:47], 0
	s_orn2_b64 s[26:27], vcc, exec
	s_branch .LBB85_98
.LBB85_103:                             ;   in Loop: Header=BB85_17 Depth=1
	s_or_b64 exec, exec, s[12:13]
	v_lshrrev_b32_sdwa v33, v31, v10 dst_sel:DWORD dst_unused:UNUSED_PAD src0_sel:DWORD src1_sel:WORD_0
	s_and_b64 s[12:13], s[44:45], exec
.LBB85_104:                             ;   in Loop: Header=BB85_17 Depth=1
	s_or_b64 exec, exec, s[36:37]
.LBB85_105:                             ;   in Loop: Header=BB85_17 Depth=1
	s_and_b64 vcc, exec, s[10:11]
	s_cbranch_vccz .LBB85_119
; %bb.106:                              ;   in Loop: Header=BB85_17 Depth=1
	s_mov_b32 s58, s53
	s_cmp_lg_u64 s[58:59], 0
	s_cbranch_scc0 .LBB85_150
; %bb.107:                              ;   in Loop: Header=BB85_17 Depth=1
	v_cvt_f32_u32_e32 v2, s23
	s_sub_u32 s26, 0, s23
	s_subb_u32 s27, 0, 0
	v_mac_f32_e32 v2, 0, v30
	v_rcp_f32_e32 v2, v2
	v_mul_f32_e32 v2, 0x5f7ffffc, v2
	v_mul_f32_e32 v8, 0x2f800000, v2
	v_trunc_f32_e32 v8, v8
	v_mac_f32_e32 v2, 0xcf800000, v8
	v_cvt_u32_f32_e32 v8, v8
	v_cvt_u32_f32_e32 v2, v2
	v_readfirstlane_b32 s28, v8
	v_readfirstlane_b32 s10, v2
	s_mul_i32 s11, s26, s28
	s_mul_hi_u32 s30, s26, s10
	s_mul_i32 s29, s27, s10
	s_add_i32 s11, s30, s11
	s_mul_i32 s31, s26, s10
	s_add_i32 s11, s11, s29
	s_mul_hi_u32 s30, s10, s31
	s_mul_i32 s34, s10, s11
	s_mul_hi_u32 s29, s10, s11
	s_add_u32 s30, s30, s34
	s_addc_u32 s29, 0, s29
	s_mul_hi_u32 s35, s28, s31
	s_mul_i32 s31, s28, s31
	s_add_u32 s30, s30, s31
	s_mul_hi_u32 s34, s28, s11
	s_addc_u32 s29, s29, s35
	s_addc_u32 s30, s34, 0
	s_mul_i32 s11, s28, s11
	s_add_u32 s11, s29, s11
	s_addc_u32 s29, 0, s30
	s_add_u32 s30, s10, s11
	s_cselect_b64 s[10:11], -1, 0
	s_cmp_lg_u64 s[10:11], 0
	s_addc_u32 s28, s28, s29
	s_mul_i32 s10, s26, s28
	s_mul_hi_u32 s11, s26, s30
	s_add_i32 s10, s11, s10
	s_mul_i32 s27, s27, s30
	s_add_i32 s10, s10, s27
	s_mul_i32 s26, s26, s30
	s_mul_hi_u32 s27, s28, s26
	s_mul_i32 s29, s28, s26
	s_mul_i32 s34, s30, s10
	s_mul_hi_u32 s26, s30, s26
	s_mul_hi_u32 s31, s30, s10
	s_add_u32 s26, s26, s34
	s_addc_u32 s31, 0, s31
	s_add_u32 s26, s26, s29
	s_mul_hi_u32 s11, s28, s10
	s_addc_u32 s26, s31, s27
	s_addc_u32 s11, s11, 0
	s_mul_i32 s10, s28, s10
	s_add_u32 s10, s26, s10
	s_addc_u32 s26, 0, s11
	s_add_u32 s27, s30, s10
	s_cselect_b64 s[10:11], -1, 0
	s_cmp_lg_u64 s[10:11], 0
	s_addc_u32 s10, s28, s26
	s_mul_i32 s26, s3, s10
	s_mul_hi_u32 s28, s3, s27
	s_mul_hi_u32 s11, s3, s10
	s_add_u32 s26, s28, s26
	s_addc_u32 s11, 0, s11
	s_mul_hi_u32 s29, s59, s27
	s_mul_i32 s27, s59, s27
	s_add_u32 s26, s26, s27
	s_mul_hi_u32 s28, s59, s10
	s_addc_u32 s11, s11, s29
	s_addc_u32 s26, s28, 0
	s_mul_i32 s10, s59, s10
	s_add_u32 s10, s11, s10
	s_addc_u32 s11, 0, s26
	s_mul_i32 s11, s23, s11
	s_mul_hi_u32 s26, s23, s10
	s_add_i32 s26, s26, s11
	s_mul_i32 s10, s23, s10
	s_sub_u32 s27, s3, s10
	s_cselect_b64 s[10:11], -1, 0
	s_cmp_lg_u64 s[10:11], 0
	s_subb_u32 s26, s59, s26
	s_sub_u32 s28, s27, s23
	s_cselect_b64 s[10:11], -1, 0
	s_cmp_lg_u64 s[10:11], 0
	s_subb_u32 s29, s26, 0
	;; [unrolled: 4-line block ×3, first 2 shown]
	s_cmp_ge_u32 s28, s23
	s_cselect_b32 s11, -1, 0
	s_cmp_eq_u32 s29, 0
	s_cselect_b32 s11, s11, -1
	s_cmp_lg_u32 s11, 0
	s_cselect_b32 s10, s10, s29
	s_cselect_b32 s28, s30, s28
	s_cmp_ge_u32 s27, s23
	s_cselect_b32 s11, -1, 0
	s_cmp_eq_u32 s26, 0
	s_cselect_b32 s11, s11, -1
	s_cmp_lg_u32 s11, 0
	s_cselect_b32 s11, s10, s26
	s_cselect_b32 s10, s28, s27
	s_cbranch_execnz .LBB85_109
.LBB85_108:                             ;   in Loop: Header=BB85_17 Depth=1
	v_cvt_f32_u32_e32 v2, s23
	s_sub_i32 s10, 0, s23
	v_rcp_iflag_f32_e32 v2, v2
	v_mul_f32_e32 v2, 0x4f7ffffe, v2
	v_cvt_u32_f32_e32 v2, v2
	v_readfirstlane_b32 s11, v2
	s_mul_i32 s10, s10, s11
	s_mul_hi_u32 s10, s11, s10
	s_add_i32 s11, s11, s10
	s_mul_hi_u32 s10, s3, s11
	s_mul_i32 s10, s10, s23
	s_sub_i32 s10, s3, s10
	s_sub_i32 s11, s10, s23
	s_cmp_ge_u32 s10, s23
	s_cselect_b32 s10, s11, s10
	s_sub_i32 s11, s10, s23
	s_cmp_ge_u32 s10, s23
	s_cselect_b32 s52, s11, s10
	s_mov_b64 s[10:11], s[52:53]
.LBB85_109:                             ;   in Loop: Header=BB85_17 Depth=1
	s_sub_u32 s28, s3, s10
	s_subb_u32 s29, s59, s11
	v_cmp_gt_u64_e32 vcc, s[28:29], v[0:1]
                                        ; implicit-def: $vgpr33
	s_and_saveexec_b64 s[10:11], vcc
	s_cbranch_execz .LBB85_118
; %bb.110:                              ;   in Loop: Header=BB85_17 Depth=1
	v_mov_b32_e32 v9, v1
	s_mov_b64 s[30:31], 0
	v_mov_b32_e32 v8, v0
                                        ; implicit-def: $sgpr34_sgpr35
	s_branch .LBB85_113
.LBB85_111:                             ;   in Loop: Header=BB85_113 Depth=2
	s_or_b64 exec, exec, s[36:37]
	s_waitcnt lgkmcnt(0)
	s_barrier
	ds_read_u16 v2, v3 offset:3072
	s_mov_b64 s[26:27], -1
	s_waitcnt lgkmcnt(0)
	s_barrier
	v_cmp_ne_u32_sdwa s[36:37], v2, v3 src0_sel:BYTE_0 src1_sel:DWORD
	s_and_b64 vcc, exec, s[36:37]
	s_mov_b64 s[36:37], -1
	s_cbranch_vccz .LBB85_116
.LBB85_112:                             ;   in Loop: Header=BB85_113 Depth=2
	s_and_b64 s[26:27], exec, s[26:27]
	s_or_b64 s[30:31], s[26:27], s[30:31]
	s_andn2_b64 s[26:27], s[34:35], exec
	s_and_b64 s[34:35], s[36:37], exec
	s_or_b64 s[34:35], s[26:27], s[34:35]
	s_andn2_b64 exec, exec, s[30:31]
	s_cbranch_execz .LBB85_117
.LBB85_113:                             ;   Parent Loop BB85_17 Depth=1
                                        ; =>  This Inner Loop Header: Depth=2
	v_cmp_gt_u64_e32 vcc, s[24:25], v[8:9]
	s_and_saveexec_b64 s[36:37], vcc
	s_cbranch_execz .LBB85_111
; %bb.114:                              ;   in Loop: Header=BB85_113 Depth=2
	v_mov_b32_e32 v10, s50
	v_mov_b32_e32 v11, s51
	v_mad_u64_u32 v[10:11], s[26:27], v8, s40, v[10:11]
	v_mul_lo_u32 v2, v8, s41
	v_mul_lo_u32 v21, v9, s40
	v_add3_u32 v11, v21, v11, v2
	global_load_ubyte v2, v[10:11], off
	s_waitcnt vmcnt(0)
	v_add_u32_sdwa v10, sext(v2), s22 dst_sel:DWORD dst_unused:UNUSED_PAD src0_sel:BYTE_0 src1_sel:DWORD
	v_and_b32_e32 v10, v10, v32
	v_cmp_eq_u32_e32 vcc, v10, v28
	s_and_b64 exec, exec, vcc
	s_cbranch_execz .LBB85_111
; %bb.115:                              ;   in Loop: Header=BB85_113 Depth=2
	v_lshlrev_b16_e32 v2, 8, v2
	v_or_b32_e32 v2, 1, v2
	ds_write_b16 v3, v2 offset:3072
	s_branch .LBB85_111
.LBB85_116:                             ;   in Loop: Header=BB85_113 Depth=2
	v_add_co_u32_e32 v8, vcc, s23, v8
	v_addc_co_u32_e32 v9, vcc, 0, v9, vcc
	v_cmp_le_u64_e32 vcc, s[28:29], v[8:9]
	s_mov_b64 s[36:37], 0
	s_orn2_b64 s[26:27], vcc, exec
	s_branch .LBB85_112
.LBB85_117:                             ;   in Loop: Header=BB85_17 Depth=1
	s_or_b64 exec, exec, s[30:31]
	s_andn2_b64 s[12:13], s[12:13], exec
	s_and_b64 s[26:27], s[34:35], exec
	v_lshrrev_b32_sdwa v33, v31, v2 dst_sel:DWORD dst_unused:UNUSED_PAD src0_sel:DWORD src1_sel:WORD_0
	s_or_b64 s[12:13], s[12:13], s[26:27]
.LBB85_118:                             ;   in Loop: Header=BB85_17 Depth=1
	s_or_b64 exec, exec, s[10:11]
	s_mov_b64 s[28:29], 0
	s_mov_b64 s[30:31], -1
.LBB85_119:                             ;   in Loop: Header=BB85_17 Depth=1
	s_orn2_b64 s[10:11], s[12:13], exec
.LBB85_120:                             ;   in Loop: Header=BB85_17 Depth=1
	s_or_b64 exec, exec, s[18:19]
	s_andn2_b64 s[12:13], s[78:79], exec
	s_and_b64 s[18:19], s[30:31], exec
	s_or_b64 s[78:79], s[12:13], s[18:19]
	s_andn2_b64 s[12:13], s[76:77], exec
	s_and_b64 s[18:19], s[28:29], exec
	s_andn2_b64 s[74:75], s[74:75], exec
	s_or_b64 s[76:77], s[12:13], s[18:19]
                                        ; implicit-def: $vgpr8_vgpr9
	s_and_saveexec_b64 s[18:19], s[10:11]
	s_cbranch_execz .LBB85_16
; %bb.121:                              ;   in Loop: Header=BB85_17 Depth=1
	v_mov_b32_e32 v8, 1
	s_xor_b64 s[10:11], s[20:21], -1
	v_mov_b32_e32 v2, 1
	v_mov_b32_e32 v9, 0
	s_mov_b64 s[12:13], 0
	s_and_saveexec_b64 s[6:7], s[10:11]
	s_cbranch_execz .LBB85_130
; %bb.122:                              ;   in Loop: Header=BB85_17 Depth=1
	v_cmp_le_u64_e32 vcc, v[19:20], v[4:5]
	s_and_saveexec_b64 s[10:11], vcc
	s_xor_b64 s[10:11], exec, s[10:11]
	s_cbranch_execz .LBB85_127
; %bb.123:                              ;   in Loop: Header=BB85_17 Depth=1
	ds_read_b64 v[8:9], v3 offset:5120
	v_and_b32_e32 v28, s42, v28
	v_or_b32_e32 v32, s56, v32
	s_waitcnt lgkmcnt(0)
	v_cmp_ne_u64_e32 vcc, 0, v[8:9]
	s_cbranch_vccnz .LBB85_127
; %bb.124:                              ;   in Loop: Header=BB85_17 Depth=1
	s_mov_b64 s[12:13], exec
	v_readlane_b32 s20, v55, 8
	v_readlane_b32 s21, v55, 9
	s_and_b64 s[20:21], s[12:13], s[20:21]
	s_mov_b64 exec, s[20:21]
; %bb.125:                              ;   in Loop: Header=BB85_17 Depth=1
	ds_write_b64 v3, v[4:5] offset:5128
; %bb.126:                              ;   in Loop: Header=BB85_17 Depth=1
	s_or_b64 exec, exec, s[12:13]
	s_waitcnt lgkmcnt(0)
	s_barrier
.LBB85_127:                             ;   in Loop: Header=BB85_17 Depth=1
	s_or_saveexec_b64 s[10:11], s[10:11]
	s_mov_b64 s[12:13], 0
	v_mov_b32_e32 v2, 8
	s_xor_b64 exec, exec, s[10:11]
; %bb.128:                              ;   in Loop: Header=BB85_17 Depth=1
	v_sub_co_u32_e32 v19, vcc, v19, v4
	s_mov_b64 s[12:13], exec
	v_subb_co_u32_e32 v20, vcc, v20, v5, vcc
	v_mov_b32_e32 v2, 0
; %bb.129:                              ;   in Loop: Header=BB85_17 Depth=1
	s_or_b64 exec, exec, s[10:11]
	v_mov_b32_e32 v8, v19
	s_and_b64 s[12:13], s[12:13], exec
	v_mov_b32_e32 v9, v20
.LBB85_130:                             ;   in Loop: Header=BB85_17 Depth=1
	s_or_b64 exec, exec, s[6:7]
	s_mov_b64 s[20:21], -1
	s_mov_b64 s[10:11], -1
                                        ; implicit-def: $sgpr6_sgpr7
                                        ; implicit-def: $sgpr84_sgpr85
	s_and_saveexec_b64 s[26:27], s[12:13]
	s_xor_b64 s[80:81], exec, s[26:27]
	s_cbranch_execz .LBB85_275
; %bb.131:                              ;   in Loop: Header=BB85_17 Depth=1
	v_cmp_eq_u64_e32 vcc, 1, v[6:7]
	v_cmp_eq_u64_e64 s[6:7], 1, v[8:9]
                                        ; implicit-def: $sgpr84_sgpr85
	s_and_b64 s[46:47], vcc, s[6:7]
                                        ; implicit-def: $sgpr6_sgpr7
	s_and_saveexec_b64 s[86:87], s[46:47]
	s_cbranch_execz .LBB85_168
; %bb.132:                              ;   in Loop: Header=BB85_17 Depth=1
	ds_read_b64 v[4:5], v3 offset:5120
	s_waitcnt lgkmcnt(0)
	s_barrier
	v_readfirstlane_b32 s12, v4
	v_readfirstlane_b32 s13, v5
	s_and_saveexec_b64 s[6:7], s[16:17]
; %bb.133:                              ;   in Loop: Header=BB85_17 Depth=1
	ds_write_b8 v0, v3 offset:3072
; %bb.134:                              ;   in Loop: Header=BB85_17 Depth=1
	s_or_b64 exec, exec, s[6:7]
	v_and_b32_e32 v4, s42, v28
	v_lshl_or_b32 v28, 1, s1, v4
	v_or_b32_e32 v32, s56, v32
	s_mov_b64 s[6:7], -1
	s_mov_b64 s[84:85], 0
	s_cmp_eq_u64 s[12:13], 0
	s_mov_b64 s[28:29], 0
	s_mov_b64 s[30:31], -1
	s_waitcnt lgkmcnt(0)
	s_barrier
                                        ; implicit-def: $vgpr33
	s_cbranch_scc1 .LBB85_153
; %bb.135:                              ;   in Loop: Header=BB85_17 Depth=1
	s_add_u32 s30, s12, s57
	v_readlane_b32 s10, v55, 30
	s_addc_u32 s29, s13, s10
	s_mov_b32 s28, s53
	s_cmp_lg_u64 s[28:29], 0
	s_cbranch_scc0 .LBB85_195
; %bb.136:                              ;   in Loop: Header=BB85_17 Depth=1
	v_cvt_f32_u32_e32 v4, s23
	s_sub_u32 s26, 0, s23
	s_subb_u32 s27, 0, 0
	v_mac_f32_e32 v4, 0, v30
	v_rcp_f32_e32 v4, v4
	v_mul_f32_e32 v4, 0x5f7ffffc, v4
	v_mul_f32_e32 v5, 0x2f800000, v4
	v_trunc_f32_e32 v5, v5
	v_mac_f32_e32 v4, 0xcf800000, v5
	v_cvt_u32_f32_e32 v5, v5
	v_cvt_u32_f32_e32 v4, v4
	v_readfirstlane_b32 s28, v5
	v_readfirstlane_b32 s10, v4
	s_mul_i32 s11, s26, s28
	s_mul_hi_u32 s34, s26, s10
	s_mul_i32 s31, s27, s10
	s_add_i32 s11, s34, s11
	s_mul_i32 s35, s26, s10
	s_add_i32 s11, s11, s31
	s_mul_hi_u32 s34, s10, s35
	s_mul_i32 s36, s10, s11
	s_mul_hi_u32 s31, s10, s11
	s_add_u32 s34, s34, s36
	s_addc_u32 s31, 0, s31
	s_mul_hi_u32 s37, s28, s35
	s_mul_i32 s35, s28, s35
	s_add_u32 s34, s34, s35
	s_mul_hi_u32 s36, s28, s11
	s_addc_u32 s31, s31, s37
	s_addc_u32 s34, s36, 0
	s_mul_i32 s11, s28, s11
	s_add_u32 s11, s31, s11
	s_addc_u32 s31, 0, s34
	s_add_u32 s34, s10, s11
	s_cselect_b64 s[10:11], -1, 0
	s_cmp_lg_u64 s[10:11], 0
	s_addc_u32 s28, s28, s31
	s_mul_i32 s10, s26, s28
	s_mul_hi_u32 s11, s26, s34
	s_add_i32 s10, s11, s10
	s_mul_i32 s27, s27, s34
	s_add_i32 s10, s10, s27
	s_mul_i32 s26, s26, s34
	s_mul_hi_u32 s27, s28, s26
	s_mul_i32 s31, s28, s26
	s_mul_i32 s36, s34, s10
	s_mul_hi_u32 s26, s34, s26
	s_mul_hi_u32 s35, s34, s10
	s_add_u32 s26, s26, s36
	s_addc_u32 s35, 0, s35
	s_add_u32 s26, s26, s31
	s_mul_hi_u32 s11, s28, s10
	s_addc_u32 s26, s35, s27
	s_addc_u32 s11, s11, 0
	s_mul_i32 s10, s28, s10
	s_add_u32 s10, s26, s10
	s_addc_u32 s26, 0, s11
	s_add_u32 s27, s34, s10
	s_cselect_b64 s[10:11], -1, 0
	s_cmp_lg_u64 s[10:11], 0
	s_addc_u32 s10, s28, s26
	s_mul_i32 s26, s30, s10
	s_mul_hi_u32 s28, s30, s27
	s_mul_hi_u32 s11, s30, s10
	s_add_u32 s26, s28, s26
	s_addc_u32 s11, 0, s11
	s_mul_hi_u32 s31, s29, s27
	s_mul_i32 s27, s29, s27
	s_add_u32 s26, s26, s27
	s_mul_hi_u32 s28, s29, s10
	s_addc_u32 s11, s11, s31
	s_addc_u32 s26, s28, 0
	s_mul_i32 s10, s29, s10
	s_add_u32 s10, s11, s10
	s_addc_u32 s11, 0, s26
	s_mul_i32 s11, s23, s11
	s_mul_hi_u32 s26, s23, s10
	s_add_i32 s26, s26, s11
	s_mul_i32 s10, s23, s10
	s_sub_u32 s27, s30, s10
	s_cselect_b64 s[10:11], -1, 0
	s_cmp_lg_u64 s[10:11], 0
	s_subb_u32 s26, s29, s26
	s_sub_u32 s28, s27, s23
	s_cselect_b64 s[10:11], -1, 0
	s_cmp_lg_u64 s[10:11], 0
	s_subb_u32 s31, s26, 0
	;; [unrolled: 4-line block ×3, first 2 shown]
	s_cmp_ge_u32 s28, s23
	s_cselect_b32 s11, -1, 0
	s_cmp_eq_u32 s31, 0
	s_cselect_b32 s11, s11, -1
	s_cmp_lg_u32 s11, 0
	s_cselect_b32 s10, s10, s31
	s_cselect_b32 s28, s34, s28
	s_cmp_ge_u32 s27, s23
	s_cselect_b32 s11, -1, 0
	s_cmp_eq_u32 s26, 0
	s_cselect_b32 s11, s11, -1
	s_cmp_lg_u32 s11, 0
	s_cselect_b32 s11, s10, s26
	s_cselect_b32 s10, s28, s27
	s_cbranch_execnz .LBB85_138
.LBB85_137:                             ;   in Loop: Header=BB85_17 Depth=1
	v_cvt_f32_u32_e32 v4, s23
	s_sub_i32 s10, 0, s23
	v_rcp_iflag_f32_e32 v4, v4
	v_mul_f32_e32 v4, 0x4f7ffffe, v4
	v_cvt_u32_f32_e32 v4, v4
	v_readfirstlane_b32 s11, v4
	s_mul_i32 s10, s10, s11
	s_mul_hi_u32 s10, s11, s10
	s_add_i32 s11, s11, s10
	s_mul_hi_u32 s10, s30, s11
	s_mul_i32 s10, s10, s23
	s_sub_i32 s10, s30, s10
	s_sub_i32 s11, s10, s23
	s_cmp_ge_u32 s10, s23
	s_cselect_b32 s10, s11, s10
	s_sub_i32 s11, s10, s23
	s_cmp_ge_u32 s10, s23
	s_cselect_b32 s52, s11, s10
	s_mov_b64 s[10:11], s[52:53]
.LBB85_138:                             ;   in Loop: Header=BB85_17 Depth=1
	s_sub_u32 s34, s30, s10
	s_subb_u32 s35, s29, s11
	v_cmp_gt_u64_e32 vcc, s[34:35], v[0:1]
	s_mov_b64 s[30:31], 0
	s_mov_b64 s[28:29], 0
                                        ; implicit-def: $vgpr33
	s_and_saveexec_b64 s[10:11], vcc
	s_cbranch_execz .LBB85_152
; %bb.139:                              ;   in Loop: Header=BB85_17 Depth=1
	v_mov_b32_e32 v5, v1
	v_mov_b32_e32 v10, v0
	v_mov_b32_e32 v4, v0
                                        ; implicit-def: $sgpr36_sgpr37
	s_branch .LBB85_142
.LBB85_140:                             ;   in Loop: Header=BB85_142 Depth=2
	s_or_b64 exec, exec, s[38:39]
	s_waitcnt lgkmcnt(0)
	s_barrier
	ds_read_u16 v11, v3 offset:3072
	s_mov_b64 s[26:27], -1
	s_waitcnt lgkmcnt(0)
	s_barrier
	v_cmp_ne_u32_sdwa s[38:39], v11, v3 src0_sel:BYTE_0 src1_sel:DWORD
	s_and_b64 vcc, exec, s[38:39]
	s_mov_b64 s[38:39], -1
	s_cbranch_vccz .LBB85_145
.LBB85_141:                             ;   in Loop: Header=BB85_142 Depth=2
	s_and_b64 s[26:27], exec, s[26:27]
	s_or_b64 s[28:29], s[26:27], s[28:29]
	s_andn2_b64 s[26:27], s[36:37], exec
	s_and_b64 s[36:37], s[38:39], exec
	s_or_b64 s[36:37], s[26:27], s[36:37]
	s_andn2_b64 exec, exec, s[28:29]
	s_cbranch_execz .LBB85_151
.LBB85_142:                             ;   Parent Loop BB85_17 Depth=1
                                        ; =>  This Inner Loop Header: Depth=2
	v_cmp_gt_u64_e32 vcc, s[12:13], v[4:5]
	s_and_saveexec_b64 s[38:39], vcc
	s_cbranch_execz .LBB85_140
; %bb.143:                              ;   in Loop: Header=BB85_142 Depth=2
	ds_read_u8 v11, v10
	s_waitcnt lgkmcnt(0)
	v_add_u32_sdwa v19, sext(v11), s22 dst_sel:DWORD dst_unused:UNUSED_PAD src0_sel:BYTE_0 src1_sel:DWORD
	v_and_b32_e32 v19, v19, v32
	v_cmp_eq_u32_e32 vcc, v19, v28
	s_and_b64 exec, exec, vcc
	s_cbranch_execz .LBB85_140
; %bb.144:                              ;   in Loop: Header=BB85_142 Depth=2
	v_lshlrev_b16_e32 v11, 8, v11
	v_or_b32_e32 v11, 1, v11
	ds_write_b16 v3, v11 offset:3072
	s_branch .LBB85_140
.LBB85_145:                             ;   in Loop: Header=BB85_142 Depth=2
	v_add_co_u32_e32 v4, vcc, s23, v4
	v_addc_co_u32_e32 v5, vcc, 0, v5, vcc
	v_cmp_le_u64_e32 vcc, s[34:35], v[4:5]
	v_add_u32_e32 v10, s23, v10
	s_mov_b64 s[38:39], 0
	s_orn2_b64 s[26:27], vcc, exec
	s_branch .LBB85_141
.LBB85_146:                             ;   in Loop: Header=BB85_17 Depth=1
                                        ; implicit-def: $sgpr10_sgpr11
	s_branch .LBB85_94
.LBB85_147:                             ;   in Loop: Header=BB85_17 Depth=1
	s_or_b64 exec, exec, s[10:11]
	s_waitcnt lgkmcnt(0)
	s_barrier
	s_mov_b64 s[6:7], exec
	v_readlane_b32 s10, v55, 8
	v_readlane_b32 s11, v55, 9
	s_and_b64 s[10:11], s[6:7], s[10:11]
	s_mov_b64 exec, s[10:11]
	s_cbranch_execz .LBB85_149
; %bb.148:                              ;   in Loop: Header=BB85_17 Depth=1
	ds_read_b32 v4, v3 offset:5144
	s_waitcnt lgkmcnt(0)
	v_ashrrev_i32_e32 v5, 31, v4
	ds_write_b64 v3, v[4:5] offset:5120
.LBB85_149:                             ;   in Loop: Header=BB85_17 Depth=1
	s_or_b64 exec, exec, s[6:7]
	s_waitcnt lgkmcnt(0)
	s_barrier
	s_mov_b64 s[6:7], -1
	s_and_b64 vcc, exec, s[12:13]
	s_cbranch_vccnz .LBB85_32
	s_branch .LBB85_47
.LBB85_150:                             ;   in Loop: Header=BB85_17 Depth=1
                                        ; implicit-def: $sgpr10_sgpr11
	s_branch .LBB85_108
.LBB85_151:                             ;   in Loop: Header=BB85_17 Depth=1
	s_or_b64 exec, exec, s[28:29]
	v_lshrrev_b32_sdwa v33, v31, v11 dst_sel:DWORD dst_unused:UNUSED_PAD src0_sel:DWORD src1_sel:WORD_0
	s_and_b64 s[28:29], s[36:37], exec
.LBB85_152:                             ;   in Loop: Header=BB85_17 Depth=1
	s_or_b64 exec, exec, s[10:11]
.LBB85_153:                             ;   in Loop: Header=BB85_17 Depth=1
	s_and_b64 vcc, exec, s[30:31]
	s_cbranch_vccz .LBB85_167
; %bb.154:                              ;   in Loop: Header=BB85_17 Depth=1
	s_mov_b32 s58, s53
	s_cmp_lg_u64 s[58:59], 0
	s_cbranch_scc0 .LBB85_196
; %bb.155:                              ;   in Loop: Header=BB85_17 Depth=1
	v_cvt_f32_u32_e32 v4, s23
	s_sub_u32 s10, 0, s23
	s_subb_u32 s11, 0, 0
	v_mac_f32_e32 v4, 0, v30
	v_rcp_f32_e32 v4, v4
	v_mul_f32_e32 v4, 0x5f7ffffc, v4
	v_mul_f32_e32 v5, 0x2f800000, v4
	v_trunc_f32_e32 v5, v5
	v_mac_f32_e32 v4, 0xcf800000, v5
	v_cvt_u32_f32_e32 v5, v5
	v_cvt_u32_f32_e32 v4, v4
	v_readfirstlane_b32 s12, v5
	v_readfirstlane_b32 s6, v4
	s_mul_i32 s7, s10, s12
	s_mul_hi_u32 s26, s10, s6
	s_mul_i32 s13, s11, s6
	s_add_i32 s7, s26, s7
	s_mul_i32 s27, s10, s6
	s_add_i32 s7, s7, s13
	s_mul_hi_u32 s26, s6, s27
	s_mul_i32 s30, s6, s7
	s_mul_hi_u32 s13, s6, s7
	s_add_u32 s26, s26, s30
	s_addc_u32 s13, 0, s13
	s_mul_hi_u32 s31, s12, s27
	s_mul_i32 s27, s12, s27
	s_add_u32 s26, s26, s27
	s_mul_hi_u32 s30, s12, s7
	s_addc_u32 s13, s13, s31
	s_addc_u32 s26, s30, 0
	s_mul_i32 s7, s12, s7
	s_add_u32 s7, s13, s7
	s_addc_u32 s13, 0, s26
	s_add_u32 s26, s6, s7
	s_cselect_b64 s[6:7], -1, 0
	s_cmp_lg_u64 s[6:7], 0
	s_addc_u32 s12, s12, s13
	s_mul_i32 s6, s10, s12
	s_mul_hi_u32 s7, s10, s26
	s_add_i32 s6, s7, s6
	s_mul_i32 s11, s11, s26
	s_add_i32 s6, s6, s11
	s_mul_i32 s10, s10, s26
	s_mul_hi_u32 s11, s12, s10
	s_mul_i32 s13, s12, s10
	s_mul_i32 s30, s26, s6
	s_mul_hi_u32 s10, s26, s10
	s_mul_hi_u32 s27, s26, s6
	s_add_u32 s10, s10, s30
	s_addc_u32 s27, 0, s27
	s_add_u32 s10, s10, s13
	s_mul_hi_u32 s7, s12, s6
	s_addc_u32 s10, s27, s11
	s_addc_u32 s7, s7, 0
	s_mul_i32 s6, s12, s6
	s_add_u32 s6, s10, s6
	s_addc_u32 s10, 0, s7
	s_add_u32 s11, s26, s6
	s_cselect_b64 s[6:7], -1, 0
	s_cmp_lg_u64 s[6:7], 0
	s_addc_u32 s6, s12, s10
	s_mul_i32 s10, s3, s6
	s_mul_hi_u32 s12, s3, s11
	s_mul_hi_u32 s7, s3, s6
	s_add_u32 s10, s12, s10
	s_addc_u32 s7, 0, s7
	s_mul_hi_u32 s13, s59, s11
	s_mul_i32 s11, s59, s11
	s_add_u32 s10, s10, s11
	s_mul_hi_u32 s12, s59, s6
	s_addc_u32 s7, s7, s13
	s_addc_u32 s10, s12, 0
	s_mul_i32 s6, s59, s6
	s_add_u32 s6, s7, s6
	s_addc_u32 s7, 0, s10
	s_mul_i32 s7, s23, s7
	s_mul_hi_u32 s10, s23, s6
	s_add_i32 s10, s10, s7
	s_mul_i32 s6, s23, s6
	s_sub_u32 s11, s3, s6
	s_cselect_b64 s[6:7], -1, 0
	s_cmp_lg_u64 s[6:7], 0
	s_subb_u32 s10, s59, s10
	s_sub_u32 s12, s11, s23
	s_cselect_b64 s[6:7], -1, 0
	s_cmp_lg_u64 s[6:7], 0
	s_subb_u32 s13, s10, 0
	;; [unrolled: 4-line block ×3, first 2 shown]
	s_cmp_ge_u32 s12, s23
	s_cselect_b32 s7, -1, 0
	s_cmp_eq_u32 s13, 0
	s_cselect_b32 s7, s7, -1
	s_cmp_lg_u32 s7, 0
	s_cselect_b32 s6, s6, s13
	s_cselect_b32 s12, s26, s12
	s_cmp_ge_u32 s11, s23
	s_cselect_b32 s7, -1, 0
	s_cmp_eq_u32 s10, 0
	s_cselect_b32 s7, s7, -1
	s_cmp_lg_u32 s7, 0
	s_cselect_b32 s7, s6, s10
	s_cselect_b32 s6, s12, s11
	s_cbranch_execnz .LBB85_157
.LBB85_156:                             ;   in Loop: Header=BB85_17 Depth=1
	v_cvt_f32_u32_e32 v4, s23
	s_sub_i32 s6, 0, s23
	v_rcp_iflag_f32_e32 v4, v4
	v_mul_f32_e32 v4, 0x4f7ffffe, v4
	v_cvt_u32_f32_e32 v4, v4
	v_readfirstlane_b32 s7, v4
	s_mul_i32 s6, s6, s7
	s_mul_hi_u32 s6, s7, s6
	s_add_i32 s7, s7, s6
	s_mul_hi_u32 s6, s3, s7
	s_mul_i32 s6, s6, s23
	s_sub_i32 s6, s3, s6
	s_sub_i32 s7, s6, s23
	s_cmp_ge_u32 s6, s23
	s_cselect_b32 s6, s7, s6
	s_sub_i32 s7, s6, s23
	s_cmp_ge_u32 s6, s23
	s_cselect_b32 s52, s7, s6
	s_mov_b64 s[6:7], s[52:53]
.LBB85_157:                             ;   in Loop: Header=BB85_17 Depth=1
	s_sub_u32 s10, s3, s6
	s_subb_u32 s11, s59, s7
	v_cmp_gt_u64_e32 vcc, s[10:11], v[0:1]
                                        ; implicit-def: $vgpr33
	s_and_saveexec_b64 s[6:7], vcc
	s_cbranch_execz .LBB85_166
; %bb.158:                              ;   in Loop: Header=BB85_17 Depth=1
	v_mov_b32_e32 v5, v1
	s_mov_b64 s[12:13], 0
	v_mov_b32_e32 v4, v0
                                        ; implicit-def: $sgpr30_sgpr31
	s_branch .LBB85_161
.LBB85_159:                             ;   in Loop: Header=BB85_161 Depth=2
	s_or_b64 exec, exec, s[34:35]
	s_waitcnt lgkmcnt(0)
	s_barrier
	ds_read_u16 v10, v3 offset:3072
	s_mov_b64 s[26:27], -1
	s_waitcnt lgkmcnt(0)
	s_barrier
	v_cmp_eq_u32_sdwa s[34:35], v10, v3 src0_sel:BYTE_0 src1_sel:DWORD
	s_and_b64 vcc, exec, s[34:35]
	s_mov_b64 s[34:35], -1
	s_cbranch_vccnz .LBB85_164
.LBB85_160:                             ;   in Loop: Header=BB85_161 Depth=2
	s_and_b64 s[26:27], exec, s[26:27]
	s_or_b64 s[12:13], s[26:27], s[12:13]
	s_andn2_b64 s[26:27], s[30:31], exec
	s_and_b64 s[30:31], s[34:35], exec
	s_or_b64 s[30:31], s[26:27], s[30:31]
	s_andn2_b64 exec, exec, s[12:13]
	s_cbranch_execz .LBB85_165
.LBB85_161:                             ;   Parent Loop BB85_17 Depth=1
                                        ; =>  This Inner Loop Header: Depth=2
	v_cmp_gt_u64_e32 vcc, s[24:25], v[4:5]
	s_and_saveexec_b64 s[34:35], vcc
	s_cbranch_execz .LBB85_159
; %bb.162:                              ;   in Loop: Header=BB85_161 Depth=2
	v_mov_b32_e32 v10, s50
	v_mov_b32_e32 v11, s51
	v_mad_u64_u32 v[10:11], s[26:27], v4, s40, v[10:11]
	v_mul_lo_u32 v19, v4, s41
	v_mul_lo_u32 v20, v5, s40
	v_add3_u32 v11, v20, v11, v19
	global_load_ubyte v10, v[10:11], off
	s_waitcnt vmcnt(0)
	v_add_u32_sdwa v11, sext(v10), s22 dst_sel:DWORD dst_unused:UNUSED_PAD src0_sel:BYTE_0 src1_sel:DWORD
	v_and_b32_e32 v11, v11, v32
	v_cmp_eq_u32_e32 vcc, v11, v28
	s_and_b64 exec, exec, vcc
	s_cbranch_execz .LBB85_159
; %bb.163:                              ;   in Loop: Header=BB85_161 Depth=2
	v_lshlrev_b16_e32 v10, 8, v10
	v_or_b32_e32 v10, 1, v10
	ds_write_b16 v3, v10 offset:3072
	s_branch .LBB85_159
.LBB85_164:                             ;   in Loop: Header=BB85_161 Depth=2
	v_add_co_u32_e32 v4, vcc, s23, v4
	v_addc_co_u32_e32 v5, vcc, 0, v5, vcc
	v_cmp_le_u64_e32 vcc, s[10:11], v[4:5]
	s_mov_b64 s[34:35], 0
	s_orn2_b64 s[26:27], vcc, exec
	s_branch .LBB85_160
.LBB85_165:                             ;   in Loop: Header=BB85_17 Depth=1
	s_or_b64 exec, exec, s[12:13]
	s_andn2_b64 s[10:11], s[28:29], exec
	s_and_b64 s[12:13], s[30:31], exec
	v_lshrrev_b32_sdwa v33, v31, v10 dst_sel:DWORD dst_unused:UNUSED_PAD src0_sel:DWORD src1_sel:WORD_0
	s_or_b64 s[28:29], s[10:11], s[12:13]
.LBB85_166:                             ;   in Loop: Header=BB85_17 Depth=1
	s_or_b64 exec, exec, s[6:7]
	s_mov_b64 s[6:7], 0
	s_mov_b64 s[84:85], -1
.LBB85_167:                             ;   in Loop: Header=BB85_17 Depth=1
	s_orn2_b64 s[10:11], s[28:29], exec
.LBB85_168:                             ;   in Loop: Header=BB85_17 Depth=1
	s_or_b64 exec, exec, s[86:87]
	s_mov_b64 s[12:13], 0
	s_and_saveexec_b64 s[86:87], s[10:11]
	s_cbranch_execz .LBB85_274
; %bb.169:                              ;   in Loop: Header=BB85_17 Depth=1
	v_mov_b32_e32 v4, 1
	s_xor_b64 s[10:11], s[46:47], -1
	v_mov_b32_e32 v2, 1
	v_mov_b32_e32 v5, 0
	s_mov_b64 s[28:29], 0
	s_and_saveexec_b64 s[12:13], s[10:11]
	s_cbranch_execz .LBB85_179
; %bb.170:                              ;   in Loop: Header=BB85_17 Depth=1
	v_cmp_le_u64_e32 vcc, v[8:9], v[6:7]
	s_and_saveexec_b64 s[10:11], vcc
	s_xor_b64 s[10:11], exec, s[10:11]
	s_cbranch_execz .LBB85_176
; %bb.171:                              ;   in Loop: Header=BB85_17 Depth=1
	ds_read_b64 v[4:5], v3 offset:5120
	v_and_b32_e32 v2, s42, v28
	v_lshl_or_b32 v28, 1, s1, v2
	v_or_b32_e32 v32, s56, v32
	s_waitcnt lgkmcnt(0)
	v_cmp_ne_u64_e32 vcc, 0, v[4:5]
	s_cbranch_vccnz .LBB85_175
; %bb.172:                              ;   in Loop: Header=BB85_17 Depth=1
	s_mov_b64 s[26:27], exec
	v_readlane_b32 s28, v55, 8
	v_readlane_b32 s29, v55, 9
	s_and_b64 s[28:29], s[26:27], s[28:29]
	s_mov_b64 exec, s[28:29]
; %bb.173:                              ;   in Loop: Header=BB85_17 Depth=1
	ds_write_b64 v3, v[6:7] offset:5128
; %bb.174:                              ;   in Loop: Header=BB85_17 Depth=1
	s_or_b64 exec, exec, s[26:27]
	s_waitcnt lgkmcnt(0)
	s_barrier
.LBB85_175:                             ;   in Loop: Header=BB85_17 Depth=1
                                        ; implicit-def: $vgpr4_vgpr5_vgpr6_vgpr7
.LBB85_176:                             ;   in Loop: Header=BB85_17 Depth=1
	s_or_saveexec_b64 s[10:11], s[10:11]
	s_mov_b64 s[28:29], 0
	v_mov_b32_e32 v2, 8
	s_xor_b64 exec, exec, s[10:11]
; %bb.177:                              ;   in Loop: Header=BB85_17 Depth=1
	v_sub_co_u32_e32 v8, vcc, v8, v6
	v_subb_co_u32_e32 v9, vcc, v9, v7, vcc
	v_mov_b32_e32 v2, 0
	s_mov_b64 s[28:29], exec
; %bb.178:                              ;   in Loop: Header=BB85_17 Depth=1
	s_or_b64 exec, exec, s[10:11]
	v_mov_b32_e32 v4, v8
	s_and_b64 s[28:29], s[28:29], exec
	v_mov_b32_e32 v5, v9
.LBB85_179:                             ;   in Loop: Header=BB85_17 Depth=1
	s_or_b64 exec, exec, s[12:13]
	s_mov_b64 s[10:11], -1
                                        ; implicit-def: $sgpr90_sgpr91
                                        ; implicit-def: $sgpr92_sgpr93
	s_and_saveexec_b64 s[88:89], s[28:29]
	s_cbranch_execz .LBB85_273
; %bb.180:                              ;   in Loop: Header=BB85_17 Depth=1
	s_cmp_eq_u64 s[82:83], 1
	v_cmp_eq_u64_e32 vcc, 1, v[4:5]
	s_cselect_b64 s[10:11], -1, 0
	s_and_b64 s[94:95], s[10:11], vcc
	s_mov_b64 s[10:11], -1
                                        ; implicit-def: $sgpr92_sgpr93
                                        ; implicit-def: $sgpr90_sgpr91
	s_and_saveexec_b64 s[46:47], s[94:95]
	s_cbranch_execz .LBB85_214
; %bb.181:                              ;   in Loop: Header=BB85_17 Depth=1
	ds_read_b64 v[6:7], v3 offset:5120
	s_waitcnt lgkmcnt(0)
	s_barrier
	v_readfirstlane_b32 s12, v6
	v_readfirstlane_b32 s13, v7
	s_and_saveexec_b64 s[10:11], s[16:17]
; %bb.182:                              ;   in Loop: Header=BB85_17 Depth=1
	ds_write_b8 v0, v3 offset:3072
; %bb.183:                              ;   in Loop: Header=BB85_17 Depth=1
	s_or_b64 exec, exec, s[10:11]
	v_and_b32_e32 v6, s42, v28
	v_lshl_or_b32 v28, 2, s1, v6
	v_or_b32_e32 v32, s56, v32
	s_mov_b64 s[90:91], -1
	s_mov_b64 s[92:93], 0
	s_cmp_eq_u64 s[12:13], 0
	s_mov_b64 s[28:29], 0
	s_mov_b64 s[30:31], -1
	s_waitcnt lgkmcnt(0)
	s_barrier
                                        ; implicit-def: $vgpr33
	s_cbranch_scc1 .LBB85_199
; %bb.184:                              ;   in Loop: Header=BB85_17 Depth=1
	s_add_u32 s30, s12, s57
	v_readlane_b32 s10, v55, 30
	s_addc_u32 s29, s13, s10
	s_mov_b32 s28, s53
	s_cmp_lg_u64 s[28:29], 0
	s_cbranch_scc0 .LBB85_240
; %bb.185:                              ;   in Loop: Header=BB85_17 Depth=1
	v_cvt_f32_u32_e32 v6, s23
	s_sub_u32 s26, 0, s23
	s_subb_u32 s27, 0, 0
	v_mac_f32_e32 v6, 0, v30
	v_rcp_f32_e32 v6, v6
	v_mul_f32_e32 v6, 0x5f7ffffc, v6
	v_mul_f32_e32 v7, 0x2f800000, v6
	v_trunc_f32_e32 v7, v7
	v_mac_f32_e32 v6, 0xcf800000, v7
	v_cvt_u32_f32_e32 v7, v7
	v_cvt_u32_f32_e32 v6, v6
	v_readfirstlane_b32 s28, v7
	v_readfirstlane_b32 s10, v6
	s_mul_i32 s11, s26, s28
	s_mul_hi_u32 s34, s26, s10
	s_mul_i32 s31, s27, s10
	s_add_i32 s11, s34, s11
	s_mul_i32 s35, s26, s10
	s_add_i32 s11, s11, s31
	s_mul_hi_u32 s34, s10, s35
	s_mul_i32 s36, s10, s11
	s_mul_hi_u32 s31, s10, s11
	s_add_u32 s34, s34, s36
	s_addc_u32 s31, 0, s31
	s_mul_hi_u32 s37, s28, s35
	s_mul_i32 s35, s28, s35
	s_add_u32 s34, s34, s35
	s_mul_hi_u32 s36, s28, s11
	s_addc_u32 s31, s31, s37
	s_addc_u32 s34, s36, 0
	s_mul_i32 s11, s28, s11
	s_add_u32 s11, s31, s11
	s_addc_u32 s31, 0, s34
	s_add_u32 s34, s10, s11
	s_cselect_b64 s[10:11], -1, 0
	s_cmp_lg_u64 s[10:11], 0
	s_addc_u32 s28, s28, s31
	s_mul_i32 s10, s26, s28
	s_mul_hi_u32 s11, s26, s34
	s_add_i32 s10, s11, s10
	s_mul_i32 s27, s27, s34
	s_add_i32 s10, s10, s27
	s_mul_i32 s26, s26, s34
	s_mul_hi_u32 s27, s28, s26
	s_mul_i32 s31, s28, s26
	s_mul_i32 s36, s34, s10
	s_mul_hi_u32 s26, s34, s26
	s_mul_hi_u32 s35, s34, s10
	s_add_u32 s26, s26, s36
	s_addc_u32 s35, 0, s35
	s_add_u32 s26, s26, s31
	s_mul_hi_u32 s11, s28, s10
	s_addc_u32 s26, s35, s27
	s_addc_u32 s11, s11, 0
	s_mul_i32 s10, s28, s10
	s_add_u32 s10, s26, s10
	s_addc_u32 s26, 0, s11
	s_add_u32 s27, s34, s10
	s_cselect_b64 s[10:11], -1, 0
	s_cmp_lg_u64 s[10:11], 0
	s_addc_u32 s10, s28, s26
	s_mul_i32 s26, s30, s10
	s_mul_hi_u32 s28, s30, s27
	s_mul_hi_u32 s11, s30, s10
	s_add_u32 s26, s28, s26
	s_addc_u32 s11, 0, s11
	s_mul_hi_u32 s31, s29, s27
	s_mul_i32 s27, s29, s27
	s_add_u32 s26, s26, s27
	s_mul_hi_u32 s28, s29, s10
	s_addc_u32 s11, s11, s31
	s_addc_u32 s26, s28, 0
	s_mul_i32 s10, s29, s10
	s_add_u32 s10, s11, s10
	s_addc_u32 s11, 0, s26
	s_mul_i32 s11, s23, s11
	s_mul_hi_u32 s26, s23, s10
	s_add_i32 s26, s26, s11
	s_mul_i32 s10, s23, s10
	s_sub_u32 s27, s30, s10
	s_cselect_b64 s[10:11], -1, 0
	s_cmp_lg_u64 s[10:11], 0
	s_subb_u32 s26, s29, s26
	s_sub_u32 s28, s27, s23
	s_cselect_b64 s[10:11], -1, 0
	s_cmp_lg_u64 s[10:11], 0
	s_subb_u32 s31, s26, 0
	;; [unrolled: 4-line block ×3, first 2 shown]
	s_cmp_ge_u32 s28, s23
	s_cselect_b32 s11, -1, 0
	s_cmp_eq_u32 s31, 0
	s_cselect_b32 s11, s11, -1
	s_cmp_lg_u32 s11, 0
	s_cselect_b32 s10, s10, s31
	s_cselect_b32 s28, s34, s28
	s_cmp_ge_u32 s27, s23
	s_cselect_b32 s11, -1, 0
	s_cmp_eq_u32 s26, 0
	s_cselect_b32 s11, s11, -1
	s_cmp_lg_u32 s11, 0
	s_cselect_b32 s11, s10, s26
	s_cselect_b32 s10, s28, s27
	s_cbranch_execnz .LBB85_187
.LBB85_186:                             ;   in Loop: Header=BB85_17 Depth=1
	v_cvt_f32_u32_e32 v6, s23
	s_sub_i32 s10, 0, s23
	v_rcp_iflag_f32_e32 v6, v6
	v_mul_f32_e32 v6, 0x4f7ffffe, v6
	v_cvt_u32_f32_e32 v6, v6
	v_readfirstlane_b32 s11, v6
	s_mul_i32 s10, s10, s11
	s_mul_hi_u32 s10, s11, s10
	s_add_i32 s11, s11, s10
	s_mul_hi_u32 s10, s30, s11
	s_mul_i32 s10, s10, s23
	s_sub_i32 s10, s30, s10
	s_sub_i32 s11, s10, s23
	s_cmp_ge_u32 s10, s23
	s_cselect_b32 s10, s11, s10
	s_sub_i32 s11, s10, s23
	s_cmp_ge_u32 s10, s23
	s_cselect_b32 s52, s11, s10
	s_mov_b64 s[10:11], s[52:53]
.LBB85_187:                             ;   in Loop: Header=BB85_17 Depth=1
	s_sub_u32 s34, s30, s10
	s_subb_u32 s35, s29, s11
	v_cmp_gt_u64_e32 vcc, s[34:35], v[0:1]
	s_mov_b64 s[30:31], 0
	s_mov_b64 s[28:29], 0
                                        ; implicit-def: $vgpr33
	s_and_saveexec_b64 s[10:11], vcc
	s_cbranch_execz .LBB85_198
; %bb.188:                              ;   in Loop: Header=BB85_17 Depth=1
	v_mov_b32_e32 v7, v1
	v_mov_b32_e32 v8, v0
	;; [unrolled: 1-line block ×3, first 2 shown]
                                        ; implicit-def: $sgpr36_sgpr37
	s_branch .LBB85_191
.LBB85_189:                             ;   in Loop: Header=BB85_191 Depth=2
	s_or_b64 exec, exec, s[38:39]
	s_waitcnt lgkmcnt(0)
	s_barrier
	ds_read_u16 v9, v3 offset:3072
	s_mov_b64 s[26:27], -1
	s_waitcnt lgkmcnt(0)
	s_barrier
	v_cmp_ne_u32_sdwa s[38:39], v9, v3 src0_sel:BYTE_0 src1_sel:DWORD
	s_and_b64 vcc, exec, s[38:39]
	s_mov_b64 s[38:39], -1
	s_cbranch_vccz .LBB85_194
.LBB85_190:                             ;   in Loop: Header=BB85_191 Depth=2
	s_and_b64 s[26:27], exec, s[26:27]
	s_or_b64 s[28:29], s[26:27], s[28:29]
	s_andn2_b64 s[26:27], s[36:37], exec
	s_and_b64 s[36:37], s[38:39], exec
	s_or_b64 s[36:37], s[26:27], s[36:37]
	s_andn2_b64 exec, exec, s[28:29]
	s_cbranch_execz .LBB85_197
.LBB85_191:                             ;   Parent Loop BB85_17 Depth=1
                                        ; =>  This Inner Loop Header: Depth=2
	v_cmp_gt_u64_e32 vcc, s[12:13], v[6:7]
	s_and_saveexec_b64 s[38:39], vcc
	s_cbranch_execz .LBB85_189
; %bb.192:                              ;   in Loop: Header=BB85_191 Depth=2
	ds_read_u8 v9, v8
	s_waitcnt lgkmcnt(0)
	v_add_u32_sdwa v10, sext(v9), s22 dst_sel:DWORD dst_unused:UNUSED_PAD src0_sel:BYTE_0 src1_sel:DWORD
	v_and_b32_e32 v10, v10, v32
	v_cmp_eq_u32_e32 vcc, v10, v28
	s_and_b64 exec, exec, vcc
	s_cbranch_execz .LBB85_189
; %bb.193:                              ;   in Loop: Header=BB85_191 Depth=2
	v_lshlrev_b16_e32 v9, 8, v9
	v_or_b32_e32 v9, 1, v9
	ds_write_b16 v3, v9 offset:3072
	s_branch .LBB85_189
.LBB85_194:                             ;   in Loop: Header=BB85_191 Depth=2
	v_add_co_u32_e32 v6, vcc, s23, v6
	v_addc_co_u32_e32 v7, vcc, 0, v7, vcc
	v_cmp_le_u64_e32 vcc, s[34:35], v[6:7]
	v_add_u32_e32 v8, s23, v8
	s_mov_b64 s[38:39], 0
	s_orn2_b64 s[26:27], vcc, exec
	s_branch .LBB85_190
.LBB85_195:                             ;   in Loop: Header=BB85_17 Depth=1
                                        ; implicit-def: $sgpr10_sgpr11
	s_branch .LBB85_137
.LBB85_196:                             ;   in Loop: Header=BB85_17 Depth=1
                                        ; implicit-def: $sgpr6_sgpr7
	s_branch .LBB85_156
.LBB85_197:                             ;   in Loop: Header=BB85_17 Depth=1
	s_or_b64 exec, exec, s[28:29]
	v_lshrrev_b32_sdwa v33, v31, v9 dst_sel:DWORD dst_unused:UNUSED_PAD src0_sel:DWORD src1_sel:WORD_0
	s_and_b64 s[28:29], s[36:37], exec
.LBB85_198:                             ;   in Loop: Header=BB85_17 Depth=1
	s_or_b64 exec, exec, s[10:11]
.LBB85_199:                             ;   in Loop: Header=BB85_17 Depth=1
	s_and_b64 vcc, exec, s[30:31]
	s_cbranch_vccz .LBB85_213
; %bb.200:                              ;   in Loop: Header=BB85_17 Depth=1
	s_mov_b32 s58, s53
	s_cmp_lg_u64 s[58:59], 0
	s_cbranch_scc0 .LBB85_241
; %bb.201:                              ;   in Loop: Header=BB85_17 Depth=1
	v_cvt_f32_u32_e32 v6, s23
	s_sub_u32 s12, 0, s23
	s_subb_u32 s13, 0, 0
	v_mac_f32_e32 v6, 0, v30
	v_rcp_f32_e32 v6, v6
	v_mul_f32_e32 v6, 0x5f7ffffc, v6
	v_mul_f32_e32 v7, 0x2f800000, v6
	v_trunc_f32_e32 v7, v7
	v_mac_f32_e32 v6, 0xcf800000, v7
	v_cvt_u32_f32_e32 v7, v7
	v_cvt_u32_f32_e32 v6, v6
	v_readfirstlane_b32 s26, v7
	v_readfirstlane_b32 s10, v6
	s_mul_i32 s11, s12, s26
	s_mul_hi_u32 s30, s12, s10
	s_mul_i32 s27, s13, s10
	s_add_i32 s11, s30, s11
	s_mul_i32 s31, s12, s10
	s_add_i32 s11, s11, s27
	s_mul_hi_u32 s30, s10, s31
	s_mul_i32 s34, s10, s11
	s_mul_hi_u32 s27, s10, s11
	s_add_u32 s30, s30, s34
	s_addc_u32 s27, 0, s27
	s_mul_hi_u32 s35, s26, s31
	s_mul_i32 s31, s26, s31
	s_add_u32 s30, s30, s31
	s_mul_hi_u32 s34, s26, s11
	s_addc_u32 s27, s27, s35
	s_addc_u32 s30, s34, 0
	s_mul_i32 s11, s26, s11
	s_add_u32 s11, s27, s11
	s_addc_u32 s27, 0, s30
	s_add_u32 s30, s10, s11
	s_cselect_b64 s[10:11], -1, 0
	s_cmp_lg_u64 s[10:11], 0
	s_addc_u32 s26, s26, s27
	s_mul_i32 s10, s12, s26
	s_mul_hi_u32 s11, s12, s30
	s_add_i32 s10, s11, s10
	s_mul_i32 s13, s13, s30
	s_add_i32 s10, s10, s13
	s_mul_i32 s12, s12, s30
	s_mul_hi_u32 s13, s26, s12
	s_mul_i32 s27, s26, s12
	s_mul_i32 s34, s30, s10
	s_mul_hi_u32 s12, s30, s12
	s_mul_hi_u32 s31, s30, s10
	s_add_u32 s12, s12, s34
	s_addc_u32 s31, 0, s31
	s_add_u32 s12, s12, s27
	s_mul_hi_u32 s11, s26, s10
	s_addc_u32 s12, s31, s13
	s_addc_u32 s11, s11, 0
	s_mul_i32 s10, s26, s10
	s_add_u32 s10, s12, s10
	s_addc_u32 s12, 0, s11
	s_add_u32 s13, s30, s10
	s_cselect_b64 s[10:11], -1, 0
	s_cmp_lg_u64 s[10:11], 0
	s_addc_u32 s10, s26, s12
	s_mul_i32 s12, s3, s10
	s_mul_hi_u32 s26, s3, s13
	s_mul_hi_u32 s11, s3, s10
	s_add_u32 s12, s26, s12
	s_addc_u32 s11, 0, s11
	s_mul_hi_u32 s27, s59, s13
	s_mul_i32 s13, s59, s13
	s_add_u32 s12, s12, s13
	s_mul_hi_u32 s26, s59, s10
	s_addc_u32 s11, s11, s27
	s_addc_u32 s12, s26, 0
	s_mul_i32 s10, s59, s10
	s_add_u32 s10, s11, s10
	s_addc_u32 s11, 0, s12
	s_mul_i32 s11, s23, s11
	s_mul_hi_u32 s12, s23, s10
	s_add_i32 s12, s12, s11
	s_mul_i32 s10, s23, s10
	s_sub_u32 s13, s3, s10
	s_cselect_b64 s[10:11], -1, 0
	s_cmp_lg_u64 s[10:11], 0
	s_subb_u32 s12, s59, s12
	s_sub_u32 s26, s13, s23
	s_cselect_b64 s[10:11], -1, 0
	s_cmp_lg_u64 s[10:11], 0
	s_subb_u32 s27, s12, 0
	s_sub_u32 s30, s26, s23
	s_cselect_b64 s[10:11], -1, 0
	s_cmp_lg_u64 s[10:11], 0
	s_subb_u32 s10, s27, 0
	s_cmp_ge_u32 s26, s23
	s_cselect_b32 s11, -1, 0
	s_cmp_eq_u32 s27, 0
	s_cselect_b32 s11, s11, -1
	s_cmp_lg_u32 s11, 0
	s_cselect_b32 s10, s10, s27
	s_cselect_b32 s26, s30, s26
	s_cmp_ge_u32 s13, s23
	s_cselect_b32 s11, -1, 0
	s_cmp_eq_u32 s12, 0
	s_cselect_b32 s11, s11, -1
	s_cmp_lg_u32 s11, 0
	s_cselect_b32 s11, s10, s12
	s_cselect_b32 s10, s26, s13
	s_cbranch_execnz .LBB85_203
.LBB85_202:                             ;   in Loop: Header=BB85_17 Depth=1
	v_cvt_f32_u32_e32 v6, s23
	s_sub_i32 s10, 0, s23
	v_rcp_iflag_f32_e32 v6, v6
	v_mul_f32_e32 v6, 0x4f7ffffe, v6
	v_cvt_u32_f32_e32 v6, v6
	v_readfirstlane_b32 s11, v6
	s_mul_i32 s10, s10, s11
	s_mul_hi_u32 s10, s11, s10
	s_add_i32 s11, s11, s10
	s_mul_hi_u32 s10, s3, s11
	s_mul_i32 s10, s10, s23
	s_sub_i32 s10, s3, s10
	s_sub_i32 s11, s10, s23
	s_cmp_ge_u32 s10, s23
	s_cselect_b32 s10, s11, s10
	s_sub_i32 s11, s10, s23
	s_cmp_ge_u32 s10, s23
	s_cselect_b32 s52, s11, s10
	s_mov_b64 s[10:11], s[52:53]
.LBB85_203:                             ;   in Loop: Header=BB85_17 Depth=1
	s_sub_u32 s12, s3, s10
	s_subb_u32 s13, s59, s11
	v_cmp_gt_u64_e32 vcc, s[12:13], v[0:1]
                                        ; implicit-def: $vgpr33
	s_and_saveexec_b64 s[10:11], vcc
	s_cbranch_execz .LBB85_212
; %bb.204:                              ;   in Loop: Header=BB85_17 Depth=1
	v_mov_b32_e32 v7, v1
	s_mov_b64 s[30:31], 0
	v_mov_b32_e32 v6, v0
                                        ; implicit-def: $sgpr34_sgpr35
	s_branch .LBB85_207
.LBB85_205:                             ;   in Loop: Header=BB85_207 Depth=2
	s_or_b64 exec, exec, s[36:37]
	s_waitcnt lgkmcnt(0)
	s_barrier
	ds_read_u16 v8, v3 offset:3072
	s_mov_b64 s[26:27], -1
	s_waitcnt lgkmcnt(0)
	s_barrier
	v_cmp_eq_u32_sdwa s[36:37], v8, v3 src0_sel:BYTE_0 src1_sel:DWORD
	s_and_b64 vcc, exec, s[36:37]
	s_mov_b64 s[36:37], -1
	s_cbranch_vccnz .LBB85_210
.LBB85_206:                             ;   in Loop: Header=BB85_207 Depth=2
	s_and_b64 s[26:27], exec, s[26:27]
	s_or_b64 s[30:31], s[26:27], s[30:31]
	s_andn2_b64 s[26:27], s[34:35], exec
	s_and_b64 s[34:35], s[36:37], exec
	s_or_b64 s[34:35], s[26:27], s[34:35]
	s_andn2_b64 exec, exec, s[30:31]
	s_cbranch_execz .LBB85_211
.LBB85_207:                             ;   Parent Loop BB85_17 Depth=1
                                        ; =>  This Inner Loop Header: Depth=2
	v_cmp_gt_u64_e32 vcc, s[24:25], v[6:7]
	s_and_saveexec_b64 s[36:37], vcc
	s_cbranch_execz .LBB85_205
; %bb.208:                              ;   in Loop: Header=BB85_207 Depth=2
	v_mov_b32_e32 v8, s50
	v_mov_b32_e32 v9, s51
	v_mad_u64_u32 v[8:9], s[26:27], v6, s40, v[8:9]
	v_mul_lo_u32 v10, v6, s41
	v_mul_lo_u32 v11, v7, s40
	v_add3_u32 v9, v11, v9, v10
	global_load_ubyte v8, v[8:9], off
	s_waitcnt vmcnt(0)
	v_add_u32_sdwa v9, sext(v8), s22 dst_sel:DWORD dst_unused:UNUSED_PAD src0_sel:BYTE_0 src1_sel:DWORD
	v_and_b32_e32 v9, v9, v32
	v_cmp_eq_u32_e32 vcc, v9, v28
	s_and_b64 exec, exec, vcc
	s_cbranch_execz .LBB85_205
; %bb.209:                              ;   in Loop: Header=BB85_207 Depth=2
	v_lshlrev_b16_e32 v8, 8, v8
	v_or_b32_e32 v8, 1, v8
	ds_write_b16 v3, v8 offset:3072
	s_branch .LBB85_205
.LBB85_210:                             ;   in Loop: Header=BB85_207 Depth=2
	v_add_co_u32_e32 v6, vcc, s23, v6
	v_addc_co_u32_e32 v7, vcc, 0, v7, vcc
	v_cmp_le_u64_e32 vcc, s[12:13], v[6:7]
	s_mov_b64 s[36:37], 0
	s_orn2_b64 s[26:27], vcc, exec
	s_branch .LBB85_206
.LBB85_211:                             ;   in Loop: Header=BB85_17 Depth=1
	s_or_b64 exec, exec, s[30:31]
	s_andn2_b64 s[12:13], s[28:29], exec
	s_and_b64 s[26:27], s[34:35], exec
	v_lshrrev_b32_sdwa v33, v31, v8 dst_sel:DWORD dst_unused:UNUSED_PAD src0_sel:DWORD src1_sel:WORD_0
	s_or_b64 s[28:29], s[12:13], s[26:27]
.LBB85_212:                             ;   in Loop: Header=BB85_17 Depth=1
	s_or_b64 exec, exec, s[10:11]
	s_mov_b64 s[90:91], 0
	s_mov_b64 s[92:93], -1
.LBB85_213:                             ;   in Loop: Header=BB85_17 Depth=1
	s_orn2_b64 s[10:11], s[28:29], exec
.LBB85_214:                             ;   in Loop: Header=BB85_17 Depth=1
	s_or_b64 exec, exec, s[46:47]
	s_mov_b64 s[12:13], 0
	s_and_saveexec_b64 s[46:47], s[10:11]
	s_cbranch_execz .LBB85_272
; %bb.215:                              ;   in Loop: Header=BB85_17 Depth=1
	v_mov_b32_e32 v6, 1
	s_xor_b64 s[10:11], s[94:95], -1
	v_mov_b32_e32 v2, 1
	v_mov_b32_e32 v7, 0
	s_mov_b64 s[28:29], 0
	s_and_saveexec_b64 s[12:13], s[10:11]
	s_cbranch_execz .LBB85_224
; %bb.216:                              ;   in Loop: Header=BB85_17 Depth=1
	v_cmp_ge_u64_e32 vcc, s[82:83], v[4:5]
	s_and_saveexec_b64 s[10:11], vcc
	s_xor_b64 s[10:11], exec, s[10:11]
	s_cbranch_execz .LBB85_221
; %bb.217:                              ;   in Loop: Header=BB85_17 Depth=1
	ds_read_b64 v[6:7], v3 offset:5120
	v_and_b32_e32 v2, s42, v28
	v_lshl_or_b32 v28, 2, s1, v2
	v_or_b32_e32 v32, s56, v32
	s_waitcnt lgkmcnt(0)
	v_cmp_ne_u64_e32 vcc, 0, v[6:7]
	s_cbranch_vccnz .LBB85_221
; %bb.218:                              ;   in Loop: Header=BB85_17 Depth=1
	s_mov_b64 s[26:27], exec
	v_readlane_b32 s28, v55, 8
	v_readlane_b32 s29, v55, 9
	s_and_b64 s[28:29], s[26:27], s[28:29]
	s_mov_b64 exec, s[28:29]
; %bb.219:                              ;   in Loop: Header=BB85_17 Depth=1
	v_mov_b32_e32 v6, s82
	v_mov_b32_e32 v7, s83
	ds_write_b64 v3, v[6:7] offset:5128
; %bb.220:                              ;   in Loop: Header=BB85_17 Depth=1
	s_or_b64 exec, exec, s[26:27]
	s_waitcnt lgkmcnt(0)
	s_barrier
.LBB85_221:                             ;   in Loop: Header=BB85_17 Depth=1
	s_or_saveexec_b64 s[10:11], s[10:11]
	s_mov_b64 s[28:29], 0
	v_mov_b32_e32 v2, 8
	s_xor_b64 exec, exec, s[10:11]
; %bb.222:                              ;   in Loop: Header=BB85_17 Depth=1
	v_subrev_co_u32_e32 v4, vcc, s82, v4
	v_mov_b32_e32 v2, s83
	v_subb_co_u32_e32 v5, vcc, v5, v2, vcc
	v_mov_b32_e32 v2, 0
	s_mov_b64 s[28:29], exec
; %bb.223:                              ;   in Loop: Header=BB85_17 Depth=1
	s_or_b64 exec, exec, s[10:11]
	v_mov_b32_e32 v7, v5
	s_and_b64 s[28:29], s[28:29], exec
	v_mov_b32_e32 v6, v4
.LBB85_224:                             ;   in Loop: Header=BB85_17 Depth=1
	s_or_b64 exec, exec, s[12:13]
	s_mov_b64 s[10:11], -1
                                        ; implicit-def: $sgpr48_sgpr49
                                        ; implicit-def: $sgpr30_sgpr31
	s_and_saveexec_b64 s[82:83], s[28:29]
	s_cbranch_execz .LBB85_271
; %bb.225:                              ;   in Loop: Header=BB85_17 Depth=1
	s_cmp_eq_u64 s[14:15], 1
	v_cmp_eq_u64_e32 vcc, 1, v[6:7]
	s_cselect_b64 s[10:11], -1, 0
	s_and_b64 s[94:95], s[10:11], vcc
	s_mov_b64 s[10:11], -1
                                        ; implicit-def: $sgpr48_sgpr49
                                        ; implicit-def: $sgpr30_sgpr31
	s_and_saveexec_b64 s[28:29], s[94:95]
	s_cbranch_execz .LBB85_259
; %bb.226:                              ;   in Loop: Header=BB85_17 Depth=1
	ds_read_b64 v[4:5], v3 offset:5120
	s_waitcnt lgkmcnt(0)
	s_barrier
	v_readfirstlane_b32 s34, v4
	v_readfirstlane_b32 s35, v5
	s_and_saveexec_b64 s[10:11], s[16:17]
; %bb.227:                              ;   in Loop: Header=BB85_17 Depth=1
	ds_write_b8 v0, v3 offset:3072
; %bb.228:                              ;   in Loop: Header=BB85_17 Depth=1
	s_or_b64 exec, exec, s[10:11]
	v_or_b32_e32 v28, s56, v28
	v_or_b32_e32 v32, s56, v32
	s_mov_b64 s[30:31], -1
	s_mov_b64 s[48:49], 0
	s_cmp_eq_u64 s[34:35], 0
	s_mov_b64 s[12:13], 0
	s_mov_b64 s[10:11], -1
	s_waitcnt lgkmcnt(0)
	s_barrier
                                        ; implicit-def: $vgpr33
	s_cbranch_scc1 .LBB85_244
; %bb.229:                              ;   in Loop: Header=BB85_17 Depth=1
	s_add_u32 s36, s34, s57
	v_readlane_b32 s10, v55, 30
	s_addc_u32 s13, s35, s10
	s_mov_b32 s12, s53
	s_cmp_lg_u64 s[12:13], 0
	s_cbranch_scc0 .LBB85_278
; %bb.230:                              ;   in Loop: Header=BB85_17 Depth=1
	v_cvt_f32_u32_e32 v4, s23
	s_sub_u32 s12, 0, s23
	s_subb_u32 s26, 0, 0
	v_mac_f32_e32 v4, 0, v30
	v_rcp_f32_e32 v4, v4
	v_mul_f32_e32 v4, 0x5f7ffffc, v4
	v_mul_f32_e32 v5, 0x2f800000, v4
	v_trunc_f32_e32 v5, v5
	v_mac_f32_e32 v4, 0xcf800000, v5
	v_cvt_u32_f32_e32 v5, v5
	v_cvt_u32_f32_e32 v4, v4
	v_readfirstlane_b32 s27, v5
	v_readfirstlane_b32 s10, v4
	s_mul_i32 s11, s12, s27
	s_mul_hi_u32 s38, s12, s10
	s_mul_i32 s37, s26, s10
	s_add_i32 s11, s38, s11
	s_mul_i32 s39, s12, s10
	s_add_i32 s11, s11, s37
	s_mul_hi_u32 s38, s10, s39
	s_mul_i32 s42, s10, s11
	s_mul_hi_u32 s37, s10, s11
	s_add_u32 s38, s38, s42
	s_addc_u32 s37, 0, s37
	s_mul_hi_u32 s43, s27, s39
	s_mul_i32 s39, s27, s39
	s_add_u32 s38, s38, s39
	s_mul_hi_u32 s42, s27, s11
	s_addc_u32 s37, s37, s43
	s_addc_u32 s38, s42, 0
	s_mul_i32 s11, s27, s11
	s_add_u32 s11, s37, s11
	s_addc_u32 s37, 0, s38
	s_add_u32 s38, s10, s11
	s_cselect_b64 s[10:11], -1, 0
	s_cmp_lg_u64 s[10:11], 0
	s_addc_u32 s27, s27, s37
	s_mul_i32 s10, s12, s27
	s_mul_hi_u32 s11, s12, s38
	s_add_i32 s10, s11, s10
	s_mul_i32 s26, s26, s38
	s_add_i32 s10, s10, s26
	s_mul_i32 s12, s12, s38
	s_mul_hi_u32 s26, s27, s12
	s_mul_i32 s37, s27, s12
	s_mul_i32 s42, s38, s10
	s_mul_hi_u32 s12, s38, s12
	s_mul_hi_u32 s39, s38, s10
	s_add_u32 s12, s12, s42
	s_addc_u32 s39, 0, s39
	s_add_u32 s12, s12, s37
	s_mul_hi_u32 s11, s27, s10
	s_addc_u32 s12, s39, s26
	s_addc_u32 s11, s11, 0
	s_mul_i32 s10, s27, s10
	s_add_u32 s10, s12, s10
	s_addc_u32 s12, 0, s11
	s_add_u32 s26, s38, s10
	s_cselect_b64 s[10:11], -1, 0
	s_cmp_lg_u64 s[10:11], 0
	s_addc_u32 s10, s27, s12
	s_mul_i32 s12, s36, s10
	s_mul_hi_u32 s27, s36, s26
	s_mul_hi_u32 s11, s36, s10
	s_add_u32 s12, s27, s12
	s_addc_u32 s11, 0, s11
	s_mul_hi_u32 s37, s13, s26
	s_mul_i32 s26, s13, s26
	s_add_u32 s12, s12, s26
	s_mul_hi_u32 s27, s13, s10
	s_addc_u32 s11, s11, s37
	s_addc_u32 s12, s27, 0
	s_mul_i32 s10, s13, s10
	s_add_u32 s10, s11, s10
	s_addc_u32 s11, 0, s12
	s_mul_i32 s11, s23, s11
	s_mul_hi_u32 s12, s23, s10
	s_add_i32 s12, s12, s11
	s_mul_i32 s10, s23, s10
	s_sub_u32 s26, s36, s10
	s_cselect_b64 s[10:11], -1, 0
	s_cmp_lg_u64 s[10:11], 0
	s_subb_u32 s12, s13, s12
	s_sub_u32 s27, s26, s23
	s_cselect_b64 s[10:11], -1, 0
	s_cmp_lg_u64 s[10:11], 0
	s_subb_u32 s37, s12, 0
	;; [unrolled: 4-line block ×3, first 2 shown]
	s_cmp_ge_u32 s27, s23
	s_cselect_b32 s11, -1, 0
	s_cmp_eq_u32 s37, 0
	s_cselect_b32 s11, s11, -1
	s_cmp_lg_u32 s11, 0
	s_cselect_b32 s10, s10, s37
	s_cselect_b32 s27, s38, s27
	s_cmp_ge_u32 s26, s23
	s_cselect_b32 s11, -1, 0
	s_cmp_eq_u32 s12, 0
	s_cselect_b32 s11, s11, -1
	s_cmp_lg_u32 s11, 0
	s_cselect_b32 s11, s10, s12
	s_cselect_b32 s10, s27, s26
	s_cbranch_execnz .LBB85_232
.LBB85_231:                             ;   in Loop: Header=BB85_17 Depth=1
	v_cvt_f32_u32_e32 v4, s23
	s_sub_i32 s10, 0, s23
	v_rcp_iflag_f32_e32 v4, v4
	v_mul_f32_e32 v4, 0x4f7ffffe, v4
	v_cvt_u32_f32_e32 v4, v4
	v_readfirstlane_b32 s11, v4
	s_mul_i32 s10, s10, s11
	s_mul_hi_u32 s10, s11, s10
	s_add_i32 s11, s11, s10
	s_mul_hi_u32 s10, s36, s11
	s_mul_i32 s10, s10, s23
	s_sub_i32 s10, s36, s10
	s_sub_i32 s11, s10, s23
	s_cmp_ge_u32 s10, s23
	s_cselect_b32 s10, s11, s10
	s_sub_i32 s11, s10, s23
	s_cmp_ge_u32 s10, s23
	s_cselect_b32 s52, s11, s10
	s_mov_b64 s[10:11], s[52:53]
.LBB85_232:                             ;   in Loop: Header=BB85_17 Depth=1
	s_sub_u32 s38, s36, s10
	s_subb_u32 s39, s13, s11
	v_cmp_gt_u64_e32 vcc, s[38:39], v[0:1]
	s_mov_b64 s[10:11], 0
	s_mov_b64 s[12:13], 0
                                        ; implicit-def: $vgpr33
	s_and_saveexec_b64 s[36:37], vcc
	s_cbranch_execz .LBB85_243
; %bb.233:                              ;   in Loop: Header=BB85_17 Depth=1
	v_mov_b32_e32 v5, v1
	v_mov_b32_e32 v8, v0
	;; [unrolled: 1-line block ×3, first 2 shown]
                                        ; implicit-def: $sgpr44_sgpr45
	s_branch .LBB85_236
.LBB85_234:                             ;   in Loop: Header=BB85_236 Depth=2
	s_or_b64 exec, exec, s[26:27]
	s_waitcnt lgkmcnt(0)
	s_barrier
	ds_read_u16 v9, v3 offset:3072
	s_mov_b64 s[26:27], -1
	s_waitcnt lgkmcnt(0)
	s_barrier
	v_cmp_ne_u32_sdwa s[42:43], v9, v3 src0_sel:BYTE_0 src1_sel:DWORD
	s_and_b64 vcc, exec, s[42:43]
	s_mov_b64 s[42:43], -1
	s_cbranch_vccz .LBB85_239
.LBB85_235:                             ;   in Loop: Header=BB85_236 Depth=2
	s_and_b64 s[26:27], exec, s[26:27]
	s_or_b64 s[12:13], s[26:27], s[12:13]
	s_andn2_b64 s[26:27], s[44:45], exec
	s_and_b64 s[42:43], s[42:43], exec
	s_or_b64 s[44:45], s[26:27], s[42:43]
	s_andn2_b64 exec, exec, s[12:13]
	s_cbranch_execz .LBB85_242
.LBB85_236:                             ;   Parent Loop BB85_17 Depth=1
                                        ; =>  This Inner Loop Header: Depth=2
	v_cmp_gt_u64_e32 vcc, s[34:35], v[4:5]
	s_and_saveexec_b64 s[26:27], vcc
	s_cbranch_execz .LBB85_234
; %bb.237:                              ;   in Loop: Header=BB85_236 Depth=2
	ds_read_u8 v9, v8
	s_waitcnt lgkmcnt(0)
	v_add_u32_sdwa v10, sext(v9), s22 dst_sel:DWORD dst_unused:UNUSED_PAD src0_sel:BYTE_0 src1_sel:DWORD
	v_and_b32_e32 v10, v10, v32
	v_cmp_eq_u32_e32 vcc, v10, v28
	s_and_b64 exec, exec, vcc
	s_cbranch_execz .LBB85_234
; %bb.238:                              ;   in Loop: Header=BB85_236 Depth=2
	v_lshlrev_b16_e32 v9, 8, v9
	v_or_b32_e32 v9, 1, v9
	ds_write_b16 v3, v9 offset:3072
	s_branch .LBB85_234
.LBB85_239:                             ;   in Loop: Header=BB85_236 Depth=2
	v_add_co_u32_e32 v4, vcc, s23, v4
	v_addc_co_u32_e32 v5, vcc, 0, v5, vcc
	v_cmp_le_u64_e32 vcc, s[38:39], v[4:5]
	v_add_u32_e32 v8, s23, v8
	s_mov_b64 s[42:43], 0
	s_orn2_b64 s[26:27], vcc, exec
	s_branch .LBB85_235
.LBB85_240:                             ;   in Loop: Header=BB85_17 Depth=1
                                        ; implicit-def: $sgpr10_sgpr11
	s_branch .LBB85_186
.LBB85_241:                             ;   in Loop: Header=BB85_17 Depth=1
                                        ; implicit-def: $sgpr10_sgpr11
	s_branch .LBB85_202
.LBB85_242:                             ;   in Loop: Header=BB85_17 Depth=1
	s_or_b64 exec, exec, s[12:13]
	v_lshrrev_b32_sdwa v33, v31, v9 dst_sel:DWORD dst_unused:UNUSED_PAD src0_sel:DWORD src1_sel:WORD_0
	s_and_b64 s[12:13], s[44:45], exec
.LBB85_243:                             ;   in Loop: Header=BB85_17 Depth=1
	s_or_b64 exec, exec, s[36:37]
.LBB85_244:                             ;   in Loop: Header=BB85_17 Depth=1
	s_and_b64 vcc, exec, s[10:11]
	s_cbranch_vccz .LBB85_258
; %bb.245:                              ;   in Loop: Header=BB85_17 Depth=1
	s_mov_b32 s58, s53
	s_cmp_lg_u64 s[58:59], 0
	s_cbranch_scc0 .LBB85_279
; %bb.246:                              ;   in Loop: Header=BB85_17 Depth=1
	v_cvt_f32_u32_e32 v4, s23
	s_sub_u32 s26, 0, s23
	s_subb_u32 s27, 0, 0
	v_mac_f32_e32 v4, 0, v30
	v_rcp_f32_e32 v4, v4
	v_mul_f32_e32 v4, 0x5f7ffffc, v4
	v_mul_f32_e32 v5, 0x2f800000, v4
	v_trunc_f32_e32 v5, v5
	v_mac_f32_e32 v4, 0xcf800000, v5
	v_cvt_u32_f32_e32 v5, v5
	v_cvt_u32_f32_e32 v4, v4
	v_readfirstlane_b32 s30, v5
	v_readfirstlane_b32 s10, v4
	s_mul_i32 s11, s26, s30
	s_mul_hi_u32 s34, s26, s10
	s_mul_i32 s31, s27, s10
	s_add_i32 s11, s34, s11
	s_mul_i32 s35, s26, s10
	s_add_i32 s11, s11, s31
	s_mul_hi_u32 s34, s10, s35
	s_mul_i32 s36, s10, s11
	s_mul_hi_u32 s31, s10, s11
	s_add_u32 s34, s34, s36
	s_addc_u32 s31, 0, s31
	s_mul_hi_u32 s37, s30, s35
	s_mul_i32 s35, s30, s35
	s_add_u32 s34, s34, s35
	s_mul_hi_u32 s36, s30, s11
	s_addc_u32 s31, s31, s37
	s_addc_u32 s34, s36, 0
	s_mul_i32 s11, s30, s11
	s_add_u32 s11, s31, s11
	s_addc_u32 s31, 0, s34
	s_add_u32 s34, s10, s11
	s_cselect_b64 s[10:11], -1, 0
	s_cmp_lg_u64 s[10:11], 0
	s_addc_u32 s30, s30, s31
	s_mul_i32 s10, s26, s30
	s_mul_hi_u32 s11, s26, s34
	s_add_i32 s10, s11, s10
	s_mul_i32 s27, s27, s34
	s_add_i32 s10, s10, s27
	s_mul_i32 s26, s26, s34
	s_mul_hi_u32 s27, s30, s26
	s_mul_i32 s31, s30, s26
	s_mul_i32 s36, s34, s10
	s_mul_hi_u32 s26, s34, s26
	s_mul_hi_u32 s35, s34, s10
	s_add_u32 s26, s26, s36
	s_addc_u32 s35, 0, s35
	s_add_u32 s26, s26, s31
	s_mul_hi_u32 s11, s30, s10
	s_addc_u32 s26, s35, s27
	s_addc_u32 s11, s11, 0
	s_mul_i32 s10, s30, s10
	s_add_u32 s10, s26, s10
	s_addc_u32 s26, 0, s11
	s_add_u32 s27, s34, s10
	s_cselect_b64 s[10:11], -1, 0
	s_cmp_lg_u64 s[10:11], 0
	s_addc_u32 s10, s30, s26
	s_mul_i32 s26, s3, s10
	s_mul_hi_u32 s30, s3, s27
	s_mul_hi_u32 s11, s3, s10
	s_add_u32 s26, s30, s26
	s_addc_u32 s11, 0, s11
	s_mul_hi_u32 s31, s59, s27
	s_mul_i32 s27, s59, s27
	s_add_u32 s26, s26, s27
	s_mul_hi_u32 s30, s59, s10
	s_addc_u32 s11, s11, s31
	s_addc_u32 s26, s30, 0
	s_mul_i32 s10, s59, s10
	s_add_u32 s10, s11, s10
	s_addc_u32 s11, 0, s26
	s_mul_i32 s11, s23, s11
	s_mul_hi_u32 s26, s23, s10
	s_add_i32 s26, s26, s11
	s_mul_i32 s10, s23, s10
	s_sub_u32 s27, s3, s10
	s_cselect_b64 s[10:11], -1, 0
	s_cmp_lg_u64 s[10:11], 0
	s_subb_u32 s26, s59, s26
	s_sub_u32 s30, s27, s23
	s_cselect_b64 s[10:11], -1, 0
	s_cmp_lg_u64 s[10:11], 0
	s_subb_u32 s31, s26, 0
	;; [unrolled: 4-line block ×3, first 2 shown]
	s_cmp_ge_u32 s30, s23
	s_cselect_b32 s11, -1, 0
	s_cmp_eq_u32 s31, 0
	s_cselect_b32 s11, s11, -1
	s_cmp_lg_u32 s11, 0
	s_cselect_b32 s10, s10, s31
	s_cselect_b32 s30, s34, s30
	s_cmp_ge_u32 s27, s23
	s_cselect_b32 s11, -1, 0
	s_cmp_eq_u32 s26, 0
	s_cselect_b32 s11, s11, -1
	s_cmp_lg_u32 s11, 0
	s_cselect_b32 s11, s10, s26
	s_cselect_b32 s10, s30, s27
	s_cbranch_execnz .LBB85_248
.LBB85_247:                             ;   in Loop: Header=BB85_17 Depth=1
	v_cvt_f32_u32_e32 v4, s23
	s_sub_i32 s10, 0, s23
	v_rcp_iflag_f32_e32 v4, v4
	v_mul_f32_e32 v4, 0x4f7ffffe, v4
	v_cvt_u32_f32_e32 v4, v4
	v_readfirstlane_b32 s11, v4
	s_mul_i32 s10, s10, s11
	s_mul_hi_u32 s10, s11, s10
	s_add_i32 s11, s11, s10
	s_mul_hi_u32 s10, s3, s11
	s_mul_i32 s10, s10, s23
	s_sub_i32 s10, s3, s10
	s_sub_i32 s11, s10, s23
	s_cmp_ge_u32 s10, s23
	s_cselect_b32 s10, s11, s10
	s_sub_i32 s11, s10, s23
	s_cmp_ge_u32 s10, s23
	s_cselect_b32 s52, s11, s10
	s_mov_b64 s[10:11], s[52:53]
.LBB85_248:                             ;   in Loop: Header=BB85_17 Depth=1
	s_sub_u32 s30, s3, s10
	s_subb_u32 s31, s59, s11
	v_cmp_gt_u64_e32 vcc, s[30:31], v[0:1]
                                        ; implicit-def: $vgpr33
	s_and_saveexec_b64 s[10:11], vcc
	s_cbranch_execz .LBB85_257
; %bb.249:                              ;   in Loop: Header=BB85_17 Depth=1
	v_mov_b32_e32 v5, v1
	s_mov_b64 s[34:35], 0
	v_mov_b32_e32 v4, v0
                                        ; implicit-def: $sgpr36_sgpr37
	s_branch .LBB85_252
.LBB85_250:                             ;   in Loop: Header=BB85_252 Depth=2
	s_or_b64 exec, exec, s[38:39]
	s_waitcnt lgkmcnt(0)
	s_barrier
	ds_read_u16 v8, v3 offset:3072
	s_mov_b64 s[26:27], -1
	s_waitcnt lgkmcnt(0)
	s_barrier
	v_cmp_eq_u32_sdwa s[38:39], v8, v3 src0_sel:BYTE_0 src1_sel:DWORD
	s_and_b64 vcc, exec, s[38:39]
	s_mov_b64 s[38:39], -1
	s_cbranch_vccnz .LBB85_255
.LBB85_251:                             ;   in Loop: Header=BB85_252 Depth=2
	s_and_b64 s[26:27], exec, s[26:27]
	s_or_b64 s[34:35], s[26:27], s[34:35]
	s_andn2_b64 s[26:27], s[36:37], exec
	s_and_b64 s[36:37], s[38:39], exec
	s_or_b64 s[36:37], s[26:27], s[36:37]
	s_andn2_b64 exec, exec, s[34:35]
	s_cbranch_execz .LBB85_256
.LBB85_252:                             ;   Parent Loop BB85_17 Depth=1
                                        ; =>  This Inner Loop Header: Depth=2
	v_cmp_gt_u64_e32 vcc, s[24:25], v[4:5]
	s_and_saveexec_b64 s[38:39], vcc
	s_cbranch_execz .LBB85_250
; %bb.253:                              ;   in Loop: Header=BB85_252 Depth=2
	v_mov_b32_e32 v8, s50
	v_mov_b32_e32 v9, s51
	v_mad_u64_u32 v[8:9], s[26:27], v4, s40, v[8:9]
	v_mul_lo_u32 v10, v4, s41
	v_mul_lo_u32 v11, v5, s40
	v_add3_u32 v9, v11, v9, v10
	global_load_ubyte v8, v[8:9], off
	s_waitcnt vmcnt(0)
	v_add_u32_sdwa v9, sext(v8), s22 dst_sel:DWORD dst_unused:UNUSED_PAD src0_sel:BYTE_0 src1_sel:DWORD
	v_and_b32_e32 v9, v9, v32
	v_cmp_eq_u32_e32 vcc, v9, v28
	s_and_b64 exec, exec, vcc
	s_cbranch_execz .LBB85_250
; %bb.254:                              ;   in Loop: Header=BB85_252 Depth=2
	v_lshlrev_b16_e32 v8, 8, v8
	v_or_b32_e32 v8, 1, v8
	ds_write_b16 v3, v8 offset:3072
	s_branch .LBB85_250
.LBB85_255:                             ;   in Loop: Header=BB85_252 Depth=2
	v_add_co_u32_e32 v4, vcc, s23, v4
	v_addc_co_u32_e32 v5, vcc, 0, v5, vcc
	v_cmp_le_u64_e32 vcc, s[30:31], v[4:5]
	s_mov_b64 s[38:39], 0
	s_orn2_b64 s[26:27], vcc, exec
	s_branch .LBB85_251
.LBB85_256:                             ;   in Loop: Header=BB85_17 Depth=1
	s_or_b64 exec, exec, s[34:35]
	s_andn2_b64 s[12:13], s[12:13], exec
	s_and_b64 s[26:27], s[36:37], exec
	v_lshrrev_b32_sdwa v33, v31, v8 dst_sel:DWORD dst_unused:UNUSED_PAD src0_sel:DWORD src1_sel:WORD_0
	s_or_b64 s[12:13], s[12:13], s[26:27]
.LBB85_257:                             ;   in Loop: Header=BB85_17 Depth=1
	s_or_b64 exec, exec, s[10:11]
	s_mov_b64 s[30:31], 0
	s_mov_b64 s[48:49], -1
.LBB85_258:                             ;   in Loop: Header=BB85_17 Depth=1
	s_orn2_b64 s[10:11], s[12:13], exec
.LBB85_259:                             ;   in Loop: Header=BB85_17 Depth=1
	s_or_b64 exec, exec, s[28:29]
	s_mov_b64 s[28:29], 0
	s_and_saveexec_b64 s[12:13], s[10:11]
	s_cbranch_execz .LBB85_270
; %bb.260:                              ;   in Loop: Header=BB85_17 Depth=1
	v_mov_b32_e32 v4, 1
	s_xor_b64 s[26:27], s[94:95], -1
	v_mov_b32_e32 v5, 0
	v_mov_b32_e32 v2, 1
	s_and_saveexec_b64 s[10:11], s[26:27]
	s_cbranch_execz .LBB85_269
; %bb.261:                              ;   in Loop: Header=BB85_17 Depth=1
	v_cmp_ge_u64_e32 vcc, s[14:15], v[6:7]
	s_and_saveexec_b64 s[26:27], vcc
	s_xor_b64 s[28:29], exec, s[26:27]
	s_cbranch_execz .LBB85_266
; %bb.262:                              ;   in Loop: Header=BB85_17 Depth=1
	ds_read_b64 v[4:5], v3 offset:5120
	v_or_b32_e32 v28, s56, v28
	v_or_b32_e32 v32, s56, v32
	s_waitcnt lgkmcnt(0)
	v_cmp_ne_u64_e32 vcc, 0, v[4:5]
	s_cbranch_vccnz .LBB85_266
; %bb.263:                              ;   in Loop: Header=BB85_17 Depth=1
	s_mov_b64 s[26:27], exec
	v_readlane_b32 s34, v55, 8
	v_readlane_b32 s35, v55, 9
	s_and_b64 s[34:35], s[26:27], s[34:35]
	s_mov_b64 exec, s[34:35]
; %bb.264:                              ;   in Loop: Header=BB85_17 Depth=1
	v_mov_b32_e32 v4, s14
	v_mov_b32_e32 v5, s15
	ds_write_b64 v3, v[4:5] offset:5128
; %bb.265:                              ;   in Loop: Header=BB85_17 Depth=1
	s_or_b64 exec, exec, s[26:27]
	s_waitcnt lgkmcnt(0)
	s_barrier
.LBB85_266:                             ;   in Loop: Header=BB85_17 Depth=1
	s_andn2_saveexec_b64 s[28:29], s[28:29]
; %bb.267:                              ;   in Loop: Header=BB85_17 Depth=1
	v_mov_b32_e32 v2, s15
	v_subrev_co_u32_e32 v6, vcc, s14, v6
	v_subb_co_u32_e32 v7, vcc, v7, v2, vcc
; %bb.268:                              ;   in Loop: Header=BB85_17 Depth=1
	s_or_b64 exec, exec, s[28:29]
	v_mov_b32_e32 v4, v6
	v_mov_b32_e32 v2, 8
	;; [unrolled: 1-line block ×3, first 2 shown]
.LBB85_269:                             ;   in Loop: Header=BB85_17 Depth=1
	s_or_b64 exec, exec, s[10:11]
	v_mov_b32_e32 v7, v5
	s_mov_b64 s[28:29], exec
	v_mov_b32_e32 v6, v4
.LBB85_270:                             ;   in Loop: Header=BB85_17 Depth=1
	s_or_b64 exec, exec, s[12:13]
	s_orn2_b64 s[10:11], s[28:29], exec
.LBB85_271:                             ;   in Loop: Header=BB85_17 Depth=1
	s_or_b64 exec, exec, s[82:83]
	s_andn2_b64 s[12:13], s[92:93], exec
	s_and_b64 s[14:15], s[48:49], exec
	s_or_b64 s[92:93], s[12:13], s[14:15]
	s_andn2_b64 s[12:13], s[90:91], exec
	s_and_b64 s[14:15], s[30:31], exec
	v_mov_b32_e32 v4, v6
	s_or_b64 s[90:91], s[12:13], s[14:15]
	s_and_b64 s[12:13], s[10:11], exec
	v_mov_b32_e32 v5, v7
.LBB85_272:                             ;   in Loop: Header=BB85_17 Depth=1
	s_or_b64 exec, exec, s[46:47]
	s_orn2_b64 s[10:11], s[12:13], exec
.LBB85_273:                             ;   in Loop: Header=BB85_17 Depth=1
	s_or_b64 exec, exec, s[88:89]
	s_andn2_b64 s[12:13], s[84:85], exec
	s_and_b64 s[14:15], s[92:93], exec
	s_or_b64 s[84:85], s[12:13], s[14:15]
	s_andn2_b64 s[6:7], s[6:7], exec
	s_and_b64 s[12:13], s[90:91], exec
	v_mov_b32_e32 v9, v5
	s_or_b64 s[6:7], s[6:7], s[12:13]
	s_and_b64 s[12:13], s[10:11], exec
	v_mov_b32_e32 v8, v4
.LBB85_274:                             ;   in Loop: Header=BB85_17 Depth=1
	s_or_b64 exec, exec, s[86:87]
	s_orn2_b64 s[10:11], s[12:13], exec
.LBB85_275:                             ;   in Loop: Header=BB85_17 Depth=1
	s_or_b64 exec, exec, s[80:81]
	s_mov_b64 s[12:13], 0
	s_and_saveexec_b64 s[14:15], s[10:11]
	s_xor_b64 s[10:11], exec, s[14:15]
	s_cbranch_execz .LBB85_15
; %bb.276:                              ;   in Loop: Header=BB85_17 Depth=1
	v_and_b32_e32 v2, 7, v2
	v_cmp_eq_u32_e32 vcc, 0, v2
	s_mov_b64 s[14:15], -1
	s_mov_b64 s[12:13], -1
	s_and_saveexec_b64 s[20:21], vcc
	s_cbranch_execz .LBB85_14
; %bb.277:                              ;   in Loop: Header=BB85_17 Depth=1
	s_xor_b32 s2, s2, 1
	s_add_i32 s26, s1, -2
	s_cmp_eq_u32 s1, 0
	s_cselect_b64 s[14:15], -1, 0
	s_xor_b64 s[12:13], exec, -1
	s_orn2_b64 s[14:15], s[14:15], exec
	s_mov_b32 s1, s26
	s_branch .LBB85_14
.LBB85_278:                             ;   in Loop: Header=BB85_17 Depth=1
                                        ; implicit-def: $sgpr10_sgpr11
	s_branch .LBB85_231
.LBB85_279:                             ;   in Loop: Header=BB85_17 Depth=1
                                        ; implicit-def: $sgpr10_sgpr11
	s_branch .LBB85_247
.LBB85_280:
	s_or_b64 exec, exec, s[66:67]
	s_xor_b64 s[8:9], s[72:73], -1
	s_xor_b64 s[0:1], s[68:69], -1
	;; [unrolled: 1-line block ×3, first 2 shown]
	s_mov_b64 s[4:5], 0
	s_and_saveexec_b64 s[2:3], s[0:1]
	s_xor_b64 s[0:1], exec, s[2:3]
	s_cbranch_execnz .LBB85_285
; %bb.281:
	s_andn2_saveexec_b64 s[0:1], s[0:1]
	s_cbranch_execnz .LBB85_298
.LBB85_282:
	s_or_b64 exec, exec, s[0:1]
	s_and_saveexec_b64 s[0:1], s[4:5]
.LBB85_283:
	; divergent unreachable
.LBB85_284:
	s_endpgm
.LBB85_285:
	s_and_saveexec_b64 s[2:3], s[8:9]
	s_xor_b64 s[4:5], exec, s[2:3]
	s_cbranch_execz .LBB85_296
; %bb.286:
	s_and_saveexec_b64 s[2:3], s[6:7]
	s_xor_b64 s[6:7], exec, s[2:3]
; %bb.287:
	v_xor_b32_e32 v33, 0xffffff80, v28
; %bb.288:
	s_or_b64 exec, exec, s[6:7]
	v_readlane_b32 s6, v55, 6
	v_readlane_b32 s2, v55, 4
	;; [unrolled: 1-line block ×4, first 2 shown]
	s_mov_b32 s8, s2
	s_mul_i32 s2, s2, s7
	s_mul_hi_u32 s3, s8, s6
	s_add_i32 s3, s3, s2
	s_mul_i32 s2, s8, s6
	v_readlane_b32 s18, v55, 22
	v_readlane_b32 s12, v55, 18
	s_sub_u32 s2, s18, s2
	v_readlane_b32 s14, v55, 20
	v_readlane_b32 s15, v55, 21
	s_subb_u32 s3, 0, s3
	s_mul_i32 s6, s2, s15
	s_mul_hi_u32 s7, s2, s14
	v_readlane_b32 s13, v55, 19
	s_add_i32 s6, s7, s6
	s_mul_i32 s3, s3, s14
	s_add_i32 s6, s6, s3
	s_mul_i32 s3, s8, s13
	s_mul_hi_u32 s7, s8, s12
	s_add_i32 s7, s7, s3
	s_mul_i32 s3, s8, s12
	v_readlane_b32 s8, v55, 12
	v_readlane_b32 s9, v55, 13
	s_add_u32 s3, s8, s3
	s_mul_i32 s2, s2, s14
	s_addc_u32 s7, s9, s7
	s_add_u32 s2, s3, s2
	s_addc_u32 s3, s7, s6
	v_mov_b32_e32 v2, 0
	v_readlane_b32 s19, v55, 23
	global_store_byte v2, v33, s[2:3]
	s_mov_b64 s[6:7], exec
	v_readlane_b32 s2, v55, 24
	v_readlane_b32 s3, v55, 25
	s_and_b64 s[2:3], s[6:7], s[2:3]
	s_mov_b64 exec, s[2:3]
	s_cbranch_execz .LBB85_295
; %bb.289:
	v_mov_b32_e32 v4, s50
	s_mov_b64 s[2:3], 0
	v_mov_b32_e32 v5, s51
                                        ; implicit-def: $sgpr8_sgpr9
                                        ; implicit-def: $sgpr12_sgpr13
                                        ; implicit-def: $sgpr10_sgpr11
	s_branch .LBB85_291
.LBB85_290:                             ;   in Loop: Header=BB85_291 Depth=1
	s_or_b64 exec, exec, s[14:15]
	s_and_b64 s[14:15], exec, s[12:13]
	s_or_b64 s[2:3], s[14:15], s[2:3]
	s_andn2_b64 s[8:9], s[8:9], exec
	s_and_b64 s[14:15], s[10:11], exec
	s_or_b64 s[8:9], s[8:9], s[14:15]
	s_andn2_b64 exec, exec, s[2:3]
	s_cbranch_execz .LBB85_293
.LBB85_291:                             ; =>This Inner Loop Header: Depth=1
	v_mov_b32_e32 v3, v1
	v_mov_b32_e32 v2, v0
	v_mad_u64_u32 v[0:1], s[14:15], v2, s40, v[4:5]
	v_mul_lo_u32 v6, v2, s41
	v_mul_lo_u32 v7, v3, s40
	s_or_b64 s[10:11], s[10:11], exec
	s_or_b64 s[12:13], s[12:13], exec
	v_add3_u32 v1, v7, v1, v6
	global_load_ubyte v0, v[0:1], off
	s_waitcnt vmcnt(0)
	v_cmp_ne_u16_sdwa s[16:17], v0, v33 src0_sel:DWORD src1_sel:BYTE_0
                                        ; implicit-def: $vgpr0_vgpr1
	s_and_saveexec_b64 s[14:15], s[16:17]
	s_cbranch_execz .LBB85_290
; %bb.292:                              ;   in Loop: Header=BB85_291 Depth=1
	v_add_co_u32_e32 v0, vcc, s23, v2
	v_addc_co_u32_e32 v1, vcc, 0, v3, vcc
	v_cmp_le_u64_e32 vcc, s[24:25], v[0:1]
	s_andn2_b64 s[12:13], s[12:13], exec
	s_and_b64 s[16:17], vcc, exec
	s_andn2_b64 s[10:11], s[10:11], exec
	s_or_b64 s[12:13], s[12:13], s[16:17]
	s_branch .LBB85_290
.LBB85_293:
	s_or_b64 exec, exec, s[2:3]
	s_and_saveexec_b64 s[2:3], s[8:9]
	s_xor_b64 s[2:3], exec, s[2:3]
	s_cbranch_execz .LBB85_295
; %bb.294:
	v_readlane_b32 s8, v55, 0
	v_readlane_b32 s2, v55, 2
	;; [unrolled: 1-line block ×4, first 2 shown]
	s_mov_b32 s10, s2
	s_mul_i32 s2, s2, s9
	s_mul_hi_u32 s3, s10, s8
	s_add_i32 s3, s3, s2
	s_mul_i32 s2, s10, s8
	v_readlane_b32 s12, v55, 14
	s_sub_u32 s2, s18, s2
	v_readlane_b32 s14, v55, 16
	v_readlane_b32 s15, v55, 17
	s_subb_u32 s3, 0, s3
	s_mul_i32 s8, s2, s15
	s_mul_hi_u32 s9, s2, s14
	v_readlane_b32 s13, v55, 15
	s_add_i32 s8, s9, s8
	s_mul_i32 s3, s3, s14
	s_add_i32 s3, s8, s3
	s_mul_i32 s8, s10, s13
	s_mul_hi_u32 s9, s10, s12
	s_add_i32 s9, s9, s8
	s_mul_i32 s8, s10, s12
	s_lshl_b64 s[8:9], s[8:9], 3
	v_readlane_b32 s10, v55, 10
	s_mul_i32 s2, s2, s14
	v_readlane_b32 s11, v55, 11
	s_add_u32 s8, s10, s8
	s_addc_u32 s9, s11, s9
	s_lshl_b64 s[2:3], s[2:3], 3
	s_add_u32 s2, s8, s2
	s_addc_u32 s3, s9, s3
	v_mov_b32_e32 v0, 0
	global_store_dwordx2 v0, v[2:3], s[2:3]
.LBB85_295:
	s_or_b64 exec, exec, s[6:7]
.LBB85_296:
	s_or_saveexec_b64 s[2:3], s[4:5]
	s_mov_b64 s[4:5], 0
	s_xor_b64 exec, exec, s[2:3]
	s_cbranch_execnz .LBB85_299
.LBB85_297:
	s_or_b64 exec, exec, s[2:3]
	s_and_b64 s[4:5], s[4:5], exec
	s_andn2_saveexec_b64 s[0:1], s[0:1]
	s_cbranch_execz .LBB85_282
.LBB85_298:
	s_or_b64 s[4:5], s[4:5], exec
	s_trap 2
	s_or_b64 exec, exec, s[0:1]
	s_and_saveexec_b64 s[0:1], s[4:5]
	s_cbranch_execnz .LBB85_283
	s_branch .LBB85_284
.LBB85_299:
	s_mov_b64 s[4:5], exec
	s_trap 2
	s_branch .LBB85_297
	.section	.rodata,"a",@progbits
	.p2align	6, 0x0
	.amdhsa_kernel _ZN2at6native12_GLOBAL__N_112gatherMedianIamLi2EEEvNS_4cuda6detail10TensorInfoIT_T0_EENS5_IlS7_EENS5_IKS6_S7_EES7_S7_S7_b
		.amdhsa_group_segment_fixed_size 5152
		.amdhsa_private_segment_fixed_size 0
		.amdhsa_kernarg_size 1536
		.amdhsa_user_sgpr_count 6
		.amdhsa_user_sgpr_private_segment_buffer 1
		.amdhsa_user_sgpr_dispatch_ptr 0
		.amdhsa_user_sgpr_queue_ptr 0
		.amdhsa_user_sgpr_kernarg_segment_ptr 1
		.amdhsa_user_sgpr_dispatch_id 0
		.amdhsa_user_sgpr_flat_scratch_init 0
		.amdhsa_user_sgpr_private_segment_size 0
		.amdhsa_uses_dynamic_stack 0
		.amdhsa_system_sgpr_private_segment_wavefront_offset 0
		.amdhsa_system_sgpr_workgroup_id_x 1
		.amdhsa_system_sgpr_workgroup_id_y 1
		.amdhsa_system_sgpr_workgroup_id_z 1
		.amdhsa_system_sgpr_workgroup_info 0
		.amdhsa_system_vgpr_workitem_id 0
		.amdhsa_next_free_vgpr 56
		.amdhsa_next_free_sgpr 96
		.amdhsa_reserve_vcc 1
		.amdhsa_reserve_flat_scratch 0
		.amdhsa_float_round_mode_32 0
		.amdhsa_float_round_mode_16_64 0
		.amdhsa_float_denorm_mode_32 3
		.amdhsa_float_denorm_mode_16_64 3
		.amdhsa_dx10_clamp 1
		.amdhsa_ieee_mode 1
		.amdhsa_fp16_overflow 0
		.amdhsa_exception_fp_ieee_invalid_op 0
		.amdhsa_exception_fp_denorm_src 0
		.amdhsa_exception_fp_ieee_div_zero 0
		.amdhsa_exception_fp_ieee_overflow 0
		.amdhsa_exception_fp_ieee_underflow 0
		.amdhsa_exception_fp_ieee_inexact 0
		.amdhsa_exception_int_div_zero 0
	.end_amdhsa_kernel
	.section	.text._ZN2at6native12_GLOBAL__N_112gatherMedianIamLi2EEEvNS_4cuda6detail10TensorInfoIT_T0_EENS5_IlS7_EENS5_IKS6_S7_EES7_S7_S7_b,"axG",@progbits,_ZN2at6native12_GLOBAL__N_112gatherMedianIamLi2EEEvNS_4cuda6detail10TensorInfoIT_T0_EENS5_IlS7_EENS5_IKS6_S7_EES7_S7_S7_b,comdat
.Lfunc_end85:
	.size	_ZN2at6native12_GLOBAL__N_112gatherMedianIamLi2EEEvNS_4cuda6detail10TensorInfoIT_T0_EENS5_IlS7_EENS5_IKS6_S7_EES7_S7_S7_b, .Lfunc_end85-_ZN2at6native12_GLOBAL__N_112gatherMedianIamLi2EEEvNS_4cuda6detail10TensorInfoIT_T0_EENS5_IlS7_EENS5_IKS6_S7_EES7_S7_S7_b
                                        ; -- End function
	.set _ZN2at6native12_GLOBAL__N_112gatherMedianIamLi2EEEvNS_4cuda6detail10TensorInfoIT_T0_EENS5_IlS7_EENS5_IKS6_S7_EES7_S7_S7_b.num_vgpr, 56
	.set _ZN2at6native12_GLOBAL__N_112gatherMedianIamLi2EEEvNS_4cuda6detail10TensorInfoIT_T0_EENS5_IlS7_EENS5_IKS6_S7_EES7_S7_S7_b.num_agpr, 0
	.set _ZN2at6native12_GLOBAL__N_112gatherMedianIamLi2EEEvNS_4cuda6detail10TensorInfoIT_T0_EENS5_IlS7_EENS5_IKS6_S7_EES7_S7_S7_b.numbered_sgpr, 96
	.set _ZN2at6native12_GLOBAL__N_112gatherMedianIamLi2EEEvNS_4cuda6detail10TensorInfoIT_T0_EENS5_IlS7_EENS5_IKS6_S7_EES7_S7_S7_b.num_named_barrier, 0
	.set _ZN2at6native12_GLOBAL__N_112gatherMedianIamLi2EEEvNS_4cuda6detail10TensorInfoIT_T0_EENS5_IlS7_EENS5_IKS6_S7_EES7_S7_S7_b.private_seg_size, 0
	.set _ZN2at6native12_GLOBAL__N_112gatherMedianIamLi2EEEvNS_4cuda6detail10TensorInfoIT_T0_EENS5_IlS7_EENS5_IKS6_S7_EES7_S7_S7_b.uses_vcc, 1
	.set _ZN2at6native12_GLOBAL__N_112gatherMedianIamLi2EEEvNS_4cuda6detail10TensorInfoIT_T0_EENS5_IlS7_EENS5_IKS6_S7_EES7_S7_S7_b.uses_flat_scratch, 0
	.set _ZN2at6native12_GLOBAL__N_112gatherMedianIamLi2EEEvNS_4cuda6detail10TensorInfoIT_T0_EENS5_IlS7_EENS5_IKS6_S7_EES7_S7_S7_b.has_dyn_sized_stack, 0
	.set _ZN2at6native12_GLOBAL__N_112gatherMedianIamLi2EEEvNS_4cuda6detail10TensorInfoIT_T0_EENS5_IlS7_EENS5_IKS6_S7_EES7_S7_S7_b.has_recursion, 0
	.set _ZN2at6native12_GLOBAL__N_112gatherMedianIamLi2EEEvNS_4cuda6detail10TensorInfoIT_T0_EENS5_IlS7_EENS5_IKS6_S7_EES7_S7_S7_b.has_indirect_call, 0
	.section	.AMDGPU.csdata,"",@progbits
; Kernel info:
; codeLenInByte = 15584
; TotalNumSgprs: 100
; NumVgprs: 56
; ScratchSize: 0
; MemoryBound: 0
; FloatMode: 240
; IeeeMode: 1
; LDSByteSize: 5152 bytes/workgroup (compile time only)
; SGPRBlocks: 12
; VGPRBlocks: 13
; NumSGPRsForWavesPerEU: 100
; NumVGPRsForWavesPerEU: 56
; Occupancy: 4
; WaveLimiterHint : 1
; COMPUTE_PGM_RSRC2:SCRATCH_EN: 0
; COMPUTE_PGM_RSRC2:USER_SGPR: 6
; COMPUTE_PGM_RSRC2:TRAP_HANDLER: 0
; COMPUTE_PGM_RSRC2:TGID_X_EN: 1
; COMPUTE_PGM_RSRC2:TGID_Y_EN: 1
; COMPUTE_PGM_RSRC2:TGID_Z_EN: 1
; COMPUTE_PGM_RSRC2:TIDIG_COMP_CNT: 0
	.section	.text._ZN2at6native12_GLOBAL__N_112gatherMedianIamLi3EEEvNS_4cuda6detail10TensorInfoIT_T0_EENS5_IlS7_EENS5_IKS6_S7_EES7_S7_S7_b,"axG",@progbits,_ZN2at6native12_GLOBAL__N_112gatherMedianIamLi3EEEvNS_4cuda6detail10TensorInfoIT_T0_EENS5_IlS7_EENS5_IKS6_S7_EES7_S7_S7_b,comdat
	.globl	_ZN2at6native12_GLOBAL__N_112gatherMedianIamLi3EEEvNS_4cuda6detail10TensorInfoIT_T0_EENS5_IlS7_EENS5_IKS6_S7_EES7_S7_S7_b ; -- Begin function _ZN2at6native12_GLOBAL__N_112gatherMedianIamLi3EEEvNS_4cuda6detail10TensorInfoIT_T0_EENS5_IlS7_EENS5_IKS6_S7_EES7_S7_S7_b
	.p2align	8
	.type	_ZN2at6native12_GLOBAL__N_112gatherMedianIamLi3EEEvNS_4cuda6detail10TensorInfoIT_T0_EENS5_IlS7_EENS5_IKS6_S7_EES7_S7_S7_b,@function
_ZN2at6native12_GLOBAL__N_112gatherMedianIamLi3EEEvNS_4cuda6detail10TensorInfoIT_T0_EENS5_IlS7_EENS5_IKS6_S7_EES7_S7_S7_b: ; @_ZN2at6native12_GLOBAL__N_112gatherMedianIamLi3EEEvNS_4cuda6detail10TensorInfoIT_T0_EENS5_IlS7_EENS5_IKS6_S7_EES7_S7_S7_b
; %bb.0:
	s_load_dwordx2 s[18:19], s[4:5], 0x500
	s_load_dwordx4 s[24:27], s[4:5], 0x4e0
	s_add_u32 s20, s4, 0x500
	s_addc_u32 s21, s5, 0
	s_mov_b32 s75, 0
	s_waitcnt lgkmcnt(0)
	s_mul_i32 s0, s19, s8
	s_add_i32 s0, s0, s7
	s_mul_i32 s0, s0, s18
	s_add_i32 s74, s0, s6
	v_mov_b32_e32 v1, s74
	v_mov_b32_e32 v2, s75
	v_cmp_le_u64_e32 vcc, s[26:27], v[1:2]
	s_cbranch_vccnz .LBB86_290
; %bb.1:
	s_load_dwordx4 s[28:31], s[4:5], 0x10
	s_mov_b64 s[22:23], 0
	s_mov_b64 s[16:17], 0
	s_waitcnt lgkmcnt(0)
	v_mov_b32_e32 v1, s30
	v_mov_b32_e32 v2, s31
	v_cmp_lt_u64_e32 vcc, s[74:75], v[1:2]
	s_cbranch_vccnz .LBB86_3
; %bb.2:
	v_cvt_f32_u32_e32 v1, s30
	s_sub_i32 s0, 0, s30
	s_mov_b32 s17, 0
	v_rcp_iflag_f32_e32 v1, v1
	v_mul_f32_e32 v1, 0x4f7ffffe, v1
	v_cvt_u32_f32_e32 v1, v1
	v_readfirstlane_b32 s1, v1
	s_mul_i32 s0, s0, s1
	s_mul_hi_u32 s0, s1, s0
	s_add_i32 s1, s1, s0
	s_mul_hi_u32 s0, s74, s1
	s_mul_i32 s2, s0, s30
	s_sub_i32 s2, s74, s2
	s_add_i32 s1, s0, 1
	s_sub_i32 s3, s2, s30
	s_cmp_ge_u32 s2, s30
	s_cselect_b32 s0, s1, s0
	s_cselect_b32 s2, s3, s2
	s_add_i32 s1, s0, 1
	s_cmp_ge_u32 s2, s30
	s_cselect_b32 s16, s1, s0
.LBB86_3:
	s_load_dwordx4 s[0:3], s[4:5], 0x1b0
	v_mov_b32_e32 v1, s28
	v_mov_b32_e32 v2, s29
                                        ; implicit-def: $vgpr46 : SGPR spill to VGPR lane
	v_cmp_lt_u64_e32 vcc, s[16:17], v[1:2]
	s_and_b64 vcc, exec, vcc
	s_waitcnt lgkmcnt(0)
	v_writelane_b32 v46, s0, 0
	v_writelane_b32 v46, s1, 1
	;; [unrolled: 1-line block ×4, first 2 shown]
	s_cbranch_vccnz .LBB86_5
; %bb.4:
	v_cvt_f32_u32_e32 v1, s28
	s_sub_i32 s0, 0, s28
	v_rcp_iflag_f32_e32 v1, v1
	v_mul_f32_e32 v1, 0x4f7ffffe, v1
	v_cvt_u32_f32_e32 v1, v1
	v_readfirstlane_b32 s1, v1
	s_mul_i32 s0, s0, s1
	s_mul_hi_u32 s0, s1, s0
	s_add_i32 s1, s1, s0
	s_mul_hi_u32 s0, s16, s1
	s_mul_i32 s2, s0, s28
	s_sub_i32 s2, s16, s2
	s_add_i32 s1, s0, 1
	s_sub_i32 s3, s2, s28
	s_cmp_ge_u32 s2, s28
	s_cselect_b32 s0, s1, s0
	s_cselect_b32 s2, s3, s2
	s_add_i32 s1, s0, 1
	s_cmp_ge_u32 s2, s28
	s_cselect_b32 s22, s1, s0
	s_load_dwordx4 s[0:3], s[4:5], 0x1b0
.LBB86_5:
	s_waitcnt lgkmcnt(0)
	v_mov_b32_e32 v1, s2
	v_mov_b32_e32 v2, s3
	v_cmp_lt_u64_e32 vcc, s[74:75], v[1:2]
	s_mov_b64 s[14:15], 0
	s_mov_b64 s[12:13], 0
	s_cbranch_vccnz .LBB86_7
; %bb.6:
	v_cvt_f32_u32_e32 v1, s2
	s_load_dwordx4 s[0:3], s[4:5], 0x1b0
	s_load_dwordx4 s[8:11], s[4:5], 0x1b0
	s_mov_b32 s13, 0
	v_rcp_iflag_f32_e32 v1, v1
	s_waitcnt lgkmcnt(0)
	s_sub_i32 s0, 0, s2
	v_mul_f32_e32 v1, 0x4f7ffffe, v1
	v_cvt_u32_f32_e32 v1, v1
	v_readfirstlane_b32 s1, v1
	s_mul_i32 s0, s0, s1
	s_mul_hi_u32 s0, s1, s0
	s_add_i32 s1, s1, s0
	s_mul_hi_u32 s0, s74, s1
	s_mul_i32 s2, s0, s10
	s_load_dwordx4 s[8:11], s[4:5], 0x1b0
	s_sub_i32 s2, s74, s2
	s_add_i32 s1, s0, 1
	s_waitcnt lgkmcnt(0)
	s_sub_i32 s3, s2, s10
	s_load_dwordx4 s[8:11], s[4:5], 0x1b0
	s_waitcnt lgkmcnt(0)
	s_cmp_ge_u32 s2, s10
	s_load_dwordx4 s[8:11], s[4:5], 0x1b0
	s_cselect_b32 s0, s1, s0
	s_cselect_b32 s2, s3, s2
	s_add_i32 s1, s0, 1
	s_waitcnt lgkmcnt(0)
	s_cmp_ge_u32 s2, s10
	s_cselect_b32 s12, s1, s0
	s_load_dwordx4 s[0:3], s[4:5], 0x1b0
.LBB86_7:
	v_writelane_b32 v46, s22, 4
	v_writelane_b32 v46, s23, 5
	;; [unrolled: 1-line block ×7, first 2 shown]
	s_load_dwordx4 s[8:11], s[4:5], 0x350
	s_waitcnt lgkmcnt(0)
	v_mov_b32_e32 v2, s1
	v_writelane_b32 v46, s31, 11
	v_mov_b32_e32 v1, s0
	v_writelane_b32 v46, s12, 12
	v_cmp_lt_u64_e32 vcc, s[12:13], v[1:2]
	v_writelane_b32 v46, s13, 13
	s_cbranch_vccnz .LBB86_9
; %bb.8:
	s_load_dwordx4 s[0:3], s[4:5], 0x1b0
	s_waitcnt lgkmcnt(0)
	s_mov_b64 s[14:15], s[2:3]
	s_mov_b64 s[12:13], s[0:1]
	v_cvt_f32_u32_e32 v1, s12
	s_sub_i32 s0, 0, s12
	v_readlane_b32 s14, v46, 12
	v_readlane_b32 s15, v46, 13
	v_rcp_iflag_f32_e32 v1, v1
	v_mul_f32_e32 v1, 0x4f7ffffe, v1
	v_cvt_u32_f32_e32 v1, v1
	v_readfirstlane_b32 s1, v1
	s_mul_i32 s0, s0, s1
	s_mul_hi_u32 s0, s1, s0
	s_add_i32 s1, s1, s0
	s_mul_hi_u32 s0, s14, s1
	s_mul_i32 s2, s0, s12
	s_sub_i32 s2, s14, s2
	s_add_i32 s1, s0, 1
	s_sub_i32 s3, s2, s12
	s_cmp_ge_u32 s2, s12
	s_cselect_b32 s0, s1, s0
	s_cselect_b32 s2, s3, s2
	s_add_i32 s1, s0, 1
	s_cmp_ge_u32 s2, s12
	s_cselect_b32 s14, s1, s0
.LBB86_9:
	s_load_dwordx2 s[52:53], s[4:5], 0x4f0
	v_mov_b32_e32 v1, s10
	v_mov_b32_e32 v2, s11
	v_cmp_lt_u64_e32 vcc, s[74:75], v[1:2]
	s_mov_b64 s[16:17], 0
	s_mov_b64 s[2:3], 0
	s_cbranch_vccnz .LBB86_11
; %bb.10:
	v_cvt_f32_u32_e32 v1, s10
	s_sub_i32 s0, 0, s10
	s_mov_b32 s3, 0
	v_rcp_iflag_f32_e32 v1, v1
	v_mul_f32_e32 v1, 0x4f7ffffe, v1
	v_cvt_u32_f32_e32 v1, v1
	v_readfirstlane_b32 s1, v1
	s_mul_i32 s0, s0, s1
	s_mul_hi_u32 s0, s1, s0
	s_add_i32 s1, s1, s0
	s_mul_hi_u32 s0, s74, s1
	s_mul_i32 s2, s0, s10
	s_sub_i32 s2, s74, s2
	s_add_i32 s1, s0, 1
	s_sub_i32 s7, s2, s10
	s_cmp_ge_u32 s2, s10
	s_cselect_b32 s0, s1, s0
	s_cselect_b32 s2, s7, s2
	s_add_i32 s1, s0, 1
	s_cmp_ge_u32 s2, s10
	s_cselect_b32 s2, s1, s0
.LBB86_11:
	v_mov_b32_e32 v1, s8
	v_mov_b32_e32 v2, s9
	v_cmp_lt_u64_e32 vcc, s[2:3], v[1:2]
	v_writelane_b32 v46, s14, 14
	v_writelane_b32 v46, s15, 15
	s_cbranch_vccnz .LBB86_13
; %bb.12:
	v_cvt_f32_u32_e32 v1, s8
	s_sub_i32 s0, 0, s8
	v_rcp_iflag_f32_e32 v1, v1
	v_mul_f32_e32 v1, 0x4f7ffffe, v1
	v_cvt_u32_f32_e32 v1, v1
	v_readfirstlane_b32 s1, v1
	s_mul_i32 s0, s0, s1
	s_mul_hi_u32 s0, s1, s0
	s_add_i32 s1, s1, s0
	s_mul_hi_u32 s0, s2, s1
	s_mul_i32 s7, s0, s8
	s_sub_i32 s7, s2, s7
	s_add_i32 s1, s0, 1
	s_sub_i32 s12, s7, s8
	s_cmp_ge_u32 s7, s8
	s_cselect_b32 s0, s1, s0
	s_cselect_b32 s7, s12, s7
	s_add_i32 s1, s0, 1
	s_cmp_ge_u32 s7, s8
	s_cselect_b32 s16, s1, s0
.LBB86_13:
	s_load_dwordx2 s[26:27], s[4:5], 0x420
	s_load_dwordx4 s[12:15], s[4:5], 0x410
	v_cmp_eq_u32_e64 s[0:1], 0, v0
	s_mov_b64 s[28:29], exec
	v_writelane_b32 v46, s0, 16
	v_writelane_b32 v46, s1, 17
	s_and_b64 s[0:1], s[28:29], s[0:1]
	s_mov_b64 exec, s[0:1]
; %bb.14:
	v_mov_b32_e32 v1, 0
	v_mov_b32_e32 v2, v1
	ds_write_b64 v1, v[1:2] offset:5136
; %bb.15:
	s_or_b64 exec, exec, s[28:29]
	s_load_dwordx2 s[22:23], s[4:5], 0x280
	s_load_dwordx4 s[28:31], s[4:5], 0x270
	v_mov_b32_e32 v1, 0
	s_load_dwordx2 s[34:35], s[4:5], 0x340
	s_load_dword s0, s[4:5], 0x4f8
	s_waitcnt lgkmcnt(0)
	v_writelane_b32 v46, s22, 18
	v_writelane_b32 v46, s23, 19
	;; [unrolled: 1-line block ×4, first 2 shown]
	s_load_dwordx2 s[22:23], s[4:5], 0xe0
	s_waitcnt lgkmcnt(0)
	s_barrier
	s_barrier
	ds_read_b64 v[1:2], v1 offset:5136
	v_writelane_b32 v46, s30, 22
	v_writelane_b32 v46, s31, 23
	s_load_dwordx4 s[28:31], s[4:5], 0xd0
	v_writelane_b32 v46, s22, 24
	v_writelane_b32 v46, s23, 25
	s_bitcmp1_b32 s0, 0
	s_waitcnt lgkmcnt(0)
	v_cmp_gt_i64_e32 vcc, 1, v[1:2]
	v_writelane_b32 v46, s28, 26
	s_cselect_b64 s[0:1], -1, 0
	v_writelane_b32 v46, s29, 27
	s_or_b64 s[0:1], s[0:1], vcc
	v_mov_b32_e32 v19, s24
	v_writelane_b32 v46, s30, 28
	s_andn2_b64 vcc, exec, s[0:1]
	v_mov_b32_e32 v20, s25
	v_writelane_b32 v46, s31, 29
	s_cbranch_vccnz .LBB86_17
; %bb.16:
	v_not_b32_e32 v1, v1
	v_not_b32_e32 v2, v2
	v_mov_b32_e32 v3, s25
	v_add_co_u32_e32 v1, vcc, s24, v1
	v_addc_co_u32_e32 v2, vcc, v3, v2, vcc
	v_lshrrev_b64 v[1:2], 1, v[1:2]
	v_add_co_u32_e32 v19, vcc, 1, v1
	v_addc_co_u32_e32 v20, vcc, 0, v2, vcc
.LBB86_17:
	s_load_dwordx2 s[0:1], s[4:5], 0x1a0
	s_waitcnt lgkmcnt(0)
	v_writelane_b32 v46, s0, 30
	v_writelane_b32 v46, s1, 31
	s_load_dwordx2 s[0:1], s[4:5], 0x0
	s_waitcnt lgkmcnt(0)
	v_writelane_b32 v46, s0, 32
	v_writelane_b32 v46, s1, 33
	s_mov_b64 s[4:5], exec
	v_readlane_b32 s0, v46, 16
	v_readlane_b32 s1, v46, 17
	s_and_b64 s[0:1], s[4:5], s[0:1]
	s_mov_b64 exec, s[0:1]
	s_cbranch_execz .LBB86_19
; %bb.18:
	v_mov_b32_e32 v1, 0
	v_mov_b32_e32 v3, s24
	;; [unrolled: 1-line block ×4, first 2 shown]
	ds_write_b32 v1, v1 offset:5144
	ds_write_b128 v1, v[1:4] offset:5120
.LBB86_19:
	s_or_b64 exec, exec, s[4:5]
	s_mul_i32 s0, s2, s11
	s_mul_hi_u32 s1, s2, s10
	s_add_i32 s1, s1, s0
	s_mul_i32 s0, s2, s10
	s_sub_u32 s0, s74, s0
	s_subb_u32 s1, 0, s1
	s_mul_i32 s4, s0, s27
	s_mul_hi_u32 s5, s0, s26
	s_add_i32 s4, s5, s4
	s_mul_i32 s1, s1, s26
	s_add_i32 s4, s4, s1
	s_mul_i32 s1, s16, s9
	s_mul_hi_u32 s5, s16, s8
	s_add_i32 s5, s5, s1
	s_mul_i32 s1, s16, s8
	s_sub_u32 s1, s2, s1
	s_subb_u32 s2, s3, s5
	s_mul_i32 s3, s1, s15
	s_mul_hi_u32 s5, s1, s14
	s_add_i32 s3, s5, s3
	s_mul_i32 s2, s2, s14
	s_add_i32 s3, s3, s2
	s_mul_i32 s2, s16, s13
	s_mul_hi_u32 s5, s16, s12
	s_add_i32 s5, s5, s2
	s_mul_i32 s2, s16, s12
	s_add_u32 s2, s34, s2
	s_mul_i32 s1, s1, s14
	s_addc_u32 s5, s35, s5
	s_add_u32 s1, s2, s1
	v_mov_b32_e32 v3, 0
	s_mul_i32 s0, s0, s26
	s_addc_u32 s2, s5, s3
	v_mov_b32_e32 v1, v3
	s_add_u32 s62, s1, s0
	v_cmp_gt_u64_e64 s[0:1], s[24:25], v[0:1]
	s_addc_u32 s63, s2, s4
	v_mov_b32_e32 v4, s62
	v_writelane_b32 v46, s0, 34
	v_mov_b32_e32 v5, s63
	v_writelane_b32 v46, s1, 35
	v_mad_u64_u32 v[12:13], s[0:1], s52, v0, v[4:5]
	v_mbcnt_lo_u32_b32 v2, -1, 0
	v_mbcnt_hi_u32_b32 v23, -1, v2
	v_mov_b32_e32 v2, v13
	v_mad_u64_u32 v[4:5], s[0:1], s53, v0, v[2:3]
	v_mov_b32_e32 v5, 0xc00
	v_mov_b32_e32 v6, 0
	v_cmp_gt_u64_e64 s[0:1], s[24:25], v[5:6]
	v_lshlrev_b32_e32 v2, 2, v23
	v_writelane_b32 v46, s0, 36
	s_waitcnt lgkmcnt(0)
	s_barrier
	v_writelane_b32 v46, s1, 37
	s_load_dword s0, s[20:21], 0xc
	v_and_b32_e32 v24, 0x100, v2
	v_lshrrev_b32_e32 v2, 1, v0
	v_and_b32_e32 v2, 0x1e0, v2
	v_cmp_gt_u32_e32 vcc, 64, v0
	v_cmp_gt_i32_e64 s[8:9], 4, v23
	v_mov_b32_e32 v13, v4
	v_lshlrev_b64 v[4:5], v23, -1
	v_or_b32_e32 v27, 0xc00, v2
	v_add_u32_e32 v2, 2, v0
	s_and_b64 s[66:67], vcc, s[8:9]
	v_cmp_gt_u64_e32 vcc, s[24:25], v[2:3]
	v_not_b32_e32 v26, v4
	v_mov_b32_e32 v4, s25
	v_not_b32_e32 v25, v5
	s_waitcnt lgkmcnt(0)
	s_and_b32 s23, s0, 0xffff
	s_bfe_u32 s0, s0, 0xa0006
	v_cndmask_b32_e32 v5, 0, v4, vcc
	v_mov_b32_e32 v4, s24
	s_cmp_gt_u32 s23, 63
	v_cndmask_b32_e32 v2, v2, v4, vcc
	v_not_b32_e32 v4, v0
	s_cselect_b64 s[2:3], -1, 0
	s_add_u32 s69, s23, -1
	v_add_co_u32_e32 v4, vcc, v2, v4
	v_writelane_b32 v46, s2, 38
	s_addc_u32 s75, 0, -1
	v_addc_co_u32_e32 v5, vcc, -1, v5, vcc
	v_writelane_b32 v46, s3, 39
	s_add_u32 s77, s69, s24
	v_cmp_lt_u64_e64 s[2:3], 3, v[4:5]
	s_addc_u32 s71, s75, s25
	s_cmp_lt_u32 s6, s18
	v_writelane_b32 v46, s2, 40
	v_and_b32_e32 v16, -4, v4
	v_mov_b32_e32 v17, v5
	s_cselect_b32 s1, 12, 18
	v_writelane_b32 v46, s3, 41
	v_cmp_ne_u64_e64 s[2:3], v[4:5], v[16:17]
	s_add_u32 s72, s20, s1
	s_addc_u32 s73, s21, 0
	v_writelane_b32 v46, s2, 42
	s_add_i32 s1, s0, -1
	v_writelane_b32 v46, s3, 43
	s_bfe_u32 s3, s23, 0x30006
	s_and_b32 s2, s1, 0xffff
	s_cmp_gt_u32 s2, 6
	s_cselect_b64 s[6:7], -1, 0
	v_writelane_b32 v46, s6, 44
	s_and_b32 s0, s0, 0x3f8
	v_writelane_b32 v46, s7, 45
	s_cmp_lg_u32 s3, 0
	v_writelane_b32 v46, s3, 46
	s_cselect_b64 s[2:3], -1, 0
	v_mov_b32_e32 v2, 0xc00
	s_mov_b32 s65, 0
	v_cmp_eq_u32_e64 s[4:5], 0, v23
	v_cmp_gt_u32_e64 s[16:17], 2, v0
	v_lshlrev_b32_e32 v14, 2, v0
	v_mov_b32_e32 v15, v3
	v_add_co_u32_e32 v18, vcc, v16, v0
	s_mov_b32 s36, s52
	s_mov_b32 s37, s53
	;; [unrolled: 1-line block ×7, first 2 shown]
	v_writelane_b32 v46, s2, 47
	v_lshl_or_b32 v29, v23, 3, v2
	s_mov_b64 s[78:79], 0
	s_movk_i32 s22, 0x80
	s_mov_b32 s33, 0xc0c0004
	v_mov_b32_e32 v30, 0x4f800000
	v_mov_b32_e32 v31, 8
	;; [unrolled: 1-line block ×3, first 2 shown]
	s_mov_b32 s76, 0
	v_mov_b32_e32 v28, 0
	v_mov_b32_e32 v32, 0
	v_writelane_b32 v46, s3, 48
                                        ; implicit-def: $sgpr80_sgpr81
                                        ; implicit-def: $sgpr84_sgpr85
                                        ; implicit-def: $sgpr82_sgpr83
                                        ; implicit-def: $sgpr88_sgpr89
                                        ; implicit-def: $sgpr90_sgpr91
                                        ; implicit-def: $sgpr86_sgpr87
	s_branch .LBB86_23
.LBB86_20:                              ;   in Loop: Header=BB86_23 Depth=1
	s_or_b64 exec, exec, s[14:15]
	s_and_b64 s[10:11], s[10:11], exec
	s_andn2_b64 s[56:57], s[56:57], exec
	s_andn2_b64 s[6:7], s[6:7], exec
	s_orn2_b64 s[20:21], s[12:13], exec
.LBB86_21:                              ;   in Loop: Header=BB86_23 Depth=1
	s_or_b64 exec, exec, s[2:3]
	s_andn2_b64 s[2:3], s[86:87], exec
	s_and_b64 s[10:11], s[10:11], exec
	s_or_b64 s[86:87], s[2:3], s[10:11]
	s_andn2_b64 s[2:3], s[90:91], exec
	s_and_b64 s[10:11], s[56:57], exec
	s_or_b64 s[90:91], s[2:3], s[10:11]
	;; [unrolled: 3-line block ×3, first 2 shown]
	s_orn2_b64 s[6:7], s[20:21], exec
.LBB86_22:                              ;   in Loop: Header=BB86_23 Depth=1
	s_or_b64 exec, exec, s[18:19]
	s_and_b64 s[2:3], exec, s[6:7]
	s_or_b64 s[78:79], s[2:3], s[78:79]
	s_andn2_b64 s[2:3], s[82:83], exec
	s_and_b64 s[6:7], s[86:87], exec
	s_or_b64 s[82:83], s[2:3], s[6:7]
	s_andn2_b64 s[2:3], s[84:85], exec
	s_and_b64 s[6:7], s[90:91], exec
	;; [unrolled: 3-line block ×3, first 2 shown]
	v_mov_b32_e32 v20, v9
	s_or_b64 s[80:81], s[2:3], s[6:7]
	v_mov_b32_e32 v19, v8
	s_andn2_b64 exec, exec, s[78:79]
	s_cbranch_execz .LBB86_286
.LBB86_23:                              ; =>This Loop Header: Depth=1
                                        ;     Child Loop BB86_28 Depth 2
                                        ;     Child Loop BB86_42 Depth 2
	;; [unrolled: 1-line block ×17, first 2 shown]
	ds_read_b128 v[4:7], v3 offset:5120
	s_waitcnt lgkmcnt(0)
	v_readfirstlane_b32 s93, v5
	v_readfirstlane_b32 s92, v4
	s_cmp_lg_u64 s[92:93], 0
	s_cbranch_scc1 .LBB86_55
; %bb.24:                               ;   in Loop: Header=BB86_23 Depth=1
	v_readlane_b32 s2, v46, 36
	v_readlane_b32 s3, v46, 37
	s_and_b64 vcc, exec, s[2:3]
	s_cbranch_vccz .LBB86_36
; %bb.25:                               ;   in Loop: Header=BB86_23 Depth=1
	s_mov_b64 s[2:3], 0xc01
	v_cmp_gt_u64_e32 vcc, s[2:3], v[6:7]
	s_mov_b64 s[10:11], 0
	s_mov_b64 s[2:3], 0
	s_cbranch_vccz .LBB86_37
; %bb.26:                               ;   in Loop: Header=BB86_23 Depth=1
	global_load_ubyte v6, v[12:13], off
	global_load_ushort v2, v3, s[72:73]
	v_mov_b32_e32 v5, v1
	s_mov_b64 s[12:13], 0
	v_mov_b32_e32 v4, v0
	s_branch .LBB86_28
.LBB86_27:                              ;   in Loop: Header=BB86_28 Depth=2
	s_or_b64 exec, exec, s[2:3]
	s_waitcnt vmcnt(0)
	v_mov_b32_e32 v6, v7
	s_andn2_b64 exec, exec, s[12:13]
	s_cbranch_execz .LBB86_153
.LBB86_28:                              ;   Parent Loop BB86_23 Depth=1
                                        ; =>  This Inner Loop Header: Depth=2
	s_waitcnt vmcnt(0)
	v_add_co_u32_sdwa v4, vcc, v4, v2 dst_sel:DWORD dst_unused:UNUSED_PAD src0_sel:DWORD src1_sel:WORD_0
	v_addc_co_u32_e32 v5, vcc, 0, v5, vcc
	v_cmp_gt_u64_e64 s[6:7], s[24:25], v[4:5]
	v_cmp_le_u64_e32 vcc, s[24:25], v[4:5]
	s_waitcnt lgkmcnt(0)
	v_mov_b32_e32 v8, 0
	v_mov_b32_e32 v7, 0
	s_and_saveexec_b64 s[2:3], s[6:7]
	s_cbranch_execz .LBB86_30
; %bb.29:                               ;   in Loop: Header=BB86_28 Depth=2
	v_mov_b32_e32 v9, s62
	v_mov_b32_e32 v10, s63
	v_mad_u64_u32 v[9:10], s[6:7], v4, s52, v[9:10]
	v_mul_lo_u32 v7, v4, s53
	v_mul_lo_u32 v11, v5, s52
	v_add3_u32 v10, v11, v10, v7
	global_load_ubyte v7, v[9:10], off
.LBB86_30:                              ;   in Loop: Header=BB86_28 Depth=2
	s_or_b64 exec, exec, s[2:3]
	v_add_u32_sdwa v9, sext(v6), s22 dst_sel:DWORD dst_unused:UNUSED_PAD src0_sel:BYTE_0 src1_sel:DWORD
	v_and_b32_e32 v9, v9, v32
	v_cmp_eq_u32_e64 s[14:15], v9, v28
	s_cmp_lg_u64 s[14:15], 0
	s_cselect_b64 s[2:3], -1, 0
	s_and_b64 s[6:7], s[4:5], s[2:3]
	s_and_saveexec_b64 s[2:3], s[6:7]
	s_cbranch_execz .LBB86_34
; %bb.31:                               ;   in Loop: Header=BB86_28 Depth=2
	s_mov_b64 s[20:21], exec
	v_mbcnt_lo_u32_b32 v8, s20, 0
	v_mbcnt_hi_u32_b32 v8, s21, v8
	s_bcnt1_i32_b64 s26, s[14:15]
	v_cmp_eq_u32_e64 s[6:7], 0, v8
                                        ; implicit-def: $vgpr9
	s_and_saveexec_b64 s[18:19], s[6:7]
; %bb.32:                               ;   in Loop: Header=BB86_28 Depth=2
	s_bcnt1_i32_b64 s6, s[20:21]
	s_mul_i32 s6, s26, s6
	v_mov_b32_e32 v9, s6
	ds_add_rtn_u32 v9, v3, v9 offset:5144
; %bb.33:                               ;   in Loop: Header=BB86_28 Depth=2
	s_or_b64 exec, exec, s[18:19]
	s_waitcnt lgkmcnt(0)
	v_readfirstlane_b32 s6, v9
	v_mov_b32_e32 v9, s6
	v_mad_u32_u24 v8, s26, v8, v9
.LBB86_34:                              ;   in Loop: Header=BB86_28 Depth=2
	s_or_b64 exec, exec, s[2:3]
	ds_bpermute_b32 v8, v24, v8
	s_and_b64 s[2:3], exec, vcc
	s_or_b64 s[12:13], s[2:3], s[12:13]
	s_and_saveexec_b64 s[2:3], s[14:15]
	s_cbranch_execz .LBB86_27
; %bb.35:                               ;   in Loop: Header=BB86_28 Depth=2
	v_and_b32_e32 v10, s14, v26
	v_and_b32_e32 v9, s15, v25
	v_bcnt_u32_b32 v10, v10, 0
	v_bcnt_u32_b32 v9, v9, v10
	s_waitcnt lgkmcnt(0)
	v_add_u32_e32 v8, v8, v9
	ds_write_b8 v8, v6
	s_branch .LBB86_27
.LBB86_36:                              ;   in Loop: Header=BB86_23 Depth=1
	s_mov_b64 s[10:11], -1
	s_mov_b64 s[2:3], 0
.LBB86_37:                              ;   in Loop: Header=BB86_23 Depth=1
	s_and_b64 vcc, exec, s[10:11]
	s_cbranch_vccz .LBB86_53
.LBB86_38:                              ;   in Loop: Header=BB86_23 Depth=1
	s_mov_b64 s[10:11], exec
	v_readlane_b32 s2, v46, 34
	v_readlane_b32 s3, v46, 35
	s_and_b64 s[2:3], s[10:11], s[2:3]
	s_mov_b64 exec, s[2:3]
	s_cbranch_execz .LBB86_50
; %bb.39:                               ;   in Loop: Header=BB86_23 Depth=1
	global_load_ushort v2, v3, s[72:73]
	global_load_ubyte v34, v[12:13], off
	v_mov_b32_e32 v4, v0
	s_waitcnt vmcnt(1)
	v_readfirstlane_b32 s2, v2
	v_add_u32_sdwa v2, v2, v0 dst_sel:DWORD dst_unused:UNUSED_PAD src0_sel:WORD_0 src1_sel:DWORD
	v_cmp_gt_u64_e32 vcc, s[24:25], v[2:3]
	s_and_saveexec_b64 s[12:13], vcc
	s_cbranch_execz .LBB86_49
; %bb.40:                               ;   in Loop: Header=BB86_23 Depth=1
	s_and_b32 s18, s2, 0xffff
	s_cmp_eq_u32 s18, 1
	v_readlane_b32 s6, v46, 40
                                        ; implicit-def: $vgpr4_vgpr5
	s_cselect_b64 s[2:3], -1, 0
	v_readlane_b32 s7, v46, 41
	v_mov_b32_e32 v8, v1
	v_mov_b32_e32 v6, v3
	s_and_b64 s[2:3], s[6:7], s[2:3]
	s_mov_b64 s[14:15], -1
	v_mov_b32_e32 v7, v0
	v_mov_b32_e32 v5, v2
	s_and_saveexec_b64 s[6:7], s[2:3]
	s_cbranch_execz .LBB86_44
; %bb.41:                               ;   in Loop: Header=BB86_23 Depth=1
	v_add_co_u32_e32 v8, vcc, 3, v2
	v_addc_co_u32_e64 v9, s[2:3], 0, 0, vcc
	v_add_co_u32_e32 v6, vcc, 2, v2
	v_addc_co_u32_e64 v7, s[2:3], 0, 0, vcc
	v_add_co_u32_e32 v4, vcc, 1, v2
	v_addc_co_u32_e64 v5, s[2:3], 0, 0, vcc
	v_mov_b32_e32 v22, v17
	v_mov_b32_e32 v11, v9
	s_waitcnt vmcnt(0)
	v_lshlrev_b32_e32 v36, 24, v34
	s_mov_b64 s[14:15], 0
	v_mov_b32_e32 v21, v16
	v_mov_b32_e32 v35, v0
	;; [unrolled: 1-line block ×9, first 2 shown]
.LBB86_42:                              ;   Parent Loop BB86_23 Depth=1
                                        ; =>  This Inner Loop Header: Depth=2
	v_mul_lo_u32 v34, v9, s38
	v_mul_lo_u32 v39, v8, s39
	v_mad_u64_u32 v[37:38], s[2:3], v8, s38, 0
	v_mul_lo_u32 v40, v7, s36
	v_mul_lo_u32 v41, v6, s37
	v_add3_u32 v34, v38, v39, v34
	v_mad_u64_u32 v[38:39], s[2:3], v6, s36, 0
	v_mul_lo_u32 v43, v4, s53
	v_mul_lo_u32 v45, v11, s8
	v_add3_u32 v42, v39, v41, v40
	v_mul_lo_u32 v41, v5, s52
	v_mad_u64_u32 v[39:40], s[2:3], v4, s52, 0
	v_add3_u32 v40, v40, v43, v41
	v_add_co_u32_e32 v39, vcc, s62, v39
	v_mov_b32_e32 v41, s63
	v_addc_co_u32_e32 v40, vcc, v41, v40, vcc
	v_add_co_u32_e32 v41, vcc, s62, v38
	v_mov_b32_e32 v38, s63
	v_addc_co_u32_e32 v42, vcc, v38, v42, vcc
	v_mov_b32_e32 v43, s62
	v_add_co_u32_e32 v37, vcc, s62, v37
	v_mov_b32_e32 v44, s63
	v_addc_co_u32_e32 v38, vcc, v38, v34, vcc
	v_mad_u64_u32 v[43:44], s[2:3], v10, s8, v[43:44]
	v_mul_lo_u32 v34, v10, s9
	v_add_co_u32_e32 v10, vcc, 4, v10
	v_addc_co_u32_e32 v11, vcc, 0, v11, vcc
	v_add3_u32 v44, v45, v44, v34
	global_load_ubyte v34, v[43:44], off
	s_nop 0
	global_load_ubyte v41, v[41:42], off
	s_nop 0
	global_load_ubyte v39, v[39:40], off
	v_add_co_u32_e32 v8, vcc, 4, v8
	global_load_ubyte v37, v[37:38], off
	v_addc_co_u32_e32 v9, vcc, 0, v9, vcc
	v_add_co_u32_e32 v6, vcc, 4, v6
	v_addc_co_u32_e32 v7, vcc, 0, v7, vcc
	v_add_co_u32_e32 v4, vcc, 4, v4
	v_addc_co_u32_e32 v5, vcc, 0, v5, vcc
	v_add_co_u32_e32 v21, vcc, -4, v21
	s_mov_b32 s2, 0xc0c0007
	v_addc_co_u32_e32 v22, vcc, -1, v22, vcc
	v_cmp_eq_u64_e32 vcc, 0, v[21:22]
	s_or_b64 s[14:15], vcc, s[14:15]
	s_waitcnt vmcnt(1)
	v_perm_b32 v40, v39, v41, s33
	v_perm_b32 v36, v36, v39, s2
	s_waitcnt vmcnt(0)
	v_perm_b32 v38, v37, v34, s33
	v_perm_b32 v37, v41, v37, s33
	v_lshl_or_b32 v38, v38, 16, v40
	v_lshl_or_b32 v36, v37, 16, v36
	ds_write_b32 v35, v36
	v_add_u32_e32 v35, 4, v35
	v_mov_b32_e32 v36, v38
	s_andn2_b64 exec, exec, s[14:15]
	s_cbranch_execnz .LBB86_42
; %bb.43:                               ;   in Loop: Header=BB86_23 Depth=1
	s_or_b64 exec, exec, s[14:15]
	v_readlane_b32 s2, v46, 42
	v_add_co_u32_e32 v5, vcc, v2, v16
	v_readlane_b32 s3, v46, 43
	v_addc_co_u32_e32 v6, vcc, 0, v17, vcc
	v_add_co_u32_e32 v4, vcc, -1, v5
	s_orn2_b64 s[14:15], s[2:3], exec
	v_mov_b32_e32 v7, v18
	v_mov_b32_e32 v8, v19
.LBB86_44:                              ;   in Loop: Header=BB86_23 Depth=1
	s_or_b64 exec, exec, s[6:7]
	s_and_saveexec_b64 s[2:3], s[14:15]
	s_cbranch_execz .LBB86_48
; %bb.45:                               ;   in Loop: Header=BB86_23 Depth=1
	s_mov_b64 s[14:15], 0
	s_sub_u32 s19, 0, s18
.LBB86_46:                              ;   Parent Loop BB86_23 Depth=1
                                        ; =>  This Inner Loop Header: Depth=2
	v_mov_b32_e32 v9, v6
	v_mov_b32_e32 v8, v5
	;; [unrolled: 1-line block ×4, first 2 shown]
	v_mad_u64_u32 v[4:5], s[6:7], v8, s52, v[4:5]
	v_mul_lo_u32 v2, v8, s53
	v_mul_lo_u32 v6, v9, s52
	s_waitcnt vmcnt(0)
	ds_write_b8 v7, v34
	v_add3_u32 v5, v6, v5, v2
	global_load_ubyte v2, v[4:5], off
	v_add_co_u32_e32 v5, vcc, s18, v8
	v_addc_co_u32_e32 v6, vcc, 0, v9, vcc
	v_cmp_le_u64_e32 vcc, s[24:25], v[5:6]
	v_mov_b32_e32 v7, v8
	v_add_co_u32_e64 v4, s[6:7], s19, v5
	s_or_b64 s[14:15], vcc, s[14:15]
	v_mov_b32_e32 v8, v9
	s_waitcnt vmcnt(0)
	v_mov_b32_e32 v34, v2
	s_andn2_b64 exec, exec, s[14:15]
	s_cbranch_execnz .LBB86_46
; %bb.47:                               ;   in Loop: Header=BB86_23 Depth=1
	s_or_b64 exec, exec, s[14:15]
	v_mov_b32_e32 v34, v2
.LBB86_48:                              ;   in Loop: Header=BB86_23 Depth=1
	s_or_b64 exec, exec, s[2:3]
.LBB86_49:                              ;   in Loop: Header=BB86_23 Depth=1
	s_or_b64 exec, exec, s[12:13]
	s_waitcnt vmcnt(0)
	ds_write_b8 v4, v34
.LBB86_50:                              ;   in Loop: Header=BB86_23 Depth=1
	s_or_b64 exec, exec, s[10:11]
	s_waitcnt lgkmcnt(0)
	s_barrier
	s_mov_b64 s[2:3], exec
	v_readlane_b32 s6, v46, 16
	v_readlane_b32 s7, v46, 17
	s_and_b64 s[6:7], s[2:3], s[6:7]
	s_mov_b64 exec, s[6:7]
; %bb.51:                               ;   in Loop: Header=BB86_23 Depth=1
	v_mov_b32_e32 v4, s24
	v_mov_b32_e32 v5, s25
	ds_write_b64 v3, v[4:5] offset:5120
; %bb.52:                               ;   in Loop: Header=BB86_23 Depth=1
	s_or_b64 exec, exec, s[2:3]
	s_mov_b64 s[2:3], -1
	s_waitcnt lgkmcnt(0)
	s_barrier
.LBB86_53:                              ;   in Loop: Header=BB86_23 Depth=1
	s_mov_b64 s[92:93], 0
	s_and_b64 vcc, exec, s[2:3]
	s_cbranch_vccz .LBB86_55
; %bb.54:                               ;   in Loop: Header=BB86_23 Depth=1
	ds_read_b64 v[4:5], v3 offset:5120
	s_waitcnt lgkmcnt(0)
	v_readfirstlane_b32 s92, v4
.LBB86_55:                              ;   in Loop: Header=BB86_23 Depth=1
	s_cmp_lt_i32 s92, 1
	s_mov_b64 s[2:3], -1
                                        ; implicit-def: $vgpr10_vgpr11
                                        ; implicit-def: $vgpr6_vgpr7
	s_cbranch_scc1 .LBB86_65
; %bb.56:                               ;   in Loop: Header=BB86_23 Depth=1
	s_and_b64 vcc, exec, s[2:3]
	s_cbranch_vccnz .LBB86_79
.LBB86_57:                              ;   in Loop: Header=BB86_23 Depth=1
	s_lshl_b32 s10, s76, 6
	s_and_saveexec_b64 s[2:3], s[4:5]
	s_cbranch_execz .LBB86_59
.LBB86_58:                              ;   in Loop: Header=BB86_23 Depth=1
	v_lshl_add_u32 v2, s10, 3, v27
	ds_write_b128 v2, v[4:7]
	ds_write_b128 v2, v[8:11] offset:16
.LBB86_59:                              ;   in Loop: Header=BB86_23 Depth=1
	s_or_b64 exec, exec, s[2:3]
	s_waitcnt lgkmcnt(0)
	s_barrier
	s_and_saveexec_b64 s[6:7], s[66:67]
	s_cbranch_execz .LBB86_94
; %bb.60:                               ;   in Loop: Header=BB86_23 Depth=1
	v_readlane_b32 s2, v46, 38
	v_mov_b32_e32 v4, 0
	v_readlane_b32 s3, v46, 39
	v_mov_b32_e32 v5, 0
	s_andn2_b64 vcc, exec, s[2:3]
	s_cbranch_vccnz .LBB86_93
; %bb.61:                               ;   in Loop: Header=BB86_23 Depth=1
	v_readlane_b32 s2, v46, 44
	v_readlane_b32 s3, v46, 45
	s_andn2_b64 vcc, exec, s[2:3]
	s_cbranch_vccnz .LBB86_89
; %bb.62:                               ;   in Loop: Header=BB86_23 Depth=1
	v_mov_b32_e32 v4, 0
	v_lshl_add_u32 v2, s76, 9, v29
	v_mov_b32_e32 v5, 0
	s_mov_b32 s2, 0
.LBB86_63:                              ;   Parent Loop BB86_23 Depth=1
                                        ; =>  This Inner Loop Header: Depth=2
	ds_read2_b64 v[6:9], v2 offset1:4
	s_add_i32 s2, s2, 8
	s_cmp_eq_u32 s0, s2
	s_waitcnt lgkmcnt(0)
	v_add_co_u32_e32 v4, vcc, v6, v4
	v_addc_co_u32_e32 v5, vcc, v7, v5, vcc
	v_add_co_u32_e32 v8, vcc, v8, v4
	v_addc_co_u32_e32 v9, vcc, v9, v5, vcc
	ds_read2_b64 v[4:7], v2 offset0:8 offset1:12
	s_waitcnt lgkmcnt(0)
	v_add_co_u32_e32 v4, vcc, v4, v8
	v_addc_co_u32_e32 v5, vcc, v5, v9, vcc
	v_add_co_u32_e32 v8, vcc, v6, v4
	v_addc_co_u32_e32 v9, vcc, v7, v5, vcc
	ds_read2_b64 v[4:7], v2 offset0:16 offset1:20
	;; [unrolled: 6-line block ×3, first 2 shown]
	v_add_u32_e32 v2, 0x100, v2
	s_waitcnt lgkmcnt(0)
	v_add_co_u32_e32 v4, vcc, v4, v8
	v_addc_co_u32_e32 v5, vcc, v5, v9, vcc
	v_add_co_u32_e32 v4, vcc, v6, v4
	v_addc_co_u32_e32 v5, vcc, v7, v5, vcc
	s_cbranch_scc0 .LBB86_63
; %bb.64:                               ;   in Loop: Header=BB86_23 Depth=1
	s_mov_b32 s2, s0
	s_branch .LBB86_90
.LBB86_65:                              ;   in Loop: Header=BB86_23 Depth=1
	global_load_ushort v2, v3, s[72:73]
	s_mov_b32 s2, s65
	s_waitcnt vmcnt(0)
	v_readfirstlane_b32 s3, v2
	s_and_b32 s3, 0xffff, s3
	s_lshl_b32 s10, s3, 2
	s_mov_b32 s3, s25
	s_cmp_lg_u64 s[2:3], 0
	s_cbranch_scc0 .LBB86_88
; %bb.66:                               ;   in Loop: Header=BB86_23 Depth=1
	v_cvt_f32_u32_e32 v4, s10
	s_sub_u32 s6, 0, s10
	s_subb_u32 s7, 0, 0
	v_mac_f32_e32 v4, 0, v30
	v_rcp_f32_e32 v4, v4
	v_mul_f32_e32 v4, 0x5f7ffffc, v4
	v_mul_f32_e32 v5, 0x2f800000, v4
	v_trunc_f32_e32 v5, v5
	v_mac_f32_e32 v4, 0xcf800000, v5
	v_cvt_u32_f32_e32 v5, v5
	v_cvt_u32_f32_e32 v4, v4
	v_readfirstlane_b32 s11, v5
	v_readfirstlane_b32 s2, v4
	s_mul_i32 s3, s6, s11
	s_mul_hi_u32 s13, s6, s2
	s_mul_i32 s12, s7, s2
	s_add_i32 s3, s13, s3
	s_mul_i32 s14, s6, s2
	s_add_i32 s3, s3, s12
	s_mul_hi_u32 s13, s2, s14
	s_mul_i32 s15, s2, s3
	s_mul_hi_u32 s12, s2, s3
	s_add_u32 s13, s13, s15
	s_addc_u32 s12, 0, s12
	s_mul_hi_u32 s18, s11, s14
	s_mul_i32 s14, s11, s14
	s_add_u32 s13, s13, s14
	s_mul_hi_u32 s15, s11, s3
	s_addc_u32 s12, s12, s18
	s_addc_u32 s13, s15, 0
	s_mul_i32 s3, s11, s3
	s_add_u32 s3, s12, s3
	s_addc_u32 s12, 0, s13
	s_add_u32 s13, s2, s3
	s_cselect_b64 s[2:3], -1, 0
	s_cmp_lg_u64 s[2:3], 0
	s_addc_u32 s11, s11, s12
	s_mul_i32 s2, s6, s11
	s_mul_hi_u32 s3, s6, s13
	s_add_i32 s2, s3, s2
	s_mul_i32 s7, s7, s13
	s_add_i32 s2, s2, s7
	s_mul_i32 s6, s6, s13
	s_mul_hi_u32 s7, s11, s6
	s_mul_i32 s12, s11, s6
	s_mul_i32 s15, s13, s2
	s_mul_hi_u32 s6, s13, s6
	s_mul_hi_u32 s14, s13, s2
	s_add_u32 s6, s6, s15
	s_addc_u32 s14, 0, s14
	s_add_u32 s6, s6, s12
	s_mul_hi_u32 s3, s11, s2
	s_addc_u32 s6, s14, s7
	s_addc_u32 s3, s3, 0
	s_mul_i32 s2, s11, s2
	s_add_u32 s2, s6, s2
	s_addc_u32 s6, 0, s3
	s_add_u32 s7, s13, s2
	s_cselect_b64 s[2:3], -1, 0
	s_cmp_lg_u64 s[2:3], 0
	s_addc_u32 s2, s11, s6
	s_mul_i32 s6, s24, s2
	s_mul_hi_u32 s11, s24, s7
	s_mul_hi_u32 s3, s24, s2
	s_add_u32 s6, s11, s6
	s_addc_u32 s3, 0, s3
	s_mul_hi_u32 s12, s25, s7
	s_mul_i32 s7, s25, s7
	s_add_u32 s6, s6, s7
	s_mul_hi_u32 s11, s25, s2
	s_addc_u32 s3, s3, s12
	s_addc_u32 s6, s11, 0
	s_mul_i32 s2, s25, s2
	s_add_u32 s2, s3, s2
	s_addc_u32 s3, 0, s6
	s_mul_i32 s3, s10, s3
	s_mul_hi_u32 s6, s10, s2
	s_add_i32 s6, s6, s3
	s_mul_i32 s2, s10, s2
	s_sub_u32 s7, s24, s2
	s_cselect_b64 s[2:3], -1, 0
	s_cmp_lg_u64 s[2:3], 0
	s_subb_u32 s6, s25, s6
	s_sub_u32 s11, s7, s10
	s_cselect_b64 s[2:3], -1, 0
	s_cmp_lg_u64 s[2:3], 0
	s_subb_u32 s12, s6, 0
	;; [unrolled: 4-line block ×3, first 2 shown]
	s_cmp_ge_u32 s11, s10
	s_cselect_b32 s3, -1, 0
	s_cmp_eq_u32 s12, 0
	s_cselect_b32 s3, s3, -1
	s_cmp_lg_u32 s3, 0
	s_cselect_b32 s2, s2, s12
	s_cselect_b32 s11, s13, s11
	s_cmp_ge_u32 s7, s10
	s_cselect_b32 s3, -1, 0
	s_cmp_eq_u32 s6, 0
	s_cselect_b32 s3, s3, -1
	s_cmp_lg_u32 s3, 0
	s_cselect_b32 s3, s2, s6
	s_cselect_b32 s2, s11, s7
	s_cbranch_execnz .LBB86_68
.LBB86_67:                              ;   in Loop: Header=BB86_23 Depth=1
	v_cvt_f32_u32_e32 v4, s10
	s_sub_i32 s2, 0, s10
	v_rcp_iflag_f32_e32 v4, v4
	v_mul_f32_e32 v4, 0x4f7ffffe, v4
	v_cvt_u32_f32_e32 v4, v4
	v_readfirstlane_b32 s3, v4
	s_mul_i32 s2, s2, s3
	s_mul_hi_u32 s2, s3, s2
	s_add_i32 s3, s3, s2
	s_mul_hi_u32 s2, s24, s3
	s_mul_i32 s2, s2, s10
	s_sub_i32 s2, s24, s2
	s_sub_i32 s3, s2, s10
	s_cmp_ge_u32 s2, s10
	s_cselect_b32 s2, s3, s2
	s_sub_i32 s3, s2, s10
	s_cmp_ge_u32 s2, s10
	s_cselect_b32 s64, s3, s2
	s_mov_b64 s[2:3], s[64:65]
.LBB86_68:                              ;   in Loop: Header=BB86_23 Depth=1
	s_sub_u32 s40, s24, s2
	s_subb_u32 s41, s25, s3
	v_cmp_gt_u64_e32 vcc, s[40:41], v[14:15]
	v_mov_b32_e32 v4, 0
	v_mov_b32_e32 v6, 0
	;; [unrolled: 1-line block ×8, first 2 shown]
	s_and_saveexec_b64 s[42:43], vcc
	s_cbranch_execz .LBB86_72
; %bb.69:                               ;   in Loop: Header=BB86_23 Depth=1
	v_mov_b32_e32 v22, v15
	s_mov_b64 s[54:55], 0
	s_mov_b64 s[56:57], 0
	;; [unrolled: 1-line block ×5, first 2 shown]
	v_mov_b32_e32 v21, v14
.LBB86_70:                              ;   Parent Loop BB86_23 Depth=1
                                        ; =>  This Inner Loop Header: Depth=2
	v_mov_b32_e32 v4, s62
	v_mov_b32_e32 v5, s63
	v_mad_u64_u32 v[4:5], s[2:3], v21, s52, v[4:5]
	v_mul_lo_u32 v6, v21, s53
	v_mul_lo_u32 v7, v22, s52
	v_mov_b32_e32 v8, s53
	v_mov_b32_e32 v9, s53
	v_add3_u32 v5, v7, v5, v6
	global_load_sbyte v6, v[4:5], off
	v_add_co_u32_e32 v4, vcc, s52, v4
	v_mov_b32_e32 v7, s53
	v_addc_co_u32_e32 v5, vcc, v5, v7, vcc
	global_load_sbyte v7, v[4:5], off
	v_add_co_u32_e32 v4, vcc, s52, v4
	v_addc_co_u32_e32 v5, vcc, v5, v8, vcc
	global_load_sbyte v8, v[4:5], off
	v_add_co_u32_e32 v4, vcc, s52, v4
	v_addc_co_u32_e32 v5, vcc, v5, v9, vcc
	global_load_sbyte v4, v[4:5], off
	s_waitcnt vmcnt(3)
	v_add_u32_e32 v5, 0x80, v6
	s_waitcnt vmcnt(2)
	v_add_u32_e32 v6, 0x80, v7
	;; [unrolled: 2-line block ×3, first 2 shown]
	v_and_b32_e32 v8, v5, v32
	v_bfe_u32 v5, v5, s1, 2
	v_cmp_eq_u32_e32 vcc, v8, v28
	v_and_b32_e32 v8, v6, v32
	v_bfe_u32 v6, v6, s1, 2
	v_cmp_eq_u32_e64 s[20:21], 0, v5
	s_waitcnt vmcnt(0)
	v_add_u32_e32 v4, 0x80, v4
	v_cmp_eq_u32_e64 s[6:7], v8, v28
	v_and_b32_e32 v8, v7, v32
	v_bfe_u32 v7, v7, s1, 2
	s_and_b64 s[2:3], vcc, s[20:21]
	v_cmp_eq_u32_e64 s[20:21], 0, v6
	v_cmp_eq_u32_e64 s[14:15], v8, v28
	v_and_b32_e32 v8, v4, v32
	v_bfe_u32 v4, v4, s1, 2
	s_and_b64 s[26:27], s[6:7], s[20:21]
	v_cmp_eq_u32_e64 s[20:21], 0, v7
	v_cmp_eq_u32_e64 s[18:19], v8, v28
	s_and_b64 s[28:29], s[14:15], s[20:21]
	v_cmp_eq_u32_e64 s[20:21], 0, v4
	v_cndmask_b32_e64 v8, 0, 1, s[2:3]
	s_and_b64 s[30:31], s[18:19], s[20:21]
	v_cmp_ne_u32_e64 s[20:21], 0, v8
	v_cndmask_b32_e64 v8, 0, 1, s[26:27]
	s_bcnt1_i32_b64 s2, s[20:21]
	v_cmp_ne_u32_e64 s[20:21], 0, v8
	v_cndmask_b32_e64 v8, 0, 1, s[28:29]
	s_bcnt1_i32_b64 s3, s[20:21]
	;; [unrolled: 3-line block ×3, first 2 shown]
	v_cmp_ne_u32_e64 s[20:21], 0, v8
	s_bcnt1_i32_b64 s20, s[20:21]
	s_add_u32 s2, s2, s12
	s_addc_u32 s12, 0, s13
	s_add_u32 s2, s2, s3
	s_addc_u32 s3, s12, 0
	;; [unrolled: 2-line block ×3, first 2 shown]
	s_add_u32 s12, s2, s20
	v_cmp_eq_u32_e64 s[20:21], 1, v5
	s_addc_u32 s13, s3, 0
	s_and_b64 s[2:3], vcc, s[20:21]
	v_cmp_eq_u32_e64 s[20:21], 1, v6
	s_and_b64 s[26:27], s[6:7], s[20:21]
	v_cmp_eq_u32_e64 s[20:21], 1, v7
	s_and_b64 s[28:29], s[14:15], s[20:21]
	v_cmp_eq_u32_e64 s[20:21], 1, v4
	v_cndmask_b32_e64 v8, 0, 1, s[2:3]
	s_and_b64 s[30:31], s[18:19], s[20:21]
	v_cmp_ne_u32_e64 s[20:21], 0, v8
	v_cndmask_b32_e64 v8, 0, 1, s[26:27]
	s_bcnt1_i32_b64 s2, s[20:21]
	v_cmp_ne_u32_e64 s[20:21], 0, v8
	v_cndmask_b32_e64 v8, 0, 1, s[28:29]
	s_bcnt1_i32_b64 s3, s[20:21]
	v_cmp_ne_u32_e64 s[20:21], 0, v8
	v_cndmask_b32_e64 v8, 0, 1, s[30:31]
	s_bcnt1_i32_b64 s11, s[20:21]
	v_cmp_ne_u32_e64 s[20:21], 0, v8
	s_bcnt1_i32_b64 s20, s[20:21]
	s_add_u32 s2, s2, s94
	s_addc_u32 s21, 0, s95
	s_add_u32 s2, s2, s3
	s_addc_u32 s3, s21, 0
	;; [unrolled: 2-line block ×3, first 2 shown]
	s_add_u32 s94, s2, s20
	v_cmp_eq_u32_e64 s[20:21], 2, v5
	s_addc_u32 s95, s3, 0
	s_and_b64 s[2:3], vcc, s[20:21]
	v_cmp_eq_u32_e64 s[20:21], 2, v6
	s_and_b64 s[26:27], s[6:7], s[20:21]
	v_cmp_eq_u32_e64 s[20:21], 2, v7
	s_and_b64 s[28:29], s[14:15], s[20:21]
	v_cmp_eq_u32_e64 s[20:21], 2, v4
	v_cndmask_b32_e64 v8, 0, 1, s[2:3]
	s_and_b64 s[30:31], s[18:19], s[20:21]
	v_cmp_ne_u32_e64 s[20:21], 0, v8
	v_cndmask_b32_e64 v8, 0, 1, s[26:27]
	s_bcnt1_i32_b64 s2, s[20:21]
	v_cmp_ne_u32_e64 s[20:21], 0, v8
	v_cndmask_b32_e64 v8, 0, 1, s[28:29]
	s_bcnt1_i32_b64 s3, s[20:21]
	;; [unrolled: 3-line block ×3, first 2 shown]
	v_cmp_ne_u32_e64 s[20:21], 0, v8
	s_bcnt1_i32_b64 s20, s[20:21]
	s_add_u32 s2, s2, s60
	s_addc_u32 s21, 0, s61
	s_add_u32 s2, s2, s3
	s_addc_u32 s3, s21, 0
	;; [unrolled: 2-line block ×3, first 2 shown]
	s_add_u32 s60, s2, s20
	v_cmp_eq_u32_e64 s[20:21], 3, v5
	s_addc_u32 s61, s3, 0
	s_and_b64 s[2:3], vcc, s[20:21]
	v_cmp_eq_u32_e32 vcc, 3, v6
	s_and_b64 s[6:7], s[6:7], vcc
	v_cmp_eq_u32_e32 vcc, 3, v7
	s_and_b64 s[14:15], s[14:15], vcc
	v_cmp_eq_u32_e32 vcc, 3, v4
	v_cndmask_b32_e64 v4, 0, 1, s[2:3]
	s_and_b64 s[18:19], s[18:19], vcc
	v_cmp_ne_u32_e32 vcc, 0, v4
	v_cndmask_b32_e64 v4, 0, 1, s[6:7]
	s_bcnt1_i32_b64 s2, vcc
	v_cmp_ne_u32_e32 vcc, 0, v4
	v_cndmask_b32_e64 v4, 0, 1, s[14:15]
	s_bcnt1_i32_b64 s3, vcc
	;; [unrolled: 3-line block ×3, first 2 shown]
	v_cmp_ne_u32_e32 vcc, 0, v4
	s_bcnt1_i32_b64 s7, vcc
	s_add_u32 s2, s2, s56
	s_addc_u32 s11, 0, s57
	s_add_u32 s2, s2, s3
	s_addc_u32 s3, s11, 0
	s_add_u32 s2, s2, s6
	v_add_co_u32_e32 v21, vcc, s10, v21
	s_addc_u32 s3, s3, 0
	v_addc_co_u32_e32 v22, vcc, 0, v22, vcc
	s_add_u32 s56, s2, s7
	v_cmp_le_u64_e32 vcc, s[40:41], v[21:22]
	s_addc_u32 s57, s3, 0
	v_mov_b32_e32 v4, s12
	v_mov_b32_e32 v6, s94
	;; [unrolled: 1-line block ×4, first 2 shown]
	s_or_b64 s[54:55], vcc, s[54:55]
	v_mov_b32_e32 v5, s13
	v_mov_b32_e32 v7, s95
	;; [unrolled: 1-line block ×4, first 2 shown]
	s_andn2_b64 exec, exec, s[54:55]
	s_cbranch_execnz .LBB86_70
; %bb.71:                               ;   in Loop: Header=BB86_23 Depth=1
	s_or_b64 exec, exec, s[54:55]
.LBB86_72:                              ;   in Loop: Header=BB86_23 Depth=1
	s_or_b64 exec, exec, s[42:43]
	v_mov_b32_e32 v22, s41
	v_add_co_u32_e32 v21, vcc, s40, v0
	v_addc_co_u32_e32 v22, vcc, 0, v22, vcc
	v_cmp_gt_u64_e32 vcc, s[24:25], v[21:22]
	s_and_saveexec_b64 s[10:11], vcc
	s_cbranch_execz .LBB86_78
; %bb.73:                               ;   in Loop: Header=BB86_23 Depth=1
	v_mov_b32_e32 v34, s62
	v_mov_b32_e32 v35, s63
	v_mad_u64_u32 v[34:35], s[2:3], v21, s52, v[34:35]
	v_mul_lo_u32 v36, v21, s53
	v_mul_lo_u32 v37, v22, s52
	s_mov_b64 s[12:13], 0
	v_add3_u32 v35, v37, v35, v36
	global_load_ubyte v35, v[34:35], off
	s_branch .LBB86_75
.LBB86_74:                              ;   in Loop: Header=BB86_75 Depth=2
	s_or_b64 exec, exec, s[2:3]
	s_waitcnt vmcnt(0)
	v_add_u32_sdwa v35, sext(v35), s22 dst_sel:DWORD dst_unused:UNUSED_PAD src0_sel:BYTE_0 src1_sel:DWORD
	s_and_b64 s[2:3], exec, vcc
	v_and_b32_e32 v36, v35, v32
	v_bfe_u32 v35, v35, s1, 2
	s_or_b64 s[12:13], s[2:3], s[12:13]
	v_cmp_eq_u32_e32 vcc, v36, v28
	v_cmp_eq_u32_e64 s[6:7], 0, v35
	s_and_b64 s[2:3], vcc, s[6:7]
	v_cndmask_b32_e64 v36, 0, 1, s[2:3]
	v_cmp_ne_u32_e64 s[6:7], 0, v36
	s_bcnt1_i32_b64 s2, s[6:7]
	v_add_co_u32_e64 v4, s[6:7], s2, v4
	v_addc_co_u32_e64 v5, s[6:7], 0, v5, s[6:7]
	v_cmp_eq_u32_e64 s[6:7], 1, v35
	s_and_b64 s[2:3], vcc, s[6:7]
	v_cndmask_b32_e64 v36, 0, 1, s[2:3]
	v_cmp_ne_u32_e64 s[6:7], 0, v36
	s_bcnt1_i32_b64 s2, s[6:7]
	v_add_co_u32_e64 v6, s[6:7], s2, v6
	v_addc_co_u32_e64 v7, s[6:7], 0, v7, s[6:7]
	;; [unrolled: 7-line block ×3, first 2 shown]
	v_cmp_eq_u32_e64 s[6:7], 3, v35
	s_and_b64 s[2:3], vcc, s[6:7]
	v_cndmask_b32_e64 v35, 0, 1, s[2:3]
	v_cmp_ne_u32_e32 vcc, 0, v35
	s_bcnt1_i32_b64 s2, vcc
	v_add_co_u32_e32 v10, vcc, s2, v10
	v_addc_co_u32_e32 v11, vcc, 0, v11, vcc
	v_mov_b32_e32 v35, v34
	s_andn2_b64 exec, exec, s[12:13]
	s_cbranch_execz .LBB86_77
.LBB86_75:                              ;   Parent Loop BB86_23 Depth=1
                                        ; =>  This Inner Loop Header: Depth=2
	v_add_co_u32_sdwa v21, vcc, v21, v2 dst_sel:DWORD dst_unused:UNUSED_PAD src0_sel:DWORD src1_sel:WORD_0
	v_addc_co_u32_e32 v22, vcc, 0, v22, vcc
	v_cmp_gt_u64_e64 s[6:7], s[24:25], v[21:22]
	v_cmp_le_u64_e32 vcc, s[24:25], v[21:22]
	v_mov_b32_e32 v34, 0
	s_and_saveexec_b64 s[2:3], s[6:7]
	s_cbranch_execz .LBB86_74
; %bb.76:                               ;   in Loop: Header=BB86_75 Depth=2
	v_mov_b32_e32 v36, s62
	v_mov_b32_e32 v37, s63
	v_mad_u64_u32 v[36:37], s[6:7], v21, s52, v[36:37]
	v_mul_lo_u32 v34, v21, s53
	v_mul_lo_u32 v38, v22, s52
	v_add3_u32 v37, v38, v37, v34
	global_load_ubyte v34, v[36:37], off
	s_branch .LBB86_74
.LBB86_77:                              ;   in Loop: Header=BB86_23 Depth=1
	s_or_b64 exec, exec, s[12:13]
.LBB86_78:                              ;   in Loop: Header=BB86_23 Depth=1
	s_or_b64 exec, exec, s[10:11]
	s_branch .LBB86_57
.LBB86_79:                              ;   in Loop: Header=BB86_23 Depth=1
	global_load_ushort v2, v3, s[72:73]
	v_mov_b32_e32 v8, 0
	v_mov_b32_e32 v9, 0
	s_waitcnt vmcnt(0)
	v_readfirstlane_b32 s2, v2
	s_and_b32 s2, 0xffff, s2
	s_lshl_b32 s3, s2, 2
	v_cvt_f32_u32_e32 v4, s3
	s_sub_i32 s6, 0, s3
	v_rcp_iflag_f32_e32 v6, v4
	v_mov_b32_e32 v4, 0
	v_mov_b32_e32 v5, 0
	v_mul_f32_e32 v6, 0x4f7ffffe, v6
	v_cvt_u32_f32_e32 v10, v6
	v_mov_b32_e32 v6, 0
	v_mov_b32_e32 v7, 0
	v_readfirstlane_b32 s7, v10
	s_mul_i32 s6, s6, s7
	s_mul_hi_u32 s6, s7, s6
	s_add_i32 s7, s7, s6
	s_mul_hi_u32 s6, s92, s7
	s_mul_i32 s7, s6, s3
	s_sub_i32 s7, s92, s7
	s_add_i32 s10, s6, 1
	s_sub_i32 s11, s7, s3
	s_cmp_ge_u32 s7, s3
	s_cselect_b32 s6, s10, s6
	s_cselect_b32 s7, s11, s7
	s_add_i32 s10, s6, 1
	s_cmp_ge_u32 s7, s3
	s_cselect_b32 s6, s10, s6
	s_mul_hi_u32 s13, s2, s6
	s_mul_i32 s12, s2, s6
	s_lshl_b64 s[40:41], s[12:13], 2
	v_cmp_gt_u64_e32 vcc, s[40:41], v[14:15]
	v_mov_b32_e32 v10, 0
	v_mov_b32_e32 v11, 0
	s_and_saveexec_b64 s[42:43], vcc
	s_cbranch_execz .LBB86_83
; %bb.80:                               ;   in Loop: Header=BB86_23 Depth=1
	v_mov_b32_e32 v22, v15
	s_mov_b64 s[54:55], 0
	v_mov_b32_e32 v34, v14
	s_mov_b64 s[56:57], 0
	s_mov_b64 s[60:61], 0
	s_mov_b64 s[94:95], 0
	s_mov_b64 s[34:35], 0
	v_mov_b32_e32 v21, v14
.LBB86_81:                              ;   Parent Loop BB86_23 Depth=1
                                        ; =>  This Inner Loop Header: Depth=2
	ds_read_b32 v4, v34
	v_add_u32_e32 v34, s3, v34
	s_waitcnt lgkmcnt(0)
	v_add_u32_sdwa v5, sext(v4), s22 dst_sel:DWORD dst_unused:UNUSED_PAD src0_sel:BYTE_0 src1_sel:DWORD
	v_add_u32_sdwa v6, sext(v4), s22 dst_sel:DWORD dst_unused:UNUSED_PAD src0_sel:BYTE_1 src1_sel:DWORD
	v_and_b32_e32 v8, v5, v32
	v_bfe_u32 v5, v5, s1, 2
	v_add_u32_sdwa v7, sext(v4), s22 dst_sel:DWORD dst_unused:UNUSED_PAD src0_sel:BYTE_2 src1_sel:DWORD
	v_cmp_eq_u32_e32 vcc, v8, v28
	v_and_b32_e32 v8, v6, v32
	v_bfe_u32 v6, v6, s1, 2
	v_cmp_eq_u32_e64 s[20:21], 0, v5
	v_add_u32_sdwa v4, sext(v4), s22 dst_sel:DWORD dst_unused:UNUSED_PAD src0_sel:BYTE_3 src1_sel:DWORD
	v_cmp_eq_u32_e64 s[6:7], v8, v28
	v_and_b32_e32 v8, v7, v32
	v_bfe_u32 v7, v7, s1, 2
	s_and_b64 s[10:11], vcc, s[20:21]
	v_cmp_eq_u32_e64 s[20:21], 0, v6
	v_cmp_eq_u32_e64 s[14:15], v8, v28
	v_and_b32_e32 v8, v4, v32
	v_bfe_u32 v4, v4, s1, 2
	s_and_b64 s[26:27], s[6:7], s[20:21]
	v_cmp_eq_u32_e64 s[20:21], 0, v7
	v_cmp_eq_u32_e64 s[18:19], v8, v28
	s_and_b64 s[28:29], s[14:15], s[20:21]
	v_cmp_eq_u32_e64 s[20:21], 0, v4
	v_cndmask_b32_e64 v8, 0, 1, s[10:11]
	s_and_b64 s[30:31], s[18:19], s[20:21]
	v_cmp_ne_u32_e64 s[20:21], 0, v8
	v_cndmask_b32_e64 v8, 0, 1, s[26:27]
	s_bcnt1_i32_b64 s10, s[20:21]
	v_cmp_ne_u32_e64 s[20:21], 0, v8
	v_cndmask_b32_e64 v8, 0, 1, s[28:29]
	s_bcnt1_i32_b64 s11, s[20:21]
	;; [unrolled: 3-line block ×3, first 2 shown]
	v_cmp_ne_u32_e64 s[20:21], 0, v8
	s_bcnt1_i32_b64 s20, s[20:21]
	s_add_u32 s10, s10, s34
	s_addc_u32 s21, 0, s35
	s_add_u32 s10, s10, s11
	s_addc_u32 s11, s21, 0
	;; [unrolled: 2-line block ×3, first 2 shown]
	s_add_u32 s34, s10, s20
	v_cmp_eq_u32_e64 s[20:21], 1, v5
	s_addc_u32 s35, s11, 0
	s_and_b64 s[10:11], vcc, s[20:21]
	v_cmp_eq_u32_e64 s[20:21], 1, v6
	s_and_b64 s[26:27], s[6:7], s[20:21]
	v_cmp_eq_u32_e64 s[20:21], 1, v7
	s_and_b64 s[28:29], s[14:15], s[20:21]
	v_cmp_eq_u32_e64 s[20:21], 1, v4
	v_cndmask_b32_e64 v8, 0, 1, s[10:11]
	s_and_b64 s[30:31], s[18:19], s[20:21]
	v_cmp_ne_u32_e64 s[20:21], 0, v8
	v_cndmask_b32_e64 v8, 0, 1, s[26:27]
	s_bcnt1_i32_b64 s10, s[20:21]
	v_cmp_ne_u32_e64 s[20:21], 0, v8
	v_cndmask_b32_e64 v8, 0, 1, s[28:29]
	s_bcnt1_i32_b64 s11, s[20:21]
	;; [unrolled: 3-line block ×3, first 2 shown]
	v_cmp_ne_u32_e64 s[20:21], 0, v8
	s_bcnt1_i32_b64 s20, s[20:21]
	s_add_u32 s10, s10, s94
	s_addc_u32 s21, 0, s95
	s_add_u32 s10, s10, s11
	s_addc_u32 s11, s21, 0
	;; [unrolled: 2-line block ×3, first 2 shown]
	s_add_u32 s94, s10, s20
	v_cmp_eq_u32_e64 s[20:21], 2, v5
	s_addc_u32 s95, s11, 0
	s_and_b64 s[10:11], vcc, s[20:21]
	v_cmp_eq_u32_e64 s[20:21], 2, v6
	s_and_b64 s[26:27], s[6:7], s[20:21]
	v_cmp_eq_u32_e64 s[20:21], 2, v7
	s_and_b64 s[28:29], s[14:15], s[20:21]
	v_cmp_eq_u32_e64 s[20:21], 2, v4
	v_cndmask_b32_e64 v8, 0, 1, s[10:11]
	s_and_b64 s[30:31], s[18:19], s[20:21]
	v_cmp_ne_u32_e64 s[20:21], 0, v8
	v_cndmask_b32_e64 v8, 0, 1, s[26:27]
	s_bcnt1_i32_b64 s10, s[20:21]
	v_cmp_ne_u32_e64 s[20:21], 0, v8
	v_cndmask_b32_e64 v8, 0, 1, s[28:29]
	s_bcnt1_i32_b64 s11, s[20:21]
	;; [unrolled: 3-line block ×3, first 2 shown]
	v_cmp_ne_u32_e64 s[20:21], 0, v8
	s_bcnt1_i32_b64 s20, s[20:21]
	s_add_u32 s10, s10, s60
	s_addc_u32 s21, 0, s61
	s_add_u32 s10, s10, s11
	s_addc_u32 s11, s21, 0
	;; [unrolled: 2-line block ×3, first 2 shown]
	s_add_u32 s60, s10, s20
	v_cmp_eq_u32_e64 s[20:21], 3, v5
	s_addc_u32 s61, s11, 0
	s_and_b64 s[10:11], vcc, s[20:21]
	v_cmp_eq_u32_e32 vcc, 3, v6
	s_and_b64 s[6:7], s[6:7], vcc
	v_cmp_eq_u32_e32 vcc, 3, v7
	s_and_b64 s[14:15], s[14:15], vcc
	v_cmp_eq_u32_e32 vcc, 3, v4
	v_cndmask_b32_e64 v4, 0, 1, s[10:11]
	s_and_b64 s[18:19], s[18:19], vcc
	v_cmp_ne_u32_e32 vcc, 0, v4
	v_cndmask_b32_e64 v4, 0, 1, s[6:7]
	s_bcnt1_i32_b64 s10, vcc
	v_cmp_ne_u32_e32 vcc, 0, v4
	v_cndmask_b32_e64 v4, 0, 1, s[14:15]
	s_bcnt1_i32_b64 s6, vcc
	;; [unrolled: 3-line block ×3, first 2 shown]
	v_cmp_ne_u32_e32 vcc, 0, v4
	s_bcnt1_i32_b64 s11, vcc
	s_add_u32 s10, s10, s56
	s_addc_u32 s13, 0, s57
	s_add_u32 s6, s10, s6
	s_addc_u32 s10, s13, 0
	s_add_u32 s6, s6, s7
	v_add_co_u32_e32 v21, vcc, s3, v21
	s_addc_u32 s7, s10, 0
	v_addc_co_u32_e32 v22, vcc, 0, v22, vcc
	s_add_u32 s56, s6, s11
	v_cmp_le_u64_e32 vcc, s[40:41], v[21:22]
	s_addc_u32 s57, s7, 0
	v_mov_b32_e32 v4, s34
	v_mov_b32_e32 v6, s94
	;; [unrolled: 1-line block ×4, first 2 shown]
	s_or_b64 s[54:55], vcc, s[54:55]
	v_mov_b32_e32 v5, s35
	v_mov_b32_e32 v7, s95
	v_mov_b32_e32 v9, s61
	v_mov_b32_e32 v11, s57
	s_andn2_b64 exec, exec, s[54:55]
	s_cbranch_execnz .LBB86_81
; %bb.82:                               ;   in Loop: Header=BB86_23 Depth=1
	s_or_b64 exec, exec, s[54:55]
.LBB86_83:                              ;   in Loop: Header=BB86_23 Depth=1
	s_or_b64 exec, exec, s[42:43]
	v_mov_b32_e32 v22, s41
	v_add_co_u32_e32 v21, vcc, s40, v0
	s_and_b32 s64, s92, 0x7fffffff
	v_addc_co_u32_e32 v22, vcc, 0, v22, vcc
	v_cmp_gt_u64_e32 vcc, s[64:65], v[21:22]
	s_and_saveexec_b64 s[10:11], vcc
	s_cbranch_execz .LBB86_87
; %bb.84:                               ;   in Loop: Header=BB86_23 Depth=1
	v_lshl_add_u32 v34, s12, 2, v0
	s_mov_b64 s[12:13], 0
.LBB86_85:                              ;   Parent Loop BB86_23 Depth=1
                                        ; =>  This Inner Loop Header: Depth=2
	ds_read_i8 v35, v34
	v_add_u32_e32 v34, s2, v34
	s_waitcnt lgkmcnt(0)
	v_add_u32_e32 v35, 0x80, v35
	v_and_b32_e32 v36, v35, v32
	v_bfe_u32 v35, v35, s1, 2
	v_cmp_eq_u32_e32 vcc, v36, v28
	v_cmp_eq_u32_e64 s[6:7], 0, v35
	s_and_b64 s[6:7], vcc, s[6:7]
	v_cndmask_b32_e64 v36, 0, 1, s[6:7]
	v_cmp_ne_u32_e64 s[6:7], 0, v36
	s_bcnt1_i32_b64 s3, s[6:7]
	v_add_co_u32_e64 v4, s[6:7], s3, v4
	v_addc_co_u32_e64 v5, s[6:7], 0, v5, s[6:7]
	v_cmp_eq_u32_e64 s[6:7], 1, v35
	s_and_b64 s[6:7], vcc, s[6:7]
	v_cndmask_b32_e64 v36, 0, 1, s[6:7]
	v_cmp_ne_u32_e64 s[6:7], 0, v36
	s_bcnt1_i32_b64 s3, s[6:7]
	v_add_co_u32_e64 v6, s[6:7], s3, v6
	v_addc_co_u32_e64 v7, s[6:7], 0, v7, s[6:7]
	;; [unrolled: 7-line block ×3, first 2 shown]
	v_cmp_eq_u32_e64 s[6:7], 3, v35
	s_and_b64 s[6:7], vcc, s[6:7]
	v_cndmask_b32_e64 v35, 0, 1, s[6:7]
	v_cmp_ne_u32_e32 vcc, 0, v35
	s_bcnt1_i32_b64 s3, vcc
	v_add_co_u32_e32 v10, vcc, s3, v10
	v_addc_co_u32_e32 v11, vcc, 0, v11, vcc
	v_add_co_u32_sdwa v21, vcc, v21, v2 dst_sel:DWORD dst_unused:UNUSED_PAD src0_sel:DWORD src1_sel:WORD_0
	v_addc_co_u32_e32 v22, vcc, 0, v22, vcc
	v_cmp_le_u64_e32 vcc, s[64:65], v[21:22]
	s_or_b64 s[12:13], vcc, s[12:13]
	s_andn2_b64 exec, exec, s[12:13]
	s_cbranch_execnz .LBB86_85
; %bb.86:                               ;   in Loop: Header=BB86_23 Depth=1
	s_or_b64 exec, exec, s[12:13]
.LBB86_87:                              ;   in Loop: Header=BB86_23 Depth=1
	s_or_b64 exec, exec, s[10:11]
	s_lshl_b32 s10, s76, 6
	s_and_saveexec_b64 s[2:3], s[4:5]
	s_cbranch_execnz .LBB86_58
	s_branch .LBB86_59
.LBB86_88:                              ;   in Loop: Header=BB86_23 Depth=1
                                        ; implicit-def: $sgpr2_sgpr3
	s_branch .LBB86_67
.LBB86_89:                              ;   in Loop: Header=BB86_23 Depth=1
	v_mov_b32_e32 v4, 0
	v_mov_b32_e32 v5, 0
	s_mov_b32 s2, 0
.LBB86_90:                              ;   in Loop: Header=BB86_23 Depth=1
	v_readlane_b32 s12, v46, 47
	v_readlane_b32 s13, v46, 48
	s_andn2_b64 vcc, exec, s[12:13]
	s_cbranch_vccnz .LBB86_93
; %bb.91:                               ;   in Loop: Header=BB86_23 Depth=1
	s_lshl_b32 s3, s76, 9
	s_lshl_b32 s2, s2, 5
	s_add_i32 s3, s3, s2
	v_add_u32_e32 v2, s3, v29
	v_readlane_b32 s2, v46, 46
.LBB86_92:                              ;   Parent Loop BB86_23 Depth=1
                                        ; =>  This Inner Loop Header: Depth=2
	ds_read_b64 v[6:7], v2
	s_add_i32 s2, s2, -1
	v_add_u32_e32 v2, 32, v2
	s_cmp_lg_u32 s2, 0
	s_waitcnt lgkmcnt(0)
	v_add_co_u32_e32 v4, vcc, v6, v4
	v_addc_co_u32_e32 v5, vcc, v7, v5, vcc
	s_cbranch_scc1 .LBB86_92
.LBB86_93:                              ;   in Loop: Header=BB86_23 Depth=1
	v_add_lshl_u32 v2, s10, v23, 3
	ds_write_b64 v2, v[4:5] offset:3072
.LBB86_94:                              ;   in Loop: Header=BB86_23 Depth=1
	s_or_b64 exec, exec, s[6:7]
	s_lshl_b32 s2, s10, 3
	v_mov_b32_e32 v2, s2
	s_waitcnt lgkmcnt(0)
	s_barrier
	ds_read_b128 v[8:11], v2 offset:3088
	ds_read_b128 v[4:7], v2 offset:3072
	v_cmp_eq_u64_e64 s[6:7], 1, v[19:20]
	s_lshl_b32 s68, 3, s1
	s_not_b32 s50, s68
	s_waitcnt lgkmcnt(1)
	v_readfirstlane_b32 s94, v8
	s_waitcnt lgkmcnt(0)
	v_cmp_eq_u64_e32 vcc, 1, v[4:5]
	v_readfirstlane_b32 s95, v9
	v_readfirstlane_b32 s14, v10
	;; [unrolled: 1-line block ×3, first 2 shown]
	s_and_b64 s[12:13], vcc, s[6:7]
	s_mov_b64 s[6:7], -1
	s_mov_b64 s[2:3], -1
                                        ; implicit-def: $sgpr20_sgpr21
                                        ; implicit-def: $sgpr10_sgpr11
	s_and_saveexec_b64 s[18:19], s[12:13]
	s_cbranch_execz .LBB86_126
; %bb.95:                               ;   in Loop: Header=BB86_23 Depth=1
	ds_read_b64 v[8:9], v3 offset:5120
	s_waitcnt lgkmcnt(0)
	s_barrier
	v_readfirstlane_b32 s40, v8
	v_readfirstlane_b32 s41, v9
	s_and_saveexec_b64 s[2:3], s[16:17]
; %bb.96:                               ;   in Loop: Header=BB86_23 Depth=1
	ds_write_b8 v0, v3 offset:3072
; %bb.97:                               ;   in Loop: Header=BB86_23 Depth=1
	s_or_b64 exec, exec, s[2:3]
	v_and_b32_e32 v28, s50, v28
	v_or_b32_e32 v32, s68, v32
	s_mov_b64 s[10:11], -1
	s_mov_b64 s[20:21], 0
	s_cmp_eq_u64 s[40:41], 0
	s_mov_b64 s[34:35], 0
	s_mov_b64 s[26:27], -1
	s_waitcnt lgkmcnt(0)
	s_barrier
                                        ; implicit-def: $vgpr33
	s_cbranch_scc1 .LBB86_111
; %bb.98:                               ;   in Loop: Header=BB86_23 Depth=1
	s_add_u32 s28, s40, s69
	s_addc_u32 s35, s41, s75
	s_mov_b32 s34, s65
	s_cmp_lg_u64 s[34:35], 0
	s_cbranch_scc0 .LBB86_152
; %bb.99:                               ;   in Loop: Header=BB86_23 Depth=1
	v_cvt_f32_u32_e32 v2, s23
	s_sub_u32 s26, 0, s23
	s_subb_u32 s27, 0, 0
	v_mac_f32_e32 v2, 0, v30
	v_rcp_f32_e32 v2, v2
	v_mul_f32_e32 v2, 0x5f7ffffc, v2
	v_mul_f32_e32 v8, 0x2f800000, v2
	v_trunc_f32_e32 v8, v8
	v_mac_f32_e32 v2, 0xcf800000, v8
	v_cvt_u32_f32_e32 v8, v8
	v_cvt_u32_f32_e32 v2, v2
	v_readfirstlane_b32 s29, v8
	v_readfirstlane_b32 s2, v2
	s_mul_i32 s3, s26, s29
	s_mul_hi_u32 s31, s26, s2
	s_mul_i32 s30, s27, s2
	s_add_i32 s3, s31, s3
	s_mul_i32 s34, s26, s2
	s_add_i32 s3, s3, s30
	s_mul_hi_u32 s31, s2, s34
	s_mul_i32 s42, s2, s3
	s_mul_hi_u32 s30, s2, s3
	s_add_u32 s31, s31, s42
	s_addc_u32 s30, 0, s30
	s_mul_hi_u32 s43, s29, s34
	s_mul_i32 s34, s29, s34
	s_add_u32 s31, s31, s34
	s_mul_hi_u32 s42, s29, s3
	s_addc_u32 s30, s30, s43
	s_addc_u32 s31, s42, 0
	s_mul_i32 s3, s29, s3
	s_add_u32 s3, s30, s3
	s_addc_u32 s30, 0, s31
	s_add_u32 s31, s2, s3
	s_cselect_b64 s[2:3], -1, 0
	s_cmp_lg_u64 s[2:3], 0
	s_addc_u32 s29, s29, s30
	s_mul_i32 s2, s26, s29
	s_mul_hi_u32 s3, s26, s31
	s_add_i32 s2, s3, s2
	s_mul_i32 s27, s27, s31
	s_add_i32 s2, s2, s27
	s_mul_i32 s26, s26, s31
	s_mul_hi_u32 s27, s29, s26
	s_mul_i32 s30, s29, s26
	s_mul_i32 s42, s31, s2
	s_mul_hi_u32 s26, s31, s26
	s_mul_hi_u32 s34, s31, s2
	s_add_u32 s26, s26, s42
	s_addc_u32 s34, 0, s34
	s_add_u32 s26, s26, s30
	s_mul_hi_u32 s3, s29, s2
	s_addc_u32 s26, s34, s27
	s_addc_u32 s3, s3, 0
	s_mul_i32 s2, s29, s2
	s_add_u32 s2, s26, s2
	s_addc_u32 s26, 0, s3
	s_add_u32 s27, s31, s2
	s_cselect_b64 s[2:3], -1, 0
	s_cmp_lg_u64 s[2:3], 0
	s_addc_u32 s2, s29, s26
	s_mul_i32 s26, s28, s2
	s_mul_hi_u32 s29, s28, s27
	s_mul_hi_u32 s3, s28, s2
	s_add_u32 s26, s29, s26
	s_addc_u32 s3, 0, s3
	s_mul_hi_u32 s30, s35, s27
	s_mul_i32 s27, s35, s27
	s_add_u32 s26, s26, s27
	s_mul_hi_u32 s29, s35, s2
	s_addc_u32 s3, s3, s30
	s_addc_u32 s26, s29, 0
	s_mul_i32 s2, s35, s2
	s_add_u32 s2, s3, s2
	s_addc_u32 s3, 0, s26
	s_mul_i32 s3, s23, s3
	s_mul_hi_u32 s26, s23, s2
	s_add_i32 s26, s26, s3
	s_mul_i32 s2, s23, s2
	s_sub_u32 s27, s28, s2
	s_cselect_b64 s[2:3], -1, 0
	s_cmp_lg_u64 s[2:3], 0
	s_subb_u32 s26, s35, s26
	s_sub_u32 s29, s27, s23
	s_cselect_b64 s[2:3], -1, 0
	s_cmp_lg_u64 s[2:3], 0
	s_subb_u32 s30, s26, 0
	;; [unrolled: 4-line block ×3, first 2 shown]
	s_cmp_ge_u32 s29, s23
	s_cselect_b32 s3, -1, 0
	s_cmp_eq_u32 s30, 0
	s_cselect_b32 s3, s3, -1
	s_cmp_lg_u32 s3, 0
	s_cselect_b32 s2, s2, s30
	s_cselect_b32 s29, s31, s29
	s_cmp_ge_u32 s27, s23
	s_cselect_b32 s3, -1, 0
	s_cmp_eq_u32 s26, 0
	s_cselect_b32 s3, s3, -1
	s_cmp_lg_u32 s3, 0
	s_cselect_b32 s3, s2, s26
	s_cselect_b32 s2, s29, s27
	s_cbranch_execnz .LBB86_101
.LBB86_100:                             ;   in Loop: Header=BB86_23 Depth=1
	v_cvt_f32_u32_e32 v2, s23
	s_sub_i32 s2, 0, s23
	v_rcp_iflag_f32_e32 v2, v2
	v_mul_f32_e32 v2, 0x4f7ffffe, v2
	v_cvt_u32_f32_e32 v2, v2
	v_readfirstlane_b32 s3, v2
	s_mul_i32 s2, s2, s3
	s_mul_hi_u32 s2, s3, s2
	s_add_i32 s3, s3, s2
	s_mul_hi_u32 s2, s28, s3
	s_mul_i32 s2, s2, s23
	s_sub_i32 s2, s28, s2
	s_sub_i32 s3, s2, s23
	s_cmp_ge_u32 s2, s23
	s_cselect_b32 s2, s3, s2
	s_sub_i32 s3, s2, s23
	s_cmp_ge_u32 s2, s23
	s_cselect_b32 s64, s3, s2
	s_mov_b64 s[2:3], s[64:65]
.LBB86_101:                             ;   in Loop: Header=BB86_23 Depth=1
	s_sub_u32 s2, s28, s2
	s_subb_u32 s3, s35, s3
	v_cmp_gt_u64_e32 vcc, s[2:3], v[0:1]
	s_mov_b64 s[26:27], 0
	s_mov_b64 s[34:35], 0
                                        ; implicit-def: $vgpr33
	s_and_saveexec_b64 s[42:43], vcc
	s_cbranch_execz .LBB86_110
; %bb.102:                              ;   in Loop: Header=BB86_23 Depth=1
	v_mov_b32_e32 v9, v1
	v_mov_b32_e32 v2, v0
	;; [unrolled: 1-line block ×3, first 2 shown]
                                        ; implicit-def: $sgpr28_sgpr29
	s_branch .LBB86_105
.LBB86_103:                             ;   in Loop: Header=BB86_105 Depth=2
	s_or_b64 exec, exec, s[30:31]
	s_waitcnt lgkmcnt(0)
	s_barrier
	ds_read_u16 v10, v3 offset:3072
	s_mov_b64 s[30:31], -1
	s_waitcnt lgkmcnt(0)
	s_barrier
	v_cmp_ne_u32_sdwa s[44:45], v10, v3 src0_sel:BYTE_0 src1_sel:DWORD
	s_and_b64 vcc, exec, s[44:45]
	s_mov_b64 s[44:45], -1
	s_cbranch_vccz .LBB86_108
.LBB86_104:                             ;   in Loop: Header=BB86_105 Depth=2
	s_and_b64 s[30:31], exec, s[30:31]
	s_or_b64 s[34:35], s[30:31], s[34:35]
	s_andn2_b64 s[28:29], s[28:29], exec
	s_and_b64 s[30:31], s[44:45], exec
	s_or_b64 s[28:29], s[28:29], s[30:31]
	s_andn2_b64 exec, exec, s[34:35]
	s_cbranch_execz .LBB86_109
.LBB86_105:                             ;   Parent Loop BB86_23 Depth=1
                                        ; =>  This Inner Loop Header: Depth=2
	v_cmp_gt_u64_e32 vcc, s[40:41], v[8:9]
	s_and_saveexec_b64 s[30:31], vcc
	s_cbranch_execz .LBB86_103
; %bb.106:                              ;   in Loop: Header=BB86_105 Depth=2
	ds_read_u8 v10, v2
	s_waitcnt lgkmcnt(0)
	v_add_u32_sdwa v11, sext(v10), s22 dst_sel:DWORD dst_unused:UNUSED_PAD src0_sel:BYTE_0 src1_sel:DWORD
	v_and_b32_e32 v11, v11, v32
	v_cmp_eq_u32_e32 vcc, v11, v28
	s_and_b64 exec, exec, vcc
	s_cbranch_execz .LBB86_103
; %bb.107:                              ;   in Loop: Header=BB86_105 Depth=2
	v_lshlrev_b16_e32 v10, 8, v10
	v_or_b32_e32 v10, 1, v10
	ds_write_b16 v3, v10 offset:3072
	s_branch .LBB86_103
.LBB86_108:                             ;   in Loop: Header=BB86_105 Depth=2
	v_add_co_u32_e32 v8, vcc, s23, v8
	v_addc_co_u32_e32 v9, vcc, 0, v9, vcc
	v_cmp_le_u64_e32 vcc, s[2:3], v[8:9]
	v_add_u32_e32 v2, s23, v2
	s_mov_b64 s[44:45], 0
	s_orn2_b64 s[30:31], vcc, exec
	s_branch .LBB86_104
.LBB86_109:                             ;   in Loop: Header=BB86_23 Depth=1
	s_or_b64 exec, exec, s[34:35]
	v_lshrrev_b32_sdwa v33, v31, v10 dst_sel:DWORD dst_unused:UNUSED_PAD src0_sel:DWORD src1_sel:WORD_0
	s_and_b64 s[34:35], s[28:29], exec
.LBB86_110:                             ;   in Loop: Header=BB86_23 Depth=1
	s_or_b64 exec, exec, s[42:43]
.LBB86_111:                             ;   in Loop: Header=BB86_23 Depth=1
	s_and_b64 vcc, exec, s[26:27]
	s_cbranch_vccz .LBB86_125
; %bb.112:                              ;   in Loop: Header=BB86_23 Depth=1
	s_mov_b32 s70, s65
	s_cmp_lg_u64 s[70:71], 0
	s_cbranch_scc0 .LBB86_156
; %bb.113:                              ;   in Loop: Header=BB86_23 Depth=1
	v_cvt_f32_u32_e32 v2, s23
	s_sub_u32 s10, 0, s23
	s_subb_u32 s11, 0, 0
	v_mac_f32_e32 v2, 0, v30
	v_rcp_f32_e32 v2, v2
	v_mul_f32_e32 v2, 0x5f7ffffc, v2
	v_mul_f32_e32 v8, 0x2f800000, v2
	v_trunc_f32_e32 v8, v8
	v_mac_f32_e32 v2, 0xcf800000, v8
	v_cvt_u32_f32_e32 v8, v8
	v_cvt_u32_f32_e32 v2, v2
	v_readfirstlane_b32 s20, v8
	v_readfirstlane_b32 s2, v2
	s_mul_i32 s3, s10, s20
	s_mul_hi_u32 s26, s10, s2
	s_mul_i32 s21, s11, s2
	s_add_i32 s3, s26, s3
	s_mul_i32 s27, s10, s2
	s_add_i32 s3, s3, s21
	s_mul_hi_u32 s26, s2, s27
	s_mul_i32 s28, s2, s3
	s_mul_hi_u32 s21, s2, s3
	s_add_u32 s26, s26, s28
	s_addc_u32 s21, 0, s21
	s_mul_hi_u32 s29, s20, s27
	s_mul_i32 s27, s20, s27
	s_add_u32 s26, s26, s27
	s_mul_hi_u32 s28, s20, s3
	s_addc_u32 s21, s21, s29
	s_addc_u32 s26, s28, 0
	s_mul_i32 s3, s20, s3
	s_add_u32 s3, s21, s3
	s_addc_u32 s21, 0, s26
	s_add_u32 s26, s2, s3
	s_cselect_b64 s[2:3], -1, 0
	s_cmp_lg_u64 s[2:3], 0
	s_addc_u32 s20, s20, s21
	s_mul_i32 s2, s10, s20
	s_mul_hi_u32 s3, s10, s26
	s_add_i32 s2, s3, s2
	s_mul_i32 s11, s11, s26
	s_add_i32 s2, s2, s11
	s_mul_i32 s10, s10, s26
	s_mul_hi_u32 s11, s20, s10
	s_mul_i32 s21, s20, s10
	s_mul_i32 s28, s26, s2
	s_mul_hi_u32 s10, s26, s10
	s_mul_hi_u32 s27, s26, s2
	s_add_u32 s10, s10, s28
	s_addc_u32 s27, 0, s27
	s_add_u32 s10, s10, s21
	s_mul_hi_u32 s3, s20, s2
	s_addc_u32 s10, s27, s11
	s_addc_u32 s3, s3, 0
	s_mul_i32 s2, s20, s2
	s_add_u32 s2, s10, s2
	s_addc_u32 s10, 0, s3
	s_add_u32 s11, s26, s2
	s_cselect_b64 s[2:3], -1, 0
	s_cmp_lg_u64 s[2:3], 0
	s_addc_u32 s2, s20, s10
	s_mul_i32 s10, s77, s2
	s_mul_hi_u32 s20, s77, s11
	s_mul_hi_u32 s3, s77, s2
	s_add_u32 s10, s20, s10
	s_addc_u32 s3, 0, s3
	s_mul_hi_u32 s21, s71, s11
	s_mul_i32 s11, s71, s11
	s_add_u32 s10, s10, s11
	s_mul_hi_u32 s20, s71, s2
	s_addc_u32 s3, s3, s21
	s_addc_u32 s10, s20, 0
	s_mul_i32 s2, s71, s2
	s_add_u32 s2, s3, s2
	s_addc_u32 s3, 0, s10
	s_mul_i32 s3, s23, s3
	s_mul_hi_u32 s10, s23, s2
	s_add_i32 s10, s10, s3
	s_mul_i32 s2, s23, s2
	s_sub_u32 s11, s77, s2
	s_cselect_b64 s[2:3], -1, 0
	s_cmp_lg_u64 s[2:3], 0
	s_subb_u32 s10, s71, s10
	s_sub_u32 s20, s11, s23
	s_cselect_b64 s[2:3], -1, 0
	s_cmp_lg_u64 s[2:3], 0
	s_subb_u32 s21, s10, 0
	;; [unrolled: 4-line block ×3, first 2 shown]
	s_cmp_ge_u32 s20, s23
	s_cselect_b32 s3, -1, 0
	s_cmp_eq_u32 s21, 0
	s_cselect_b32 s3, s3, -1
	s_cmp_lg_u32 s3, 0
	s_cselect_b32 s2, s2, s21
	s_cselect_b32 s20, s26, s20
	s_cmp_ge_u32 s11, s23
	s_cselect_b32 s3, -1, 0
	s_cmp_eq_u32 s10, 0
	s_cselect_b32 s3, s3, -1
	s_cmp_lg_u32 s3, 0
	s_cselect_b32 s3, s2, s10
	s_cselect_b32 s2, s20, s11
	s_cbranch_execnz .LBB86_115
.LBB86_114:                             ;   in Loop: Header=BB86_23 Depth=1
	v_cvt_f32_u32_e32 v2, s23
	s_sub_i32 s2, 0, s23
	v_rcp_iflag_f32_e32 v2, v2
	v_mul_f32_e32 v2, 0x4f7ffffe, v2
	v_cvt_u32_f32_e32 v2, v2
	v_readfirstlane_b32 s3, v2
	s_mul_i32 s2, s2, s3
	s_mul_hi_u32 s2, s3, s2
	s_add_i32 s3, s3, s2
	s_mul_hi_u32 s2, s77, s3
	s_mul_i32 s2, s2, s23
	s_sub_i32 s2, s77, s2
	s_sub_i32 s3, s2, s23
	s_cmp_ge_u32 s2, s23
	s_cselect_b32 s2, s3, s2
	s_sub_i32 s3, s2, s23
	s_cmp_ge_u32 s2, s23
	s_cselect_b32 s64, s3, s2
	s_mov_b64 s[2:3], s[64:65]
.LBB86_115:                             ;   in Loop: Header=BB86_23 Depth=1
	s_sub_u32 s2, s77, s2
	s_subb_u32 s3, s71, s3
	v_cmp_gt_u64_e32 vcc, s[2:3], v[0:1]
                                        ; implicit-def: $vgpr33
	s_and_saveexec_b64 s[10:11], vcc
	s_cbranch_execz .LBB86_124
; %bb.116:                              ;   in Loop: Header=BB86_23 Depth=1
	v_mov_b32_e32 v9, v1
	s_mov_b64 s[20:21], 0
	v_mov_b32_e32 v8, v0
                                        ; implicit-def: $sgpr26_sgpr27
	s_branch .LBB86_119
.LBB86_117:                             ;   in Loop: Header=BB86_119 Depth=2
	s_or_b64 exec, exec, s[28:29]
	s_waitcnt lgkmcnt(0)
	s_barrier
	ds_read_u16 v2, v3 offset:3072
	s_mov_b64 s[28:29], -1
	s_waitcnt lgkmcnt(0)
	s_barrier
	v_cmp_ne_u32_sdwa s[30:31], v2, v3 src0_sel:BYTE_0 src1_sel:DWORD
	s_and_b64 vcc, exec, s[30:31]
	s_mov_b64 s[30:31], -1
	s_cbranch_vccz .LBB86_122
.LBB86_118:                             ;   in Loop: Header=BB86_119 Depth=2
	s_and_b64 s[28:29], exec, s[28:29]
	s_or_b64 s[20:21], s[28:29], s[20:21]
	s_andn2_b64 s[26:27], s[26:27], exec
	s_and_b64 s[28:29], s[30:31], exec
	s_or_b64 s[26:27], s[26:27], s[28:29]
	s_andn2_b64 exec, exec, s[20:21]
	s_cbranch_execz .LBB86_123
.LBB86_119:                             ;   Parent Loop BB86_23 Depth=1
                                        ; =>  This Inner Loop Header: Depth=2
	v_cmp_gt_u64_e32 vcc, s[24:25], v[8:9]
	s_and_saveexec_b64 s[28:29], vcc
	s_cbranch_execz .LBB86_117
; %bb.120:                              ;   in Loop: Header=BB86_119 Depth=2
	v_mov_b32_e32 v10, s62
	v_mov_b32_e32 v11, s63
	v_mad_u64_u32 v[10:11], s[30:31], v8, s52, v[10:11]
	v_mul_lo_u32 v2, v8, s53
	v_mul_lo_u32 v21, v9, s52
	v_add3_u32 v11, v21, v11, v2
	global_load_ubyte v2, v[10:11], off
	s_waitcnt vmcnt(0)
	v_add_u32_sdwa v10, sext(v2), s22 dst_sel:DWORD dst_unused:UNUSED_PAD src0_sel:BYTE_0 src1_sel:DWORD
	v_and_b32_e32 v10, v10, v32
	v_cmp_eq_u32_e32 vcc, v10, v28
	s_and_b64 exec, exec, vcc
	s_cbranch_execz .LBB86_117
; %bb.121:                              ;   in Loop: Header=BB86_119 Depth=2
	v_lshlrev_b16_e32 v2, 8, v2
	v_or_b32_e32 v2, 1, v2
	ds_write_b16 v3, v2 offset:3072
	s_branch .LBB86_117
.LBB86_122:                             ;   in Loop: Header=BB86_119 Depth=2
	v_add_co_u32_e32 v8, vcc, s23, v8
	v_addc_co_u32_e32 v9, vcc, 0, v9, vcc
	v_cmp_le_u64_e32 vcc, s[2:3], v[8:9]
	s_mov_b64 s[30:31], 0
	s_orn2_b64 s[28:29], vcc, exec
	s_branch .LBB86_118
.LBB86_123:                             ;   in Loop: Header=BB86_23 Depth=1
	s_or_b64 exec, exec, s[20:21]
	s_andn2_b64 s[2:3], s[34:35], exec
	s_and_b64 s[20:21], s[26:27], exec
	v_lshrrev_b32_sdwa v33, v31, v2 dst_sel:DWORD dst_unused:UNUSED_PAD src0_sel:DWORD src1_sel:WORD_0
	s_or_b64 s[34:35], s[2:3], s[20:21]
.LBB86_124:                             ;   in Loop: Header=BB86_23 Depth=1
	s_or_b64 exec, exec, s[10:11]
	s_mov_b64 s[10:11], 0
	s_mov_b64 s[20:21], -1
.LBB86_125:                             ;   in Loop: Header=BB86_23 Depth=1
	s_orn2_b64 s[2:3], s[34:35], exec
.LBB86_126:                             ;   in Loop: Header=BB86_23 Depth=1
	s_or_b64 exec, exec, s[18:19]
	s_andn2_b64 s[18:19], s[90:91], exec
	s_and_b64 s[20:21], s[20:21], exec
	s_or_b64 s[90:91], s[18:19], s[20:21]
	s_andn2_b64 s[18:19], s[88:89], exec
	s_and_b64 s[10:11], s[10:11], exec
	s_andn2_b64 s[86:87], s[86:87], exec
	s_or_b64 s[88:89], s[18:19], s[10:11]
                                        ; implicit-def: $vgpr8_vgpr9
	s_and_saveexec_b64 s[18:19], s[2:3]
	s_cbranch_execz .LBB86_22
; %bb.127:                              ;   in Loop: Header=BB86_23 Depth=1
	v_mov_b32_e32 v8, 1
	s_xor_b64 s[2:3], s[12:13], -1
	v_mov_b32_e32 v2, 1
	v_mov_b32_e32 v9, 0
	s_mov_b64 s[10:11], 0
	s_and_saveexec_b64 s[6:7], s[2:3]
	s_cbranch_execz .LBB86_136
; %bb.128:                              ;   in Loop: Header=BB86_23 Depth=1
	v_cmp_le_u64_e32 vcc, v[19:20], v[4:5]
	s_and_saveexec_b64 s[2:3], vcc
	s_xor_b64 s[2:3], exec, s[2:3]
	s_cbranch_execz .LBB86_133
; %bb.129:                              ;   in Loop: Header=BB86_23 Depth=1
	ds_read_b64 v[8:9], v3 offset:5120
	v_and_b32_e32 v28, s50, v28
	v_or_b32_e32 v32, s68, v32
	s_waitcnt lgkmcnt(0)
	v_cmp_ne_u64_e32 vcc, 0, v[8:9]
	s_cbranch_vccnz .LBB86_133
; %bb.130:                              ;   in Loop: Header=BB86_23 Depth=1
	s_mov_b64 s[10:11], exec
	v_readlane_b32 s12, v46, 16
	v_readlane_b32 s13, v46, 17
	s_and_b64 s[12:13], s[10:11], s[12:13]
	s_mov_b64 exec, s[12:13]
; %bb.131:                              ;   in Loop: Header=BB86_23 Depth=1
	ds_write_b64 v3, v[4:5] offset:5128
; %bb.132:                              ;   in Loop: Header=BB86_23 Depth=1
	s_or_b64 exec, exec, s[10:11]
	s_waitcnt lgkmcnt(0)
	s_barrier
.LBB86_133:                             ;   in Loop: Header=BB86_23 Depth=1
	s_or_saveexec_b64 s[2:3], s[2:3]
	s_mov_b64 s[10:11], 0
	v_mov_b32_e32 v2, 8
	s_xor_b64 exec, exec, s[2:3]
; %bb.134:                              ;   in Loop: Header=BB86_23 Depth=1
	v_sub_co_u32_e32 v19, vcc, v19, v4
	v_subb_co_u32_e32 v20, vcc, v20, v5, vcc
	v_mov_b32_e32 v2, 0
	s_mov_b64 s[10:11], exec
; %bb.135:                              ;   in Loop: Header=BB86_23 Depth=1
	s_or_b64 exec, exec, s[2:3]
	v_mov_b32_e32 v8, v19
	s_and_b64 s[10:11], s[10:11], exec
	v_mov_b32_e32 v9, v20
.LBB86_136:                             ;   in Loop: Header=BB86_23 Depth=1
	s_or_b64 exec, exec, s[6:7]
	s_mov_b64 s[20:21], -1
	s_mov_b64 s[2:3], -1
                                        ; implicit-def: $sgpr6_sgpr7
                                        ; implicit-def: $sgpr56_sgpr57
	s_and_saveexec_b64 s[12:13], s[10:11]
	s_xor_b64 s[92:93], exec, s[12:13]
	s_cbranch_execz .LBB86_281
; %bb.137:                              ;   in Loop: Header=BB86_23 Depth=1
	v_cmp_eq_u64_e32 vcc, 1, v[6:7]
	v_cmp_eq_u64_e64 s[6:7], 1, v[8:9]
                                        ; implicit-def: $sgpr56_sgpr57
	s_and_b64 s[12:13], vcc, s[6:7]
                                        ; implicit-def: $sgpr6_sgpr7
	s_and_saveexec_b64 s[34:35], s[12:13]
	s_cbranch_execz .LBB86_174
; %bb.138:                              ;   in Loop: Header=BB86_23 Depth=1
	ds_read_b64 v[4:5], v3 offset:5120
	s_waitcnt lgkmcnt(0)
	s_barrier
	v_readfirstlane_b32 s40, v4
	v_readfirstlane_b32 s41, v5
	s_and_saveexec_b64 s[2:3], s[16:17]
; %bb.139:                              ;   in Loop: Header=BB86_23 Depth=1
	ds_write_b8 v0, v3 offset:3072
; %bb.140:                              ;   in Loop: Header=BB86_23 Depth=1
	s_or_b64 exec, exec, s[2:3]
	v_and_b32_e32 v4, s50, v28
	v_lshl_or_b32 v28, 1, s1, v4
	v_or_b32_e32 v32, s68, v32
	s_mov_b64 s[6:7], -1
	s_mov_b64 s[56:57], 0
	s_cmp_eq_u64 s[40:41], 0
	s_mov_b64 s[10:11], 0
	s_mov_b64 s[42:43], -1
	s_waitcnt lgkmcnt(0)
	s_barrier
                                        ; implicit-def: $vgpr33
	s_cbranch_scc1 .LBB86_159
; %bb.141:                              ;   in Loop: Header=BB86_23 Depth=1
	s_add_u32 s28, s40, s69
	s_addc_u32 s11, s41, s75
	s_mov_b32 s10, s65
	s_cmp_lg_u64 s[10:11], 0
	s_cbranch_scc0 .LBB86_201
; %bb.142:                              ;   in Loop: Header=BB86_23 Depth=1
	v_cvt_f32_u32_e32 v4, s23
	s_sub_u32 s10, 0, s23
	s_subb_u32 s26, 0, 0
	v_mac_f32_e32 v4, 0, v30
	v_rcp_f32_e32 v4, v4
	v_mul_f32_e32 v4, 0x5f7ffffc, v4
	v_mul_f32_e32 v5, 0x2f800000, v4
	v_trunc_f32_e32 v5, v5
	v_mac_f32_e32 v4, 0xcf800000, v5
	v_cvt_u32_f32_e32 v5, v5
	v_cvt_u32_f32_e32 v4, v4
	v_readfirstlane_b32 s27, v5
	v_readfirstlane_b32 s2, v4
	s_mul_i32 s3, s10, s27
	s_mul_hi_u32 s30, s10, s2
	s_mul_i32 s29, s26, s2
	s_add_i32 s3, s30, s3
	s_mul_i32 s31, s10, s2
	s_add_i32 s3, s3, s29
	s_mul_hi_u32 s30, s2, s31
	s_mul_i32 s42, s2, s3
	s_mul_hi_u32 s29, s2, s3
	s_add_u32 s30, s30, s42
	s_addc_u32 s29, 0, s29
	s_mul_hi_u32 s43, s27, s31
	s_mul_i32 s31, s27, s31
	s_add_u32 s30, s30, s31
	s_mul_hi_u32 s42, s27, s3
	s_addc_u32 s29, s29, s43
	s_addc_u32 s30, s42, 0
	s_mul_i32 s3, s27, s3
	s_add_u32 s3, s29, s3
	s_addc_u32 s29, 0, s30
	s_add_u32 s30, s2, s3
	s_cselect_b64 s[2:3], -1, 0
	s_cmp_lg_u64 s[2:3], 0
	s_addc_u32 s27, s27, s29
	s_mul_i32 s2, s10, s27
	s_mul_hi_u32 s3, s10, s30
	s_add_i32 s2, s3, s2
	s_mul_i32 s26, s26, s30
	s_add_i32 s2, s2, s26
	s_mul_i32 s10, s10, s30
	s_mul_hi_u32 s26, s27, s10
	s_mul_i32 s29, s27, s10
	s_mul_i32 s42, s30, s2
	s_mul_hi_u32 s10, s30, s10
	s_mul_hi_u32 s31, s30, s2
	s_add_u32 s10, s10, s42
	s_addc_u32 s31, 0, s31
	s_add_u32 s10, s10, s29
	s_mul_hi_u32 s3, s27, s2
	s_addc_u32 s10, s31, s26
	s_addc_u32 s3, s3, 0
	s_mul_i32 s2, s27, s2
	s_add_u32 s2, s10, s2
	s_addc_u32 s10, 0, s3
	s_add_u32 s26, s30, s2
	s_cselect_b64 s[2:3], -1, 0
	s_cmp_lg_u64 s[2:3], 0
	s_addc_u32 s2, s27, s10
	s_mul_i32 s10, s28, s2
	s_mul_hi_u32 s27, s28, s26
	s_mul_hi_u32 s3, s28, s2
	s_add_u32 s10, s27, s10
	s_addc_u32 s3, 0, s3
	s_mul_hi_u32 s29, s11, s26
	s_mul_i32 s26, s11, s26
	s_add_u32 s10, s10, s26
	s_mul_hi_u32 s27, s11, s2
	s_addc_u32 s3, s3, s29
	s_addc_u32 s10, s27, 0
	s_mul_i32 s2, s11, s2
	s_add_u32 s2, s3, s2
	s_addc_u32 s3, 0, s10
	s_mul_i32 s3, s23, s3
	s_mul_hi_u32 s10, s23, s2
	s_add_i32 s10, s10, s3
	s_mul_i32 s2, s23, s2
	s_sub_u32 s26, s28, s2
	s_cselect_b64 s[2:3], -1, 0
	s_cmp_lg_u64 s[2:3], 0
	s_subb_u32 s10, s11, s10
	s_sub_u32 s27, s26, s23
	s_cselect_b64 s[2:3], -1, 0
	s_cmp_lg_u64 s[2:3], 0
	s_subb_u32 s29, s10, 0
	;; [unrolled: 4-line block ×3, first 2 shown]
	s_cmp_ge_u32 s27, s23
	s_cselect_b32 s3, -1, 0
	s_cmp_eq_u32 s29, 0
	s_cselect_b32 s3, s3, -1
	s_cmp_lg_u32 s3, 0
	s_cselect_b32 s2, s2, s29
	s_cselect_b32 s27, s30, s27
	s_cmp_ge_u32 s26, s23
	s_cselect_b32 s3, -1, 0
	s_cmp_eq_u32 s10, 0
	s_cselect_b32 s3, s3, -1
	s_cmp_lg_u32 s3, 0
	s_cselect_b32 s3, s2, s10
	s_cselect_b32 s2, s27, s26
	s_cbranch_execnz .LBB86_144
.LBB86_143:                             ;   in Loop: Header=BB86_23 Depth=1
	v_cvt_f32_u32_e32 v4, s23
	s_sub_i32 s2, 0, s23
	v_rcp_iflag_f32_e32 v4, v4
	v_mul_f32_e32 v4, 0x4f7ffffe, v4
	v_cvt_u32_f32_e32 v4, v4
	v_readfirstlane_b32 s3, v4
	s_mul_i32 s2, s2, s3
	s_mul_hi_u32 s2, s3, s2
	s_add_i32 s3, s3, s2
	s_mul_hi_u32 s2, s28, s3
	s_mul_i32 s2, s2, s23
	s_sub_i32 s2, s28, s2
	s_sub_i32 s3, s2, s23
	s_cmp_ge_u32 s2, s23
	s_cselect_b32 s2, s3, s2
	s_sub_i32 s3, s2, s23
	s_cmp_ge_u32 s2, s23
	s_cselect_b32 s64, s3, s2
	s_mov_b64 s[2:3], s[64:65]
.LBB86_144:                             ;   in Loop: Header=BB86_23 Depth=1
	s_sub_u32 s44, s28, s2
	s_subb_u32 s45, s11, s3
	v_cmp_gt_u64_e32 vcc, s[44:45], v[0:1]
	s_mov_b64 s[42:43], 0
	s_mov_b64 s[10:11], 0
                                        ; implicit-def: $vgpr33
	s_and_saveexec_b64 s[26:27], vcc
	s_cbranch_execz .LBB86_158
; %bb.145:                              ;   in Loop: Header=BB86_23 Depth=1
	v_mov_b32_e32 v5, v1
	s_mov_b64 s[2:3], 0
	v_mov_b32_e32 v10, v0
	v_mov_b32_e32 v4, v0
                                        ; implicit-def: $sgpr10_sgpr11
	s_branch .LBB86_148
.LBB86_146:                             ;   in Loop: Header=BB86_148 Depth=2
	s_or_b64 exec, exec, s[28:29]
	s_waitcnt lgkmcnt(0)
	s_barrier
	ds_read_u16 v11, v3 offset:3072
	s_mov_b64 s[28:29], -1
	s_waitcnt lgkmcnt(0)
	s_barrier
	v_cmp_ne_u32_sdwa s[30:31], v11, v3 src0_sel:BYTE_0 src1_sel:DWORD
	s_and_b64 vcc, exec, s[30:31]
	s_mov_b64 s[30:31], -1
	s_cbranch_vccz .LBB86_151
.LBB86_147:                             ;   in Loop: Header=BB86_148 Depth=2
	s_and_b64 s[28:29], exec, s[28:29]
	s_or_b64 s[2:3], s[28:29], s[2:3]
	s_andn2_b64 s[10:11], s[10:11], exec
	s_and_b64 s[28:29], s[30:31], exec
	s_or_b64 s[10:11], s[10:11], s[28:29]
	s_andn2_b64 exec, exec, s[2:3]
	s_cbranch_execz .LBB86_157
.LBB86_148:                             ;   Parent Loop BB86_23 Depth=1
                                        ; =>  This Inner Loop Header: Depth=2
	v_cmp_gt_u64_e32 vcc, s[40:41], v[4:5]
	s_and_saveexec_b64 s[28:29], vcc
	s_cbranch_execz .LBB86_146
; %bb.149:                              ;   in Loop: Header=BB86_148 Depth=2
	ds_read_u8 v11, v10
	s_waitcnt lgkmcnt(0)
	v_add_u32_sdwa v19, sext(v11), s22 dst_sel:DWORD dst_unused:UNUSED_PAD src0_sel:BYTE_0 src1_sel:DWORD
	v_and_b32_e32 v19, v19, v32
	v_cmp_eq_u32_e32 vcc, v19, v28
	s_and_b64 exec, exec, vcc
	s_cbranch_execz .LBB86_146
; %bb.150:                              ;   in Loop: Header=BB86_148 Depth=2
	v_lshlrev_b16_e32 v11, 8, v11
	v_or_b32_e32 v11, 1, v11
	ds_write_b16 v3, v11 offset:3072
	s_branch .LBB86_146
.LBB86_151:                             ;   in Loop: Header=BB86_148 Depth=2
	v_add_co_u32_e32 v4, vcc, s23, v4
	v_addc_co_u32_e32 v5, vcc, 0, v5, vcc
	v_cmp_le_u64_e32 vcc, s[44:45], v[4:5]
	v_add_u32_e32 v10, s23, v10
	s_mov_b64 s[30:31], 0
	s_orn2_b64 s[28:29], vcc, exec
	s_branch .LBB86_147
.LBB86_152:                             ;   in Loop: Header=BB86_23 Depth=1
                                        ; implicit-def: $sgpr2_sgpr3
	s_andn2_b64 vcc, exec, s[26:27]
	s_cbranch_vccz .LBB86_100
	s_branch .LBB86_101
.LBB86_153:                             ;   in Loop: Header=BB86_23 Depth=1
	s_or_b64 exec, exec, s[12:13]
	s_waitcnt lgkmcnt(0)
	s_barrier
	s_mov_b64 s[2:3], exec
	v_readlane_b32 s6, v46, 16
	v_readlane_b32 s7, v46, 17
	s_and_b64 s[6:7], s[2:3], s[6:7]
	s_mov_b64 exec, s[6:7]
	s_cbranch_execz .LBB86_155
; %bb.154:                              ;   in Loop: Header=BB86_23 Depth=1
	ds_read_b32 v4, v3 offset:5144
	s_waitcnt lgkmcnt(0)
	v_ashrrev_i32_e32 v5, 31, v4
	ds_write_b64 v3, v[4:5] offset:5120
.LBB86_155:                             ;   in Loop: Header=BB86_23 Depth=1
	s_or_b64 exec, exec, s[2:3]
	s_waitcnt lgkmcnt(0)
	s_barrier
	s_mov_b64 s[2:3], -1
	s_and_b64 vcc, exec, s[10:11]
	s_cbranch_vccnz .LBB86_38
	s_branch .LBB86_53
.LBB86_156:                             ;   in Loop: Header=BB86_23 Depth=1
                                        ; implicit-def: $sgpr2_sgpr3
	s_branch .LBB86_114
.LBB86_157:                             ;   in Loop: Header=BB86_23 Depth=1
	s_or_b64 exec, exec, s[2:3]
	v_lshrrev_b32_sdwa v33, v31, v11 dst_sel:DWORD dst_unused:UNUSED_PAD src0_sel:DWORD src1_sel:WORD_0
	s_and_b64 s[10:11], s[10:11], exec
.LBB86_158:                             ;   in Loop: Header=BB86_23 Depth=1
	s_or_b64 exec, exec, s[26:27]
.LBB86_159:                             ;   in Loop: Header=BB86_23 Depth=1
	s_and_b64 vcc, exec, s[42:43]
	s_cbranch_vccz .LBB86_173
; %bb.160:                              ;   in Loop: Header=BB86_23 Depth=1
	s_mov_b32 s70, s65
	s_cmp_lg_u64 s[70:71], 0
	s_cbranch_scc0 .LBB86_202
; %bb.161:                              ;   in Loop: Header=BB86_23 Depth=1
	v_cvt_f32_u32_e32 v4, s23
	s_sub_u32 s6, 0, s23
	s_subb_u32 s7, 0, 0
	v_mac_f32_e32 v4, 0, v30
	v_rcp_f32_e32 v4, v4
	v_mul_f32_e32 v4, 0x5f7ffffc, v4
	v_mul_f32_e32 v5, 0x2f800000, v4
	v_trunc_f32_e32 v5, v5
	v_mac_f32_e32 v4, 0xcf800000, v5
	v_cvt_u32_f32_e32 v5, v5
	v_cvt_u32_f32_e32 v4, v4
	v_readfirstlane_b32 s26, v5
	v_readfirstlane_b32 s2, v4
	s_mul_i32 s3, s6, s26
	s_mul_hi_u32 s28, s6, s2
	s_mul_i32 s27, s7, s2
	s_add_i32 s3, s28, s3
	s_mul_i32 s29, s6, s2
	s_add_i32 s3, s3, s27
	s_mul_hi_u32 s28, s2, s29
	s_mul_i32 s30, s2, s3
	s_mul_hi_u32 s27, s2, s3
	s_add_u32 s28, s28, s30
	s_addc_u32 s27, 0, s27
	s_mul_hi_u32 s31, s26, s29
	s_mul_i32 s29, s26, s29
	s_add_u32 s28, s28, s29
	s_mul_hi_u32 s30, s26, s3
	s_addc_u32 s27, s27, s31
	s_addc_u32 s28, s30, 0
	s_mul_i32 s3, s26, s3
	s_add_u32 s3, s27, s3
	s_addc_u32 s27, 0, s28
	s_add_u32 s28, s2, s3
	s_cselect_b64 s[2:3], -1, 0
	s_cmp_lg_u64 s[2:3], 0
	s_addc_u32 s26, s26, s27
	s_mul_i32 s2, s6, s26
	s_mul_hi_u32 s3, s6, s28
	s_add_i32 s2, s3, s2
	s_mul_i32 s7, s7, s28
	s_add_i32 s2, s2, s7
	s_mul_i32 s6, s6, s28
	s_mul_hi_u32 s7, s26, s6
	s_mul_i32 s27, s26, s6
	s_mul_i32 s30, s28, s2
	s_mul_hi_u32 s6, s28, s6
	s_mul_hi_u32 s29, s28, s2
	s_add_u32 s6, s6, s30
	s_addc_u32 s29, 0, s29
	s_add_u32 s6, s6, s27
	s_mul_hi_u32 s3, s26, s2
	s_addc_u32 s6, s29, s7
	s_addc_u32 s3, s3, 0
	s_mul_i32 s2, s26, s2
	s_add_u32 s2, s6, s2
	s_addc_u32 s6, 0, s3
	s_add_u32 s7, s28, s2
	s_cselect_b64 s[2:3], -1, 0
	s_cmp_lg_u64 s[2:3], 0
	s_addc_u32 s2, s26, s6
	s_mul_i32 s6, s77, s2
	s_mul_hi_u32 s26, s77, s7
	s_mul_hi_u32 s3, s77, s2
	s_add_u32 s6, s26, s6
	s_addc_u32 s3, 0, s3
	s_mul_hi_u32 s27, s71, s7
	s_mul_i32 s7, s71, s7
	s_add_u32 s6, s6, s7
	s_mul_hi_u32 s26, s71, s2
	s_addc_u32 s3, s3, s27
	s_addc_u32 s6, s26, 0
	s_mul_i32 s2, s71, s2
	s_add_u32 s2, s3, s2
	s_addc_u32 s3, 0, s6
	s_mul_i32 s3, s23, s3
	s_mul_hi_u32 s6, s23, s2
	s_add_i32 s6, s6, s3
	s_mul_i32 s2, s23, s2
	s_sub_u32 s7, s77, s2
	s_cselect_b64 s[2:3], -1, 0
	s_cmp_lg_u64 s[2:3], 0
	s_subb_u32 s6, s71, s6
	s_sub_u32 s26, s7, s23
	s_cselect_b64 s[2:3], -1, 0
	s_cmp_lg_u64 s[2:3], 0
	s_subb_u32 s27, s6, 0
	;; [unrolled: 4-line block ×3, first 2 shown]
	s_cmp_ge_u32 s26, s23
	s_cselect_b32 s3, -1, 0
	s_cmp_eq_u32 s27, 0
	s_cselect_b32 s3, s3, -1
	s_cmp_lg_u32 s3, 0
	s_cselect_b32 s2, s2, s27
	s_cselect_b32 s26, s28, s26
	s_cmp_ge_u32 s7, s23
	s_cselect_b32 s3, -1, 0
	s_cmp_eq_u32 s6, 0
	s_cselect_b32 s3, s3, -1
	s_cmp_lg_u32 s3, 0
	s_cselect_b32 s3, s2, s6
	s_cselect_b32 s2, s26, s7
	s_cbranch_execnz .LBB86_163
.LBB86_162:                             ;   in Loop: Header=BB86_23 Depth=1
	v_cvt_f32_u32_e32 v4, s23
	s_sub_i32 s2, 0, s23
	v_rcp_iflag_f32_e32 v4, v4
	v_mul_f32_e32 v4, 0x4f7ffffe, v4
	v_cvt_u32_f32_e32 v4, v4
	v_readfirstlane_b32 s3, v4
	s_mul_i32 s2, s2, s3
	s_mul_hi_u32 s2, s3, s2
	s_add_i32 s3, s3, s2
	s_mul_hi_u32 s2, s77, s3
	s_mul_i32 s2, s2, s23
	s_sub_i32 s2, s77, s2
	s_sub_i32 s3, s2, s23
	s_cmp_ge_u32 s2, s23
	s_cselect_b32 s2, s3, s2
	s_sub_i32 s3, s2, s23
	s_cmp_ge_u32 s2, s23
	s_cselect_b32 s64, s3, s2
	s_mov_b64 s[2:3], s[64:65]
.LBB86_163:                             ;   in Loop: Header=BB86_23 Depth=1
	s_sub_u32 s2, s77, s2
	s_subb_u32 s3, s71, s3
	v_cmp_gt_u64_e32 vcc, s[2:3], v[0:1]
                                        ; implicit-def: $vgpr33
	s_and_saveexec_b64 s[6:7], vcc
	s_cbranch_execz .LBB86_172
; %bb.164:                              ;   in Loop: Header=BB86_23 Depth=1
	v_mov_b32_e32 v5, v1
	s_mov_b64 s[26:27], 0
	v_mov_b32_e32 v4, v0
                                        ; implicit-def: $sgpr40_sgpr41
	s_branch .LBB86_167
.LBB86_165:                             ;   in Loop: Header=BB86_167 Depth=2
	s_or_b64 exec, exec, s[28:29]
	s_waitcnt lgkmcnt(0)
	s_barrier
	ds_read_u16 v10, v3 offset:3072
	s_mov_b64 s[28:29], -1
	s_waitcnt lgkmcnt(0)
	s_barrier
	v_cmp_eq_u32_sdwa s[30:31], v10, v3 src0_sel:BYTE_0 src1_sel:DWORD
	s_and_b64 vcc, exec, s[30:31]
	s_mov_b64 s[30:31], -1
	s_cbranch_vccnz .LBB86_170
.LBB86_166:                             ;   in Loop: Header=BB86_167 Depth=2
	s_and_b64 s[28:29], exec, s[28:29]
	s_or_b64 s[26:27], s[28:29], s[26:27]
	s_andn2_b64 s[28:29], s[40:41], exec
	s_and_b64 s[30:31], s[30:31], exec
	s_or_b64 s[40:41], s[28:29], s[30:31]
	s_andn2_b64 exec, exec, s[26:27]
	s_cbranch_execz .LBB86_171
.LBB86_167:                             ;   Parent Loop BB86_23 Depth=1
                                        ; =>  This Inner Loop Header: Depth=2
	v_cmp_gt_u64_e32 vcc, s[24:25], v[4:5]
	s_and_saveexec_b64 s[28:29], vcc
	s_cbranch_execz .LBB86_165
; %bb.168:                              ;   in Loop: Header=BB86_167 Depth=2
	v_mov_b32_e32 v10, s62
	v_mov_b32_e32 v11, s63
	v_mad_u64_u32 v[10:11], s[30:31], v4, s52, v[10:11]
	v_mul_lo_u32 v19, v4, s53
	v_mul_lo_u32 v20, v5, s52
	v_add3_u32 v11, v20, v11, v19
	global_load_ubyte v10, v[10:11], off
	s_waitcnt vmcnt(0)
	v_add_u32_sdwa v11, sext(v10), s22 dst_sel:DWORD dst_unused:UNUSED_PAD src0_sel:BYTE_0 src1_sel:DWORD
	v_and_b32_e32 v11, v11, v32
	v_cmp_eq_u32_e32 vcc, v11, v28
	s_and_b64 exec, exec, vcc
	s_cbranch_execz .LBB86_165
; %bb.169:                              ;   in Loop: Header=BB86_167 Depth=2
	v_lshlrev_b16_e32 v10, 8, v10
	v_or_b32_e32 v10, 1, v10
	ds_write_b16 v3, v10 offset:3072
	s_branch .LBB86_165
.LBB86_170:                             ;   in Loop: Header=BB86_167 Depth=2
	v_add_co_u32_e32 v4, vcc, s23, v4
	v_addc_co_u32_e32 v5, vcc, 0, v5, vcc
	v_cmp_le_u64_e32 vcc, s[2:3], v[4:5]
	s_mov_b64 s[30:31], 0
	s_orn2_b64 s[28:29], vcc, exec
	s_branch .LBB86_166
.LBB86_171:                             ;   in Loop: Header=BB86_23 Depth=1
	s_or_b64 exec, exec, s[26:27]
	s_andn2_b64 s[2:3], s[10:11], exec
	s_and_b64 s[10:11], s[40:41], exec
	v_lshrrev_b32_sdwa v33, v31, v10 dst_sel:DWORD dst_unused:UNUSED_PAD src0_sel:DWORD src1_sel:WORD_0
	s_or_b64 s[10:11], s[2:3], s[10:11]
.LBB86_172:                             ;   in Loop: Header=BB86_23 Depth=1
	s_or_b64 exec, exec, s[6:7]
	s_mov_b64 s[6:7], 0
	s_mov_b64 s[56:57], -1
.LBB86_173:                             ;   in Loop: Header=BB86_23 Depth=1
	s_orn2_b64 s[2:3], s[10:11], exec
.LBB86_174:                             ;   in Loop: Header=BB86_23 Depth=1
	s_or_b64 exec, exec, s[34:35]
	s_mov_b64 s[10:11], 0
	s_and_saveexec_b64 s[54:55], s[2:3]
	s_cbranch_execz .LBB86_280
; %bb.175:                              ;   in Loop: Header=BB86_23 Depth=1
	v_mov_b32_e32 v4, 1
	s_xor_b64 s[2:3], s[12:13], -1
	v_mov_b32_e32 v2, 1
	v_mov_b32_e32 v5, 0
	s_mov_b64 s[12:13], 0
	s_and_saveexec_b64 s[10:11], s[2:3]
	s_cbranch_execz .LBB86_185
; %bb.176:                              ;   in Loop: Header=BB86_23 Depth=1
	v_cmp_le_u64_e32 vcc, v[8:9], v[6:7]
	s_and_saveexec_b64 s[2:3], vcc
	s_xor_b64 s[2:3], exec, s[2:3]
	s_cbranch_execz .LBB86_182
; %bb.177:                              ;   in Loop: Header=BB86_23 Depth=1
	ds_read_b64 v[4:5], v3 offset:5120
	v_and_b32_e32 v2, s50, v28
	v_lshl_or_b32 v28, 1, s1, v2
	v_or_b32_e32 v32, s68, v32
	s_waitcnt lgkmcnt(0)
	v_cmp_ne_u64_e32 vcc, 0, v[4:5]
	s_cbranch_vccnz .LBB86_181
; %bb.178:                              ;   in Loop: Header=BB86_23 Depth=1
	s_mov_b64 s[12:13], exec
	v_readlane_b32 s26, v46, 16
	v_readlane_b32 s27, v46, 17
	s_and_b64 s[26:27], s[12:13], s[26:27]
	s_mov_b64 exec, s[26:27]
; %bb.179:                              ;   in Loop: Header=BB86_23 Depth=1
	ds_write_b64 v3, v[6:7] offset:5128
; %bb.180:                              ;   in Loop: Header=BB86_23 Depth=1
	s_or_b64 exec, exec, s[12:13]
	s_waitcnt lgkmcnt(0)
	s_barrier
.LBB86_181:                             ;   in Loop: Header=BB86_23 Depth=1
                                        ; implicit-def: $vgpr4_vgpr5_vgpr6_vgpr7
.LBB86_182:                             ;   in Loop: Header=BB86_23 Depth=1
	s_or_saveexec_b64 s[2:3], s[2:3]
	s_mov_b64 s[12:13], 0
	v_mov_b32_e32 v2, 8
	s_xor_b64 exec, exec, s[2:3]
; %bb.183:                              ;   in Loop: Header=BB86_23 Depth=1
	v_sub_co_u32_e32 v8, vcc, v8, v6
	v_subb_co_u32_e32 v9, vcc, v9, v7, vcc
	v_mov_b32_e32 v2, 0
	s_mov_b64 s[12:13], exec
; %bb.184:                              ;   in Loop: Header=BB86_23 Depth=1
	s_or_b64 exec, exec, s[2:3]
	v_mov_b32_e32 v4, v8
	s_and_b64 s[12:13], s[12:13], exec
	v_mov_b32_e32 v5, v9
.LBB86_185:                             ;   in Loop: Header=BB86_23 Depth=1
	s_or_b64 exec, exec, s[10:11]
	s_mov_b64 s[2:3], -1
                                        ; implicit-def: $sgpr42_sgpr43
                                        ; implicit-def: $sgpr60_sgpr61
	s_and_saveexec_b64 s[40:41], s[12:13]
	s_cbranch_execz .LBB86_279
; %bb.186:                              ;   in Loop: Header=BB86_23 Depth=1
	s_cmp_eq_u64 s[94:95], 1
	v_cmp_eq_u64_e32 vcc, 1, v[4:5]
	s_cselect_b64 s[2:3], -1, 0
	s_and_b64 s[34:35], s[2:3], vcc
	s_mov_b64 s[2:3], -1
                                        ; implicit-def: $sgpr60_sgpr61
                                        ; implicit-def: $sgpr42_sgpr43
	s_and_saveexec_b64 s[12:13], s[34:35]
	s_cbranch_execz .LBB86_220
; %bb.187:                              ;   in Loop: Header=BB86_23 Depth=1
	ds_read_b64 v[6:7], v3 offset:5120
	s_waitcnt lgkmcnt(0)
	s_barrier
	v_readfirstlane_b32 s44, v6
	v_readfirstlane_b32 s45, v7
	s_and_saveexec_b64 s[2:3], s[16:17]
; %bb.188:                              ;   in Loop: Header=BB86_23 Depth=1
	ds_write_b8 v0, v3 offset:3072
; %bb.189:                              ;   in Loop: Header=BB86_23 Depth=1
	s_or_b64 exec, exec, s[2:3]
	v_and_b32_e32 v6, s50, v28
	v_lshl_or_b32 v28, 2, s1, v6
	v_or_b32_e32 v32, s68, v32
	s_mov_b64 s[42:43], -1
	s_mov_b64 s[60:61], 0
	s_cmp_eq_u64 s[44:45], 0
	s_mov_b64 s[10:11], 0
	s_mov_b64 s[46:47], -1
	s_waitcnt lgkmcnt(0)
	s_barrier
                                        ; implicit-def: $vgpr33
	s_cbranch_scc1 .LBB86_205
; %bb.190:                              ;   in Loop: Header=BB86_23 Depth=1
	s_add_u32 s28, s44, s69
	s_addc_u32 s11, s45, s75
	s_mov_b32 s10, s65
	s_cmp_lg_u64 s[10:11], 0
	s_cbranch_scc0 .LBB86_246
; %bb.191:                              ;   in Loop: Header=BB86_23 Depth=1
	v_cvt_f32_u32_e32 v6, s23
	s_sub_u32 s10, 0, s23
	s_subb_u32 s26, 0, 0
	v_mac_f32_e32 v6, 0, v30
	v_rcp_f32_e32 v6, v6
	v_mul_f32_e32 v6, 0x5f7ffffc, v6
	v_mul_f32_e32 v7, 0x2f800000, v6
	v_trunc_f32_e32 v7, v7
	v_mac_f32_e32 v6, 0xcf800000, v7
	v_cvt_u32_f32_e32 v7, v7
	v_cvt_u32_f32_e32 v6, v6
	v_readfirstlane_b32 s27, v7
	v_readfirstlane_b32 s2, v6
	s_mul_i32 s3, s10, s27
	s_mul_hi_u32 s30, s10, s2
	s_mul_i32 s29, s26, s2
	s_add_i32 s3, s30, s3
	s_mul_i32 s31, s10, s2
	s_add_i32 s3, s3, s29
	s_mul_hi_u32 s30, s2, s31
	s_mul_i32 s46, s2, s3
	s_mul_hi_u32 s29, s2, s3
	s_add_u32 s30, s30, s46
	s_addc_u32 s29, 0, s29
	s_mul_hi_u32 s47, s27, s31
	s_mul_i32 s31, s27, s31
	s_add_u32 s30, s30, s31
	s_mul_hi_u32 s46, s27, s3
	s_addc_u32 s29, s29, s47
	s_addc_u32 s30, s46, 0
	s_mul_i32 s3, s27, s3
	s_add_u32 s3, s29, s3
	s_addc_u32 s29, 0, s30
	s_add_u32 s30, s2, s3
	s_cselect_b64 s[2:3], -1, 0
	s_cmp_lg_u64 s[2:3], 0
	s_addc_u32 s27, s27, s29
	s_mul_i32 s2, s10, s27
	s_mul_hi_u32 s3, s10, s30
	s_add_i32 s2, s3, s2
	s_mul_i32 s26, s26, s30
	s_add_i32 s2, s2, s26
	s_mul_i32 s10, s10, s30
	s_mul_hi_u32 s26, s27, s10
	s_mul_i32 s29, s27, s10
	s_mul_i32 s46, s30, s2
	s_mul_hi_u32 s10, s30, s10
	s_mul_hi_u32 s31, s30, s2
	s_add_u32 s10, s10, s46
	s_addc_u32 s31, 0, s31
	s_add_u32 s10, s10, s29
	s_mul_hi_u32 s3, s27, s2
	s_addc_u32 s10, s31, s26
	s_addc_u32 s3, s3, 0
	s_mul_i32 s2, s27, s2
	s_add_u32 s2, s10, s2
	s_addc_u32 s10, 0, s3
	s_add_u32 s26, s30, s2
	s_cselect_b64 s[2:3], -1, 0
	s_cmp_lg_u64 s[2:3], 0
	s_addc_u32 s2, s27, s10
	s_mul_i32 s10, s28, s2
	s_mul_hi_u32 s27, s28, s26
	s_mul_hi_u32 s3, s28, s2
	s_add_u32 s10, s27, s10
	s_addc_u32 s3, 0, s3
	s_mul_hi_u32 s29, s11, s26
	s_mul_i32 s26, s11, s26
	s_add_u32 s10, s10, s26
	s_mul_hi_u32 s27, s11, s2
	s_addc_u32 s3, s3, s29
	s_addc_u32 s10, s27, 0
	s_mul_i32 s2, s11, s2
	s_add_u32 s2, s3, s2
	s_addc_u32 s3, 0, s10
	s_mul_i32 s3, s23, s3
	s_mul_hi_u32 s10, s23, s2
	s_add_i32 s10, s10, s3
	s_mul_i32 s2, s23, s2
	s_sub_u32 s26, s28, s2
	s_cselect_b64 s[2:3], -1, 0
	s_cmp_lg_u64 s[2:3], 0
	s_subb_u32 s10, s11, s10
	s_sub_u32 s27, s26, s23
	s_cselect_b64 s[2:3], -1, 0
	s_cmp_lg_u64 s[2:3], 0
	s_subb_u32 s29, s10, 0
	;; [unrolled: 4-line block ×3, first 2 shown]
	s_cmp_ge_u32 s27, s23
	s_cselect_b32 s3, -1, 0
	s_cmp_eq_u32 s29, 0
	s_cselect_b32 s3, s3, -1
	s_cmp_lg_u32 s3, 0
	s_cselect_b32 s2, s2, s29
	s_cselect_b32 s27, s30, s27
	s_cmp_ge_u32 s26, s23
	s_cselect_b32 s3, -1, 0
	s_cmp_eq_u32 s10, 0
	s_cselect_b32 s3, s3, -1
	s_cmp_lg_u32 s3, 0
	s_cselect_b32 s3, s2, s10
	s_cselect_b32 s2, s27, s26
	s_cbranch_execnz .LBB86_193
.LBB86_192:                             ;   in Loop: Header=BB86_23 Depth=1
	v_cvt_f32_u32_e32 v6, s23
	s_sub_i32 s2, 0, s23
	v_rcp_iflag_f32_e32 v6, v6
	v_mul_f32_e32 v6, 0x4f7ffffe, v6
	v_cvt_u32_f32_e32 v6, v6
	v_readfirstlane_b32 s3, v6
	s_mul_i32 s2, s2, s3
	s_mul_hi_u32 s2, s3, s2
	s_add_i32 s3, s3, s2
	s_mul_hi_u32 s2, s28, s3
	s_mul_i32 s2, s2, s23
	s_sub_i32 s2, s28, s2
	s_sub_i32 s3, s2, s23
	s_cmp_ge_u32 s2, s23
	s_cselect_b32 s2, s3, s2
	s_sub_i32 s3, s2, s23
	s_cmp_ge_u32 s2, s23
	s_cselect_b32 s64, s3, s2
	s_mov_b64 s[2:3], s[64:65]
.LBB86_193:                             ;   in Loop: Header=BB86_23 Depth=1
	s_sub_u32 s48, s28, s2
	s_subb_u32 s49, s11, s3
	v_cmp_gt_u64_e32 vcc, s[48:49], v[0:1]
	s_mov_b64 s[46:47], 0
	s_mov_b64 s[10:11], 0
                                        ; implicit-def: $vgpr33
	s_and_saveexec_b64 s[26:27], vcc
	s_cbranch_execz .LBB86_204
; %bb.194:                              ;   in Loop: Header=BB86_23 Depth=1
	v_mov_b32_e32 v7, v1
	s_mov_b64 s[2:3], 0
	v_mov_b32_e32 v8, v0
	v_mov_b32_e32 v6, v0
                                        ; implicit-def: $sgpr10_sgpr11
	s_branch .LBB86_197
.LBB86_195:                             ;   in Loop: Header=BB86_197 Depth=2
	s_or_b64 exec, exec, s[28:29]
	s_waitcnt lgkmcnt(0)
	s_barrier
	ds_read_u16 v9, v3 offset:3072
	s_mov_b64 s[28:29], -1
	s_waitcnt lgkmcnt(0)
	s_barrier
	v_cmp_ne_u32_sdwa s[30:31], v9, v3 src0_sel:BYTE_0 src1_sel:DWORD
	s_and_b64 vcc, exec, s[30:31]
	s_mov_b64 s[30:31], -1
	s_cbranch_vccz .LBB86_200
.LBB86_196:                             ;   in Loop: Header=BB86_197 Depth=2
	s_and_b64 s[28:29], exec, s[28:29]
	s_or_b64 s[2:3], s[28:29], s[2:3]
	s_andn2_b64 s[10:11], s[10:11], exec
	s_and_b64 s[28:29], s[30:31], exec
	s_or_b64 s[10:11], s[10:11], s[28:29]
	s_andn2_b64 exec, exec, s[2:3]
	s_cbranch_execz .LBB86_203
.LBB86_197:                             ;   Parent Loop BB86_23 Depth=1
                                        ; =>  This Inner Loop Header: Depth=2
	v_cmp_gt_u64_e32 vcc, s[44:45], v[6:7]
	s_and_saveexec_b64 s[28:29], vcc
	s_cbranch_execz .LBB86_195
; %bb.198:                              ;   in Loop: Header=BB86_197 Depth=2
	ds_read_u8 v9, v8
	s_waitcnt lgkmcnt(0)
	v_add_u32_sdwa v10, sext(v9), s22 dst_sel:DWORD dst_unused:UNUSED_PAD src0_sel:BYTE_0 src1_sel:DWORD
	v_and_b32_e32 v10, v10, v32
	v_cmp_eq_u32_e32 vcc, v10, v28
	s_and_b64 exec, exec, vcc
	s_cbranch_execz .LBB86_195
; %bb.199:                              ;   in Loop: Header=BB86_197 Depth=2
	v_lshlrev_b16_e32 v9, 8, v9
	v_or_b32_e32 v9, 1, v9
	ds_write_b16 v3, v9 offset:3072
	s_branch .LBB86_195
.LBB86_200:                             ;   in Loop: Header=BB86_197 Depth=2
	v_add_co_u32_e32 v6, vcc, s23, v6
	v_addc_co_u32_e32 v7, vcc, 0, v7, vcc
	v_cmp_le_u64_e32 vcc, s[48:49], v[6:7]
	v_add_u32_e32 v8, s23, v8
	s_mov_b64 s[30:31], 0
	s_orn2_b64 s[28:29], vcc, exec
	s_branch .LBB86_196
.LBB86_201:                             ;   in Loop: Header=BB86_23 Depth=1
                                        ; implicit-def: $sgpr2_sgpr3
	s_branch .LBB86_143
.LBB86_202:                             ;   in Loop: Header=BB86_23 Depth=1
                                        ; implicit-def: $sgpr2_sgpr3
	s_branch .LBB86_162
.LBB86_203:                             ;   in Loop: Header=BB86_23 Depth=1
	s_or_b64 exec, exec, s[2:3]
	v_lshrrev_b32_sdwa v33, v31, v9 dst_sel:DWORD dst_unused:UNUSED_PAD src0_sel:DWORD src1_sel:WORD_0
	s_and_b64 s[10:11], s[10:11], exec
.LBB86_204:                             ;   in Loop: Header=BB86_23 Depth=1
	s_or_b64 exec, exec, s[26:27]
.LBB86_205:                             ;   in Loop: Header=BB86_23 Depth=1
	s_and_b64 vcc, exec, s[46:47]
	s_cbranch_vccz .LBB86_219
; %bb.206:                              ;   in Loop: Header=BB86_23 Depth=1
	s_mov_b32 s70, s65
	s_cmp_lg_u64 s[70:71], 0
	s_cbranch_scc0 .LBB86_247
; %bb.207:                              ;   in Loop: Header=BB86_23 Depth=1
	v_cvt_f32_u32_e32 v6, s23
	s_sub_u32 s26, 0, s23
	s_subb_u32 s27, 0, 0
	v_mac_f32_e32 v6, 0, v30
	v_rcp_f32_e32 v6, v6
	v_mul_f32_e32 v6, 0x5f7ffffc, v6
	v_mul_f32_e32 v7, 0x2f800000, v6
	v_trunc_f32_e32 v7, v7
	v_mac_f32_e32 v6, 0xcf800000, v7
	v_cvt_u32_f32_e32 v7, v7
	v_cvt_u32_f32_e32 v6, v6
	v_readfirstlane_b32 s28, v7
	v_readfirstlane_b32 s2, v6
	s_mul_i32 s3, s26, s28
	s_mul_hi_u32 s30, s26, s2
	s_mul_i32 s29, s27, s2
	s_add_i32 s3, s30, s3
	s_mul_i32 s31, s26, s2
	s_add_i32 s3, s3, s29
	s_mul_hi_u32 s30, s2, s31
	s_mul_i32 s42, s2, s3
	s_mul_hi_u32 s29, s2, s3
	s_add_u32 s30, s30, s42
	s_addc_u32 s29, 0, s29
	s_mul_hi_u32 s43, s28, s31
	s_mul_i32 s31, s28, s31
	s_add_u32 s30, s30, s31
	s_mul_hi_u32 s42, s28, s3
	s_addc_u32 s29, s29, s43
	s_addc_u32 s30, s42, 0
	s_mul_i32 s3, s28, s3
	s_add_u32 s3, s29, s3
	s_addc_u32 s29, 0, s30
	s_add_u32 s30, s2, s3
	s_cselect_b64 s[2:3], -1, 0
	s_cmp_lg_u64 s[2:3], 0
	s_addc_u32 s28, s28, s29
	s_mul_i32 s2, s26, s28
	s_mul_hi_u32 s3, s26, s30
	s_add_i32 s2, s3, s2
	s_mul_i32 s27, s27, s30
	s_add_i32 s2, s2, s27
	s_mul_i32 s26, s26, s30
	s_mul_hi_u32 s27, s28, s26
	s_mul_i32 s29, s28, s26
	s_mul_i32 s42, s30, s2
	s_mul_hi_u32 s26, s30, s26
	s_mul_hi_u32 s31, s30, s2
	s_add_u32 s26, s26, s42
	s_addc_u32 s31, 0, s31
	s_add_u32 s26, s26, s29
	s_mul_hi_u32 s3, s28, s2
	s_addc_u32 s26, s31, s27
	s_addc_u32 s3, s3, 0
	s_mul_i32 s2, s28, s2
	s_add_u32 s2, s26, s2
	s_addc_u32 s26, 0, s3
	s_add_u32 s27, s30, s2
	s_cselect_b64 s[2:3], -1, 0
	s_cmp_lg_u64 s[2:3], 0
	s_addc_u32 s2, s28, s26
	s_mul_i32 s26, s77, s2
	s_mul_hi_u32 s28, s77, s27
	s_mul_hi_u32 s3, s77, s2
	s_add_u32 s26, s28, s26
	s_addc_u32 s3, 0, s3
	s_mul_hi_u32 s29, s71, s27
	s_mul_i32 s27, s71, s27
	s_add_u32 s26, s26, s27
	s_mul_hi_u32 s28, s71, s2
	s_addc_u32 s3, s3, s29
	s_addc_u32 s26, s28, 0
	s_mul_i32 s2, s71, s2
	s_add_u32 s2, s3, s2
	s_addc_u32 s3, 0, s26
	s_mul_i32 s3, s23, s3
	s_mul_hi_u32 s26, s23, s2
	s_add_i32 s26, s26, s3
	s_mul_i32 s2, s23, s2
	s_sub_u32 s27, s77, s2
	s_cselect_b64 s[2:3], -1, 0
	s_cmp_lg_u64 s[2:3], 0
	s_subb_u32 s26, s71, s26
	s_sub_u32 s28, s27, s23
	s_cselect_b64 s[2:3], -1, 0
	s_cmp_lg_u64 s[2:3], 0
	s_subb_u32 s29, s26, 0
	;; [unrolled: 4-line block ×3, first 2 shown]
	s_cmp_ge_u32 s28, s23
	s_cselect_b32 s3, -1, 0
	s_cmp_eq_u32 s29, 0
	s_cselect_b32 s3, s3, -1
	s_cmp_lg_u32 s3, 0
	s_cselect_b32 s2, s2, s29
	s_cselect_b32 s28, s30, s28
	s_cmp_ge_u32 s27, s23
	s_cselect_b32 s3, -1, 0
	s_cmp_eq_u32 s26, 0
	s_cselect_b32 s3, s3, -1
	s_cmp_lg_u32 s3, 0
	s_cselect_b32 s3, s2, s26
	s_cselect_b32 s2, s28, s27
	s_cbranch_execnz .LBB86_209
.LBB86_208:                             ;   in Loop: Header=BB86_23 Depth=1
	v_cvt_f32_u32_e32 v6, s23
	s_sub_i32 s2, 0, s23
	v_rcp_iflag_f32_e32 v6, v6
	v_mul_f32_e32 v6, 0x4f7ffffe, v6
	v_cvt_u32_f32_e32 v6, v6
	v_readfirstlane_b32 s3, v6
	s_mul_i32 s2, s2, s3
	s_mul_hi_u32 s2, s3, s2
	s_add_i32 s3, s3, s2
	s_mul_hi_u32 s2, s77, s3
	s_mul_i32 s2, s2, s23
	s_sub_i32 s2, s77, s2
	s_sub_i32 s3, s2, s23
	s_cmp_ge_u32 s2, s23
	s_cselect_b32 s2, s3, s2
	s_sub_i32 s3, s2, s23
	s_cmp_ge_u32 s2, s23
	s_cselect_b32 s64, s3, s2
	s_mov_b64 s[2:3], s[64:65]
.LBB86_209:                             ;   in Loop: Header=BB86_23 Depth=1
	s_sub_u32 s2, s77, s2
	s_subb_u32 s3, s71, s3
	v_cmp_gt_u64_e32 vcc, s[2:3], v[0:1]
                                        ; implicit-def: $vgpr33
	s_and_saveexec_b64 s[26:27], vcc
	s_cbranch_execz .LBB86_218
; %bb.210:                              ;   in Loop: Header=BB86_23 Depth=1
	v_mov_b32_e32 v7, v1
	s_mov_b64 s[42:43], 0
	v_mov_b32_e32 v6, v0
                                        ; implicit-def: $sgpr44_sgpr45
	s_branch .LBB86_213
.LBB86_211:                             ;   in Loop: Header=BB86_213 Depth=2
	s_or_b64 exec, exec, s[28:29]
	s_waitcnt lgkmcnt(0)
	s_barrier
	ds_read_u16 v8, v3 offset:3072
	s_mov_b64 s[28:29], -1
	s_waitcnt lgkmcnt(0)
	s_barrier
	v_cmp_eq_u32_sdwa s[30:31], v8, v3 src0_sel:BYTE_0 src1_sel:DWORD
	s_and_b64 vcc, exec, s[30:31]
	s_mov_b64 s[30:31], -1
	s_cbranch_vccnz .LBB86_216
.LBB86_212:                             ;   in Loop: Header=BB86_213 Depth=2
	s_and_b64 s[28:29], exec, s[28:29]
	s_or_b64 s[42:43], s[28:29], s[42:43]
	s_andn2_b64 s[28:29], s[44:45], exec
	s_and_b64 s[30:31], s[30:31], exec
	s_or_b64 s[44:45], s[28:29], s[30:31]
	s_andn2_b64 exec, exec, s[42:43]
	s_cbranch_execz .LBB86_217
.LBB86_213:                             ;   Parent Loop BB86_23 Depth=1
                                        ; =>  This Inner Loop Header: Depth=2
	v_cmp_gt_u64_e32 vcc, s[24:25], v[6:7]
	s_and_saveexec_b64 s[28:29], vcc
	s_cbranch_execz .LBB86_211
; %bb.214:                              ;   in Loop: Header=BB86_213 Depth=2
	v_mov_b32_e32 v8, s62
	v_mov_b32_e32 v9, s63
	v_mad_u64_u32 v[8:9], s[30:31], v6, s52, v[8:9]
	v_mul_lo_u32 v10, v6, s53
	v_mul_lo_u32 v11, v7, s52
	v_add3_u32 v9, v11, v9, v10
	global_load_ubyte v8, v[8:9], off
	s_waitcnt vmcnt(0)
	v_add_u32_sdwa v9, sext(v8), s22 dst_sel:DWORD dst_unused:UNUSED_PAD src0_sel:BYTE_0 src1_sel:DWORD
	v_and_b32_e32 v9, v9, v32
	v_cmp_eq_u32_e32 vcc, v9, v28
	s_and_b64 exec, exec, vcc
	s_cbranch_execz .LBB86_211
; %bb.215:                              ;   in Loop: Header=BB86_213 Depth=2
	v_lshlrev_b16_e32 v8, 8, v8
	v_or_b32_e32 v8, 1, v8
	ds_write_b16 v3, v8 offset:3072
	s_branch .LBB86_211
.LBB86_216:                             ;   in Loop: Header=BB86_213 Depth=2
	v_add_co_u32_e32 v6, vcc, s23, v6
	v_addc_co_u32_e32 v7, vcc, 0, v7, vcc
	v_cmp_le_u64_e32 vcc, s[2:3], v[6:7]
	s_mov_b64 s[30:31], 0
	s_orn2_b64 s[28:29], vcc, exec
	s_branch .LBB86_212
.LBB86_217:                             ;   in Loop: Header=BB86_23 Depth=1
	s_or_b64 exec, exec, s[42:43]
	s_andn2_b64 s[2:3], s[10:11], exec
	s_and_b64 s[10:11], s[44:45], exec
	v_lshrrev_b32_sdwa v33, v31, v8 dst_sel:DWORD dst_unused:UNUSED_PAD src0_sel:DWORD src1_sel:WORD_0
	s_or_b64 s[10:11], s[2:3], s[10:11]
.LBB86_218:                             ;   in Loop: Header=BB86_23 Depth=1
	s_or_b64 exec, exec, s[26:27]
	s_mov_b64 s[42:43], 0
	s_mov_b64 s[60:61], -1
.LBB86_219:                             ;   in Loop: Header=BB86_23 Depth=1
	s_orn2_b64 s[2:3], s[10:11], exec
.LBB86_220:                             ;   in Loop: Header=BB86_23 Depth=1
	s_or_b64 exec, exec, s[12:13]
	s_mov_b64 s[10:11], 0
	s_and_saveexec_b64 s[12:13], s[2:3]
	s_cbranch_execz .LBB86_278
; %bb.221:                              ;   in Loop: Header=BB86_23 Depth=1
	v_mov_b32_e32 v6, 1
	s_xor_b64 s[2:3], s[34:35], -1
	v_mov_b32_e32 v2, 1
	v_mov_b32_e32 v7, 0
	s_mov_b64 s[26:27], 0
	s_and_saveexec_b64 s[10:11], s[2:3]
	s_cbranch_execz .LBB86_230
; %bb.222:                              ;   in Loop: Header=BB86_23 Depth=1
	v_cmp_ge_u64_e32 vcc, s[94:95], v[4:5]
	s_and_saveexec_b64 s[2:3], vcc
	s_xor_b64 s[2:3], exec, s[2:3]
	s_cbranch_execz .LBB86_227
; %bb.223:                              ;   in Loop: Header=BB86_23 Depth=1
	ds_read_b64 v[6:7], v3 offset:5120
	v_and_b32_e32 v2, s50, v28
	v_lshl_or_b32 v28, 2, s1, v2
	v_or_b32_e32 v32, s68, v32
	s_waitcnt lgkmcnt(0)
	v_cmp_ne_u64_e32 vcc, 0, v[6:7]
	s_cbranch_vccnz .LBB86_227
; %bb.224:                              ;   in Loop: Header=BB86_23 Depth=1
	s_mov_b64 s[26:27], exec
	v_readlane_b32 s28, v46, 16
	v_readlane_b32 s29, v46, 17
	s_and_b64 s[28:29], s[26:27], s[28:29]
	s_mov_b64 exec, s[28:29]
; %bb.225:                              ;   in Loop: Header=BB86_23 Depth=1
	v_mov_b32_e32 v6, s94
	v_mov_b32_e32 v7, s95
	ds_write_b64 v3, v[6:7] offset:5128
; %bb.226:                              ;   in Loop: Header=BB86_23 Depth=1
	s_or_b64 exec, exec, s[26:27]
	s_waitcnt lgkmcnt(0)
	s_barrier
.LBB86_227:                             ;   in Loop: Header=BB86_23 Depth=1
	s_or_saveexec_b64 s[2:3], s[2:3]
	s_mov_b64 s[26:27], 0
	v_mov_b32_e32 v2, 8
	s_xor_b64 exec, exec, s[2:3]
; %bb.228:                              ;   in Loop: Header=BB86_23 Depth=1
	v_subrev_co_u32_e32 v4, vcc, s94, v4
	v_mov_b32_e32 v2, s95
	v_subb_co_u32_e32 v5, vcc, v5, v2, vcc
	v_mov_b32_e32 v2, 0
	s_mov_b64 s[26:27], exec
; %bb.229:                              ;   in Loop: Header=BB86_23 Depth=1
	s_or_b64 exec, exec, s[2:3]
	v_mov_b32_e32 v7, v5
	s_and_b64 s[26:27], s[26:27], exec
	v_mov_b32_e32 v6, v4
.LBB86_230:                             ;   in Loop: Header=BB86_23 Depth=1
	s_or_b64 exec, exec, s[10:11]
	s_mov_b64 s[2:3], -1
                                        ; implicit-def: $sgpr44_sgpr45
                                        ; implicit-def: $sgpr10_sgpr11
	s_and_saveexec_b64 s[34:35], s[26:27]
	s_cbranch_execz .LBB86_277
; %bb.231:                              ;   in Loop: Header=BB86_23 Depth=1
	s_cmp_eq_u64 s[14:15], 1
	v_cmp_eq_u64_e32 vcc, 1, v[6:7]
	s_cselect_b64 s[2:3], -1, 0
	s_and_b64 s[94:95], s[2:3], vcc
	s_mov_b64 s[2:3], -1
                                        ; implicit-def: $sgpr44_sgpr45
                                        ; implicit-def: $sgpr10_sgpr11
	s_and_saveexec_b64 s[58:59], s[94:95]
	s_cbranch_execz .LBB86_265
; %bb.232:                              ;   in Loop: Header=BB86_23 Depth=1
	ds_read_b64 v[4:5], v3 offset:5120
	s_waitcnt lgkmcnt(0)
	s_barrier
	v_readfirstlane_b32 s50, v4
	v_readfirstlane_b32 s51, v5
	s_and_saveexec_b64 s[2:3], s[16:17]
; %bb.233:                              ;   in Loop: Header=BB86_23 Depth=1
	ds_write_b8 v0, v3 offset:3072
; %bb.234:                              ;   in Loop: Header=BB86_23 Depth=1
	s_or_b64 exec, exec, s[2:3]
	v_or_b32_e32 v28, s68, v28
	v_or_b32_e32 v32, s68, v32
	s_mov_b64 s[10:11], -1
	s_mov_b64 s[44:45], 0
	s_cmp_eq_u64 s[50:51], 0
	s_mov_b64 s[46:47], 0
	s_mov_b64 s[26:27], -1
	s_waitcnt lgkmcnt(0)
	s_barrier
                                        ; implicit-def: $vgpr33
	s_cbranch_scc1 .LBB86_250
; %bb.235:                              ;   in Loop: Header=BB86_23 Depth=1
	s_add_u32 s28, s50, s69
	s_addc_u32 s47, s51, s75
	s_mov_b32 s46, s65
	s_cmp_lg_u64 s[46:47], 0
	s_cbranch_scc0 .LBB86_284
; %bb.236:                              ;   in Loop: Header=BB86_23 Depth=1
	v_cvt_f32_u32_e32 v4, s23
	s_sub_u32 s26, 0, s23
	s_subb_u32 s27, 0, 0
	v_mac_f32_e32 v4, 0, v30
	v_rcp_f32_e32 v4, v4
	v_mul_f32_e32 v4, 0x5f7ffffc, v4
	v_mul_f32_e32 v5, 0x2f800000, v4
	v_trunc_f32_e32 v5, v5
	v_mac_f32_e32 v4, 0xcf800000, v5
	v_cvt_u32_f32_e32 v5, v5
	v_cvt_u32_f32_e32 v4, v4
	v_readfirstlane_b32 s29, v5
	v_readfirstlane_b32 s2, v4
	s_mul_i32 s3, s26, s29
	s_mul_hi_u32 s31, s26, s2
	s_mul_i32 s30, s27, s2
	s_add_i32 s3, s31, s3
	s_mul_i32 s46, s26, s2
	s_add_i32 s3, s3, s30
	s_mul_hi_u32 s31, s2, s46
	s_mul_i32 s48, s2, s3
	s_mul_hi_u32 s30, s2, s3
	s_add_u32 s31, s31, s48
	s_addc_u32 s30, 0, s30
	s_mul_hi_u32 s49, s29, s46
	s_mul_i32 s46, s29, s46
	s_add_u32 s31, s31, s46
	s_mul_hi_u32 s48, s29, s3
	s_addc_u32 s30, s30, s49
	s_addc_u32 s31, s48, 0
	s_mul_i32 s3, s29, s3
	s_add_u32 s3, s30, s3
	s_addc_u32 s30, 0, s31
	s_add_u32 s31, s2, s3
	s_cselect_b64 s[2:3], -1, 0
	s_cmp_lg_u64 s[2:3], 0
	s_addc_u32 s29, s29, s30
	s_mul_i32 s2, s26, s29
	s_mul_hi_u32 s3, s26, s31
	s_add_i32 s2, s3, s2
	s_mul_i32 s27, s27, s31
	s_add_i32 s2, s2, s27
	s_mul_i32 s26, s26, s31
	s_mul_hi_u32 s27, s29, s26
	s_mul_i32 s30, s29, s26
	s_mul_i32 s48, s31, s2
	s_mul_hi_u32 s26, s31, s26
	s_mul_hi_u32 s46, s31, s2
	s_add_u32 s26, s26, s48
	s_addc_u32 s46, 0, s46
	s_add_u32 s26, s26, s30
	s_mul_hi_u32 s3, s29, s2
	s_addc_u32 s26, s46, s27
	s_addc_u32 s3, s3, 0
	s_mul_i32 s2, s29, s2
	s_add_u32 s2, s26, s2
	s_addc_u32 s26, 0, s3
	s_add_u32 s27, s31, s2
	s_cselect_b64 s[2:3], -1, 0
	s_cmp_lg_u64 s[2:3], 0
	s_addc_u32 s2, s29, s26
	s_mul_i32 s26, s28, s2
	s_mul_hi_u32 s29, s28, s27
	s_mul_hi_u32 s3, s28, s2
	s_add_u32 s26, s29, s26
	s_addc_u32 s3, 0, s3
	s_mul_hi_u32 s30, s47, s27
	s_mul_i32 s27, s47, s27
	s_add_u32 s26, s26, s27
	s_mul_hi_u32 s29, s47, s2
	s_addc_u32 s3, s3, s30
	s_addc_u32 s26, s29, 0
	s_mul_i32 s2, s47, s2
	s_add_u32 s2, s3, s2
	s_addc_u32 s3, 0, s26
	s_mul_i32 s3, s23, s3
	s_mul_hi_u32 s26, s23, s2
	s_add_i32 s26, s26, s3
	s_mul_i32 s2, s23, s2
	s_sub_u32 s27, s28, s2
	s_cselect_b64 s[2:3], -1, 0
	s_cmp_lg_u64 s[2:3], 0
	s_subb_u32 s26, s47, s26
	s_sub_u32 s29, s27, s23
	s_cselect_b64 s[2:3], -1, 0
	s_cmp_lg_u64 s[2:3], 0
	s_subb_u32 s30, s26, 0
	;; [unrolled: 4-line block ×3, first 2 shown]
	s_cmp_ge_u32 s29, s23
	s_cselect_b32 s3, -1, 0
	s_cmp_eq_u32 s30, 0
	s_cselect_b32 s3, s3, -1
	s_cmp_lg_u32 s3, 0
	s_cselect_b32 s2, s2, s30
	s_cselect_b32 s29, s31, s29
	s_cmp_ge_u32 s27, s23
	s_cselect_b32 s3, -1, 0
	s_cmp_eq_u32 s26, 0
	s_cselect_b32 s3, s3, -1
	s_cmp_lg_u32 s3, 0
	s_cselect_b32 s3, s2, s26
	s_cselect_b32 s2, s29, s27
	s_cbranch_execnz .LBB86_238
.LBB86_237:                             ;   in Loop: Header=BB86_23 Depth=1
	v_cvt_f32_u32_e32 v4, s23
	s_sub_i32 s2, 0, s23
	v_rcp_iflag_f32_e32 v4, v4
	v_mul_f32_e32 v4, 0x4f7ffffe, v4
	v_cvt_u32_f32_e32 v4, v4
	v_readfirstlane_b32 s3, v4
	s_mul_i32 s2, s2, s3
	s_mul_hi_u32 s2, s3, s2
	s_add_i32 s3, s3, s2
	s_mul_hi_u32 s2, s28, s3
	s_mul_i32 s2, s2, s23
	s_sub_i32 s2, s28, s2
	s_sub_i32 s3, s2, s23
	s_cmp_ge_u32 s2, s23
	s_cselect_b32 s2, s3, s2
	s_sub_i32 s3, s2, s23
	s_cmp_ge_u32 s2, s23
	s_cselect_b32 s64, s3, s2
	s_mov_b64 s[2:3], s[64:65]
.LBB86_238:                             ;   in Loop: Header=BB86_23 Depth=1
	s_sub_u32 s2, s28, s2
	s_subb_u32 s3, s47, s3
	v_cmp_gt_u64_e32 vcc, s[2:3], v[0:1]
	s_mov_b64 s[26:27], 0
	s_mov_b64 s[46:47], 0
                                        ; implicit-def: $vgpr33
	s_and_saveexec_b64 s[48:49], vcc
	s_cbranch_execz .LBB86_249
; %bb.239:                              ;   in Loop: Header=BB86_23 Depth=1
	v_mov_b32_e32 v5, v1
	s_mov_b32 s70, s75
	s_mov_b32 s64, s74
	v_mov_b32_e32 v8, v0
	v_mov_b32_e32 v4, v0
                                        ; implicit-def: $sgpr28_sgpr29
	s_branch .LBB86_242
.LBB86_240:                             ;   in Loop: Header=BB86_242 Depth=2
	s_or_b64 exec, exec, s[30:31]
	s_waitcnt lgkmcnt(0)
	s_barrier
	ds_read_u16 v9, v3 offset:3072
	s_mov_b64 s[30:31], -1
	s_waitcnt lgkmcnt(0)
	s_barrier
	v_cmp_ne_u32_sdwa s[74:75], v9, v3 src0_sel:BYTE_0 src1_sel:DWORD
	s_and_b64 vcc, exec, s[74:75]
	s_mov_b64 s[74:75], -1
	s_cbranch_vccz .LBB86_245
.LBB86_241:                             ;   in Loop: Header=BB86_242 Depth=2
	s_and_b64 s[30:31], exec, s[30:31]
	s_or_b64 s[46:47], s[30:31], s[46:47]
	s_andn2_b64 s[28:29], s[28:29], exec
	s_and_b64 s[30:31], s[74:75], exec
	s_or_b64 s[28:29], s[28:29], s[30:31]
	s_andn2_b64 exec, exec, s[46:47]
	s_cbranch_execz .LBB86_248
.LBB86_242:                             ;   Parent Loop BB86_23 Depth=1
                                        ; =>  This Inner Loop Header: Depth=2
	v_cmp_gt_u64_e32 vcc, s[50:51], v[4:5]
	s_and_saveexec_b64 s[30:31], vcc
	s_cbranch_execz .LBB86_240
; %bb.243:                              ;   in Loop: Header=BB86_242 Depth=2
	ds_read_u8 v9, v8
	s_waitcnt lgkmcnt(0)
	v_add_u32_sdwa v10, sext(v9), s22 dst_sel:DWORD dst_unused:UNUSED_PAD src0_sel:BYTE_0 src1_sel:DWORD
	v_and_b32_e32 v10, v10, v32
	v_cmp_eq_u32_e32 vcc, v10, v28
	s_and_b64 exec, exec, vcc
	s_cbranch_execz .LBB86_240
; %bb.244:                              ;   in Loop: Header=BB86_242 Depth=2
	v_lshlrev_b16_e32 v9, 8, v9
	v_or_b32_e32 v9, 1, v9
	ds_write_b16 v3, v9 offset:3072
	s_branch .LBB86_240
.LBB86_245:                             ;   in Loop: Header=BB86_242 Depth=2
	v_add_co_u32_e32 v4, vcc, s23, v4
	v_addc_co_u32_e32 v5, vcc, 0, v5, vcc
	v_cmp_le_u64_e32 vcc, s[2:3], v[4:5]
	v_add_u32_e32 v8, s23, v8
	s_mov_b64 s[74:75], 0
	s_orn2_b64 s[30:31], vcc, exec
	s_branch .LBB86_241
.LBB86_246:                             ;   in Loop: Header=BB86_23 Depth=1
                                        ; implicit-def: $sgpr2_sgpr3
	s_branch .LBB86_192
.LBB86_247:                             ;   in Loop: Header=BB86_23 Depth=1
                                        ; implicit-def: $sgpr2_sgpr3
	s_branch .LBB86_208
.LBB86_248:                             ;   in Loop: Header=BB86_23 Depth=1
	s_or_b64 exec, exec, s[46:47]
	v_lshrrev_b32_sdwa v33, v31, v9 dst_sel:DWORD dst_unused:UNUSED_PAD src0_sel:DWORD src1_sel:WORD_0
	s_and_b64 s[46:47], s[28:29], exec
	s_mov_b32 s74, s64
	s_mov_b32 s75, s70
.LBB86_249:                             ;   in Loop: Header=BB86_23 Depth=1
	s_or_b64 exec, exec, s[48:49]
.LBB86_250:                             ;   in Loop: Header=BB86_23 Depth=1
	s_and_b64 vcc, exec, s[26:27]
	s_cbranch_vccz .LBB86_264
; %bb.251:                              ;   in Loop: Header=BB86_23 Depth=1
	s_mov_b32 s70, s65
	s_cmp_lg_u64 s[70:71], 0
	s_cbranch_scc0 .LBB86_285
; %bb.252:                              ;   in Loop: Header=BB86_23 Depth=1
	v_cvt_f32_u32_e32 v4, s23
	s_sub_u32 s10, 0, s23
	s_subb_u32 s11, 0, 0
	v_mac_f32_e32 v4, 0, v30
	v_rcp_f32_e32 v4, v4
	v_mul_f32_e32 v4, 0x5f7ffffc, v4
	v_mul_f32_e32 v5, 0x2f800000, v4
	v_trunc_f32_e32 v5, v5
	v_mac_f32_e32 v4, 0xcf800000, v5
	v_cvt_u32_f32_e32 v5, v5
	v_cvt_u32_f32_e32 v4, v4
	v_readfirstlane_b32 s26, v5
	v_readfirstlane_b32 s2, v4
	s_mul_i32 s3, s10, s26
	s_mul_hi_u32 s28, s10, s2
	s_mul_i32 s27, s11, s2
	s_add_i32 s3, s28, s3
	s_mul_i32 s29, s10, s2
	s_add_i32 s3, s3, s27
	s_mul_hi_u32 s28, s2, s29
	s_mul_i32 s30, s2, s3
	s_mul_hi_u32 s27, s2, s3
	s_add_u32 s28, s28, s30
	s_addc_u32 s27, 0, s27
	s_mul_hi_u32 s31, s26, s29
	s_mul_i32 s29, s26, s29
	s_add_u32 s28, s28, s29
	s_mul_hi_u32 s30, s26, s3
	s_addc_u32 s27, s27, s31
	s_addc_u32 s28, s30, 0
	s_mul_i32 s3, s26, s3
	s_add_u32 s3, s27, s3
	s_addc_u32 s27, 0, s28
	s_add_u32 s28, s2, s3
	s_cselect_b64 s[2:3], -1, 0
	s_cmp_lg_u64 s[2:3], 0
	s_addc_u32 s26, s26, s27
	s_mul_i32 s2, s10, s26
	s_mul_hi_u32 s3, s10, s28
	s_add_i32 s2, s3, s2
	s_mul_i32 s11, s11, s28
	s_add_i32 s2, s2, s11
	s_mul_i32 s10, s10, s28
	s_mul_hi_u32 s11, s26, s10
	s_mul_i32 s27, s26, s10
	s_mul_i32 s30, s28, s2
	s_mul_hi_u32 s10, s28, s10
	s_mul_hi_u32 s29, s28, s2
	s_add_u32 s10, s10, s30
	s_addc_u32 s29, 0, s29
	s_add_u32 s10, s10, s27
	s_mul_hi_u32 s3, s26, s2
	s_addc_u32 s10, s29, s11
	s_addc_u32 s3, s3, 0
	s_mul_i32 s2, s26, s2
	s_add_u32 s2, s10, s2
	s_addc_u32 s10, 0, s3
	s_add_u32 s11, s28, s2
	s_cselect_b64 s[2:3], -1, 0
	s_cmp_lg_u64 s[2:3], 0
	s_addc_u32 s2, s26, s10
	s_mul_i32 s10, s77, s2
	s_mul_hi_u32 s26, s77, s11
	s_mul_hi_u32 s3, s77, s2
	s_add_u32 s10, s26, s10
	s_addc_u32 s3, 0, s3
	s_mul_hi_u32 s27, s71, s11
	s_mul_i32 s11, s71, s11
	s_add_u32 s10, s10, s11
	s_mul_hi_u32 s26, s71, s2
	s_addc_u32 s3, s3, s27
	s_addc_u32 s10, s26, 0
	s_mul_i32 s2, s71, s2
	s_add_u32 s2, s3, s2
	s_addc_u32 s3, 0, s10
	s_mul_i32 s3, s23, s3
	s_mul_hi_u32 s10, s23, s2
	s_add_i32 s10, s10, s3
	s_mul_i32 s2, s23, s2
	s_sub_u32 s11, s77, s2
	s_cselect_b64 s[2:3], -1, 0
	s_cmp_lg_u64 s[2:3], 0
	s_subb_u32 s10, s71, s10
	s_sub_u32 s26, s11, s23
	s_cselect_b64 s[2:3], -1, 0
	s_cmp_lg_u64 s[2:3], 0
	s_subb_u32 s27, s10, 0
	;; [unrolled: 4-line block ×3, first 2 shown]
	s_cmp_ge_u32 s26, s23
	s_cselect_b32 s3, -1, 0
	s_cmp_eq_u32 s27, 0
	s_cselect_b32 s3, s3, -1
	s_cmp_lg_u32 s3, 0
	s_cselect_b32 s2, s2, s27
	s_cselect_b32 s26, s28, s26
	s_cmp_ge_u32 s11, s23
	s_cselect_b32 s3, -1, 0
	s_cmp_eq_u32 s10, 0
	s_cselect_b32 s3, s3, -1
	s_cmp_lg_u32 s3, 0
	s_cselect_b32 s3, s2, s10
	s_cselect_b32 s2, s26, s11
	s_cbranch_execnz .LBB86_254
.LBB86_253:                             ;   in Loop: Header=BB86_23 Depth=1
	v_cvt_f32_u32_e32 v4, s23
	s_sub_i32 s2, 0, s23
	v_rcp_iflag_f32_e32 v4, v4
	v_mul_f32_e32 v4, 0x4f7ffffe, v4
	v_cvt_u32_f32_e32 v4, v4
	v_readfirstlane_b32 s3, v4
	s_mul_i32 s2, s2, s3
	s_mul_hi_u32 s2, s3, s2
	s_add_i32 s3, s3, s2
	s_mul_hi_u32 s2, s77, s3
	s_mul_i32 s2, s2, s23
	s_sub_i32 s2, s77, s2
	s_sub_i32 s3, s2, s23
	s_cmp_ge_u32 s2, s23
	s_cselect_b32 s2, s3, s2
	s_sub_i32 s3, s2, s23
	s_cmp_ge_u32 s2, s23
	s_cselect_b32 s64, s3, s2
	s_mov_b64 s[2:3], s[64:65]
.LBB86_254:                             ;   in Loop: Header=BB86_23 Depth=1
	s_sub_u32 s2, s77, s2
	s_subb_u32 s3, s71, s3
	v_cmp_gt_u64_e32 vcc, s[2:3], v[0:1]
                                        ; implicit-def: $vgpr33
	s_and_saveexec_b64 s[10:11], vcc
	s_cbranch_execz .LBB86_263
; %bb.255:                              ;   in Loop: Header=BB86_23 Depth=1
	v_mov_b32_e32 v5, v1
	s_mov_b64 s[26:27], 0
	v_mov_b32_e32 v4, v0
                                        ; implicit-def: $sgpr44_sgpr45
	s_branch .LBB86_258
.LBB86_256:                             ;   in Loop: Header=BB86_258 Depth=2
	s_or_b64 exec, exec, s[28:29]
	s_waitcnt lgkmcnt(0)
	s_barrier
	ds_read_u16 v8, v3 offset:3072
	s_mov_b64 s[28:29], -1
	s_waitcnt lgkmcnt(0)
	s_barrier
	v_cmp_eq_u32_sdwa s[30:31], v8, v3 src0_sel:BYTE_0 src1_sel:DWORD
	s_and_b64 vcc, exec, s[30:31]
	s_mov_b64 s[30:31], -1
	s_cbranch_vccnz .LBB86_261
.LBB86_257:                             ;   in Loop: Header=BB86_258 Depth=2
	s_and_b64 s[28:29], exec, s[28:29]
	s_or_b64 s[26:27], s[28:29], s[26:27]
	s_andn2_b64 s[28:29], s[44:45], exec
	s_and_b64 s[30:31], s[30:31], exec
	s_or_b64 s[44:45], s[28:29], s[30:31]
	s_andn2_b64 exec, exec, s[26:27]
	s_cbranch_execz .LBB86_262
.LBB86_258:                             ;   Parent Loop BB86_23 Depth=1
                                        ; =>  This Inner Loop Header: Depth=2
	v_cmp_gt_u64_e32 vcc, s[24:25], v[4:5]
	s_and_saveexec_b64 s[28:29], vcc
	s_cbranch_execz .LBB86_256
; %bb.259:                              ;   in Loop: Header=BB86_258 Depth=2
	v_mov_b32_e32 v8, s62
	v_mov_b32_e32 v9, s63
	v_mad_u64_u32 v[8:9], s[30:31], v4, s52, v[8:9]
	v_mul_lo_u32 v10, v4, s53
	v_mul_lo_u32 v11, v5, s52
	v_add3_u32 v9, v11, v9, v10
	global_load_ubyte v8, v[8:9], off
	s_waitcnt vmcnt(0)
	v_add_u32_sdwa v9, sext(v8), s22 dst_sel:DWORD dst_unused:UNUSED_PAD src0_sel:BYTE_0 src1_sel:DWORD
	v_and_b32_e32 v9, v9, v32
	v_cmp_eq_u32_e32 vcc, v9, v28
	s_and_b64 exec, exec, vcc
	s_cbranch_execz .LBB86_256
; %bb.260:                              ;   in Loop: Header=BB86_258 Depth=2
	v_lshlrev_b16_e32 v8, 8, v8
	v_or_b32_e32 v8, 1, v8
	ds_write_b16 v3, v8 offset:3072
	s_branch .LBB86_256
.LBB86_261:                             ;   in Loop: Header=BB86_258 Depth=2
	v_add_co_u32_e32 v4, vcc, s23, v4
	v_addc_co_u32_e32 v5, vcc, 0, v5, vcc
	v_cmp_le_u64_e32 vcc, s[2:3], v[4:5]
	s_mov_b64 s[30:31], 0
	s_orn2_b64 s[28:29], vcc, exec
	s_branch .LBB86_257
.LBB86_262:                             ;   in Loop: Header=BB86_23 Depth=1
	s_or_b64 exec, exec, s[26:27]
	s_andn2_b64 s[2:3], s[46:47], exec
	s_and_b64 s[26:27], s[44:45], exec
	v_lshrrev_b32_sdwa v33, v31, v8 dst_sel:DWORD dst_unused:UNUSED_PAD src0_sel:DWORD src1_sel:WORD_0
	s_or_b64 s[46:47], s[2:3], s[26:27]
.LBB86_263:                             ;   in Loop: Header=BB86_23 Depth=1
	s_or_b64 exec, exec, s[10:11]
	s_mov_b64 s[10:11], 0
	s_mov_b64 s[44:45], -1
.LBB86_264:                             ;   in Loop: Header=BB86_23 Depth=1
	s_orn2_b64 s[2:3], s[46:47], exec
.LBB86_265:                             ;   in Loop: Header=BB86_23 Depth=1
	s_or_b64 exec, exec, s[58:59]
	s_mov_b64 s[26:27], 0
	s_and_saveexec_b64 s[46:47], s[2:3]
	s_cbranch_execz .LBB86_276
; %bb.266:                              ;   in Loop: Header=BB86_23 Depth=1
	v_mov_b32_e32 v4, 1
	s_xor_b64 s[2:3], s[94:95], -1
	v_mov_b32_e32 v5, 0
	v_mov_b32_e32 v2, 1
	s_and_saveexec_b64 s[26:27], s[2:3]
	s_cbranch_execz .LBB86_275
; %bb.267:                              ;   in Loop: Header=BB86_23 Depth=1
	v_cmp_ge_u64_e32 vcc, s[14:15], v[6:7]
	s_and_saveexec_b64 s[2:3], vcc
	s_xor_b64 s[2:3], exec, s[2:3]
	s_cbranch_execz .LBB86_272
; %bb.268:                              ;   in Loop: Header=BB86_23 Depth=1
	ds_read_b64 v[4:5], v3 offset:5120
	v_or_b32_e32 v28, s68, v28
	v_or_b32_e32 v32, s68, v32
	s_waitcnt lgkmcnt(0)
	v_cmp_ne_u64_e32 vcc, 0, v[4:5]
	s_cbranch_vccnz .LBB86_272
; %bb.269:                              ;   in Loop: Header=BB86_23 Depth=1
	s_mov_b64 s[28:29], exec
	v_readlane_b32 s30, v46, 16
	v_readlane_b32 s31, v46, 17
	s_and_b64 s[30:31], s[28:29], s[30:31]
	s_mov_b64 exec, s[30:31]
; %bb.270:                              ;   in Loop: Header=BB86_23 Depth=1
	v_mov_b32_e32 v4, s14
	v_mov_b32_e32 v5, s15
	ds_write_b64 v3, v[4:5] offset:5128
; %bb.271:                              ;   in Loop: Header=BB86_23 Depth=1
	s_or_b64 exec, exec, s[28:29]
	s_waitcnt lgkmcnt(0)
	s_barrier
.LBB86_272:                             ;   in Loop: Header=BB86_23 Depth=1
	s_andn2_saveexec_b64 s[2:3], s[2:3]
; %bb.273:                              ;   in Loop: Header=BB86_23 Depth=1
	v_mov_b32_e32 v2, s15
	v_subrev_co_u32_e32 v6, vcc, s14, v6
	v_subb_co_u32_e32 v7, vcc, v7, v2, vcc
; %bb.274:                              ;   in Loop: Header=BB86_23 Depth=1
	s_or_b64 exec, exec, s[2:3]
	v_mov_b32_e32 v4, v6
	v_mov_b32_e32 v2, 8
	;; [unrolled: 1-line block ×3, first 2 shown]
.LBB86_275:                             ;   in Loop: Header=BB86_23 Depth=1
	s_or_b64 exec, exec, s[26:27]
	v_mov_b32_e32 v7, v5
	s_mov_b64 s[26:27], exec
	v_mov_b32_e32 v6, v4
.LBB86_276:                             ;   in Loop: Header=BB86_23 Depth=1
	s_or_b64 exec, exec, s[46:47]
	s_orn2_b64 s[2:3], s[26:27], exec
.LBB86_277:                             ;   in Loop: Header=BB86_23 Depth=1
	s_or_b64 exec, exec, s[34:35]
	s_andn2_b64 s[14:15], s[60:61], exec
	s_and_b64 s[26:27], s[44:45], exec
	s_or_b64 s[60:61], s[14:15], s[26:27]
	s_andn2_b64 s[14:15], s[42:43], exec
	s_and_b64 s[10:11], s[10:11], exec
	v_mov_b32_e32 v4, v6
	s_or_b64 s[42:43], s[14:15], s[10:11]
	s_and_b64 s[10:11], s[2:3], exec
	v_mov_b32_e32 v5, v7
.LBB86_278:                             ;   in Loop: Header=BB86_23 Depth=1
	s_or_b64 exec, exec, s[12:13]
	s_orn2_b64 s[2:3], s[10:11], exec
.LBB86_279:                             ;   in Loop: Header=BB86_23 Depth=1
	s_or_b64 exec, exec, s[40:41]
	s_andn2_b64 s[10:11], s[56:57], exec
	s_and_b64 s[12:13], s[60:61], exec
	s_or_b64 s[56:57], s[10:11], s[12:13]
	s_andn2_b64 s[6:7], s[6:7], exec
	s_and_b64 s[10:11], s[42:43], exec
	v_mov_b32_e32 v9, v5
	s_or_b64 s[6:7], s[6:7], s[10:11]
	s_and_b64 s[10:11], s[2:3], exec
	v_mov_b32_e32 v8, v4
.LBB86_280:                             ;   in Loop: Header=BB86_23 Depth=1
	s_or_b64 exec, exec, s[54:55]
	s_orn2_b64 s[2:3], s[10:11], exec
.LBB86_281:                             ;   in Loop: Header=BB86_23 Depth=1
	s_or_b64 exec, exec, s[92:93]
	s_mov_b64 s[10:11], 0
	s_and_saveexec_b64 s[12:13], s[2:3]
	s_xor_b64 s[2:3], exec, s[12:13]
	s_cbranch_execz .LBB86_21
; %bb.282:                              ;   in Loop: Header=BB86_23 Depth=1
	v_and_b32_e32 v2, 7, v2
	v_cmp_eq_u32_e32 vcc, 0, v2
	s_mov_b64 s[12:13], -1
	s_mov_b64 s[10:11], -1
	s_and_saveexec_b64 s[14:15], vcc
	s_cbranch_execz .LBB86_20
; %bb.283:                              ;   in Loop: Header=BB86_23 Depth=1
	s_xor_b32 s76, s76, 1
	s_add_i32 s20, s1, -2
	s_cmp_eq_u32 s1, 0
	s_cselect_b64 s[12:13], -1, 0
	s_xor_b64 s[10:11], exec, -1
	s_orn2_b64 s[12:13], s[12:13], exec
	s_mov_b32 s1, s20
	s_branch .LBB86_20
.LBB86_284:                             ;   in Loop: Header=BB86_23 Depth=1
                                        ; implicit-def: $sgpr2_sgpr3
	s_andn2_b64 vcc, exec, s[26:27]
	s_cbranch_vccz .LBB86_237
	s_branch .LBB86_238
.LBB86_285:                             ;   in Loop: Header=BB86_23 Depth=1
                                        ; implicit-def: $sgpr2_sgpr3
	s_branch .LBB86_253
.LBB86_286:
	s_or_b64 exec, exec, s[78:79]
	s_xor_b64 s[4:5], s[84:85], -1
	s_xor_b64 s[0:1], s[80:81], -1
	;; [unrolled: 1-line block ×3, first 2 shown]
	s_mov_b64 s[2:3], 0
	s_and_saveexec_b64 s[8:9], s[0:1]
	s_xor_b64 s[0:1], exec, s[8:9]
	s_cbranch_execnz .LBB86_291
; %bb.287:
	s_andn2_saveexec_b64 s[0:1], s[0:1]
	s_cbranch_execnz .LBB86_304
.LBB86_288:
	s_or_b64 exec, exec, s[0:1]
	s_and_saveexec_b64 s[0:1], s[2:3]
.LBB86_289:
	; divergent unreachable
.LBB86_290:
	s_endpgm
.LBB86_291:
	s_and_saveexec_b64 s[2:3], s[4:5]
	s_xor_b64 s[4:5], exec, s[2:3]
	s_cbranch_execz .LBB86_302
; %bb.292:
	s_and_saveexec_b64 s[2:3], s[6:7]
	s_xor_b64 s[2:3], exec, s[2:3]
; %bb.293:
	v_xor_b32_e32 v33, 0xffffff80, v28
; %bb.294:
	s_or_b64 exec, exec, s[2:3]
	v_readlane_b32 s8, v46, 8
	v_readlane_b32 s2, v46, 4
	;; [unrolled: 1-line block ×4, first 2 shown]
	s_mov_b32 s14, s2
	s_mul_i32 s2, s2, s9
	s_mul_hi_u32 s3, s14, s8
	s_add_i32 s3, s3, s2
	s_mul_i32 s2, s14, s8
	v_readlane_b32 s12, v46, 6
	v_readlane_b32 s16, v46, 26
	;; [unrolled: 1-line block ×3, first 2 shown]
	s_sub_u32 s2, s12, s2
	v_readlane_b32 s18, v46, 28
	v_readlane_b32 s19, v46, 29
	s_subb_u32 s3, s13, s3
	s_mul_i32 s6, s2, s19
	s_mul_hi_u32 s7, s2, s18
	v_readlane_b32 s10, v46, 10
	v_readlane_b32 s11, v46, 11
	;; [unrolled: 1-line block ×3, first 2 shown]
	s_add_i32 s6, s7, s6
	s_mul_i32 s3, s3, s18
	s_add_i32 s6, s6, s3
	s_mul_i32 s3, s14, s17
	s_mul_hi_u32 s7, s14, s16
	s_mul_i32 s8, s12, s11
	s_mul_hi_u32 s9, s12, s10
	s_add_i32 s7, s7, s3
	s_add_i32 s9, s9, s8
	s_mul_i32 s8, s12, s10
	v_readlane_b32 s12, v46, 24
	s_sub_u32 s8, s74, s8
	v_readlane_b32 s13, v46, 25
	s_subb_u32 s9, 0, s9
	s_mul_i32 s10, s8, s13
	s_mul_hi_u32 s11, s8, s12
	s_add_i32 s10, s11, s10
	s_mul_i32 s9, s9, s12
	s_mul_i32 s3, s14, s16
	s_add_i32 s10, s10, s9
	s_mul_i32 s8, s8, s12
	v_readlane_b32 s12, v46, 32
	v_readlane_b32 s13, v46, 33
	s_add_u32 s3, s12, s3
	s_mul_i32 s2, s2, s18
	s_addc_u32 s7, s13, s7
	s_add_u32 s2, s3, s2
	s_addc_u32 s3, s7, s6
	s_add_u32 s2, s2, s8
	s_addc_u32 s3, s3, s10
	v_mov_b32_e32 v2, 0
	global_store_byte v2, v33, s[2:3]
	s_mov_b64 s[6:7], exec
	v_readlane_b32 s2, v46, 34
	v_readlane_b32 s3, v46, 35
	s_and_b64 s[2:3], s[6:7], s[2:3]
	s_mov_b64 exec, s[2:3]
	s_cbranch_execz .LBB86_301
; %bb.295:
	v_mov_b32_e32 v4, s62
	s_mov_b64 s[2:3], 0
	v_mov_b32_e32 v5, s63
                                        ; implicit-def: $sgpr8_sgpr9
                                        ; implicit-def: $sgpr12_sgpr13
                                        ; implicit-def: $sgpr10_sgpr11
	s_branch .LBB86_297
.LBB86_296:                             ;   in Loop: Header=BB86_297 Depth=1
	s_or_b64 exec, exec, s[14:15]
	s_and_b64 s[14:15], exec, s[12:13]
	s_or_b64 s[2:3], s[14:15], s[2:3]
	s_andn2_b64 s[8:9], s[8:9], exec
	s_and_b64 s[14:15], s[10:11], exec
	s_or_b64 s[8:9], s[8:9], s[14:15]
	s_andn2_b64 exec, exec, s[2:3]
	s_cbranch_execz .LBB86_299
.LBB86_297:                             ; =>This Inner Loop Header: Depth=1
	v_mov_b32_e32 v3, v1
	v_mov_b32_e32 v2, v0
	v_mad_u64_u32 v[0:1], s[14:15], v2, s52, v[4:5]
	v_mul_lo_u32 v6, v2, s53
	v_mul_lo_u32 v7, v3, s52
	s_or_b64 s[10:11], s[10:11], exec
	s_or_b64 s[12:13], s[12:13], exec
	v_add3_u32 v1, v7, v1, v6
	global_load_ubyte v0, v[0:1], off
	s_waitcnt vmcnt(0)
	v_cmp_ne_u16_sdwa s[16:17], v0, v33 src0_sel:DWORD src1_sel:BYTE_0
                                        ; implicit-def: $vgpr0_vgpr1
	s_and_saveexec_b64 s[14:15], s[16:17]
	s_cbranch_execz .LBB86_296
; %bb.298:                              ;   in Loop: Header=BB86_297 Depth=1
	v_add_co_u32_e32 v0, vcc, s23, v2
	v_addc_co_u32_e32 v1, vcc, 0, v3, vcc
	v_cmp_le_u64_e32 vcc, s[24:25], v[0:1]
	s_andn2_b64 s[12:13], s[12:13], exec
	s_and_b64 s[16:17], vcc, exec
	s_andn2_b64 s[10:11], s[10:11], exec
	s_or_b64 s[12:13], s[12:13], s[16:17]
	s_branch .LBB86_296
.LBB86_299:
	s_or_b64 exec, exec, s[2:3]
	s_and_saveexec_b64 s[2:3], s[8:9]
	s_xor_b64 s[2:3], exec, s[2:3]
	s_cbranch_execz .LBB86_301
; %bb.300:
	v_readlane_b32 s12, v46, 0
	v_readlane_b32 s2, v46, 14
	;; [unrolled: 1-line block ×4, first 2 shown]
	s_mov_b32 s10, s2
	s_mul_i32 s2, s2, s13
	s_mul_hi_u32 s3, s10, s12
	s_add_i32 s3, s3, s2
	s_mul_i32 s2, s10, s12
	v_readlane_b32 s12, v46, 12
	v_readlane_b32 s16, v46, 20
	;; [unrolled: 1-line block ×3, first 2 shown]
	s_sub_u32 s2, s12, s2
	v_readlane_b32 s18, v46, 22
	v_readlane_b32 s19, v46, 23
	s_subb_u32 s3, s13, s3
	s_mul_i32 s8, s2, s19
	s_mul_hi_u32 s9, s2, s18
	v_readlane_b32 s17, v46, 21
	s_add_i32 s8, s9, s8
	s_mul_i32 s3, s3, s18
	v_readlane_b32 s14, v46, 2
	v_readlane_b32 s15, v46, 3
	s_add_i32 s3, s8, s3
	s_mul_i32 s8, s10, s17
	s_mul_hi_u32 s9, s10, s16
	s_add_i32 s9, s9, s8
	s_mul_i32 s8, s10, s16
	s_mul_i32 s10, s12, s15
	s_mul_hi_u32 s11, s12, s14
	s_add_i32 s11, s11, s10
	s_mul_i32 s10, s12, s14
	v_readlane_b32 s14, v46, 18
	s_sub_u32 s10, s74, s10
	v_readlane_b32 s15, v46, 19
	s_subb_u32 s11, 0, s11
	s_mul_i32 s12, s10, s15
	s_mul_hi_u32 s13, s10, s14
	s_add_i32 s12, s13, s12
	s_mul_i32 s11, s11, s14
	s_add_i32 s11, s12, s11
	s_lshl_b64 s[8:9], s[8:9], 3
	v_readlane_b32 s12, v46, 30
	s_mul_i32 s2, s2, s18
	v_readlane_b32 s13, v46, 31
	s_add_u32 s8, s12, s8
	s_addc_u32 s9, s13, s9
	s_lshl_b64 s[2:3], s[2:3], 3
	s_mul_i32 s10, s10, s14
	s_add_u32 s8, s8, s2
	s_addc_u32 s9, s9, s3
	s_lshl_b64 s[2:3], s[10:11], 3
	s_add_u32 s2, s8, s2
	s_addc_u32 s3, s9, s3
	v_mov_b32_e32 v0, 0
	global_store_dwordx2 v0, v[2:3], s[2:3]
.LBB86_301:
	s_or_b64 exec, exec, s[6:7]
.LBB86_302:
	s_or_saveexec_b64 s[2:3], s[4:5]
	s_mov_b64 s[4:5], 0
	s_xor_b64 exec, exec, s[2:3]
	s_cbranch_execnz .LBB86_305
.LBB86_303:
	s_or_b64 exec, exec, s[2:3]
	s_and_b64 s[2:3], s[4:5], exec
	s_andn2_saveexec_b64 s[0:1], s[0:1]
	s_cbranch_execz .LBB86_288
.LBB86_304:
	s_or_b64 s[2:3], s[2:3], exec
	s_trap 2
	s_or_b64 exec, exec, s[0:1]
	s_and_saveexec_b64 s[0:1], s[2:3]
	s_cbranch_execnz .LBB86_289
	s_branch .LBB86_290
.LBB86_305:
	s_mov_b64 s[4:5], exec
	s_trap 2
	s_branch .LBB86_303
	.section	.rodata,"a",@progbits
	.p2align	6, 0x0
	.amdhsa_kernel _ZN2at6native12_GLOBAL__N_112gatherMedianIamLi3EEEvNS_4cuda6detail10TensorInfoIT_T0_EENS5_IlS7_EENS5_IKS6_S7_EES7_S7_S7_b
		.amdhsa_group_segment_fixed_size 5152
		.amdhsa_private_segment_fixed_size 0
		.amdhsa_kernarg_size 1536
		.amdhsa_user_sgpr_count 6
		.amdhsa_user_sgpr_private_segment_buffer 1
		.amdhsa_user_sgpr_dispatch_ptr 0
		.amdhsa_user_sgpr_queue_ptr 0
		.amdhsa_user_sgpr_kernarg_segment_ptr 1
		.amdhsa_user_sgpr_dispatch_id 0
		.amdhsa_user_sgpr_flat_scratch_init 0
		.amdhsa_user_sgpr_private_segment_size 0
		.amdhsa_uses_dynamic_stack 0
		.amdhsa_system_sgpr_private_segment_wavefront_offset 0
		.amdhsa_system_sgpr_workgroup_id_x 1
		.amdhsa_system_sgpr_workgroup_id_y 1
		.amdhsa_system_sgpr_workgroup_id_z 1
		.amdhsa_system_sgpr_workgroup_info 0
		.amdhsa_system_vgpr_workitem_id 0
		.amdhsa_next_free_vgpr 47
		.amdhsa_next_free_sgpr 96
		.amdhsa_reserve_vcc 1
		.amdhsa_reserve_flat_scratch 0
		.amdhsa_float_round_mode_32 0
		.amdhsa_float_round_mode_16_64 0
		.amdhsa_float_denorm_mode_32 3
		.amdhsa_float_denorm_mode_16_64 3
		.amdhsa_dx10_clamp 1
		.amdhsa_ieee_mode 1
		.amdhsa_fp16_overflow 0
		.amdhsa_exception_fp_ieee_invalid_op 0
		.amdhsa_exception_fp_denorm_src 0
		.amdhsa_exception_fp_ieee_div_zero 0
		.amdhsa_exception_fp_ieee_overflow 0
		.amdhsa_exception_fp_ieee_underflow 0
		.amdhsa_exception_fp_ieee_inexact 0
		.amdhsa_exception_int_div_zero 0
	.end_amdhsa_kernel
	.section	.text._ZN2at6native12_GLOBAL__N_112gatherMedianIamLi3EEEvNS_4cuda6detail10TensorInfoIT_T0_EENS5_IlS7_EENS5_IKS6_S7_EES7_S7_S7_b,"axG",@progbits,_ZN2at6native12_GLOBAL__N_112gatherMedianIamLi3EEEvNS_4cuda6detail10TensorInfoIT_T0_EENS5_IlS7_EENS5_IKS6_S7_EES7_S7_S7_b,comdat
.Lfunc_end86:
	.size	_ZN2at6native12_GLOBAL__N_112gatherMedianIamLi3EEEvNS_4cuda6detail10TensorInfoIT_T0_EENS5_IlS7_EENS5_IKS6_S7_EES7_S7_S7_b, .Lfunc_end86-_ZN2at6native12_GLOBAL__N_112gatherMedianIamLi3EEEvNS_4cuda6detail10TensorInfoIT_T0_EENS5_IlS7_EENS5_IKS6_S7_EES7_S7_S7_b
                                        ; -- End function
	.set _ZN2at6native12_GLOBAL__N_112gatherMedianIamLi3EEEvNS_4cuda6detail10TensorInfoIT_T0_EENS5_IlS7_EENS5_IKS6_S7_EES7_S7_S7_b.num_vgpr, 47
	.set _ZN2at6native12_GLOBAL__N_112gatherMedianIamLi3EEEvNS_4cuda6detail10TensorInfoIT_T0_EENS5_IlS7_EENS5_IKS6_S7_EES7_S7_S7_b.num_agpr, 0
	.set _ZN2at6native12_GLOBAL__N_112gatherMedianIamLi3EEEvNS_4cuda6detail10TensorInfoIT_T0_EENS5_IlS7_EENS5_IKS6_S7_EES7_S7_S7_b.numbered_sgpr, 96
	.set _ZN2at6native12_GLOBAL__N_112gatherMedianIamLi3EEEvNS_4cuda6detail10TensorInfoIT_T0_EENS5_IlS7_EENS5_IKS6_S7_EES7_S7_S7_b.num_named_barrier, 0
	.set _ZN2at6native12_GLOBAL__N_112gatherMedianIamLi3EEEvNS_4cuda6detail10TensorInfoIT_T0_EENS5_IlS7_EENS5_IKS6_S7_EES7_S7_S7_b.private_seg_size, 0
	.set _ZN2at6native12_GLOBAL__N_112gatherMedianIamLi3EEEvNS_4cuda6detail10TensorInfoIT_T0_EENS5_IlS7_EENS5_IKS6_S7_EES7_S7_S7_b.uses_vcc, 1
	.set _ZN2at6native12_GLOBAL__N_112gatherMedianIamLi3EEEvNS_4cuda6detail10TensorInfoIT_T0_EENS5_IlS7_EENS5_IKS6_S7_EES7_S7_S7_b.uses_flat_scratch, 0
	.set _ZN2at6native12_GLOBAL__N_112gatherMedianIamLi3EEEvNS_4cuda6detail10TensorInfoIT_T0_EENS5_IlS7_EENS5_IKS6_S7_EES7_S7_S7_b.has_dyn_sized_stack, 0
	.set _ZN2at6native12_GLOBAL__N_112gatherMedianIamLi3EEEvNS_4cuda6detail10TensorInfoIT_T0_EENS5_IlS7_EENS5_IKS6_S7_EES7_S7_S7_b.has_recursion, 0
	.set _ZN2at6native12_GLOBAL__N_112gatherMedianIamLi3EEEvNS_4cuda6detail10TensorInfoIT_T0_EENS5_IlS7_EENS5_IKS6_S7_EES7_S7_S7_b.has_indirect_call, 0
	.section	.AMDGPU.csdata,"",@progbits
; Kernel info:
; codeLenInByte = 16320
; TotalNumSgprs: 100
; NumVgprs: 47
; ScratchSize: 0
; MemoryBound: 0
; FloatMode: 240
; IeeeMode: 1
; LDSByteSize: 5152 bytes/workgroup (compile time only)
; SGPRBlocks: 12
; VGPRBlocks: 11
; NumSGPRsForWavesPerEU: 100
; NumVGPRsForWavesPerEU: 47
; Occupancy: 5
; WaveLimiterHint : 1
; COMPUTE_PGM_RSRC2:SCRATCH_EN: 0
; COMPUTE_PGM_RSRC2:USER_SGPR: 6
; COMPUTE_PGM_RSRC2:TRAP_HANDLER: 0
; COMPUTE_PGM_RSRC2:TGID_X_EN: 1
; COMPUTE_PGM_RSRC2:TGID_Y_EN: 1
; COMPUTE_PGM_RSRC2:TGID_Z_EN: 1
; COMPUTE_PGM_RSRC2:TIDIG_COMP_CNT: 0
	.section	.text._ZN2at6native12_GLOBAL__N_112gatherMedianIamLin1EEEvNS_4cuda6detail10TensorInfoIT_T0_EENS5_IlS7_EENS5_IKS6_S7_EES7_S7_S7_b,"axG",@progbits,_ZN2at6native12_GLOBAL__N_112gatherMedianIamLin1EEEvNS_4cuda6detail10TensorInfoIT_T0_EENS5_IlS7_EENS5_IKS6_S7_EES7_S7_S7_b,comdat
	.globl	_ZN2at6native12_GLOBAL__N_112gatherMedianIamLin1EEEvNS_4cuda6detail10TensorInfoIT_T0_EENS5_IlS7_EENS5_IKS6_S7_EES7_S7_S7_b ; -- Begin function _ZN2at6native12_GLOBAL__N_112gatherMedianIamLin1EEEvNS_4cuda6detail10TensorInfoIT_T0_EENS5_IlS7_EENS5_IKS6_S7_EES7_S7_S7_b
	.p2align	8
	.type	_ZN2at6native12_GLOBAL__N_112gatherMedianIamLin1EEEvNS_4cuda6detail10TensorInfoIT_T0_EENS5_IlS7_EENS5_IKS6_S7_EES7_S7_S7_b,@function
_ZN2at6native12_GLOBAL__N_112gatherMedianIamLin1EEEvNS_4cuda6detail10TensorInfoIT_T0_EENS5_IlS7_EENS5_IKS6_S7_EES7_S7_S7_b: ; @_ZN2at6native12_GLOBAL__N_112gatherMedianIamLin1EEEvNS_4cuda6detail10TensorInfoIT_T0_EENS5_IlS7_EENS5_IKS6_S7_EES7_S7_S7_b
; %bb.0:
	s_load_dwordx2 s[10:11], s[4:5], 0x500
	s_load_dwordx4 s[24:27], s[4:5], 0x4e0
	s_add_u32 s12, s4, 0x500
	s_addc_u32 s13, s5, 0
	s_mov_b32 s1, 0
	s_waitcnt lgkmcnt(0)
	s_mul_i32 s0, s11, s8
	s_add_i32 s0, s0, s7
	s_mul_i32 s0, s0, s10
	s_add_i32 s0, s0, s6
	v_mov_b32_e32 v2, s1
	v_mov_b32_e32 v1, s0
	v_cmp_le_u64_e32 vcc, s[26:27], v[1:2]
	s_cbranch_vccnz .LBB87_307
; %bb.1:
	s_load_dword s2, s[4:5], 0x198
	s_load_dwordx2 s[26:27], s[4:5], 0x4f0
	s_mov_b64 s[22:23], 0
	s_mov_b64 s[30:31], s[0:1]
	s_waitcnt lgkmcnt(0)
	s_cmp_lt_i32 s2, 2
	s_cbranch_scc1 .LBB87_9
; %bb.2:
	s_add_i32 s7, s2, 1
	s_add_i32 s8, s2, -1
	s_mov_b32 s2, 0
	s_mov_b32 s9, s2
	s_lshl_b64 s[8:9], s[8:9], 3
	s_add_u32 s3, s4, s8
	s_addc_u32 s9, s5, s9
	s_add_u32 s8, s3, 8
	s_addc_u32 s9, s9, 0
	s_mov_b64 s[14:15], s[0:1]
.LBB87_3:                               ; =>This Inner Loop Header: Depth=1
	s_load_dwordx2 s[16:17], s[8:9], 0x0
	s_waitcnt lgkmcnt(0)
	s_or_b64 s[18:19], s[14:15], s[16:17]
	s_mov_b32 s3, s19
	s_cmp_lg_u64 s[2:3], 0
	s_cbranch_scc0 .LBB87_8
; %bb.4:                                ;   in Loop: Header=BB87_3 Depth=1
	v_cvt_f32_u32_e32 v1, s16
	v_cvt_f32_u32_e32 v2, s17
	s_sub_u32 s3, 0, s16
	s_subb_u32 s11, 0, s17
	v_mac_f32_e32 v1, 0x4f800000, v2
	v_rcp_f32_e32 v1, v1
	v_mul_f32_e32 v1, 0x5f7ffffc, v1
	v_mul_f32_e32 v2, 0x2f800000, v1
	v_trunc_f32_e32 v2, v2
	v_mac_f32_e32 v1, 0xcf800000, v2
	v_cvt_u32_f32_e32 v2, v2
	v_cvt_u32_f32_e32 v1, v1
	v_readfirstlane_b32 s20, v2
	v_readfirstlane_b32 s18, v1
	s_mul_i32 s19, s3, s20
	s_mul_hi_u32 s28, s3, s18
	s_mul_i32 s21, s11, s18
	s_add_i32 s19, s28, s19
	s_mul_i32 s29, s3, s18
	s_add_i32 s19, s19, s21
	s_mul_i32 s28, s18, s19
	s_mul_hi_u32 s30, s18, s29
	s_mul_hi_u32 s21, s18, s19
	s_add_u32 s28, s30, s28
	s_addc_u32 s21, 0, s21
	s_mul_hi_u32 s31, s20, s29
	s_mul_i32 s29, s20, s29
	s_add_u32 s28, s28, s29
	s_mul_hi_u32 s30, s20, s19
	s_addc_u32 s21, s21, s31
	s_addc_u32 s28, s30, 0
	s_mul_i32 s19, s20, s19
	s_add_u32 s19, s21, s19
	s_addc_u32 s21, 0, s28
	s_add_u32 s28, s18, s19
	s_cselect_b64 s[18:19], -1, 0
	s_cmp_lg_u64 s[18:19], 0
	s_addc_u32 s20, s20, s21
	s_mul_i32 s18, s3, s20
	s_mul_hi_u32 s19, s3, s28
	s_add_i32 s18, s19, s18
	s_mul_i32 s11, s11, s28
	s_add_i32 s18, s18, s11
	s_mul_i32 s3, s3, s28
	s_mul_hi_u32 s19, s20, s3
	s_mul_i32 s21, s20, s3
	s_mul_i32 s30, s28, s18
	s_mul_hi_u32 s3, s28, s3
	s_mul_hi_u32 s29, s28, s18
	s_add_u32 s3, s3, s30
	s_addc_u32 s29, 0, s29
	s_add_u32 s3, s3, s21
	s_mul_hi_u32 s11, s20, s18
	s_addc_u32 s3, s29, s19
	s_addc_u32 s11, s11, 0
	s_mul_i32 s18, s20, s18
	s_add_u32 s3, s3, s18
	s_addc_u32 s11, 0, s11
	s_add_u32 s3, s28, s3
	s_cselect_b64 s[18:19], -1, 0
	s_cmp_lg_u64 s[18:19], 0
	s_addc_u32 s11, s20, s11
	s_mul_i32 s19, s14, s11
	s_mul_hi_u32 s20, s14, s3
	s_mul_hi_u32 s18, s14, s11
	s_add_u32 s19, s20, s19
	s_addc_u32 s18, 0, s18
	s_mul_hi_u32 s21, s15, s3
	s_mul_i32 s3, s15, s3
	s_add_u32 s3, s19, s3
	s_mul_hi_u32 s20, s15, s11
	s_addc_u32 s3, s18, s21
	s_addc_u32 s18, s20, 0
	s_mul_i32 s11, s15, s11
	s_add_u32 s3, s3, s11
	s_addc_u32 s11, 0, s18
	s_mul_i32 s18, s16, s11
	s_mul_hi_u32 s19, s16, s3
	s_add_i32 s18, s19, s18
	s_mul_i32 s19, s17, s3
	s_add_i32 s28, s18, s19
	s_sub_i32 s20, s15, s28
	s_mul_i32 s18, s16, s3
	s_sub_u32 s29, s14, s18
	s_cselect_b64 s[18:19], -1, 0
	s_cmp_lg_u64 s[18:19], 0
	s_subb_u32 s30, s20, s17
	s_sub_u32 s31, s29, s16
	s_cselect_b64 s[20:21], -1, 0
	s_cmp_lg_u64 s[20:21], 0
	s_subb_u32 s20, s30, 0
	s_cmp_ge_u32 s20, s17
	s_cselect_b32 s21, -1, 0
	s_cmp_ge_u32 s31, s16
	s_cselect_b32 s30, -1, 0
	s_cmp_eq_u32 s20, s17
	s_cselect_b32 s20, s30, s21
	s_add_u32 s21, s3, 1
	s_addc_u32 s30, s11, 0
	s_add_u32 s31, s3, 2
	s_addc_u32 s33, s11, 0
	s_cmp_lg_u32 s20, 0
	s_cselect_b32 s20, s31, s21
	s_cselect_b32 s21, s33, s30
	s_cmp_lg_u64 s[18:19], 0
	s_subb_u32 s18, s15, s28
	s_cmp_ge_u32 s18, s17
	s_cselect_b32 s19, -1, 0
	s_cmp_ge_u32 s29, s16
	s_cselect_b32 s28, -1, 0
	s_cmp_eq_u32 s18, s17
	s_cselect_b32 s18, s28, s19
	s_cmp_lg_u32 s18, 0
	s_cselect_b32 s31, s21, s11
	s_cselect_b32 s30, s20, s3
	s_cbranch_execnz .LBB87_6
.LBB87_5:                               ;   in Loop: Header=BB87_3 Depth=1
	v_cvt_f32_u32_e32 v1, s16
	s_sub_i32 s3, 0, s16
	s_mov_b32 s31, s2
	v_rcp_iflag_f32_e32 v1, v1
	v_mul_f32_e32 v1, 0x4f7ffffe, v1
	v_cvt_u32_f32_e32 v1, v1
	v_readfirstlane_b32 s11, v1
	s_mul_i32 s3, s3, s11
	s_mul_hi_u32 s3, s11, s3
	s_add_i32 s11, s11, s3
	s_mul_hi_u32 s3, s14, s11
	s_mul_i32 s18, s3, s16
	s_sub_i32 s18, s14, s18
	s_add_i32 s11, s3, 1
	s_sub_i32 s19, s18, s16
	s_cmp_ge_u32 s18, s16
	s_cselect_b32 s3, s11, s3
	s_cselect_b32 s18, s19, s18
	s_add_i32 s11, s3, 1
	s_cmp_ge_u32 s18, s16
	s_cselect_b32 s30, s11, s3
.LBB87_6:                               ;   in Loop: Header=BB87_3 Depth=1
	s_mul_i32 s3, s30, s17
	s_mul_hi_u32 s11, s30, s16
	s_load_dwordx2 s[18:19], s[8:9], 0xc8
	s_add_i32 s3, s11, s3
	s_mul_i32 s11, s31, s16
	s_add_i32 s3, s3, s11
	s_mul_i32 s11, s30, s16
	s_sub_u32 s11, s14, s11
	s_subb_u32 s3, s15, s3
	s_waitcnt lgkmcnt(0)
	s_mul_i32 s3, s18, s3
	s_mul_hi_u32 s14, s18, s11
	s_add_i32 s3, s14, s3
	s_mul_i32 s14, s19, s11
	s_add_i32 s3, s3, s14
	s_mul_i32 s11, s18, s11
	s_add_u32 s22, s11, s22
	s_addc_u32 s23, s3, s23
	s_add_i32 s7, s7, -1
	s_add_u32 s8, s8, -8
	s_addc_u32 s9, s9, -1
	s_cmp_gt_u32 s7, 2
	s_cbranch_scc0 .LBB87_9
; %bb.7:                                ;   in Loop: Header=BB87_3 Depth=1
	s_mov_b64 s[14:15], s[30:31]
	s_branch .LBB87_3
.LBB87_8:                               ;   in Loop: Header=BB87_3 Depth=1
                                        ; implicit-def: $sgpr30_sgpr31
	s_branch .LBB87_5
.LBB87_9:
	s_load_dword s8, s[4:5], 0x338
	s_load_dwordx2 s[2:3], s[4:5], 0xd0
                                        ; implicit-def: $vgpr56 : SGPR spill to VGPR lane
	s_mov_b64 s[28:29], 0
	s_mov_b64 s[36:37], s[0:1]
	s_waitcnt lgkmcnt(0)
	v_writelane_b32 v56, s2, 0
	v_writelane_b32 v56, s3, 1
	s_add_u32 s2, s4, 0x1a0
	s_addc_u32 s3, s5, 0
	s_cmp_lt_i32 s8, 2
	s_cbranch_scc1 .LBB87_17
; %bb.10:
	s_add_i32 s7, s8, 1
	s_add_i32 s14, s8, -1
	s_mov_b32 s8, 0
	s_mov_b32 s15, s8
	s_lshl_b64 s[14:15], s[14:15], 3
	s_add_u32 s9, s2, s14
	s_addc_u32 s11, s3, s15
	s_add_u32 s14, s9, 8
	s_addc_u32 s15, s11, 0
	s_mov_b64 s[16:17], s[0:1]
.LBB87_11:                              ; =>This Inner Loop Header: Depth=1
	s_load_dwordx2 s[18:19], s[14:15], 0x0
	s_waitcnt lgkmcnt(0)
	s_or_b64 s[20:21], s[16:17], s[18:19]
	s_mov_b32 s9, s21
	s_cmp_lg_u64 s[8:9], 0
	s_cbranch_scc0 .LBB87_16
; %bb.12:                               ;   in Loop: Header=BB87_11 Depth=1
	v_cvt_f32_u32_e32 v1, s18
	v_cvt_f32_u32_e32 v2, s19
	s_sub_u32 s9, 0, s18
	s_subb_u32 s11, 0, s19
	v_mac_f32_e32 v1, 0x4f800000, v2
	v_rcp_f32_e32 v1, v1
	v_mul_f32_e32 v1, 0x5f7ffffc, v1
	v_mul_f32_e32 v2, 0x2f800000, v1
	v_trunc_f32_e32 v2, v2
	v_mac_f32_e32 v1, 0xcf800000, v2
	v_cvt_u32_f32_e32 v2, v2
	v_cvt_u32_f32_e32 v1, v1
	v_readfirstlane_b32 s33, v2
	v_readfirstlane_b32 s20, v1
	s_mul_i32 s21, s9, s33
	s_mul_hi_u32 s35, s9, s20
	s_mul_i32 s34, s11, s20
	s_add_i32 s21, s35, s21
	s_mul_i32 s36, s9, s20
	s_add_i32 s21, s21, s34
	s_mul_i32 s35, s20, s21
	s_mul_hi_u32 s37, s20, s36
	s_mul_hi_u32 s34, s20, s21
	s_add_u32 s35, s37, s35
	s_addc_u32 s34, 0, s34
	s_mul_hi_u32 s38, s33, s36
	s_mul_i32 s36, s33, s36
	s_add_u32 s35, s35, s36
	s_mul_hi_u32 s37, s33, s21
	s_addc_u32 s34, s34, s38
	s_addc_u32 s35, s37, 0
	s_mul_i32 s21, s33, s21
	s_add_u32 s21, s34, s21
	s_addc_u32 s34, 0, s35
	s_add_u32 s35, s20, s21
	s_cselect_b64 s[20:21], -1, 0
	s_cmp_lg_u64 s[20:21], 0
	s_addc_u32 s33, s33, s34
	s_mul_i32 s20, s9, s33
	s_mul_hi_u32 s21, s9, s35
	s_add_i32 s20, s21, s20
	s_mul_i32 s11, s11, s35
	s_add_i32 s20, s20, s11
	s_mul_i32 s9, s9, s35
	s_mul_hi_u32 s21, s33, s9
	s_mul_i32 s34, s33, s9
	s_mul_i32 s37, s35, s20
	s_mul_hi_u32 s9, s35, s9
	s_mul_hi_u32 s36, s35, s20
	s_add_u32 s9, s9, s37
	s_addc_u32 s36, 0, s36
	s_add_u32 s9, s9, s34
	s_mul_hi_u32 s11, s33, s20
	s_addc_u32 s9, s36, s21
	s_addc_u32 s11, s11, 0
	s_mul_i32 s20, s33, s20
	s_add_u32 s9, s9, s20
	s_addc_u32 s11, 0, s11
	s_add_u32 s9, s35, s9
	s_cselect_b64 s[20:21], -1, 0
	s_cmp_lg_u64 s[20:21], 0
	s_addc_u32 s11, s33, s11
	s_mul_i32 s21, s16, s11
	s_mul_hi_u32 s33, s16, s9
	s_mul_hi_u32 s20, s16, s11
	s_add_u32 s21, s33, s21
	s_addc_u32 s20, 0, s20
	s_mul_hi_u32 s34, s17, s9
	s_mul_i32 s9, s17, s9
	s_add_u32 s9, s21, s9
	s_mul_hi_u32 s33, s17, s11
	s_addc_u32 s9, s20, s34
	s_addc_u32 s20, s33, 0
	s_mul_i32 s11, s17, s11
	s_add_u32 s9, s9, s11
	s_addc_u32 s11, 0, s20
	s_mul_i32 s20, s18, s11
	s_mul_hi_u32 s21, s18, s9
	s_add_i32 s20, s21, s20
	s_mul_i32 s21, s19, s9
	s_add_i32 s33, s20, s21
	s_sub_i32 s34, s17, s33
	s_mul_i32 s20, s18, s9
	s_sub_u32 s36, s16, s20
	s_cselect_b64 s[20:21], -1, 0
	s_cmp_lg_u64 s[20:21], 0
	s_subb_u32 s37, s34, s19
	s_sub_u32 s38, s36, s18
	s_cselect_b64 s[34:35], -1, 0
	s_cmp_lg_u64 s[34:35], 0
	s_subb_u32 s34, s37, 0
	s_cmp_ge_u32 s34, s19
	s_cselect_b32 s35, -1, 0
	s_cmp_ge_u32 s38, s18
	s_cselect_b32 s37, -1, 0
	s_cmp_eq_u32 s34, s19
	s_cselect_b32 s34, s37, s35
	s_add_u32 s35, s9, 1
	s_addc_u32 s37, s11, 0
	s_add_u32 s38, s9, 2
	s_addc_u32 s39, s11, 0
	s_cmp_lg_u32 s34, 0
	s_cselect_b32 s34, s38, s35
	s_cselect_b32 s35, s39, s37
	s_cmp_lg_u64 s[20:21], 0
	s_subb_u32 s20, s17, s33
	s_cmp_ge_u32 s20, s19
	s_cselect_b32 s21, -1, 0
	s_cmp_ge_u32 s36, s18
	s_cselect_b32 s33, -1, 0
	s_cmp_eq_u32 s20, s19
	s_cselect_b32 s20, s33, s21
	s_cmp_lg_u32 s20, 0
	s_cselect_b32 s37, s35, s11
	s_cselect_b32 s36, s34, s9
	s_cbranch_execnz .LBB87_14
.LBB87_13:                              ;   in Loop: Header=BB87_11 Depth=1
	v_cvt_f32_u32_e32 v1, s18
	s_sub_i32 s9, 0, s18
	s_mov_b32 s37, s8
	v_rcp_iflag_f32_e32 v1, v1
	v_mul_f32_e32 v1, 0x4f7ffffe, v1
	v_cvt_u32_f32_e32 v1, v1
	v_readfirstlane_b32 s11, v1
	s_mul_i32 s9, s9, s11
	s_mul_hi_u32 s9, s11, s9
	s_add_i32 s11, s11, s9
	s_mul_hi_u32 s9, s16, s11
	s_mul_i32 s20, s9, s18
	s_sub_i32 s20, s16, s20
	s_add_i32 s11, s9, 1
	s_sub_i32 s21, s20, s18
	s_cmp_ge_u32 s20, s18
	s_cselect_b32 s9, s11, s9
	s_cselect_b32 s20, s21, s20
	s_add_i32 s11, s9, 1
	s_cmp_ge_u32 s20, s18
	s_cselect_b32 s36, s11, s9
.LBB87_14:                              ;   in Loop: Header=BB87_11 Depth=1
	s_mul_i32 s9, s36, s19
	s_mul_hi_u32 s11, s36, s18
	s_load_dwordx2 s[20:21], s[14:15], 0xc8
	s_add_i32 s9, s11, s9
	s_mul_i32 s11, s37, s18
	s_add_i32 s9, s9, s11
	s_mul_i32 s11, s36, s18
	s_sub_u32 s11, s16, s11
	s_subb_u32 s9, s17, s9
	s_waitcnt lgkmcnt(0)
	s_mul_i32 s9, s20, s9
	s_mul_hi_u32 s16, s20, s11
	s_add_i32 s9, s16, s9
	s_mul_i32 s16, s21, s11
	s_add_i32 s9, s9, s16
	s_mul_i32 s11, s20, s11
	s_add_u32 s28, s11, s28
	s_addc_u32 s29, s9, s29
	s_add_i32 s7, s7, -1
	s_add_u32 s14, s14, -8
	s_addc_u32 s15, s15, -1
	s_cmp_gt_u32 s7, 2
	s_cbranch_scc0 .LBB87_17
; %bb.15:                               ;   in Loop: Header=BB87_11 Depth=1
	s_mov_b64 s[16:17], s[36:37]
	s_branch .LBB87_11
.LBB87_16:                              ;   in Loop: Header=BB87_11 Depth=1
                                        ; implicit-def: $sgpr36_sgpr37
	s_branch .LBB87_13
.LBB87_17:
	s_load_dword s14, s[4:5], 0x4d8
	s_load_dwordx2 s[8:9], s[2:3], 0xd0
                                        ; kill: killed $sgpr2 killed $sgpr3
	s_add_u32 s3, s4, 0x340
	s_addc_u32 s11, s5, 0
	s_waitcnt lgkmcnt(0)
	s_cmp_lt_i32 s14, 2
	v_writelane_b32 v56, s8, 2
	v_writelane_b32 v56, s9, 3
	s_mov_b64 s[8:9], 0
	s_cbranch_scc1 .LBB87_25
; %bb.18:
	s_mov_b32 s2, 0
	s_add_i32 s8, s14, -1
	s_mov_b32 s9, s2
	s_add_i32 s7, s14, 1
	s_lshl_b64 s[8:9], s[8:9], 3
	s_add_u32 s3, s3, s8
	s_addc_u32 s8, s11, s9
	s_add_u32 s14, s3, 8
	s_addc_u32 s15, s8, 0
	s_mov_b64 s[8:9], 0
.LBB87_19:                              ; =>This Inner Loop Header: Depth=1
	s_load_dwordx2 s[16:17], s[14:15], 0x0
	s_waitcnt lgkmcnt(0)
	s_or_b64 s[18:19], s[0:1], s[16:17]
	s_mov_b32 s3, s19
	s_cmp_lg_u64 s[2:3], 0
	s_cbranch_scc0 .LBB87_24
; %bb.20:                               ;   in Loop: Header=BB87_19 Depth=1
	v_cvt_f32_u32_e32 v1, s16
	v_cvt_f32_u32_e32 v2, s17
	s_sub_u32 s3, 0, s16
	s_subb_u32 s11, 0, s17
	v_mac_f32_e32 v1, 0x4f800000, v2
	v_rcp_f32_e32 v1, v1
	v_mul_f32_e32 v1, 0x5f7ffffc, v1
	v_mul_f32_e32 v2, 0x2f800000, v1
	v_trunc_f32_e32 v2, v2
	v_mac_f32_e32 v1, 0xcf800000, v2
	v_cvt_u32_f32_e32 v2, v2
	v_cvt_u32_f32_e32 v1, v1
	v_readfirstlane_b32 s20, v2
	v_readfirstlane_b32 s18, v1
	s_mul_i32 s19, s3, s20
	s_mul_hi_u32 s33, s3, s18
	s_mul_i32 s21, s11, s18
	s_add_i32 s19, s33, s19
	s_mul_i32 s34, s3, s18
	s_add_i32 s19, s19, s21
	s_mul_i32 s33, s18, s19
	s_mul_hi_u32 s35, s18, s34
	s_mul_hi_u32 s21, s18, s19
	s_add_u32 s33, s35, s33
	s_addc_u32 s21, 0, s21
	s_mul_hi_u32 s38, s20, s34
	s_mul_i32 s34, s20, s34
	s_add_u32 s33, s33, s34
	s_mul_hi_u32 s35, s20, s19
	s_addc_u32 s21, s21, s38
	s_addc_u32 s33, s35, 0
	s_mul_i32 s19, s20, s19
	s_add_u32 s19, s21, s19
	s_addc_u32 s21, 0, s33
	s_add_u32 s33, s18, s19
	s_cselect_b64 s[18:19], -1, 0
	s_cmp_lg_u64 s[18:19], 0
	s_addc_u32 s20, s20, s21
	s_mul_i32 s18, s3, s20
	s_mul_hi_u32 s19, s3, s33
	s_add_i32 s18, s19, s18
	s_mul_i32 s11, s11, s33
	s_add_i32 s18, s18, s11
	s_mul_i32 s3, s3, s33
	s_mul_hi_u32 s19, s20, s3
	s_mul_i32 s21, s20, s3
	s_mul_i32 s35, s33, s18
	s_mul_hi_u32 s3, s33, s3
	s_mul_hi_u32 s34, s33, s18
	s_add_u32 s3, s3, s35
	s_addc_u32 s34, 0, s34
	s_add_u32 s3, s3, s21
	s_mul_hi_u32 s11, s20, s18
	s_addc_u32 s3, s34, s19
	s_addc_u32 s11, s11, 0
	s_mul_i32 s18, s20, s18
	s_add_u32 s3, s3, s18
	s_addc_u32 s11, 0, s11
	s_add_u32 s3, s33, s3
	s_cselect_b64 s[18:19], -1, 0
	s_cmp_lg_u64 s[18:19], 0
	s_addc_u32 s11, s20, s11
	s_mul_i32 s19, s0, s11
	s_mul_hi_u32 s20, s0, s3
	s_mul_hi_u32 s18, s0, s11
	s_add_u32 s19, s20, s19
	s_addc_u32 s18, 0, s18
	s_mul_hi_u32 s21, s1, s3
	s_mul_i32 s3, s1, s3
	s_add_u32 s3, s19, s3
	s_mul_hi_u32 s20, s1, s11
	s_addc_u32 s3, s18, s21
	s_addc_u32 s18, s20, 0
	s_mul_i32 s11, s1, s11
	s_add_u32 s3, s3, s11
	s_addc_u32 s11, 0, s18
	s_mul_i32 s18, s16, s11
	s_mul_hi_u32 s19, s16, s3
	s_add_i32 s18, s19, s18
	s_mul_i32 s19, s17, s3
	s_add_i32 s33, s18, s19
	s_sub_i32 s20, s1, s33
	s_mul_i32 s18, s16, s3
	s_sub_u32 s34, s0, s18
	s_cselect_b64 s[18:19], -1, 0
	s_cmp_lg_u64 s[18:19], 0
	s_subb_u32 s35, s20, s17
	s_sub_u32 s38, s34, s16
	s_cselect_b64 s[20:21], -1, 0
	s_cmp_lg_u64 s[20:21], 0
	s_subb_u32 s20, s35, 0
	s_cmp_ge_u32 s20, s17
	s_cselect_b32 s21, -1, 0
	s_cmp_ge_u32 s38, s16
	s_cselect_b32 s35, -1, 0
	s_cmp_eq_u32 s20, s17
	s_cselect_b32 s20, s35, s21
	s_add_u32 s21, s3, 1
	s_addc_u32 s35, s11, 0
	s_add_u32 s38, s3, 2
	s_addc_u32 s39, s11, 0
	s_cmp_lg_u32 s20, 0
	s_cselect_b32 s20, s38, s21
	s_cselect_b32 s21, s39, s35
	s_cmp_lg_u64 s[18:19], 0
	s_subb_u32 s18, s1, s33
	s_cmp_ge_u32 s18, s17
	s_cselect_b32 s19, -1, 0
	s_cmp_ge_u32 s34, s16
	s_cselect_b32 s33, -1, 0
	s_cmp_eq_u32 s18, s17
	s_cselect_b32 s18, s33, s19
	s_cmp_lg_u32 s18, 0
	s_cselect_b32 s19, s21, s11
	s_cselect_b32 s18, s20, s3
	s_cbranch_execnz .LBB87_22
.LBB87_21:                              ;   in Loop: Header=BB87_19 Depth=1
	v_cvt_f32_u32_e32 v1, s16
	s_sub_i32 s3, 0, s16
	v_rcp_iflag_f32_e32 v1, v1
	v_mul_f32_e32 v1, 0x4f7ffffe, v1
	v_cvt_u32_f32_e32 v1, v1
	v_readfirstlane_b32 s11, v1
	s_mul_i32 s3, s3, s11
	s_mul_hi_u32 s3, s11, s3
	s_add_i32 s11, s11, s3
	s_mul_hi_u32 s3, s0, s11
	s_mul_i32 s18, s3, s16
	s_sub_i32 s18, s0, s18
	s_add_i32 s11, s3, 1
	s_sub_i32 s19, s18, s16
	s_cmp_ge_u32 s18, s16
	s_cselect_b32 s3, s11, s3
	s_cselect_b32 s18, s19, s18
	s_add_i32 s11, s3, 1
	s_cmp_ge_u32 s18, s16
	s_cselect_b32 s18, s11, s3
	s_mov_b32 s19, s2
.LBB87_22:                              ;   in Loop: Header=BB87_19 Depth=1
	s_mul_i32 s3, s18, s17
	s_mul_hi_u32 s11, s18, s16
	s_load_dwordx2 s[20:21], s[14:15], 0xc8
	s_add_i32 s3, s11, s3
	s_mul_i32 s11, s19, s16
	s_add_i32 s3, s3, s11
	s_mul_i32 s11, s18, s16
	s_sub_u32 s0, s0, s11
	s_subb_u32 s1, s1, s3
	s_waitcnt lgkmcnt(0)
	s_mul_i32 s1, s20, s1
	s_mul_hi_u32 s3, s20, s0
	s_add_i32 s1, s3, s1
	s_mul_i32 s3, s21, s0
	s_add_i32 s1, s1, s3
	s_mul_i32 s0, s20, s0
	s_add_u32 s8, s0, s8
	s_addc_u32 s9, s1, s9
	s_add_i32 s7, s7, -1
	s_add_u32 s14, s14, -8
	s_addc_u32 s15, s15, -1
	s_cmp_gt_u32 s7, 2
	s_cbranch_scc0 .LBB87_26
; %bb.23:                               ;   in Loop: Header=BB87_19 Depth=1
	s_mov_b64 s[0:1], s[18:19]
	s_branch .LBB87_19
.LBB87_24:                              ;   in Loop: Header=BB87_19 Depth=1
                                        ; implicit-def: $sgpr18_sgpr19
	s_branch .LBB87_21
.LBB87_25:
	s_mov_b64 s[18:19], s[0:1]
.LBB87_26:
	v_cmp_eq_u32_e64 s[56:57], 0, v0
	s_and_saveexec_b64 s[2:3], s[56:57]
; %bb.27:
	v_mov_b32_e32 v1, 0
	v_mov_b32_e32 v2, v1
	ds_write_b64 v1, v[1:2] offset:5136
; %bb.28:
	s_or_b64 exec, exec, s[2:3]
	v_mov_b32_e32 v1, 0
	s_load_dword s0, s[4:5], 0x4f8
	s_waitcnt lgkmcnt(0)
	s_barrier
	s_barrier
	ds_read_b64 v[1:2], v1 offset:5136
	s_load_dwordx2 s[2:3], s[4:5], 0x410
	s_load_dwordx2 s[14:15], s[4:5], 0x340
	s_bitcmp1_b32 s0, 0
	s_cselect_b64 s[0:1], -1, 0
	v_mov_b32_e32 v27, s25
	s_waitcnt lgkmcnt(0)
	v_cmp_gt_i64_e32 vcc, 1, v[1:2]
	v_mov_b32_e32 v26, s24
	s_or_b64 s[0:1], s[0:1], vcc
	s_andn2_b64 vcc, exec, s[0:1]
	s_cbranch_vccnz .LBB87_30
; %bb.29:
	v_not_b32_e32 v1, v1
	v_not_b32_e32 v2, v2
	v_mov_b32_e32 v3, s25
	v_add_co_u32_e32 v1, vcc, s24, v1
	v_addc_co_u32_e32 v2, vcc, v3, v2, vcc
	v_lshrrev_b64 v[1:2], 1, v[1:2]
	v_add_co_u32_e32 v26, vcc, 1, v1
	v_addc_co_u32_e32 v27, vcc, 0, v2, vcc
.LBB87_30:
	s_load_dwordx2 s[0:1], s[4:5], 0x0
                                        ; kill: killed $sgpr4 killed $sgpr5
	s_waitcnt lgkmcnt(0)
	v_writelane_b32 v56, s0, 4
	v_writelane_b32 v56, s1, 5
	s_load_dwordx2 s[0:1], s[4:5], 0x1a0
	s_waitcnt lgkmcnt(0)
	v_writelane_b32 v56, s0, 6
	v_writelane_b32 v56, s1, 7
	s_and_saveexec_b64 s[4:5], s[56:57]
	s_cbranch_execz .LBB87_32
; %bb.31:
	v_mov_b32_e32 v1, 0
	v_mov_b32_e32 v3, s24
	;; [unrolled: 1-line block ×4, first 2 shown]
	ds_write_b32 v1, v1 offset:5144
	ds_write_b128 v1, v[1:4] offset:5120
.LBB87_32:
	s_or_b64 exec, exec, s[4:5]
	s_mul_i32 s0, s2, s19
	s_mul_hi_u32 s1, s2, s18
	s_add_i32 s0, s1, s0
	s_mul_i32 s1, s3, s18
	s_add_i32 s4, s0, s1
	s_mul_i32 s5, s2, s18
	s_add_u32 s0, s14, s5
	s_addc_u32 s1, s15, s4
	s_add_u32 s44, s0, s8
	s_addc_u32 s45, s1, s9
	v_mad_u64_u32 v[4:5], s[0:1], s26, v0, 0
	v_mbcnt_lo_u32_b32 v1, -1, 0
	v_mbcnt_hi_u32_b32 v32, -1, v1
	v_mov_b32_e32 v1, v5
	v_cmp_gt_u32_e32 vcc, 64, v0
	v_cmp_gt_i32_e64 s[2:3], 4, v32
	v_mad_u64_u32 v[1:2], s[0:1], s27, v0, v[1:2]
	v_mov_b32_e32 v5, 0xc00
	s_and_b64 s[0:1], vcc, s[2:3]
	v_mov_b32_e32 v6, 0
	v_writelane_b32 v56, s0, 8
	v_writelane_b32 v56, s1, 9
	v_cmp_gt_u64_e64 s[0:1], s[24:25], v[5:6]
	s_waitcnt lgkmcnt(0)
	v_writelane_b32 v56, s0, 10
	s_barrier
	v_writelane_b32 v56, s1, 11
	s_load_dword s0, s[12:13], 0xc
	v_mov_b32_e32 v2, s45
	v_add_co_u32_e32 v14, vcc, s44, v4
	v_mov_b32_e32 v3, 0
	s_waitcnt lgkmcnt(0)
	s_and_b32 s33, s0, 0xffff
	s_bfe_u32 s1, s0, 0xa0006
	s_cmp_gt_u32 s33, 63
	s_cselect_b64 s[2:3], -1, 0
	v_writelane_b32 v56, s2, 12
	s_add_u32 s0, s33, -1
	v_writelane_b32 v56, s3, 13
	s_addc_u32 s2, 0, -1
	v_addc_co_u32_e32 v15, vcc, v2, v1, vcc
	v_writelane_b32 v56, s0, 14
	s_add_u32 s0, s0, s24
	v_add_u32_e32 v2, 2, v0
	s_addc_u32 s51, s2, s25
	v_cmp_gt_u64_e32 vcc, s[24:25], v[2:3]
	s_cmp_lt_u32 s6, s10
	v_mov_b32_e32 v6, s25
	v_writelane_b32 v56, s2, 15
	s_cselect_b32 s2, 12, 18
	v_cndmask_b32_e32 v7, 0, v6, vcc
	v_mov_b32_e32 v6, s24
	s_add_u32 s2, s12, s2
	v_cndmask_b32_e32 v2, v2, v6, vcc
	v_not_b32_e32 v6, v0
	s_addc_u32 s3, s13, 0
	v_add_co_u32_e32 v6, vcc, v2, v6
	v_writelane_b32 v56, s2, 16
	v_addc_co_u32_e32 v7, vcc, -1, v7, vcc
	v_writelane_b32 v56, s3, 17
	v_cmp_lt_u64_e64 s[2:3], 3, v[6:7]
	v_and_b32_e32 v18, -4, v6
	v_writelane_b32 v56, s2, 18
	v_mov_b32_e32 v19, v7
	v_writelane_b32 v56, s3, 19
	v_cmp_ne_u64_e64 s[2:3], v[6:7], v[18:19]
	v_lshlrev_b32_e32 v16, 2, v0
	v_writelane_b32 v56, s2, 20
	v_writelane_b32 v56, s3, 21
	s_add_i32 s2, s1, -1
	s_bfe_u32 s3, s33, 0x30006
	s_and_b32 s2, s2, 0xffff
	s_cmp_gt_u32 s2, 6
	s_cselect_b64 s[6:7], -1, 0
	v_writelane_b32 v56, s6, 22
	s_and_b32 s1, s1, 0x3f8
	v_writelane_b32 v56, s7, 23
	s_cmp_lg_u32 s3, 0
	v_writelane_b32 v56, s3, 24
	s_cselect_b64 s[2:3], -1, 0
	v_writelane_b32 v56, s2, 25
	v_or_b32_e32 v6, 3, v16
	v_writelane_b32 v56, s3, 26
	v_mad_u64_u32 v[20:21], s[2:3], s26, v6, 0
	s_add_u32 s5, s8, s5
	s_addc_u32 s2, s9, s4
	s_add_u32 s4, s14, s5
	v_or_b32_e32 v11, 2, v16
	s_addc_u32 s5, s15, s2
	v_mov_b32_e32 v2, v21
	v_mad_u64_u32 v[21:22], s[2:3], s26, v11, 0
	v_mov_b32_e32 v9, s26
	v_mad_u64_u32 v[6:7], s[2:3], s27, v6, v[2:3]
	v_mov_b32_e32 v2, s5
	v_writelane_b32 v56, s4, 27
	v_add_co_u32_e32 v12, vcc, s4, v4
	v_mov_b32_e32 v10, s27
	v_mov_b32_e32 v5, v1
	v_addc_co_u32_e32 v13, vcc, v2, v1, vcc
	v_mov_b32_e32 v1, v22
	v_mad_u64_u32 v[22:23], s[2:3], s26, v16, v[9:10]
	v_mad_u64_u32 v[1:2], s[2:3], s27, v11, v[1:2]
	v_lshlrev_b64 v[7:8], v32, -1
	v_mov_b32_e32 v2, v23
	v_not_b32_e32 v33, v8
	v_mad_u64_u32 v[8:9], s[2:3], s27, v16, v[2:3]
	v_mov_b32_e32 v36, v1
	v_mov_b32_e32 v1, v3
	v_cmp_gt_u64_e64 s[2:3], s[24:25], v[0:1]
	v_writelane_b32 v56, s5, 28
	v_writelane_b32 v56, s2, 29
	;; [unrolled: 1-line block ×3, first 2 shown]
	v_cmp_gt_u32_e64 s[2:3], 2, v0
	v_writelane_b32 v56, s2, 31
	v_writelane_b32 v56, s3, 32
	v_lshlrev_b32_e32 v2, 2, v32
	s_mov_b32 s2, s27
	v_and_b32_e32 v38, 0x100, v2
	v_lshrrev_b32_e32 v2, 1, v0
	v_writelane_b32 v56, s2, 33
	s_lshl_b64 s[2:3], s[26:27], 2
	v_and_b32_e32 v2, 0x1e0, v2
	v_writelane_b32 v56, s2, 34
	v_or_b32_e32 v39, 0xc00, v2
	s_mov_b32 s50, s27
	v_writelane_b32 v56, s3, 35
	v_lshlrev_b64 v[23:24], 2, v[4:5]
	v_mov_b32_e32 v2, 0xc00
	s_mul_i32 s2, s27, s33
	s_mul_hi_u32 s3, s26, s33
	v_not_b32_e32 v34, v7
	v_mov_b32_e32 v35, v6
	v_mov_b32_e32 v37, v8
	s_mov_b32 s61, 0
	v_cmp_eq_u32_e64 s[10:11], 0, v32
	v_mov_b32_e32 v17, v3
	s_mov_b32 s12, s26
	s_mov_b32 s13, s26
	;; [unrolled: 1-line block ×5, first 2 shown]
	v_lshl_or_b32 v40, v32, 3, v2
	s_add_i32 s48, s3, s2
	s_mul_i32 s49, s26, s33
	s_mov_b64 s[64:65], 0
	s_movk_i32 s46, 0x80
	s_mov_b32 s47, 0
	v_mov_b32_e32 v42, 0x4f800000
	v_mov_b32_e32 v43, 8
	;; [unrolled: 1-line block ×5, first 2 shown]
	v_add_co_u32_e32 v25, vcc, v18, v0
	v_writelane_b32 v56, s50, 36
                                        ; implicit-def: $sgpr66_sgpr67
                                        ; implicit-def: $sgpr70_sgpr71
                                        ; implicit-def: $sgpr68_sgpr69
                                        ; implicit-def: $sgpr74_sgpr75
                                        ; implicit-def: $sgpr76_sgpr77
                                        ; implicit-def: $sgpr72_sgpr73
	v_writelane_b32 v56, s60, 37
	s_branch .LBB87_36
.LBB87_33:                              ;   in Loop: Header=BB87_36 Depth=1
	s_or_b64 exec, exec, s[16:17]
	s_and_b64 s[6:7], s[6:7], exec
	s_andn2_b64 s[82:83], s[82:83], exec
	s_andn2_b64 s[14:15], s[14:15], exec
	s_orn2_b64 s[20:21], s[8:9], exec
.LBB87_34:                              ;   in Loop: Header=BB87_36 Depth=1
	s_or_b64 exec, exec, s[4:5]
	s_andn2_b64 s[2:3], s[72:73], exec
	s_and_b64 s[4:5], s[6:7], exec
	s_or_b64 s[72:73], s[2:3], s[4:5]
	s_andn2_b64 s[2:3], s[76:77], exec
	s_and_b64 s[4:5], s[82:83], exec
	s_or_b64 s[76:77], s[2:3], s[4:5]
	;; [unrolled: 3-line block ×3, first 2 shown]
	s_orn2_b64 s[14:15], s[20:21], exec
.LBB87_35:                              ;   in Loop: Header=BB87_36 Depth=1
	s_or_b64 exec, exec, s[18:19]
	s_and_b64 s[2:3], exec, s[14:15]
	s_or_b64 s[64:65], s[2:3], s[64:65]
	s_andn2_b64 s[2:3], s[68:69], exec
	s_and_b64 s[4:5], s[72:73], exec
	s_or_b64 s[68:69], s[2:3], s[4:5]
	s_andn2_b64 s[2:3], s[70:71], exec
	s_and_b64 s[4:5], s[76:77], exec
	s_or_b64 s[70:71], s[2:3], s[4:5]
	s_andn2_b64 s[2:3], s[66:67], exec
	s_and_b64 s[4:5], s[74:75], exec
	v_mov_b32_e32 v27, v9
	s_or_b64 s[66:67], s[2:3], s[4:5]
	v_mov_b32_e32 v26, v8
	s_andn2_b64 exec, exec, s[64:65]
	s_cbranch_execz .LBB87_303
.LBB87_36:                              ; =>This Loop Header: Depth=1
                                        ;     Child Loop BB87_41 Depth 2
                                        ;     Child Loop BB87_55 Depth 2
	;; [unrolled: 1-line block ×17, first 2 shown]
	ds_read_b128 v[4:7], v3 offset:5120
	s_waitcnt lgkmcnt(0)
	v_readfirstlane_b32 s79, v5
	v_readfirstlane_b32 s78, v4
	s_cmp_lg_u64 s[78:79], 0
	s_cbranch_scc1 .LBB87_68
; %bb.37:                               ;   in Loop: Header=BB87_36 Depth=1
	v_readlane_b32 s2, v56, 10
	v_readlane_b32 s3, v56, 11
	s_and_b64 vcc, exec, s[2:3]
	s_cbranch_vccz .LBB87_49
; %bb.38:                               ;   in Loop: Header=BB87_36 Depth=1
	s_mov_b64 s[2:3], 0xc01
	v_cmp_gt_u64_e32 vcc, s[2:3], v[6:7]
	s_mov_b64 s[6:7], 0
	s_mov_b64 s[4:5], 0
	s_cbranch_vccz .LBB87_50
; %bb.39:                               ;   in Loop: Header=BB87_36 Depth=1
	v_readlane_b32 s2, v56, 16
	v_readlane_b32 s3, v56, 17
	s_nop 4
	global_load_ushort v6, v3, s[2:3]
	global_load_ubyte v2, v[14:15], off
	v_readlane_b32 s2, v56, 27
	v_readlane_b32 s3, v56, 28
	v_mov_b32_e32 v5, s3
	v_mov_b32_e32 v4, s2
	s_mov_b64 s[18:19], 0
	s_waitcnt vmcnt(1)
	v_and_b32_e32 v8, 0xffff, v6
	v_readfirstlane_b32 s4, v6
	v_add_co_u32_e32 v6, vcc, v0, v8
	v_addc_co_u32_e64 v7, s[2:3], 0, 0, vcc
	v_mul_lo_u32 v7, s26, v7
	v_mul_lo_u32 v9, s27, v6
	v_mad_u64_u32 v[4:5], s[2:3], s26, v6, v[4:5]
	s_and_b32 s4, 0xffff, s4
	s_mul_i32 s2, s27, s4
	s_mul_hi_u32 s3, s26, s4
	v_add3_u32 v5, v9, v5, v7
	v_mov_b32_e32 v7, v1
	s_mul_i32 s20, s26, s4
	s_add_i32 s21, s3, s2
	v_mov_b32_e32 v6, v0
	s_branch .LBB87_41
.LBB87_40:                              ;   in Loop: Header=BB87_41 Depth=2
	s_or_b64 exec, exec, s[2:3]
	v_mov_b32_e32 v2, s21
	v_add_co_u32_e32 v4, vcc, s20, v4
	v_addc_co_u32_e32 v5, vcc, v5, v2, vcc
	v_mov_b32_e32 v2, v9
	s_andn2_b64 exec, exec, s[18:19]
	s_cbranch_execz .LBB87_128
.LBB87_41:                              ;   Parent Loop BB87_36 Depth=1
                                        ; =>  This Inner Loop Header: Depth=2
	v_add_co_u32_e32 v6, vcc, v6, v8
	v_addc_co_u32_e32 v7, vcc, 0, v7, vcc
	v_cmp_gt_u64_e64 s[14:15], s[24:25], v[6:7]
	v_cmp_le_u64_e32 vcc, s[24:25], v[6:7]
	s_waitcnt lgkmcnt(0)
	v_mov_b32_e32 v10, 0
	v_mov_b32_e32 v9, 0
	s_and_saveexec_b64 s[2:3], s[14:15]
	s_cbranch_execz .LBB87_43
; %bb.42:                               ;   in Loop: Header=BB87_41 Depth=2
	global_load_ubyte v9, v[4:5], off
.LBB87_43:                              ;   in Loop: Header=BB87_41 Depth=2
	s_or_b64 exec, exec, s[2:3]
	s_waitcnt vmcnt(0)
	v_add_u32_sdwa v11, sext(v2), s46 dst_sel:DWORD dst_unused:UNUSED_PAD src0_sel:BYTE_0 src1_sel:DWORD
	v_and_b32_e32 v11, v11, v44
	v_cmp_eq_u32_e64 s[14:15], v11, v41
	s_cmp_lg_u64 s[14:15], 0
	s_cselect_b64 s[2:3], -1, 0
	s_and_b64 s[2:3], s[10:11], s[2:3]
	s_and_saveexec_b64 s[4:5], s[2:3]
	s_cbranch_execz .LBB87_47
; %bb.44:                               ;   in Loop: Header=BB87_41 Depth=2
	s_mov_b64 s[8:9], exec
	v_mbcnt_lo_u32_b32 v10, s8, 0
	v_mbcnt_hi_u32_b32 v10, s9, v10
	s_bcnt1_i32_b64 s34, s[14:15]
	v_cmp_eq_u32_e64 s[16:17], 0, v10
                                        ; implicit-def: $vgpr11
	s_and_saveexec_b64 s[2:3], s[16:17]
; %bb.45:                               ;   in Loop: Header=BB87_41 Depth=2
	s_bcnt1_i32_b64 s8, s[8:9]
	s_mul_i32 s8, s34, s8
	v_mov_b32_e32 v11, s8
	ds_add_rtn_u32 v11, v3, v11 offset:5144
; %bb.46:                               ;   in Loop: Header=BB87_41 Depth=2
	s_or_b64 exec, exec, s[2:3]
	s_waitcnt lgkmcnt(0)
	v_readfirstlane_b32 s2, v11
	v_mov_b32_e32 v11, s2
	v_mad_u32_u24 v10, s34, v10, v11
.LBB87_47:                              ;   in Loop: Header=BB87_41 Depth=2
	s_or_b64 exec, exec, s[4:5]
	ds_bpermute_b32 v10, v38, v10
	s_and_b64 s[2:3], exec, vcc
	s_or_b64 s[18:19], s[2:3], s[18:19]
	s_and_saveexec_b64 s[2:3], s[14:15]
	s_cbranch_execz .LBB87_40
; %bb.48:                               ;   in Loop: Header=BB87_41 Depth=2
	v_and_b32_e32 v28, s14, v34
	v_and_b32_e32 v11, s15, v33
	v_bcnt_u32_b32 v28, v28, 0
	v_bcnt_u32_b32 v11, v11, v28
	s_waitcnt lgkmcnt(0)
	v_add_u32_e32 v10, v10, v11
	ds_write_b8 v10, v2
	s_branch .LBB87_40
.LBB87_49:                              ;   in Loop: Header=BB87_36 Depth=1
	s_mov_b64 s[6:7], -1
	s_mov_b64 s[4:5], 0
.LBB87_50:                              ;   in Loop: Header=BB87_36 Depth=1
	s_and_b64 vcc, exec, s[6:7]
	s_cbranch_vccz .LBB87_66
.LBB87_51:                              ;   in Loop: Header=BB87_36 Depth=1
	s_mov_b64 s[16:17], exec
	v_readlane_b32 s2, v56, 29
	v_readlane_b32 s3, v56, 30
	s_and_b64 s[2:3], s[16:17], s[2:3]
	s_mov_b64 exec, s[2:3]
	s_cbranch_execz .LBB87_63
; %bb.52:                               ;   in Loop: Header=BB87_36 Depth=1
	v_readlane_b32 s2, v56, 16
	v_readlane_b32 s3, v56, 17
	s_nop 4
	global_load_ushort v2, v3, s[2:3]
	global_load_ubyte v30, v[14:15], off
	v_mov_b32_e32 v10, v0
	s_waitcnt vmcnt(1)
	v_readfirstlane_b32 s2, v2
	v_add_u32_sdwa v2, v2, v0 dst_sel:DWORD dst_unused:UNUSED_PAD src0_sel:WORD_0 src1_sel:DWORD
	v_cmp_gt_u64_e32 vcc, s[24:25], v[2:3]
	s_and_saveexec_b64 s[18:19], vcc
	s_cbranch_execz .LBB87_62
; %bb.53:                               ;   in Loop: Header=BB87_36 Depth=1
	s_and_b32 s2, s2, 0xffff
	s_cmp_eq_u32 s2, 1
	v_readlane_b32 s6, v56, 18
	s_cselect_b64 s[4:5], -1, 0
	v_readlane_b32 s7, v56, 19
	v_mov_b32_e32 v9, v1
	v_mov_b32_e32 v5, v3
	s_and_b64 s[8:9], s[6:7], s[4:5]
	s_mov_b64 s[4:5], -1
	v_mov_b32_e32 v8, v0
	v_mov_b32_e32 v4, v2
                                        ; implicit-def: $vgpr10_vgpr11
	s_and_saveexec_b64 s[6:7], s[8:9]
	s_cbranch_execz .LBB87_57
; %bb.54:                               ;   in Loop: Header=BB87_36 Depth=1
	v_add_co_u32_e32 v8, vcc, 3, v2
	v_addc_co_u32_e64 v9, s[4:5], 0, 0, vcc
	v_add_co_u32_e32 v6, vcc, 2, v2
	v_addc_co_u32_e64 v7, s[4:5], 0, 0, vcc
	;; [unrolled: 2-line block ×3, first 2 shown]
	v_mov_b32_e32 v29, v19
	v_mov_b32_e32 v11, v9
	s_waitcnt vmcnt(0)
	v_lshlrev_b32_e32 v46, 24, v30
	s_mov_b64 s[14:15], 0
	v_mov_b32_e32 v28, v18
	v_mov_b32_e32 v31, v0
	;; [unrolled: 1-line block ×9, first 2 shown]
	v_readlane_b32 s8, v56, 33
	s_mov_b32 s9, 0xc0c0004
.LBB87_55:                              ;   Parent Loop BB87_36 Depth=1
                                        ; =>  This Inner Loop Header: Depth=2
	v_mul_lo_u32 v30, v9, s13
	v_mul_lo_u32 v49, v8, s60
	v_mad_u64_u32 v[47:48], s[4:5], v8, s13, 0
	v_mul_lo_u32 v50, v7, s12
	v_mul_lo_u32 v51, v6, s50
	v_add3_u32 v30, v48, v49, v30
	v_mad_u64_u32 v[48:49], s[4:5], v6, s12, 0
	v_mul_lo_u32 v53, v4, s27
	v_mul_lo_u32 v55, v11, s62
	v_add3_u32 v52, v49, v51, v50
	v_mul_lo_u32 v51, v5, s26
	v_mad_u64_u32 v[49:50], s[4:5], v4, s26, 0
	s_mov_b32 s3, 0xc0c0007
	v_add3_u32 v50, v50, v53, v51
	v_add_co_u32_e32 v49, vcc, s44, v49
	v_mov_b32_e32 v53, s45
	v_addc_co_u32_e32 v50, vcc, v53, v50, vcc
	v_add_co_u32_e32 v51, vcc, s44, v48
	v_addc_co_u32_e32 v52, vcc, v53, v52, vcc
	v_add_co_u32_e32 v47, vcc, s44, v47
	v_addc_co_u32_e32 v48, vcc, v53, v30, vcc
	v_mov_b32_e32 v54, s45
	v_mov_b32_e32 v53, s44
	v_mad_u64_u32 v[53:54], s[4:5], v10, s62, v[53:54]
	v_mul_lo_u32 v30, v10, s8
	v_add_co_u32_e32 v10, vcc, 4, v10
	v_addc_co_u32_e32 v11, vcc, 0, v11, vcc
	v_add3_u32 v54, v55, v54, v30
	global_load_ubyte v30, v[53:54], off
	s_nop 0
	global_load_ubyte v51, v[51:52], off
	s_nop 0
	global_load_ubyte v49, v[49:50], off
	v_add_co_u32_e32 v8, vcc, 4, v8
	global_load_ubyte v47, v[47:48], off
	v_addc_co_u32_e32 v9, vcc, 0, v9, vcc
	v_add_co_u32_e32 v6, vcc, 4, v6
	v_addc_co_u32_e32 v7, vcc, 0, v7, vcc
	v_add_co_u32_e32 v4, vcc, 4, v4
	v_addc_co_u32_e32 v5, vcc, 0, v5, vcc
	v_add_co_u32_e32 v28, vcc, -4, v28
	v_addc_co_u32_e32 v29, vcc, -1, v29, vcc
	v_cmp_eq_u64_e32 vcc, 0, v[28:29]
	s_or_b64 s[14:15], vcc, s[14:15]
	s_waitcnt vmcnt(1)
	v_perm_b32 v50, v49, v51, s9
	v_perm_b32 v46, v46, v49, s3
	s_waitcnt vmcnt(0)
	v_perm_b32 v48, v47, v30, s9
	v_perm_b32 v47, v51, v47, s9
	v_lshl_or_b32 v48, v48, 16, v50
	v_lshl_or_b32 v46, v47, 16, v46
	ds_write_b32 v31, v46
	v_add_u32_e32 v31, 4, v31
	v_mov_b32_e32 v46, v48
	s_andn2_b64 exec, exec, s[14:15]
	s_cbranch_execnz .LBB87_55
; %bb.56:                               ;   in Loop: Header=BB87_36 Depth=1
	s_or_b64 exec, exec, s[14:15]
	v_readlane_b32 s4, v56, 20
	v_add_co_u32_e32 v4, vcc, v2, v18
	v_readlane_b32 s5, v56, 21
	v_addc_co_u32_e32 v5, vcc, 0, v19, vcc
	v_add_co_u32_e32 v10, vcc, -1, v4
	s_orn2_b64 s[4:5], s[4:5], exec
	v_mov_b32_e32 v8, v25
	v_mov_b32_e32 v9, v26
.LBB87_57:                              ;   in Loop: Header=BB87_36 Depth=1
	s_or_b64 exec, exec, s[6:7]
	s_and_saveexec_b64 s[6:7], s[4:5]
	s_cbranch_execz .LBB87_61
; %bb.58:                               ;   in Loop: Header=BB87_36 Depth=1
	v_readlane_b32 s4, v56, 27
	v_readlane_b32 s5, v56, 28
	v_mov_b32_e32 v7, s5
	v_mov_b32_e32 v6, s4
	v_mad_u64_u32 v[6:7], s[4:5], s26, v4, v[6:7]
	v_mul_lo_u32 v2, s26, v5
	v_mul_lo_u32 v9, s27, v4
	s_mul_i32 s8, s27, s2
	s_mul_hi_u32 s9, s26, s2
	s_mov_b64 s[4:5], 0
	s_sub_u32 s3, 0, s2
	v_add3_u32 v7, v9, v7, v2
	s_add_i32 s8, s9, s8
	s_mul_i32 s9, s26, s2
.LBB87_59:                              ;   Parent Loop BB87_36 Depth=1
                                        ; =>  This Inner Loop Header: Depth=2
	global_load_ubyte v2, v[6:7], off
	v_mov_b32_e32 v10, v5
	v_mov_b32_e32 v9, v4
	s_waitcnt vmcnt(1)
	ds_write_b8 v8, v30
	v_mov_b32_e32 v8, s8
	v_add_co_u32_e32 v6, vcc, s9, v6
	v_add_co_u32_e64 v4, s[14:15], s2, v9
	v_addc_co_u32_e64 v5, s[14:15], 0, v10, s[14:15]
	v_addc_co_u32_e32 v7, vcc, v7, v8, vcc
	v_cmp_le_u64_e32 vcc, s[24:25], v[4:5]
	v_mov_b32_e32 v8, v9
	v_mov_b32_e32 v9, v10
	v_add_co_u32_e64 v10, s[14:15], s3, v4
	s_or_b64 s[4:5], vcc, s[4:5]
	s_waitcnt vmcnt(0)
	v_mov_b32_e32 v30, v2
	s_andn2_b64 exec, exec, s[4:5]
	s_cbranch_execnz .LBB87_59
; %bb.60:                               ;   in Loop: Header=BB87_36 Depth=1
	s_or_b64 exec, exec, s[4:5]
	v_mov_b32_e32 v30, v2
.LBB87_61:                              ;   in Loop: Header=BB87_36 Depth=1
	s_or_b64 exec, exec, s[6:7]
.LBB87_62:                              ;   in Loop: Header=BB87_36 Depth=1
	s_or_b64 exec, exec, s[18:19]
	s_waitcnt vmcnt(0)
	ds_write_b8 v10, v30
.LBB87_63:                              ;   in Loop: Header=BB87_36 Depth=1
	s_or_b64 exec, exec, s[16:17]
	s_waitcnt lgkmcnt(0)
	s_barrier
	s_and_saveexec_b64 s[2:3], s[56:57]
; %bb.64:                               ;   in Loop: Header=BB87_36 Depth=1
	v_mov_b32_e32 v4, s24
	v_mov_b32_e32 v5, s25
	ds_write_b64 v3, v[4:5] offset:5120
; %bb.65:                               ;   in Loop: Header=BB87_36 Depth=1
	s_or_b64 exec, exec, s[2:3]
	s_waitcnt lgkmcnt(0)
	s_barrier
	s_mov_b64 s[4:5], -1
.LBB87_66:                              ;   in Loop: Header=BB87_36 Depth=1
	s_mov_b64 s[78:79], 0
	s_and_b64 vcc, exec, s[4:5]
	s_cbranch_vccz .LBB87_68
; %bb.67:                               ;   in Loop: Header=BB87_36 Depth=1
	ds_read_b64 v[4:5], v3 offset:5120
	s_waitcnt lgkmcnt(0)
	v_readfirstlane_b32 s78, v4
.LBB87_68:                              ;   in Loop: Header=BB87_36 Depth=1
	s_cmp_lt_i32 s78, 1
	s_mov_b64 s[4:5], -1
                                        ; implicit-def: $vgpr10_vgpr11
                                        ; implicit-def: $vgpr6_vgpr7
	s_cbranch_scc1 .LBB87_78
; %bb.69:                               ;   in Loop: Header=BB87_36 Depth=1
	s_and_b64 vcc, exec, s[4:5]
	s_cbranch_vccnz .LBB87_92
.LBB87_70:                              ;   in Loop: Header=BB87_36 Depth=1
	s_lshl_b32 s2, s47, 6
	s_and_saveexec_b64 s[4:5], s[10:11]
	s_cbranch_execz .LBB87_72
.LBB87_71:                              ;   in Loop: Header=BB87_36 Depth=1
	v_lshl_add_u32 v2, s2, 3, v39
	ds_write_b128 v2, v[4:7]
	ds_write_b128 v2, v[8:11] offset:16
.LBB87_72:                              ;   in Loop: Header=BB87_36 Depth=1
	s_or_b64 exec, exec, s[4:5]
	s_waitcnt lgkmcnt(0)
	s_barrier
	s_mov_b64 s[6:7], exec
	v_readlane_b32 s4, v56, 8
	v_readlane_b32 s5, v56, 9
	s_and_b64 s[4:5], s[6:7], s[4:5]
	s_mov_b64 exec, s[4:5]
	s_cbranch_execz .LBB87_107
; %bb.73:                               ;   in Loop: Header=BB87_36 Depth=1
	v_readlane_b32 s4, v56, 12
	v_mov_b32_e32 v4, 0
	v_readlane_b32 s5, v56, 13
	v_mov_b32_e32 v5, 0
	s_andn2_b64 vcc, exec, s[4:5]
	s_cbranch_vccnz .LBB87_106
; %bb.74:                               ;   in Loop: Header=BB87_36 Depth=1
	v_readlane_b32 s4, v56, 22
	v_readlane_b32 s5, v56, 23
	s_andn2_b64 vcc, exec, s[4:5]
	s_cbranch_vccnz .LBB87_102
; %bb.75:                               ;   in Loop: Header=BB87_36 Depth=1
	v_mov_b32_e32 v4, 0
	v_lshl_add_u32 v2, s47, 9, v40
	v_mov_b32_e32 v5, 0
	s_mov_b32 s3, 0
.LBB87_76:                              ;   Parent Loop BB87_36 Depth=1
                                        ; =>  This Inner Loop Header: Depth=2
	ds_read2_b64 v[6:9], v2 offset1:4
	ds_read2_b64 v[28:31], v2 offset0:8 offset1:12
	ds_read2_b64 v[46:49], v2 offset0:16 offset1:20
	ds_read2_b64 v[50:53], v2 offset0:24 offset1:28
	s_add_i32 s3, s3, 8
	s_waitcnt lgkmcnt(3)
	v_add_co_u32_e32 v4, vcc, v6, v4
	v_addc_co_u32_e32 v5, vcc, v7, v5, vcc
	v_add_co_u32_e32 v4, vcc, v8, v4
	v_addc_co_u32_e32 v5, vcc, v9, v5, vcc
	s_waitcnt lgkmcnt(2)
	v_add_co_u32_e32 v4, vcc, v28, v4
	v_addc_co_u32_e32 v5, vcc, v29, v5, vcc
	v_add_co_u32_e32 v4, vcc, v30, v4
	v_addc_co_u32_e32 v5, vcc, v31, v5, vcc
	;; [unrolled: 5-line block ×3, first 2 shown]
	s_waitcnt lgkmcnt(0)
	v_add_co_u32_e32 v4, vcc, v50, v4
	v_addc_co_u32_e32 v5, vcc, v51, v5, vcc
	v_add_co_u32_e32 v4, vcc, v52, v4
	v_add_u32_e32 v2, 0x100, v2
	s_cmp_eq_u32 s1, s3
	v_addc_co_u32_e32 v5, vcc, v53, v5, vcc
	s_cbranch_scc0 .LBB87_76
; %bb.77:                               ;   in Loop: Header=BB87_36 Depth=1
	s_mov_b32 s3, s1
	s_branch .LBB87_103
.LBB87_78:                              ;   in Loop: Header=BB87_36 Depth=1
	v_readlane_b32 s2, v56, 16
	v_readlane_b32 s3, v56, 17
	s_nop 4
	global_load_ushort v2, v3, s[2:3]
	s_mov_b32 s2, s61
	s_waitcnt vmcnt(0)
	v_readfirstlane_b32 s3, v2
	s_and_b32 s3, 0xffff, s3
	s_lshl_b32 s6, s3, 2
	s_mov_b32 s3, s25
	s_cmp_lg_u64 s[2:3], 0
	s_cbranch_scc0 .LBB87_101
; %bb.79:                               ;   in Loop: Header=BB87_36 Depth=1
	v_cvt_f32_u32_e32 v4, s6
	s_sub_u32 s4, 0, s6
	s_subb_u32 s5, 0, 0
	v_mac_f32_e32 v4, 0, v42
	v_rcp_f32_e32 v4, v4
	v_mul_f32_e32 v4, 0x5f7ffffc, v4
	v_mul_f32_e32 v5, 0x2f800000, v4
	v_trunc_f32_e32 v5, v5
	v_mac_f32_e32 v4, 0xcf800000, v5
	v_cvt_u32_f32_e32 v5, v5
	v_cvt_u32_f32_e32 v4, v4
	v_readfirstlane_b32 s7, v5
	v_readfirstlane_b32 s2, v4
	s_mul_i32 s3, s4, s7
	s_mul_hi_u32 s9, s4, s2
	s_mul_i32 s8, s5, s2
	s_add_i32 s3, s9, s3
	s_mul_i32 s14, s4, s2
	s_add_i32 s3, s3, s8
	s_mul_hi_u32 s9, s2, s14
	s_mul_i32 s15, s2, s3
	s_mul_hi_u32 s8, s2, s3
	s_add_u32 s9, s9, s15
	s_addc_u32 s8, 0, s8
	s_mul_hi_u32 s16, s7, s14
	s_mul_i32 s14, s7, s14
	s_add_u32 s9, s9, s14
	s_mul_hi_u32 s15, s7, s3
	s_addc_u32 s8, s8, s16
	s_addc_u32 s9, s15, 0
	s_mul_i32 s3, s7, s3
	s_add_u32 s3, s8, s3
	s_addc_u32 s8, 0, s9
	s_add_u32 s9, s2, s3
	s_cselect_b64 s[2:3], -1, 0
	s_cmp_lg_u64 s[2:3], 0
	s_addc_u32 s7, s7, s8
	s_mul_i32 s2, s4, s7
	s_mul_hi_u32 s3, s4, s9
	s_add_i32 s2, s3, s2
	s_mul_i32 s5, s5, s9
	s_add_i32 s2, s2, s5
	s_mul_i32 s4, s4, s9
	s_mul_hi_u32 s5, s7, s4
	s_mul_i32 s8, s7, s4
	s_mul_i32 s15, s9, s2
	s_mul_hi_u32 s4, s9, s4
	s_mul_hi_u32 s14, s9, s2
	s_add_u32 s4, s4, s15
	s_addc_u32 s14, 0, s14
	s_add_u32 s4, s4, s8
	s_mul_hi_u32 s3, s7, s2
	s_addc_u32 s4, s14, s5
	s_addc_u32 s3, s3, 0
	s_mul_i32 s2, s7, s2
	s_add_u32 s2, s4, s2
	s_addc_u32 s4, 0, s3
	s_add_u32 s5, s9, s2
	s_cselect_b64 s[2:3], -1, 0
	s_cmp_lg_u64 s[2:3], 0
	s_addc_u32 s2, s7, s4
	s_mul_i32 s4, s24, s2
	s_mul_hi_u32 s7, s24, s5
	s_mul_hi_u32 s3, s24, s2
	s_add_u32 s4, s7, s4
	s_addc_u32 s3, 0, s3
	s_mul_hi_u32 s8, s25, s5
	s_mul_i32 s5, s25, s5
	s_add_u32 s4, s4, s5
	s_mul_hi_u32 s7, s25, s2
	s_addc_u32 s3, s3, s8
	s_addc_u32 s4, s7, 0
	s_mul_i32 s2, s25, s2
	s_add_u32 s2, s3, s2
	s_addc_u32 s3, 0, s4
	s_mul_i32 s3, s6, s3
	s_mul_hi_u32 s4, s6, s2
	s_add_i32 s4, s4, s3
	s_mul_i32 s2, s6, s2
	s_sub_u32 s7, s24, s2
	s_cselect_b64 s[2:3], -1, 0
	s_cmp_lg_u64 s[2:3], 0
	s_subb_u32 s4, s25, s4
	s_sub_u32 s5, s7, s6
	s_cselect_b64 s[2:3], -1, 0
	s_cmp_lg_u64 s[2:3], 0
	s_subb_u32 s8, s4, 0
	;; [unrolled: 4-line block ×3, first 2 shown]
	s_cmp_ge_u32 s5, s6
	s_cselect_b32 s3, -1, 0
	s_cmp_eq_u32 s8, 0
	s_cselect_b32 s3, s3, -1
	s_cmp_lg_u32 s3, 0
	s_cselect_b32 s2, s2, s8
	s_cselect_b32 s3, s9, s5
	s_cmp_ge_u32 s7, s6
	s_cselect_b32 s5, -1, 0
	s_cmp_eq_u32 s4, 0
	s_cselect_b32 s5, s5, -1
	s_cmp_lg_u32 s5, 0
	s_cselect_b32 s5, s2, s4
	s_cselect_b32 s4, s3, s7
	s_cbranch_execnz .LBB87_81
.LBB87_80:                              ;   in Loop: Header=BB87_36 Depth=1
	v_cvt_f32_u32_e32 v4, s6
	s_sub_i32 s2, 0, s6
	v_rcp_iflag_f32_e32 v4, v4
	v_mul_f32_e32 v4, 0x4f7ffffe, v4
	v_cvt_u32_f32_e32 v4, v4
	v_readfirstlane_b32 s3, v4
	s_mul_i32 s2, s2, s3
	s_mul_hi_u32 s2, s3, s2
	s_add_i32 s3, s3, s2
	s_mul_hi_u32 s2, s24, s3
	s_mul_i32 s2, s2, s6
	s_sub_i32 s2, s24, s2
	s_sub_i32 s3, s2, s6
	s_cmp_ge_u32 s2, s6
	s_cselect_b32 s2, s3, s2
	s_sub_i32 s3, s2, s6
	s_cmp_ge_u32 s2, s6
	s_cselect_b32 s60, s3, s2
	s_mov_b64 s[4:5], s[60:61]
	v_readlane_b32 s60, v56, 37
.LBB87_81:                              ;   in Loop: Header=BB87_36 Depth=1
	s_sub_u32 s80, s24, s4
	s_subb_u32 s81, s25, s5
	v_cmp_gt_u64_e32 vcc, s[80:81], v[16:17]
	v_mov_b32_e32 v4, 0
	v_mov_b32_e32 v6, 0
	v_mov_b32_e32 v8, 0
	v_mov_b32_e32 v10, 0
	v_mov_b32_e32 v5, 0
	v_mov_b32_e32 v7, 0
	v_mov_b32_e32 v9, 0
	v_mov_b32_e32 v11, 0
	v_and_b32_e32 v2, 0xffff, v2
	s_and_saveexec_b64 s[82:83], vcc
	s_cbranch_execz .LBB87_85
; %bb.82:                               ;   in Loop: Header=BB87_36 Depth=1
	v_readlane_b32 s2, v56, 34
	v_readlane_b32 s3, v56, 35
	v_mul_lo_u32 v4, s3, v2
	v_mul_hi_u32 v5, s2, v2
	v_mul_lo_u32 v46, s2, v2
	v_mov_b32_e32 v28, s44
	v_mov_b32_e32 v31, v17
	s_mov_b64 s[84:85], 0
	v_add_u32_e32 v47, v5, v4
	v_mov_b32_e32 v29, s45
	s_mov_b64 s[86:87], 0
	s_mov_b64 s[88:89], 0
	;; [unrolled: 1-line block ×4, first 2 shown]
	v_mov_b32_e32 v30, v16
.LBB87_83:                              ;   Parent Loop BB87_36 Depth=1
                                        ; =>  This Inner Loop Header: Depth=2
	v_add_co_u32_e32 v4, vcc, v28, v23
	v_addc_co_u32_e32 v5, vcc, v29, v24, vcc
	global_load_sbyte v6, v[4:5], off
	v_add_co_u32_e32 v4, vcc, v28, v22
	v_addc_co_u32_e32 v5, vcc, v29, v37, vcc
	global_load_sbyte v7, v[4:5], off
	;; [unrolled: 3-line block ×4, first 2 shown]
	s_waitcnt vmcnt(3)
	v_add_u32_e32 v5, 0x80, v6
	s_waitcnt vmcnt(2)
	v_add_u32_e32 v6, 0x80, v7
	;; [unrolled: 2-line block ×3, first 2 shown]
	v_and_b32_e32 v8, v5, v44
	v_bfe_u32 v5, v5, s63, 2
	v_cmp_eq_u32_e32 vcc, v8, v41
	v_and_b32_e32 v8, v6, v44
	v_bfe_u32 v6, v6, s63, 2
	v_cmp_eq_u32_e64 s[20:21], 0, v5
	s_waitcnt vmcnt(0)
	v_add_u32_e32 v4, 0x80, v4
	v_cmp_eq_u32_e64 s[14:15], v8, v41
	v_and_b32_e32 v8, v7, v44
	v_bfe_u32 v7, v7, s63, 2
	s_and_b64 s[2:3], vcc, s[20:21]
	v_cmp_eq_u32_e64 s[20:21], 0, v6
	v_cmp_eq_u32_e64 s[16:17], v8, v41
	v_and_b32_e32 v8, v4, v44
	v_bfe_u32 v4, v4, s63, 2
	s_and_b64 s[4:5], s[14:15], s[20:21]
	v_cmp_eq_u32_e64 s[20:21], 0, v7
	v_cmp_eq_u32_e64 s[18:19], v8, v41
	s_and_b64 s[8:9], s[16:17], s[20:21]
	v_cmp_eq_u32_e64 s[20:21], 0, v4
	v_cndmask_b32_e64 v8, 0, 1, s[2:3]
	s_and_b64 s[34:35], s[18:19], s[20:21]
	v_cmp_ne_u32_e64 s[20:21], 0, v8
	v_cndmask_b32_e64 v8, 0, 1, s[4:5]
	s_bcnt1_i32_b64 s2, s[20:21]
	v_cmp_ne_u32_e64 s[20:21], 0, v8
	v_cndmask_b32_e64 v8, 0, 1, s[8:9]
	s_bcnt1_i32_b64 s3, s[20:21]
	;; [unrolled: 3-line block ×3, first 2 shown]
	v_cmp_ne_u32_e64 s[20:21], 0, v8
	s_bcnt1_i32_b64 s5, s[20:21]
	s_add_u32 s2, s2, s92
	s_addc_u32 s7, 0, s93
	s_add_u32 s2, s2, s3
	s_addc_u32 s3, s7, 0
	;; [unrolled: 2-line block ×3, first 2 shown]
	s_add_u32 s92, s2, s5
	v_cmp_eq_u32_e64 s[20:21], 1, v5
	s_addc_u32 s93, s3, 0
	s_and_b64 s[2:3], vcc, s[20:21]
	v_cmp_eq_u32_e64 s[20:21], 1, v6
	s_and_b64 s[4:5], s[14:15], s[20:21]
	v_cmp_eq_u32_e64 s[20:21], 1, v7
	s_and_b64 s[8:9], s[16:17], s[20:21]
	v_cmp_eq_u32_e64 s[20:21], 1, v4
	v_cndmask_b32_e64 v8, 0, 1, s[2:3]
	s_and_b64 s[34:35], s[18:19], s[20:21]
	v_cmp_ne_u32_e64 s[20:21], 0, v8
	v_cndmask_b32_e64 v8, 0, 1, s[4:5]
	s_bcnt1_i32_b64 s2, s[20:21]
	v_cmp_ne_u32_e64 s[20:21], 0, v8
	v_cndmask_b32_e64 v8, 0, 1, s[8:9]
	s_bcnt1_i32_b64 s3, s[20:21]
	;; [unrolled: 3-line block ×3, first 2 shown]
	v_cmp_ne_u32_e64 s[20:21], 0, v8
	s_bcnt1_i32_b64 s5, s[20:21]
	s_add_u32 s2, s2, s90
	s_addc_u32 s7, 0, s91
	s_add_u32 s2, s2, s3
	s_addc_u32 s3, s7, 0
	;; [unrolled: 2-line block ×3, first 2 shown]
	s_add_u32 s90, s2, s5
	v_cmp_eq_u32_e64 s[20:21], 2, v5
	s_addc_u32 s91, s3, 0
	s_and_b64 s[2:3], vcc, s[20:21]
	v_cmp_eq_u32_e64 s[20:21], 2, v6
	s_and_b64 s[4:5], s[14:15], s[20:21]
	v_cmp_eq_u32_e64 s[20:21], 2, v7
	s_and_b64 s[8:9], s[16:17], s[20:21]
	v_cmp_eq_u32_e64 s[20:21], 2, v4
	v_cndmask_b32_e64 v8, 0, 1, s[2:3]
	s_and_b64 s[34:35], s[18:19], s[20:21]
	v_cmp_ne_u32_e64 s[20:21], 0, v8
	v_cndmask_b32_e64 v8, 0, 1, s[4:5]
	s_bcnt1_i32_b64 s2, s[20:21]
	v_cmp_ne_u32_e64 s[20:21], 0, v8
	v_cndmask_b32_e64 v8, 0, 1, s[8:9]
	s_bcnt1_i32_b64 s3, s[20:21]
	;; [unrolled: 3-line block ×3, first 2 shown]
	v_cmp_ne_u32_e64 s[20:21], 0, v8
	s_bcnt1_i32_b64 s5, s[20:21]
	s_add_u32 s2, s2, s88
	s_addc_u32 s7, 0, s89
	s_add_u32 s2, s2, s3
	s_addc_u32 s3, s7, 0
	;; [unrolled: 2-line block ×3, first 2 shown]
	s_add_u32 s88, s2, s5
	v_cmp_eq_u32_e64 s[20:21], 3, v5
	s_addc_u32 s89, s3, 0
	s_and_b64 s[2:3], vcc, s[20:21]
	v_cmp_eq_u32_e32 vcc, 3, v6
	s_and_b64 s[4:5], s[14:15], vcc
	v_cmp_eq_u32_e32 vcc, 3, v7
	s_and_b64 s[8:9], s[16:17], vcc
	v_cmp_eq_u32_e32 vcc, 3, v4
	v_cndmask_b32_e64 v4, 0, 1, s[2:3]
	s_and_b64 s[14:15], s[18:19], vcc
	v_cmp_ne_u32_e32 vcc, 0, v4
	v_cndmask_b32_e64 v4, 0, 1, s[4:5]
	s_bcnt1_i32_b64 s2, vcc
	v_cmp_ne_u32_e32 vcc, 0, v4
	v_cndmask_b32_e64 v4, 0, 1, s[8:9]
	s_bcnt1_i32_b64 s3, vcc
	;; [unrolled: 3-line block ×3, first 2 shown]
	v_cmp_ne_u32_e32 vcc, 0, v4
	s_bcnt1_i32_b64 s5, vcc
	s_add_u32 s2, s2, s86
	s_addc_u32 s7, 0, s87
	s_add_u32 s2, s2, s3
	v_add_co_u32_e32 v30, vcc, s6, v30
	s_addc_u32 s3, s7, 0
	v_addc_co_u32_e32 v31, vcc, 0, v31, vcc
	s_add_u32 s2, s2, s4
	v_add_co_u32_e32 v28, vcc, v28, v46
	s_addc_u32 s3, s3, 0
	v_addc_co_u32_e32 v29, vcc, v29, v47, vcc
	s_add_u32 s86, s2, s5
	v_cmp_le_u64_e32 vcc, s[80:81], v[30:31]
	s_addc_u32 s87, s3, 0
	v_mov_b32_e32 v4, s92
	v_mov_b32_e32 v6, s90
	v_mov_b32_e32 v8, s88
	v_mov_b32_e32 v10, s86
	s_or_b64 s[84:85], vcc, s[84:85]
	v_mov_b32_e32 v5, s93
	v_mov_b32_e32 v7, s91
	;; [unrolled: 1-line block ×4, first 2 shown]
	s_andn2_b64 exec, exec, s[84:85]
	s_cbranch_execnz .LBB87_83
; %bb.84:                               ;   in Loop: Header=BB87_36 Depth=1
	s_or_b64 exec, exec, s[84:85]
.LBB87_85:                              ;   in Loop: Header=BB87_36 Depth=1
	s_or_b64 exec, exec, s[82:83]
	v_mov_b32_e32 v29, s81
	v_add_co_u32_e32 v28, vcc, s80, v0
	v_addc_co_u32_e32 v29, vcc, 0, v29, vcc
	v_cmp_gt_u64_e32 vcc, s[24:25], v[28:29]
	s_and_saveexec_b64 s[6:7], vcc
	s_cbranch_execz .LBB87_91
; %bb.86:                               ;   in Loop: Header=BB87_36 Depth=1
	v_mov_b32_e32 v30, s44
	v_mov_b32_e32 v31, s45
	v_mad_u64_u32 v[30:31], s[2:3], v28, s26, v[30:31]
	v_mul_lo_u32 v46, v28, s27
	v_mul_lo_u32 v47, v29, s26
	s_mov_b64 s[4:5], 0
	v_add3_u32 v31, v47, v31, v46
	global_load_ubyte v31, v[30:31], off
	s_branch .LBB87_88
.LBB87_87:                              ;   in Loop: Header=BB87_88 Depth=2
	s_or_b64 exec, exec, s[2:3]
	s_waitcnt vmcnt(0)
	v_add_u32_sdwa v31, sext(v31), s46 dst_sel:DWORD dst_unused:UNUSED_PAD src0_sel:BYTE_0 src1_sel:DWORD
	s_and_b64 s[2:3], exec, vcc
	v_and_b32_e32 v46, v31, v44
	v_bfe_u32 v31, v31, s63, 2
	s_or_b64 s[4:5], s[2:3], s[4:5]
	v_cmp_eq_u32_e32 vcc, v46, v41
	v_cmp_eq_u32_e64 s[14:15], 0, v31
	s_and_b64 s[2:3], vcc, s[14:15]
	v_cndmask_b32_e64 v46, 0, 1, s[2:3]
	v_cmp_ne_u32_e64 s[14:15], 0, v46
	s_bcnt1_i32_b64 s2, s[14:15]
	v_add_co_u32_e64 v4, s[14:15], s2, v4
	v_addc_co_u32_e64 v5, s[14:15], 0, v5, s[14:15]
	v_cmp_eq_u32_e64 s[14:15], 1, v31
	s_and_b64 s[2:3], vcc, s[14:15]
	v_cndmask_b32_e64 v46, 0, 1, s[2:3]
	v_cmp_ne_u32_e64 s[14:15], 0, v46
	s_bcnt1_i32_b64 s2, s[14:15]
	v_add_co_u32_e64 v6, s[14:15], s2, v6
	v_addc_co_u32_e64 v7, s[14:15], 0, v7, s[14:15]
	;; [unrolled: 7-line block ×3, first 2 shown]
	v_cmp_eq_u32_e64 s[14:15], 3, v31
	s_and_b64 s[2:3], vcc, s[14:15]
	v_cndmask_b32_e64 v31, 0, 1, s[2:3]
	v_cmp_ne_u32_e32 vcc, 0, v31
	s_bcnt1_i32_b64 s2, vcc
	v_add_co_u32_e32 v10, vcc, s2, v10
	v_addc_co_u32_e32 v11, vcc, 0, v11, vcc
	v_mov_b32_e32 v31, v30
	s_andn2_b64 exec, exec, s[4:5]
	s_cbranch_execz .LBB87_90
.LBB87_88:                              ;   Parent Loop BB87_36 Depth=1
                                        ; =>  This Inner Loop Header: Depth=2
	v_add_co_u32_e32 v28, vcc, v28, v2
	v_addc_co_u32_e32 v29, vcc, 0, v29, vcc
	v_cmp_gt_u64_e64 s[14:15], s[24:25], v[28:29]
	v_cmp_le_u64_e32 vcc, s[24:25], v[28:29]
	v_mov_b32_e32 v30, 0
	s_and_saveexec_b64 s[2:3], s[14:15]
	s_cbranch_execz .LBB87_87
; %bb.89:                               ;   in Loop: Header=BB87_88 Depth=2
	v_mov_b32_e32 v47, s45
	v_mov_b32_e32 v46, s44
	v_mad_u64_u32 v[46:47], s[8:9], v28, s26, v[46:47]
	v_mul_lo_u32 v30, v28, s27
	v_mul_lo_u32 v48, v29, s26
	v_add3_u32 v47, v48, v47, v30
	global_load_ubyte v30, v[46:47], off
	s_branch .LBB87_87
.LBB87_90:                              ;   in Loop: Header=BB87_36 Depth=1
	s_or_b64 exec, exec, s[4:5]
.LBB87_91:                              ;   in Loop: Header=BB87_36 Depth=1
	s_or_b64 exec, exec, s[6:7]
	s_branch .LBB87_70
.LBB87_92:                              ;   in Loop: Header=BB87_36 Depth=1
	v_readlane_b32 s2, v56, 16
	v_readlane_b32 s3, v56, 17
	v_mov_b32_e32 v8, 0
	v_mov_b32_e32 v9, 0
	s_nop 2
	global_load_ushort v2, v3, s[2:3]
	s_waitcnt vmcnt(0)
	v_readfirstlane_b32 s2, v2
	s_and_b32 s2, 0xffff, s2
	s_lshl_b32 s3, s2, 2
	v_cvt_f32_u32_e32 v4, s3
	s_sub_i32 s4, 0, s3
	v_rcp_iflag_f32_e32 v6, v4
	v_mov_b32_e32 v4, 0
	v_mov_b32_e32 v5, 0
	v_mul_f32_e32 v6, 0x4f7ffffe, v6
	v_cvt_u32_f32_e32 v10, v6
	v_mov_b32_e32 v6, 0
	v_mov_b32_e32 v7, 0
	v_readfirstlane_b32 s5, v10
	s_mul_i32 s4, s4, s5
	s_mul_hi_u32 s4, s5, s4
	s_add_i32 s5, s5, s4
	s_mul_hi_u32 s4, s78, s5
	s_mul_i32 s5, s4, s3
	s_sub_i32 s5, s78, s5
	s_add_i32 s6, s4, 1
	s_sub_i32 s7, s5, s3
	s_cmp_ge_u32 s5, s3
	s_cselect_b32 s4, s6, s4
	s_cselect_b32 s5, s7, s5
	s_add_i32 s6, s4, 1
	s_cmp_ge_u32 s5, s3
	s_cselect_b32 s4, s6, s4
	s_mul_hi_u32 s81, s2, s4
	s_mul_i32 s80, s2, s4
	s_lshl_b64 s[82:83], s[80:81], 2
	v_cmp_gt_u64_e32 vcc, s[82:83], v[16:17]
	v_mov_b32_e32 v10, 0
	v_mov_b32_e32 v11, 0
	s_and_saveexec_b64 s[84:85], vcc
	s_cbranch_execz .LBB87_96
; %bb.93:                               ;   in Loop: Header=BB87_36 Depth=1
	v_mov_b32_e32 v29, v17
	s_mov_b64 s[86:87], 0
	v_mov_b32_e32 v30, v16
	s_mov_b64 s[88:89], 0
	s_mov_b64 s[90:91], 0
	;; [unrolled: 1-line block ×4, first 2 shown]
	v_mov_b32_e32 v28, v16
.LBB87_94:                              ;   Parent Loop BB87_36 Depth=1
                                        ; =>  This Inner Loop Header: Depth=2
	ds_read_b32 v4, v30
	v_add_u32_e32 v30, s3, v30
	s_waitcnt lgkmcnt(0)
	v_add_u32_sdwa v5, sext(v4), s46 dst_sel:DWORD dst_unused:UNUSED_PAD src0_sel:BYTE_0 src1_sel:DWORD
	v_add_u32_sdwa v6, sext(v4), s46 dst_sel:DWORD dst_unused:UNUSED_PAD src0_sel:BYTE_1 src1_sel:DWORD
	v_and_b32_e32 v8, v5, v44
	v_bfe_u32 v5, v5, s63, 2
	v_add_u32_sdwa v7, sext(v4), s46 dst_sel:DWORD dst_unused:UNUSED_PAD src0_sel:BYTE_2 src1_sel:DWORD
	v_cmp_eq_u32_e32 vcc, v8, v41
	v_and_b32_e32 v8, v6, v44
	v_bfe_u32 v6, v6, s63, 2
	v_cmp_eq_u32_e64 s[20:21], 0, v5
	v_add_u32_sdwa v4, sext(v4), s46 dst_sel:DWORD dst_unused:UNUSED_PAD src0_sel:BYTE_3 src1_sel:DWORD
	v_cmp_eq_u32_e64 s[14:15], v8, v41
	v_and_b32_e32 v8, v7, v44
	v_bfe_u32 v7, v7, s63, 2
	s_and_b64 s[4:5], vcc, s[20:21]
	v_cmp_eq_u32_e64 s[20:21], 0, v6
	v_cmp_eq_u32_e64 s[16:17], v8, v41
	v_and_b32_e32 v8, v4, v44
	v_bfe_u32 v4, v4, s63, 2
	s_and_b64 s[6:7], s[14:15], s[20:21]
	v_cmp_eq_u32_e64 s[20:21], 0, v7
	v_cmp_eq_u32_e64 s[18:19], v8, v41
	s_and_b64 s[8:9], s[16:17], s[20:21]
	v_cmp_eq_u32_e64 s[20:21], 0, v4
	v_cndmask_b32_e64 v8, 0, 1, s[4:5]
	s_and_b64 s[34:35], s[18:19], s[20:21]
	v_cmp_ne_u32_e64 s[20:21], 0, v8
	v_cndmask_b32_e64 v8, 0, 1, s[6:7]
	s_bcnt1_i32_b64 s4, s[20:21]
	v_cmp_ne_u32_e64 s[20:21], 0, v8
	v_cndmask_b32_e64 v8, 0, 1, s[8:9]
	s_bcnt1_i32_b64 s5, s[20:21]
	;; [unrolled: 3-line block ×3, first 2 shown]
	v_cmp_ne_u32_e64 s[20:21], 0, v8
	s_bcnt1_i32_b64 s7, s[20:21]
	s_add_u32 s4, s4, s94
	s_addc_u32 s8, 0, s95
	s_add_u32 s4, s4, s5
	s_addc_u32 s5, s8, 0
	;; [unrolled: 2-line block ×3, first 2 shown]
	s_add_u32 s94, s4, s7
	v_cmp_eq_u32_e64 s[20:21], 1, v5
	s_addc_u32 s95, s5, 0
	s_and_b64 s[4:5], vcc, s[20:21]
	v_cmp_eq_u32_e64 s[20:21], 1, v6
	s_and_b64 s[6:7], s[14:15], s[20:21]
	v_cmp_eq_u32_e64 s[20:21], 1, v7
	s_and_b64 s[8:9], s[16:17], s[20:21]
	v_cmp_eq_u32_e64 s[20:21], 1, v4
	v_cndmask_b32_e64 v8, 0, 1, s[4:5]
	s_and_b64 s[34:35], s[18:19], s[20:21]
	v_cmp_ne_u32_e64 s[20:21], 0, v8
	v_cndmask_b32_e64 v8, 0, 1, s[6:7]
	s_bcnt1_i32_b64 s4, s[20:21]
	v_cmp_ne_u32_e64 s[20:21], 0, v8
	v_cndmask_b32_e64 v8, 0, 1, s[8:9]
	s_bcnt1_i32_b64 s5, s[20:21]
	;; [unrolled: 3-line block ×3, first 2 shown]
	v_cmp_ne_u32_e64 s[20:21], 0, v8
	s_bcnt1_i32_b64 s7, s[20:21]
	s_add_u32 s4, s4, s92
	s_addc_u32 s8, 0, s93
	s_add_u32 s4, s4, s5
	s_addc_u32 s5, s8, 0
	;; [unrolled: 2-line block ×3, first 2 shown]
	s_add_u32 s92, s4, s7
	v_cmp_eq_u32_e64 s[20:21], 2, v5
	s_addc_u32 s93, s5, 0
	s_and_b64 s[4:5], vcc, s[20:21]
	v_cmp_eq_u32_e64 s[20:21], 2, v6
	s_and_b64 s[6:7], s[14:15], s[20:21]
	v_cmp_eq_u32_e64 s[20:21], 2, v7
	s_and_b64 s[8:9], s[16:17], s[20:21]
	v_cmp_eq_u32_e64 s[20:21], 2, v4
	v_cndmask_b32_e64 v8, 0, 1, s[4:5]
	s_and_b64 s[34:35], s[18:19], s[20:21]
	v_cmp_ne_u32_e64 s[20:21], 0, v8
	v_cndmask_b32_e64 v8, 0, 1, s[6:7]
	s_bcnt1_i32_b64 s4, s[20:21]
	v_cmp_ne_u32_e64 s[20:21], 0, v8
	v_cndmask_b32_e64 v8, 0, 1, s[8:9]
	s_bcnt1_i32_b64 s5, s[20:21]
	;; [unrolled: 3-line block ×3, first 2 shown]
	v_cmp_ne_u32_e64 s[20:21], 0, v8
	s_bcnt1_i32_b64 s7, s[20:21]
	s_add_u32 s4, s4, s90
	s_addc_u32 s8, 0, s91
	s_add_u32 s4, s4, s5
	s_addc_u32 s5, s8, 0
	s_add_u32 s4, s4, s6
	s_addc_u32 s5, s5, 0
	s_add_u32 s90, s4, s7
	v_cmp_eq_u32_e64 s[20:21], 3, v5
	s_addc_u32 s91, s5, 0
	s_and_b64 s[4:5], vcc, s[20:21]
	v_cmp_eq_u32_e32 vcc, 3, v6
	s_and_b64 s[6:7], s[14:15], vcc
	v_cmp_eq_u32_e32 vcc, 3, v7
	s_and_b64 s[8:9], s[16:17], vcc
	v_cmp_eq_u32_e32 vcc, 3, v4
	v_cndmask_b32_e64 v4, 0, 1, s[4:5]
	s_and_b64 s[14:15], s[18:19], vcc
	v_cmp_ne_u32_e32 vcc, 0, v4
	v_cndmask_b32_e64 v4, 0, 1, s[6:7]
	s_bcnt1_i32_b64 s4, vcc
	v_cmp_ne_u32_e32 vcc, 0, v4
	v_cndmask_b32_e64 v4, 0, 1, s[8:9]
	s_bcnt1_i32_b64 s5, vcc
	;; [unrolled: 3-line block ×3, first 2 shown]
	v_cmp_ne_u32_e32 vcc, 0, v4
	s_bcnt1_i32_b64 s7, vcc
	s_add_u32 s4, s4, s88
	s_addc_u32 s8, 0, s89
	s_add_u32 s4, s4, s5
	s_addc_u32 s5, s8, 0
	s_add_u32 s4, s4, s6
	v_add_co_u32_e32 v28, vcc, s3, v28
	s_addc_u32 s5, s5, 0
	v_addc_co_u32_e32 v29, vcc, 0, v29, vcc
	s_add_u32 s88, s4, s7
	v_cmp_le_u64_e32 vcc, s[82:83], v[28:29]
	s_addc_u32 s89, s5, 0
	v_mov_b32_e32 v4, s94
	v_mov_b32_e32 v6, s92
	;; [unrolled: 1-line block ×4, first 2 shown]
	s_or_b64 s[86:87], vcc, s[86:87]
	v_mov_b32_e32 v5, s95
	v_mov_b32_e32 v7, s93
	;; [unrolled: 1-line block ×4, first 2 shown]
	s_andn2_b64 exec, exec, s[86:87]
	s_cbranch_execnz .LBB87_94
; %bb.95:                               ;   in Loop: Header=BB87_36 Depth=1
	s_or_b64 exec, exec, s[86:87]
.LBB87_96:                              ;   in Loop: Header=BB87_36 Depth=1
	s_or_b64 exec, exec, s[84:85]
	v_mov_b32_e32 v29, s83
	v_add_co_u32_e32 v28, vcc, s82, v0
	s_and_b32 s60, s78, 0x7fffffff
	v_addc_co_u32_e32 v29, vcc, 0, v29, vcc
	v_cmp_gt_u64_e32 vcc, s[60:61], v[28:29]
	s_and_saveexec_b64 s[16:17], vcc
	s_cbranch_execz .LBB87_100
; %bb.97:                               ;   in Loop: Header=BB87_36 Depth=1
	v_lshl_add_u32 v30, s80, 2, v0
	s_mov_b64 s[18:19], 0
.LBB87_98:                              ;   Parent Loop BB87_36 Depth=1
                                        ; =>  This Inner Loop Header: Depth=2
	ds_read_i8 v31, v30
	v_add_u32_e32 v30, s2, v30
	s_waitcnt lgkmcnt(0)
	v_add_u32_e32 v31, 0x80, v31
	v_and_b32_e32 v46, v31, v44
	v_bfe_u32 v31, v31, s63, 2
	v_cmp_eq_u32_e32 vcc, v46, v41
	v_cmp_eq_u32_e64 s[14:15], 0, v31
	s_and_b64 s[4:5], vcc, s[14:15]
	v_cndmask_b32_e64 v46, 0, 1, s[4:5]
	v_cmp_ne_u32_e64 s[14:15], 0, v46
	s_bcnt1_i32_b64 s3, s[14:15]
	v_add_co_u32_e64 v4, s[14:15], s3, v4
	v_addc_co_u32_e64 v5, s[14:15], 0, v5, s[14:15]
	v_cmp_eq_u32_e64 s[14:15], 1, v31
	s_and_b64 s[4:5], vcc, s[14:15]
	v_cndmask_b32_e64 v46, 0, 1, s[4:5]
	v_cmp_ne_u32_e64 s[14:15], 0, v46
	s_bcnt1_i32_b64 s3, s[14:15]
	v_add_co_u32_e64 v6, s[14:15], s3, v6
	v_addc_co_u32_e64 v7, s[14:15], 0, v7, s[14:15]
	;; [unrolled: 7-line block ×3, first 2 shown]
	v_cmp_eq_u32_e64 s[14:15], 3, v31
	s_and_b64 s[4:5], vcc, s[14:15]
	v_cndmask_b32_e64 v31, 0, 1, s[4:5]
	v_cmp_ne_u32_e32 vcc, 0, v31
	s_bcnt1_i32_b64 s3, vcc
	v_add_co_u32_e32 v10, vcc, s3, v10
	v_addc_co_u32_e32 v11, vcc, 0, v11, vcc
	v_add_co_u32_sdwa v28, vcc, v28, v2 dst_sel:DWORD dst_unused:UNUSED_PAD src0_sel:DWORD src1_sel:WORD_0
	v_addc_co_u32_e32 v29, vcc, 0, v29, vcc
	v_cmp_le_u64_e32 vcc, s[60:61], v[28:29]
	s_or_b64 s[18:19], vcc, s[18:19]
	s_andn2_b64 exec, exec, s[18:19]
	s_cbranch_execnz .LBB87_98
; %bb.99:                               ;   in Loop: Header=BB87_36 Depth=1
	s_or_b64 exec, exec, s[18:19]
.LBB87_100:                             ;   in Loop: Header=BB87_36 Depth=1
	s_or_b64 exec, exec, s[16:17]
	v_readlane_b32 s60, v56, 37
	s_lshl_b32 s2, s47, 6
	s_and_saveexec_b64 s[4:5], s[10:11]
	s_cbranch_execnz .LBB87_71
	s_branch .LBB87_72
.LBB87_101:                             ;   in Loop: Header=BB87_36 Depth=1
                                        ; implicit-def: $sgpr4_sgpr5
	s_branch .LBB87_80
.LBB87_102:                             ;   in Loop: Header=BB87_36 Depth=1
	v_mov_b32_e32 v4, 0
	v_mov_b32_e32 v5, 0
	s_mov_b32 s3, 0
.LBB87_103:                             ;   in Loop: Header=BB87_36 Depth=1
	v_readlane_b32 s4, v56, 25
	v_readlane_b32 s5, v56, 26
	s_andn2_b64 vcc, exec, s[4:5]
	s_cbranch_vccnz .LBB87_106
; %bb.104:                              ;   in Loop: Header=BB87_36 Depth=1
	s_lshl_b32 s4, s47, 9
	s_lshl_b32 s3, s3, 5
	s_add_i32 s4, s4, s3
	v_add_u32_e32 v2, s4, v40
	v_readlane_b32 s3, v56, 24
.LBB87_105:                             ;   Parent Loop BB87_36 Depth=1
                                        ; =>  This Inner Loop Header: Depth=2
	ds_read_b64 v[6:7], v2
	s_add_i32 s3, s3, -1
	v_add_u32_e32 v2, 32, v2
	s_cmp_lg_u32 s3, 0
	s_waitcnt lgkmcnt(0)
	v_add_co_u32_e32 v4, vcc, v6, v4
	v_addc_co_u32_e32 v5, vcc, v7, v5, vcc
	s_cbranch_scc1 .LBB87_105
.LBB87_106:                             ;   in Loop: Header=BB87_36 Depth=1
	v_add_lshl_u32 v2, s2, v32, 3
	ds_write_b64 v2, v[4:5] offset:3072
.LBB87_107:                             ;   in Loop: Header=BB87_36 Depth=1
	s_or_b64 exec, exec, s[6:7]
	s_lshl_b32 s2, s2, 3
	v_mov_b32_e32 v2, s2
	s_waitcnt lgkmcnt(0)
	s_barrier
	ds_read_b128 v[8:11], v2 offset:3088
	ds_read_b128 v[4:7], v2 offset:3072
	v_cmp_eq_u64_e64 s[14:15], 1, v[26:27]
	s_lshl_b32 s52, 3, s63
	s_not_b32 s53, s52
	s_waitcnt lgkmcnt(1)
	v_readfirstlane_b32 s80, v8
	s_waitcnt lgkmcnt(0)
	v_cmp_eq_u64_e32 vcc, 1, v[4:5]
	v_readfirstlane_b32 s81, v9
	v_readfirstlane_b32 s16, v10
	;; [unrolled: 1-line block ×3, first 2 shown]
	s_and_b64 s[20:21], vcc, s[14:15]
	s_mov_b64 s[14:15], -1
	s_mov_b64 s[4:5], -1
                                        ; implicit-def: $sgpr40_sgpr41
                                        ; implicit-def: $sgpr38_sgpr39
	s_and_saveexec_b64 s[18:19], s[20:21]
	s_cbranch_execz .LBB87_145
; %bb.108:                              ;   in Loop: Header=BB87_36 Depth=1
	ds_read_b64 v[8:9], v3 offset:5120
	s_waitcnt lgkmcnt(0)
	s_barrier
	v_readfirstlane_b32 s34, v8
	v_readfirstlane_b32 s35, v9
	s_mov_b64 s[2:3], exec
	v_readlane_b32 s4, v56, 31
	v_readlane_b32 s5, v56, 32
	s_and_b64 s[4:5], s[2:3], s[4:5]
	s_mov_b64 exec, s[4:5]
; %bb.109:                              ;   in Loop: Header=BB87_36 Depth=1
	ds_write_b8 v0, v3 offset:3072
; %bb.110:                              ;   in Loop: Header=BB87_36 Depth=1
	s_or_b64 exec, exec, s[2:3]
	v_and_b32_e32 v41, s53, v41
	v_or_b32_e32 v44, s52, v44
	s_mov_b64 s[38:39], -1
	s_mov_b64 s[40:41], 0
	s_cmp_eq_u64 s[34:35], 0
	s_mov_b64 s[6:7], 0
	s_mov_b64 s[4:5], -1
	s_waitcnt lgkmcnt(0)
	s_barrier
                                        ; implicit-def: $vgpr45
	s_cbranch_scc1 .LBB87_124
; %bb.111:                              ;   in Loop: Header=BB87_36 Depth=1
	v_readlane_b32 s2, v56, 14
	s_add_u32 s8, s34, s2
	v_readlane_b32 s2, v56, 15
	s_addc_u32 s7, s35, s2
	s_mov_b32 s6, s61
	s_cmp_lg_u64 s[6:7], 0
	s_cbranch_scc0 .LBB87_127
; %bb.112:                              ;   in Loop: Header=BB87_36 Depth=1
	v_cvt_f32_u32_e32 v2, s33
	s_sub_u32 s4, 0, s33
	s_subb_u32 s5, 0, 0
	v_mac_f32_e32 v2, 0, v42
	v_rcp_f32_e32 v2, v2
	v_mul_f32_e32 v2, 0x5f7ffffc, v2
	v_mul_f32_e32 v8, 0x2f800000, v2
	v_trunc_f32_e32 v8, v8
	v_mac_f32_e32 v2, 0xcf800000, v8
	v_cvt_u32_f32_e32 v8, v8
	v_cvt_u32_f32_e32 v2, v2
	v_readfirstlane_b32 s6, v8
	v_readfirstlane_b32 s2, v2
	s_mul_i32 s3, s4, s6
	s_mul_hi_u32 s42, s4, s2
	s_mul_i32 s9, s5, s2
	s_add_i32 s3, s42, s3
	s_mul_i32 s43, s4, s2
	s_add_i32 s3, s3, s9
	s_mul_hi_u32 s42, s2, s43
	s_mul_i32 s50, s2, s3
	s_mul_hi_u32 s9, s2, s3
	s_add_u32 s42, s42, s50
	s_addc_u32 s9, 0, s9
	s_mul_hi_u32 s54, s6, s43
	s_mul_i32 s43, s6, s43
	s_add_u32 s42, s42, s43
	s_mul_hi_u32 s50, s6, s3
	s_addc_u32 s9, s9, s54
	s_addc_u32 s42, s50, 0
	s_mul_i32 s3, s6, s3
	s_add_u32 s3, s9, s3
	s_addc_u32 s9, 0, s42
	s_add_u32 s42, s2, s3
	s_cselect_b64 s[2:3], -1, 0
	s_cmp_lg_u64 s[2:3], 0
	s_addc_u32 s6, s6, s9
	s_mul_i32 s2, s4, s6
	s_mul_hi_u32 s3, s4, s42
	s_add_i32 s2, s3, s2
	s_mul_i32 s5, s5, s42
	s_add_i32 s2, s2, s5
	s_mul_i32 s4, s4, s42
	s_mul_hi_u32 s5, s6, s4
	s_mul_i32 s9, s6, s4
	s_mul_i32 s50, s42, s2
	s_mul_hi_u32 s4, s42, s4
	s_mul_hi_u32 s43, s42, s2
	s_add_u32 s4, s4, s50
	s_addc_u32 s43, 0, s43
	s_add_u32 s4, s4, s9
	s_mul_hi_u32 s3, s6, s2
	s_addc_u32 s4, s43, s5
	s_addc_u32 s3, s3, 0
	s_mul_i32 s2, s6, s2
	s_add_u32 s2, s4, s2
	s_addc_u32 s4, 0, s3
	s_add_u32 s5, s42, s2
	s_cselect_b64 s[2:3], -1, 0
	s_cmp_lg_u64 s[2:3], 0
	s_addc_u32 s2, s6, s4
	s_mul_i32 s4, s8, s2
	s_mul_hi_u32 s6, s8, s5
	s_mul_hi_u32 s3, s8, s2
	s_add_u32 s4, s6, s4
	s_addc_u32 s3, 0, s3
	s_mul_hi_u32 s9, s7, s5
	s_mul_i32 s5, s7, s5
	s_add_u32 s4, s4, s5
	s_mul_hi_u32 s6, s7, s2
	s_addc_u32 s3, s3, s9
	s_addc_u32 s4, s6, 0
	s_mul_i32 s2, s7, s2
	s_add_u32 s2, s3, s2
	s_addc_u32 s3, 0, s4
	s_mul_i32 s3, s33, s3
	s_mul_hi_u32 s4, s33, s2
	s_add_i32 s4, s4, s3
	s_mul_i32 s2, s33, s2
	s_sub_u32 s6, s8, s2
	s_cselect_b64 s[2:3], -1, 0
	s_cmp_lg_u64 s[2:3], 0
	s_subb_u32 s4, s7, s4
	s_sub_u32 s5, s6, s33
	s_cselect_b64 s[2:3], -1, 0
	s_cmp_lg_u64 s[2:3], 0
	s_subb_u32 s9, s4, 0
	;; [unrolled: 4-line block ×3, first 2 shown]
	s_cmp_ge_u32 s5, s33
	s_cselect_b32 s3, -1, 0
	s_cmp_eq_u32 s9, 0
	s_cselect_b32 s3, s3, -1
	s_cmp_lg_u32 s3, 0
	s_cselect_b32 s2, s2, s9
	s_cselect_b32 s3, s42, s5
	s_cmp_ge_u32 s6, s33
	s_cselect_b32 s5, -1, 0
	s_cmp_eq_u32 s4, 0
	s_cselect_b32 s5, s5, -1
	s_cmp_lg_u32 s5, 0
	s_cselect_b32 s5, s2, s4
	s_cselect_b32 s4, s3, s6
	s_cbranch_execnz .LBB87_114
.LBB87_113:                             ;   in Loop: Header=BB87_36 Depth=1
	v_cvt_f32_u32_e32 v2, s33
	s_sub_i32 s2, 0, s33
	v_rcp_iflag_f32_e32 v2, v2
	v_mul_f32_e32 v2, 0x4f7ffffe, v2
	v_cvt_u32_f32_e32 v2, v2
	v_readfirstlane_b32 s3, v2
	s_mul_i32 s2, s2, s3
	s_mul_hi_u32 s2, s3, s2
	s_add_i32 s3, s3, s2
	s_mul_hi_u32 s2, s8, s3
	s_mul_i32 s2, s2, s33
	s_sub_i32 s2, s8, s2
	s_sub_i32 s3, s2, s33
	s_cmp_ge_u32 s2, s33
	s_cselect_b32 s2, s3, s2
	s_sub_i32 s3, s2, s33
	s_cmp_ge_u32 s2, s33
	s_cselect_b32 s60, s3, s2
	s_mov_b64 s[4:5], s[60:61]
	v_readlane_b32 s60, v56, 37
.LBB87_114:                             ;   in Loop: Header=BB87_36 Depth=1
	s_sub_u32 s42, s8, s4
	s_subb_u32 s43, s7, s5
	v_cmp_gt_u64_e32 vcc, s[42:43], v[0:1]
	s_mov_b64 s[4:5], 0
	s_mov_b64 s[6:7], 0
                                        ; implicit-def: $vgpr45
	s_and_saveexec_b64 s[8:9], vcc
	v_readlane_b32 s50, v56, 36
	s_cbranch_execz .LBB87_123
; %bb.115:                              ;   in Loop: Header=BB87_36 Depth=1
	v_mov_b32_e32 v9, v1
	s_mov_b64 s[78:79], s[56:57]
	v_mov_b32_e32 v2, v0
	v_mov_b32_e32 v8, v0
                                        ; implicit-def: $sgpr54_sgpr55
	s_branch .LBB87_118
.LBB87_116:                             ;   in Loop: Header=BB87_118 Depth=2
	s_or_b64 exec, exec, s[56:57]
	s_waitcnt lgkmcnt(0)
	s_barrier
	ds_read_u16 v10, v3 offset:3072
	s_mov_b64 s[56:57], -1
	s_mov_b64 s[58:59], -1
	s_waitcnt lgkmcnt(0)
	s_barrier
	v_cmp_ne_u32_sdwa s[2:3], v10, v3 src0_sel:BYTE_0 src1_sel:DWORD
	s_and_b64 vcc, exec, s[2:3]
	s_cbranch_vccz .LBB87_121
.LBB87_117:                             ;   in Loop: Header=BB87_118 Depth=2
	s_and_b64 s[2:3], exec, s[56:57]
	s_or_b64 s[6:7], s[2:3], s[6:7]
	s_andn2_b64 s[2:3], s[54:55], exec
	s_and_b64 s[54:55], s[58:59], exec
	s_or_b64 s[54:55], s[2:3], s[54:55]
	s_andn2_b64 exec, exec, s[6:7]
	s_cbranch_execz .LBB87_122
.LBB87_118:                             ;   Parent Loop BB87_36 Depth=1
                                        ; =>  This Inner Loop Header: Depth=2
	v_cmp_gt_u64_e32 vcc, s[34:35], v[8:9]
	s_and_saveexec_b64 s[56:57], vcc
	s_cbranch_execz .LBB87_116
; %bb.119:                              ;   in Loop: Header=BB87_118 Depth=2
	ds_read_u8 v10, v2
	s_waitcnt lgkmcnt(0)
	v_add_u32_sdwa v11, sext(v10), s46 dst_sel:DWORD dst_unused:UNUSED_PAD src0_sel:BYTE_0 src1_sel:DWORD
	v_and_b32_e32 v11, v11, v44
	v_cmp_eq_u32_e32 vcc, v11, v41
	s_and_b64 exec, exec, vcc
	s_cbranch_execz .LBB87_116
; %bb.120:                              ;   in Loop: Header=BB87_118 Depth=2
	v_lshlrev_b16_e32 v10, 8, v10
	v_or_b32_e32 v10, 1, v10
	ds_write_b16 v3, v10 offset:3072
	s_branch .LBB87_116
.LBB87_121:                             ;   in Loop: Header=BB87_118 Depth=2
	v_add_co_u32_e32 v8, vcc, s33, v8
	v_addc_co_u32_e32 v9, vcc, 0, v9, vcc
	v_cmp_le_u64_e32 vcc, s[42:43], v[8:9]
	v_add_u32_e32 v2, s33, v2
	s_mov_b64 s[58:59], 0
	s_orn2_b64 s[56:57], vcc, exec
	s_branch .LBB87_117
.LBB87_122:                             ;   in Loop: Header=BB87_36 Depth=1
	s_or_b64 exec, exec, s[6:7]
	v_lshrrev_b32_sdwa v45, v43, v10 dst_sel:DWORD dst_unused:UNUSED_PAD src0_sel:DWORD src1_sel:WORD_0
	s_and_b64 s[6:7], s[54:55], exec
	s_mov_b64 s[56:57], s[78:79]
.LBB87_123:                             ;   in Loop: Header=BB87_36 Depth=1
	s_or_b64 exec, exec, s[8:9]
.LBB87_124:                             ;   in Loop: Header=BB87_36 Depth=1
	s_and_b64 vcc, exec, s[4:5]
	s_cbranch_vccz .LBB87_144
; %bb.125:                              ;   in Loop: Header=BB87_36 Depth=1
	s_mov_b32 s50, s61
	s_cmp_lg_u64 s[50:51], 0
	s_cbranch_scc0 .LBB87_131
; %bb.126:                              ;   in Loop: Header=BB87_36 Depth=1
	v_cvt_f32_u32_e32 v2, s33
	s_sub_u32 s4, 0, s33
	s_subb_u32 s5, 0, 0
	v_mac_f32_e32 v2, 0, v42
	v_rcp_f32_e32 v2, v2
	v_mul_f32_e32 v2, 0x5f7ffffc, v2
	v_mul_f32_e32 v8, 0x2f800000, v2
	v_trunc_f32_e32 v8, v8
	v_mac_f32_e32 v2, 0xcf800000, v8
	v_cvt_u32_f32_e32 v8, v8
	v_cvt_u32_f32_e32 v2, v2
	v_readfirstlane_b32 s8, v8
	v_readfirstlane_b32 s2, v2
	s_mul_i32 s3, s4, s8
	s_mul_hi_u32 s34, s4, s2
	s_mul_i32 s9, s5, s2
	s_add_i32 s3, s34, s3
	s_mul_i32 s35, s4, s2
	s_add_i32 s3, s3, s9
	s_mul_hi_u32 s34, s2, s35
	s_mul_i32 s38, s2, s3
	s_mul_hi_u32 s9, s2, s3
	s_add_u32 s34, s34, s38
	s_addc_u32 s9, 0, s9
	s_mul_hi_u32 s39, s8, s35
	s_mul_i32 s35, s8, s35
	s_add_u32 s34, s34, s35
	s_mul_hi_u32 s38, s8, s3
	s_addc_u32 s9, s9, s39
	s_addc_u32 s34, s38, 0
	s_mul_i32 s3, s8, s3
	s_add_u32 s3, s9, s3
	s_addc_u32 s9, 0, s34
	s_add_u32 s34, s2, s3
	s_cselect_b64 s[2:3], -1, 0
	s_cmp_lg_u64 s[2:3], 0
	s_addc_u32 s8, s8, s9
	s_mul_i32 s2, s4, s8
	s_mul_hi_u32 s3, s4, s34
	s_add_i32 s2, s3, s2
	s_mul_i32 s5, s5, s34
	s_add_i32 s2, s2, s5
	s_mul_i32 s4, s4, s34
	s_mul_hi_u32 s5, s8, s4
	s_mul_i32 s9, s8, s4
	s_mul_i32 s38, s34, s2
	s_mul_hi_u32 s4, s34, s4
	s_mul_hi_u32 s35, s34, s2
	s_add_u32 s4, s4, s38
	s_addc_u32 s35, 0, s35
	s_add_u32 s4, s4, s9
	s_mul_hi_u32 s3, s8, s2
	s_addc_u32 s4, s35, s5
	s_addc_u32 s3, s3, 0
	s_mul_i32 s2, s8, s2
	s_add_u32 s2, s4, s2
	s_addc_u32 s4, 0, s3
	s_add_u32 s5, s34, s2
	s_cselect_b64 s[2:3], -1, 0
	s_cmp_lg_u64 s[2:3], 0
	s_addc_u32 s2, s8, s4
	s_mul_i32 s4, s0, s2
	s_mul_hi_u32 s8, s0, s5
	s_mul_hi_u32 s3, s0, s2
	s_add_u32 s4, s8, s4
	s_addc_u32 s3, 0, s3
	s_mul_hi_u32 s9, s51, s5
	s_mul_i32 s5, s51, s5
	s_add_u32 s4, s4, s5
	s_mul_hi_u32 s8, s51, s2
	s_addc_u32 s3, s3, s9
	s_addc_u32 s4, s8, 0
	s_mul_i32 s2, s51, s2
	s_add_u32 s2, s3, s2
	s_addc_u32 s3, 0, s4
	s_mul_i32 s3, s33, s3
	s_mul_hi_u32 s4, s33, s2
	s_add_i32 s4, s4, s3
	s_mul_i32 s2, s33, s2
	s_sub_u32 s8, s0, s2
	s_cselect_b64 s[2:3], -1, 0
	s_cmp_lg_u64 s[2:3], 0
	s_subb_u32 s4, s51, s4
	s_sub_u32 s5, s8, s33
	s_cselect_b64 s[2:3], -1, 0
	s_cmp_lg_u64 s[2:3], 0
	s_subb_u32 s9, s4, 0
	;; [unrolled: 4-line block ×3, first 2 shown]
	s_cmp_ge_u32 s5, s33
	s_cselect_b32 s3, -1, 0
	s_cmp_eq_u32 s9, 0
	s_cselect_b32 s3, s3, -1
	s_cmp_lg_u32 s3, 0
	s_cselect_b32 s2, s2, s9
	s_cselect_b32 s3, s34, s5
	s_cmp_ge_u32 s8, s33
	s_cselect_b32 s5, -1, 0
	s_cmp_eq_u32 s4, 0
	s_cselect_b32 s5, s5, -1
	s_cmp_lg_u32 s5, 0
	s_cselect_b32 s5, s2, s4
	s_cselect_b32 s4, s3, s8
	s_mov_b64 s[2:3], 0
	s_branch .LBB87_132
.LBB87_127:                             ;   in Loop: Header=BB87_36 Depth=1
                                        ; implicit-def: $sgpr4_sgpr5
	s_branch .LBB87_113
.LBB87_128:                             ;   in Loop: Header=BB87_36 Depth=1
	s_or_b64 exec, exec, s[18:19]
	s_waitcnt lgkmcnt(0)
	s_barrier
	s_and_saveexec_b64 s[2:3], s[56:57]
	s_cbranch_execz .LBB87_130
; %bb.129:                              ;   in Loop: Header=BB87_36 Depth=1
	ds_read_b32 v4, v3 offset:5144
	s_waitcnt lgkmcnt(0)
	v_ashrrev_i32_e32 v5, 31, v4
	ds_write_b64 v3, v[4:5] offset:5120
.LBB87_130:                             ;   in Loop: Header=BB87_36 Depth=1
	s_or_b64 exec, exec, s[2:3]
	s_waitcnt lgkmcnt(0)
	s_barrier
	s_mov_b64 s[4:5], -1
	s_and_b64 vcc, exec, s[6:7]
	s_cbranch_vccnz .LBB87_51
	s_branch .LBB87_66
.LBB87_131:                             ;   in Loop: Header=BB87_36 Depth=1
	s_mov_b64 s[2:3], -1
                                        ; implicit-def: $sgpr4_sgpr5
.LBB87_132:                             ;   in Loop: Header=BB87_36 Depth=1
	s_andn2_b64 vcc, exec, s[2:3]
	v_readlane_b32 s50, v56, 36
	s_cbranch_vccnz .LBB87_134
; %bb.133:                              ;   in Loop: Header=BB87_36 Depth=1
	v_cvt_f32_u32_e32 v2, s33
	s_sub_i32 s2, 0, s33
	v_rcp_iflag_f32_e32 v2, v2
	v_mul_f32_e32 v2, 0x4f7ffffe, v2
	v_cvt_u32_f32_e32 v2, v2
	v_readfirstlane_b32 s3, v2
	s_mul_i32 s2, s2, s3
	s_mul_hi_u32 s2, s3, s2
	s_add_i32 s3, s3, s2
	s_mul_hi_u32 s2, s0, s3
	s_mul_i32 s2, s2, s33
	s_sub_i32 s2, s0, s2
	s_sub_i32 s3, s2, s33
	s_cmp_ge_u32 s2, s33
	s_cselect_b32 s2, s3, s2
	s_sub_i32 s3, s2, s33
	s_cmp_ge_u32 s2, s33
	s_cselect_b32 s60, s3, s2
	s_mov_b64 s[4:5], s[60:61]
	v_readlane_b32 s60, v56, 37
.LBB87_134:                             ;   in Loop: Header=BB87_36 Depth=1
	s_sub_u32 s34, s0, s4
	s_subb_u32 s35, s51, s5
	v_cmp_gt_u64_e32 vcc, s[34:35], v[0:1]
                                        ; implicit-def: $vgpr45
	s_and_saveexec_b64 s[4:5], vcc
	s_cbranch_execz .LBB87_143
; %bb.135:                              ;   in Loop: Header=BB87_36 Depth=1
	v_mov_b32_e32 v8, v12
	v_mov_b32_e32 v11, v1
	s_mov_b64 s[8:9], 0
	v_mov_b32_e32 v9, v13
	v_mov_b32_e32 v10, v0
                                        ; implicit-def: $sgpr38_sgpr39
	s_branch .LBB87_138
.LBB87_136:                             ;   in Loop: Header=BB87_138 Depth=2
	s_or_b64 exec, exec, s[40:41]
	s_waitcnt lgkmcnt(0)
	s_barrier
	ds_read_u16 v2, v3 offset:3072
	s_mov_b64 s[40:41], -1
	s_mov_b64 s[42:43], -1
	s_waitcnt lgkmcnt(0)
	s_barrier
	v_cmp_ne_u32_sdwa s[2:3], v2, v3 src0_sel:BYTE_0 src1_sel:DWORD
	s_and_b64 vcc, exec, s[2:3]
	s_cbranch_vccz .LBB87_141
.LBB87_137:                             ;   in Loop: Header=BB87_138 Depth=2
	s_and_b64 s[2:3], exec, s[40:41]
	s_or_b64 s[8:9], s[2:3], s[8:9]
	s_andn2_b64 s[2:3], s[38:39], exec
	s_and_b64 s[38:39], s[42:43], exec
	s_or_b64 s[38:39], s[2:3], s[38:39]
	s_andn2_b64 exec, exec, s[8:9]
	s_cbranch_execz .LBB87_142
.LBB87_138:                             ;   Parent Loop BB87_36 Depth=1
                                        ; =>  This Inner Loop Header: Depth=2
	v_cmp_gt_u64_e32 vcc, s[24:25], v[10:11]
	s_and_saveexec_b64 s[40:41], vcc
	s_cbranch_execz .LBB87_136
; %bb.139:                              ;   in Loop: Header=BB87_138 Depth=2
	global_load_ubyte v2, v[8:9], off
	s_waitcnt vmcnt(0)
	v_add_u32_sdwa v28, sext(v2), s46 dst_sel:DWORD dst_unused:UNUSED_PAD src0_sel:BYTE_0 src1_sel:DWORD
	v_and_b32_e32 v28, v28, v44
	v_cmp_eq_u32_e32 vcc, v28, v41
	s_and_b64 exec, exec, vcc
	s_cbranch_execz .LBB87_136
; %bb.140:                              ;   in Loop: Header=BB87_138 Depth=2
	v_lshlrev_b16_e32 v2, 8, v2
	v_or_b32_e32 v2, 1, v2
	ds_write_b16 v3, v2 offset:3072
	s_branch .LBB87_136
.LBB87_141:                             ;   in Loop: Header=BB87_138 Depth=2
	v_add_co_u32_e32 v10, vcc, s33, v10
	v_addc_co_u32_e32 v11, vcc, 0, v11, vcc
	v_mov_b32_e32 v28, s48
	v_add_co_u32_e32 v8, vcc, s49, v8
	v_addc_co_u32_e32 v9, vcc, v9, v28, vcc
	v_cmp_le_u64_e32 vcc, s[34:35], v[10:11]
	s_mov_b64 s[42:43], 0
	s_orn2_b64 s[40:41], vcc, exec
	s_branch .LBB87_137
.LBB87_142:                             ;   in Loop: Header=BB87_36 Depth=1
	s_or_b64 exec, exec, s[8:9]
	s_andn2_b64 s[2:3], s[6:7], exec
	s_and_b64 s[6:7], s[38:39], exec
	v_lshrrev_b32_sdwa v45, v43, v2 dst_sel:DWORD dst_unused:UNUSED_PAD src0_sel:DWORD src1_sel:WORD_0
	s_or_b64 s[6:7], s[2:3], s[6:7]
.LBB87_143:                             ;   in Loop: Header=BB87_36 Depth=1
	s_or_b64 exec, exec, s[4:5]
	s_mov_b64 s[38:39], 0
	s_mov_b64 s[40:41], -1
.LBB87_144:                             ;   in Loop: Header=BB87_36 Depth=1
	s_orn2_b64 s[4:5], s[6:7], exec
.LBB87_145:                             ;   in Loop: Header=BB87_36 Depth=1
	s_or_b64 exec, exec, s[18:19]
	s_andn2_b64 s[2:3], s[76:77], exec
	s_and_b64 s[6:7], s[40:41], exec
	s_or_b64 s[76:77], s[2:3], s[6:7]
	s_andn2_b64 s[2:3], s[74:75], exec
	s_and_b64 s[6:7], s[38:39], exec
	s_andn2_b64 s[72:73], s[72:73], exec
	s_or_b64 s[74:75], s[2:3], s[6:7]
                                        ; implicit-def: $vgpr8_vgpr9
	s_and_saveexec_b64 s[18:19], s[4:5]
	s_cbranch_execz .LBB87_35
; %bb.146:                              ;   in Loop: Header=BB87_36 Depth=1
	v_mov_b32_e32 v8, 1
	s_xor_b64 s[2:3], s[20:21], -1
	v_mov_b32_e32 v2, 1
	v_mov_b32_e32 v9, 0
	s_mov_b64 s[8:9], 0
	s_and_saveexec_b64 s[6:7], s[2:3]
	s_cbranch_execz .LBB87_152
; %bb.147:                              ;   in Loop: Header=BB87_36 Depth=1
	v_cmp_le_u64_e32 vcc, v[26:27], v[4:5]
	s_and_saveexec_b64 s[2:3], vcc
	s_xor_b64 s[4:5], exec, s[2:3]
	s_cbranch_execz .LBB87_149
; %bb.148:                              ;   in Loop: Header=BB87_36 Depth=1
	ds_read_b64 v[8:9], v3 offset:5120
	v_and_b32_e32 v41, s53, v41
	v_or_b32_e32 v44, s52, v44
	s_waitcnt lgkmcnt(0)
	v_cmp_ne_u64_e32 vcc, 0, v[8:9]
	s_cbranch_vccz .LBB87_168
.LBB87_149:                             ;   in Loop: Header=BB87_36 Depth=1
	s_or_saveexec_b64 s[4:5], s[4:5]
	v_mov_b32_e32 v2, 8
	s_xor_b64 exec, exec, s[4:5]
.LBB87_150:                             ;   in Loop: Header=BB87_36 Depth=1
	v_sub_co_u32_e32 v26, vcc, v26, v4
	v_subb_co_u32_e32 v27, vcc, v27, v5, vcc
	v_mov_b32_e32 v2, 0
	s_mov_b64 s[8:9], exec
.LBB87_151:                             ;   in Loop: Header=BB87_36 Depth=1
	s_or_b64 exec, exec, s[4:5]
	v_mov_b32_e32 v8, v26
	s_and_b64 s[8:9], s[8:9], exec
	v_mov_b32_e32 v9, v27
.LBB87_152:                             ;   in Loop: Header=BB87_36 Depth=1
	s_or_b64 exec, exec, s[6:7]
	s_mov_b64 s[20:21], -1
	s_mov_b64 s[4:5], -1
                                        ; implicit-def: $sgpr14_sgpr15
                                        ; implicit-def: $sgpr82_sgpr83
	s_and_saveexec_b64 s[2:3], s[8:9]
	s_xor_b64 s[78:79], exec, s[2:3]
	s_cbranch_execz .LBB87_300
; %bb.153:                              ;   in Loop: Header=BB87_36 Depth=1
	v_cmp_eq_u64_e32 vcc, 1, v[6:7]
	v_cmp_eq_u64_e64 s[14:15], 1, v[8:9]
                                        ; implicit-def: $sgpr82_sgpr83
	s_and_b64 s[86:87], vcc, s[14:15]
                                        ; implicit-def: $sgpr14_sgpr15
	s_and_saveexec_b64 s[84:85], s[86:87]
	s_cbranch_execz .LBB87_191
; %bb.154:                              ;   in Loop: Header=BB87_36 Depth=1
	ds_read_b64 v[4:5], v3 offset:5120
	s_waitcnt lgkmcnt(0)
	s_barrier
	v_readfirstlane_b32 s6, v4
	v_readfirstlane_b32 s7, v5
	s_mov_b64 s[2:3], exec
	v_readlane_b32 s4, v56, 31
	v_readlane_b32 s5, v56, 32
	s_and_b64 s[4:5], s[2:3], s[4:5]
	s_mov_b64 exec, s[4:5]
; %bb.155:                              ;   in Loop: Header=BB87_36 Depth=1
	ds_write_b8 v0, v3 offset:3072
; %bb.156:                              ;   in Loop: Header=BB87_36 Depth=1
	s_or_b64 exec, exec, s[2:3]
	v_and_b32_e32 v4, s53, v41
	v_lshl_or_b32 v41, 1, s63, v4
	v_or_b32_e32 v44, s52, v44
	s_mov_b64 s[14:15], -1
	s_mov_b64 s[82:83], 0
	s_cmp_eq_u64 s[6:7], 0
	s_mov_b64 s[38:39], 0
	s_mov_b64 s[34:35], -1
	s_waitcnt lgkmcnt(0)
	s_barrier
                                        ; implicit-def: $vgpr45
	s_cbranch_scc1 .LBB87_173
; %bb.157:                              ;   in Loop: Header=BB87_36 Depth=1
	v_readlane_b32 s2, v56, 14
	s_add_u32 s8, s6, s2
	v_readlane_b32 s2, v56, 15
	s_addc_u32 s35, s7, s2
	s_mov_b32 s34, s61
	s_cmp_lg_u64 s[34:35], 0
	s_cbranch_scc0 .LBB87_176
; %bb.158:                              ;   in Loop: Header=BB87_36 Depth=1
	v_cvt_f32_u32_e32 v4, s33
	s_sub_u32 s4, 0, s33
	s_subb_u32 s5, 0, 0
	v_mac_f32_e32 v4, 0, v42
	v_rcp_f32_e32 v4, v4
	v_mul_f32_e32 v4, 0x5f7ffffc, v4
	v_mul_f32_e32 v5, 0x2f800000, v4
	v_trunc_f32_e32 v5, v5
	v_mac_f32_e32 v4, 0xcf800000, v5
	v_cvt_u32_f32_e32 v5, v5
	v_cvt_u32_f32_e32 v4, v4
	v_readfirstlane_b32 s9, v5
	v_readfirstlane_b32 s2, v4
	s_mul_i32 s3, s4, s9
	s_mul_hi_u32 s38, s4, s2
	s_mul_i32 s34, s5, s2
	s_add_i32 s3, s38, s3
	s_mul_i32 s39, s4, s2
	s_add_i32 s3, s3, s34
	s_mul_hi_u32 s38, s2, s39
	s_mul_i32 s40, s2, s3
	s_mul_hi_u32 s34, s2, s3
	s_add_u32 s38, s38, s40
	s_addc_u32 s34, 0, s34
	s_mul_hi_u32 s41, s9, s39
	s_mul_i32 s39, s9, s39
	s_add_u32 s38, s38, s39
	s_mul_hi_u32 s40, s9, s3
	s_addc_u32 s34, s34, s41
	s_addc_u32 s38, s40, 0
	s_mul_i32 s3, s9, s3
	s_add_u32 s3, s34, s3
	s_addc_u32 s34, 0, s38
	s_add_u32 s38, s2, s3
	s_cselect_b64 s[2:3], -1, 0
	s_cmp_lg_u64 s[2:3], 0
	s_addc_u32 s9, s9, s34
	s_mul_i32 s2, s4, s9
	s_mul_hi_u32 s3, s4, s38
	s_add_i32 s2, s3, s2
	s_mul_i32 s5, s5, s38
	s_add_i32 s2, s2, s5
	s_mul_i32 s4, s4, s38
	s_mul_hi_u32 s5, s9, s4
	s_mul_i32 s34, s9, s4
	s_mul_i32 s40, s38, s2
	s_mul_hi_u32 s4, s38, s4
	s_mul_hi_u32 s39, s38, s2
	s_add_u32 s4, s4, s40
	s_addc_u32 s39, 0, s39
	s_add_u32 s4, s4, s34
	s_mul_hi_u32 s3, s9, s2
	s_addc_u32 s4, s39, s5
	s_addc_u32 s3, s3, 0
	s_mul_i32 s2, s9, s2
	s_add_u32 s2, s4, s2
	s_addc_u32 s4, 0, s3
	s_add_u32 s5, s38, s2
	s_cselect_b64 s[2:3], -1, 0
	s_cmp_lg_u64 s[2:3], 0
	s_addc_u32 s2, s9, s4
	s_mul_i32 s4, s8, s2
	s_mul_hi_u32 s9, s8, s5
	s_mul_hi_u32 s3, s8, s2
	s_add_u32 s4, s9, s4
	s_addc_u32 s3, 0, s3
	s_mul_hi_u32 s34, s35, s5
	s_mul_i32 s5, s35, s5
	s_add_u32 s4, s4, s5
	s_mul_hi_u32 s9, s35, s2
	s_addc_u32 s3, s3, s34
	s_addc_u32 s4, s9, 0
	s_mul_i32 s2, s35, s2
	s_add_u32 s2, s3, s2
	s_addc_u32 s3, 0, s4
	s_mul_i32 s3, s33, s3
	s_mul_hi_u32 s4, s33, s2
	s_add_i32 s4, s4, s3
	s_mul_i32 s2, s33, s2
	s_sub_u32 s9, s8, s2
	s_cselect_b64 s[2:3], -1, 0
	s_cmp_lg_u64 s[2:3], 0
	s_subb_u32 s4, s35, s4
	s_sub_u32 s5, s9, s33
	s_cselect_b64 s[2:3], -1, 0
	s_cmp_lg_u64 s[2:3], 0
	s_subb_u32 s34, s4, 0
	;; [unrolled: 4-line block ×3, first 2 shown]
	s_cmp_ge_u32 s5, s33
	s_cselect_b32 s3, -1, 0
	s_cmp_eq_u32 s34, 0
	s_cselect_b32 s3, s3, -1
	s_cmp_lg_u32 s3, 0
	s_cselect_b32 s2, s2, s34
	s_cselect_b32 s3, s38, s5
	s_cmp_ge_u32 s9, s33
	s_cselect_b32 s5, -1, 0
	s_cmp_eq_u32 s4, 0
	s_cselect_b32 s5, s5, -1
	s_cmp_lg_u32 s5, 0
	s_cselect_b32 s5, s2, s4
	s_cselect_b32 s4, s3, s9
	s_cbranch_execnz .LBB87_160
.LBB87_159:                             ;   in Loop: Header=BB87_36 Depth=1
	v_cvt_f32_u32_e32 v4, s33
	s_sub_i32 s2, 0, s33
	v_rcp_iflag_f32_e32 v4, v4
	v_mul_f32_e32 v4, 0x4f7ffffe, v4
	v_cvt_u32_f32_e32 v4, v4
	v_readfirstlane_b32 s3, v4
	s_mul_i32 s2, s2, s3
	s_mul_hi_u32 s2, s3, s2
	s_add_i32 s3, s3, s2
	s_mul_hi_u32 s2, s8, s3
	s_mul_i32 s2, s2, s33
	s_sub_i32 s2, s8, s2
	s_sub_i32 s3, s2, s33
	s_cmp_ge_u32 s2, s33
	s_cselect_b32 s2, s3, s2
	s_sub_i32 s3, s2, s33
	s_cmp_ge_u32 s2, s33
	s_cselect_b32 s60, s3, s2
	s_mov_b64 s[4:5], s[60:61]
	v_readlane_b32 s60, v56, 37
.LBB87_160:                             ;   in Loop: Header=BB87_36 Depth=1
	s_sub_u32 s8, s8, s4
	s_subb_u32 s9, s35, s5
	v_cmp_gt_u64_e32 vcc, s[8:9], v[0:1]
	s_mov_b64 s[34:35], 0
	s_mov_b64 s[38:39], 0
                                        ; implicit-def: $vgpr45
	s_and_saveexec_b64 s[4:5], vcc
	s_cbranch_execz .LBB87_172
; %bb.161:                              ;   in Loop: Header=BB87_36 Depth=1
	v_mov_b32_e32 v5, v1
	v_mov_b32_e32 v10, v0
	;; [unrolled: 1-line block ×3, first 2 shown]
                                        ; implicit-def: $sgpr40_sgpr41
	s_branch .LBB87_164
.LBB87_162:                             ;   in Loop: Header=BB87_164 Depth=2
	s_or_b64 exec, exec, s[42:43]
	s_waitcnt lgkmcnt(0)
	s_barrier
	ds_read_u16 v11, v3 offset:3072
	s_mov_b64 s[42:43], -1
	s_mov_b64 s[54:55], -1
	s_waitcnt lgkmcnt(0)
	s_barrier
	v_cmp_ne_u32_sdwa s[2:3], v11, v3 src0_sel:BYTE_0 src1_sel:DWORD
	s_and_b64 vcc, exec, s[2:3]
	s_cbranch_vccz .LBB87_167
.LBB87_163:                             ;   in Loop: Header=BB87_164 Depth=2
	s_and_b64 s[2:3], exec, s[42:43]
	s_or_b64 s[38:39], s[2:3], s[38:39]
	s_andn2_b64 s[2:3], s[40:41], exec
	s_and_b64 s[40:41], s[54:55], exec
	s_or_b64 s[40:41], s[2:3], s[40:41]
	s_andn2_b64 exec, exec, s[38:39]
	s_cbranch_execz .LBB87_171
.LBB87_164:                             ;   Parent Loop BB87_36 Depth=1
                                        ; =>  This Inner Loop Header: Depth=2
	v_cmp_gt_u64_e32 vcc, s[6:7], v[4:5]
	s_and_saveexec_b64 s[42:43], vcc
	s_cbranch_execz .LBB87_162
; %bb.165:                              ;   in Loop: Header=BB87_164 Depth=2
	ds_read_u8 v11, v10
	s_waitcnt lgkmcnt(0)
	v_add_u32_sdwa v26, sext(v11), s46 dst_sel:DWORD dst_unused:UNUSED_PAD src0_sel:BYTE_0 src1_sel:DWORD
	v_and_b32_e32 v26, v26, v44
	v_cmp_eq_u32_e32 vcc, v26, v41
	s_and_b64 exec, exec, vcc
	s_cbranch_execz .LBB87_162
; %bb.166:                              ;   in Loop: Header=BB87_164 Depth=2
	v_lshlrev_b16_e32 v11, 8, v11
	v_or_b32_e32 v11, 1, v11
	ds_write_b16 v3, v11 offset:3072
	s_branch .LBB87_162
.LBB87_167:                             ;   in Loop: Header=BB87_164 Depth=2
	v_add_co_u32_e32 v4, vcc, s33, v4
	v_addc_co_u32_e32 v5, vcc, 0, v5, vcc
	v_cmp_le_u64_e32 vcc, s[8:9], v[4:5]
	v_add_u32_e32 v10, s33, v10
	s_mov_b64 s[54:55], 0
	s_orn2_b64 s[42:43], vcc, exec
	s_branch .LBB87_163
.LBB87_168:                             ;   in Loop: Header=BB87_36 Depth=1
	s_and_saveexec_b64 s[2:3], s[56:57]
; %bb.169:                              ;   in Loop: Header=BB87_36 Depth=1
	ds_write_b64 v3, v[4:5] offset:5128
; %bb.170:                              ;   in Loop: Header=BB87_36 Depth=1
	s_or_b64 exec, exec, s[2:3]
	s_waitcnt lgkmcnt(0)
	s_barrier
	s_or_saveexec_b64 s[4:5], s[4:5]
	v_mov_b32_e32 v2, 8
	s_xor_b64 exec, exec, s[4:5]
	s_cbranch_execnz .LBB87_150
	s_branch .LBB87_151
.LBB87_171:                             ;   in Loop: Header=BB87_36 Depth=1
	s_or_b64 exec, exec, s[38:39]
	v_lshrrev_b32_sdwa v45, v43, v11 dst_sel:DWORD dst_unused:UNUSED_PAD src0_sel:DWORD src1_sel:WORD_0
	s_and_b64 s[38:39], s[40:41], exec
.LBB87_172:                             ;   in Loop: Header=BB87_36 Depth=1
	s_or_b64 exec, exec, s[4:5]
.LBB87_173:                             ;   in Loop: Header=BB87_36 Depth=1
	s_and_b64 vcc, exec, s[34:35]
	s_cbranch_vccz .LBB87_190
; %bb.174:                              ;   in Loop: Header=BB87_36 Depth=1
	s_mov_b32 s50, s61
	s_cmp_lg_u64 s[50:51], 0
	s_cbranch_scc0 .LBB87_177
; %bb.175:                              ;   in Loop: Header=BB87_36 Depth=1
	v_cvt_f32_u32_e32 v4, s33
	s_sub_u32 s4, 0, s33
	s_subb_u32 s5, 0, 0
	v_mac_f32_e32 v4, 0, v42
	v_rcp_f32_e32 v4, v4
	v_mul_f32_e32 v4, 0x5f7ffffc, v4
	v_mul_f32_e32 v5, 0x2f800000, v4
	v_trunc_f32_e32 v5, v5
	v_mac_f32_e32 v4, 0xcf800000, v5
	v_cvt_u32_f32_e32 v5, v5
	v_cvt_u32_f32_e32 v4, v4
	v_readfirstlane_b32 s6, v5
	v_readfirstlane_b32 s2, v4
	s_mul_i32 s3, s4, s6
	s_mul_hi_u32 s8, s4, s2
	s_mul_i32 s7, s5, s2
	s_add_i32 s3, s8, s3
	s_mul_i32 s9, s4, s2
	s_add_i32 s3, s3, s7
	s_mul_hi_u32 s8, s2, s9
	s_mul_i32 s14, s2, s3
	s_mul_hi_u32 s7, s2, s3
	s_add_u32 s8, s8, s14
	s_addc_u32 s7, 0, s7
	s_mul_hi_u32 s15, s6, s9
	s_mul_i32 s9, s6, s9
	s_add_u32 s8, s8, s9
	s_mul_hi_u32 s14, s6, s3
	s_addc_u32 s7, s7, s15
	s_addc_u32 s8, s14, 0
	s_mul_i32 s3, s6, s3
	s_add_u32 s3, s7, s3
	s_addc_u32 s7, 0, s8
	s_add_u32 s8, s2, s3
	s_cselect_b64 s[2:3], -1, 0
	s_cmp_lg_u64 s[2:3], 0
	s_addc_u32 s6, s6, s7
	s_mul_i32 s2, s4, s6
	s_mul_hi_u32 s3, s4, s8
	s_add_i32 s2, s3, s2
	s_mul_i32 s5, s5, s8
	s_add_i32 s2, s2, s5
	s_mul_i32 s4, s4, s8
	s_mul_hi_u32 s5, s6, s4
	s_mul_i32 s7, s6, s4
	s_mul_i32 s14, s8, s2
	s_mul_hi_u32 s4, s8, s4
	s_mul_hi_u32 s9, s8, s2
	s_add_u32 s4, s4, s14
	s_addc_u32 s9, 0, s9
	s_add_u32 s4, s4, s7
	s_mul_hi_u32 s3, s6, s2
	s_addc_u32 s4, s9, s5
	s_addc_u32 s3, s3, 0
	s_mul_i32 s2, s6, s2
	s_add_u32 s2, s4, s2
	s_addc_u32 s4, 0, s3
	s_add_u32 s5, s8, s2
	s_cselect_b64 s[2:3], -1, 0
	s_cmp_lg_u64 s[2:3], 0
	s_addc_u32 s2, s6, s4
	s_mul_i32 s4, s0, s2
	s_mul_hi_u32 s6, s0, s5
	s_mul_hi_u32 s3, s0, s2
	s_add_u32 s4, s6, s4
	s_addc_u32 s3, 0, s3
	s_mul_hi_u32 s7, s51, s5
	s_mul_i32 s5, s51, s5
	s_add_u32 s4, s4, s5
	s_mul_hi_u32 s6, s51, s2
	s_addc_u32 s3, s3, s7
	s_addc_u32 s4, s6, 0
	s_mul_i32 s2, s51, s2
	s_add_u32 s2, s3, s2
	s_addc_u32 s3, 0, s4
	s_mul_i32 s3, s33, s3
	s_mul_hi_u32 s4, s33, s2
	s_add_i32 s4, s4, s3
	s_mul_i32 s2, s33, s2
	s_sub_u32 s6, s0, s2
	s_cselect_b64 s[2:3], -1, 0
	s_cmp_lg_u64 s[2:3], 0
	s_subb_u32 s4, s51, s4
	s_sub_u32 s5, s6, s33
	s_cselect_b64 s[2:3], -1, 0
	s_cmp_lg_u64 s[2:3], 0
	s_subb_u32 s7, s4, 0
	;; [unrolled: 4-line block ×3, first 2 shown]
	s_cmp_ge_u32 s5, s33
	s_cselect_b32 s3, -1, 0
	s_cmp_eq_u32 s7, 0
	s_cselect_b32 s3, s3, -1
	s_cmp_lg_u32 s3, 0
	s_cselect_b32 s2, s2, s7
	s_cselect_b32 s3, s8, s5
	s_cmp_ge_u32 s6, s33
	s_cselect_b32 s5, -1, 0
	s_cmp_eq_u32 s4, 0
	s_cselect_b32 s5, s5, -1
	s_cmp_lg_u32 s5, 0
	s_cselect_b32 s5, s2, s4
	s_cselect_b32 s4, s3, s6
	s_mov_b64 s[2:3], 0
	s_branch .LBB87_178
.LBB87_176:                             ;   in Loop: Header=BB87_36 Depth=1
                                        ; implicit-def: $sgpr4_sgpr5
	s_branch .LBB87_159
.LBB87_177:                             ;   in Loop: Header=BB87_36 Depth=1
	s_mov_b64 s[2:3], -1
                                        ; implicit-def: $sgpr4_sgpr5
.LBB87_178:                             ;   in Loop: Header=BB87_36 Depth=1
	s_andn2_b64 vcc, exec, s[2:3]
	v_readlane_b32 s50, v56, 36
	s_cbranch_vccnz .LBB87_180
; %bb.179:                              ;   in Loop: Header=BB87_36 Depth=1
	v_cvt_f32_u32_e32 v4, s33
	s_sub_i32 s2, 0, s33
	v_rcp_iflag_f32_e32 v4, v4
	v_mul_f32_e32 v4, 0x4f7ffffe, v4
	v_cvt_u32_f32_e32 v4, v4
	v_readfirstlane_b32 s3, v4
	s_mul_i32 s2, s2, s3
	s_mul_hi_u32 s2, s3, s2
	s_add_i32 s3, s3, s2
	s_mul_hi_u32 s2, s0, s3
	s_mul_i32 s2, s2, s33
	s_sub_i32 s2, s0, s2
	s_sub_i32 s3, s2, s33
	s_cmp_ge_u32 s2, s33
	s_cselect_b32 s2, s3, s2
	s_sub_i32 s3, s2, s33
	s_cmp_ge_u32 s2, s33
	s_cselect_b32 s60, s3, s2
	s_mov_b64 s[4:5], s[60:61]
	v_readlane_b32 s60, v56, 37
.LBB87_180:                             ;   in Loop: Header=BB87_36 Depth=1
	s_sub_u32 s6, s0, s4
	s_subb_u32 s7, s51, s5
	v_cmp_gt_u64_e32 vcc, s[6:7], v[0:1]
                                        ; implicit-def: $vgpr45
	s_and_saveexec_b64 s[4:5], vcc
	s_cbranch_execz .LBB87_189
; %bb.181:                              ;   in Loop: Header=BB87_36 Depth=1
	v_mov_b32_e32 v4, v12
	v_mov_b32_e32 v11, v1
	s_mov_b64 s[8:9], 0
	v_mov_b32_e32 v5, v13
	v_mov_b32_e32 v10, v0
                                        ; implicit-def: $sgpr14_sgpr15
	s_branch .LBB87_184
.LBB87_182:                             ;   in Loop: Header=BB87_184 Depth=2
	s_or_b64 exec, exec, s[34:35]
	s_waitcnt lgkmcnt(0)
	s_barrier
	ds_read_u16 v26, v3 offset:3072
	s_mov_b64 s[34:35], -1
	s_mov_b64 s[40:41], -1
	s_waitcnt lgkmcnt(0)
	s_barrier
	v_cmp_eq_u32_sdwa s[2:3], v26, v3 src0_sel:BYTE_0 src1_sel:DWORD
	s_and_b64 vcc, exec, s[2:3]
	s_cbranch_vccnz .LBB87_187
.LBB87_183:                             ;   in Loop: Header=BB87_184 Depth=2
	s_and_b64 s[2:3], exec, s[34:35]
	s_or_b64 s[8:9], s[2:3], s[8:9]
	s_andn2_b64 s[2:3], s[14:15], exec
	s_and_b64 s[14:15], s[40:41], exec
	s_or_b64 s[14:15], s[2:3], s[14:15]
	s_andn2_b64 exec, exec, s[8:9]
	s_cbranch_execz .LBB87_188
.LBB87_184:                             ;   Parent Loop BB87_36 Depth=1
                                        ; =>  This Inner Loop Header: Depth=2
	v_cmp_gt_u64_e32 vcc, s[24:25], v[10:11]
	s_and_saveexec_b64 s[34:35], vcc
	s_cbranch_execz .LBB87_182
; %bb.185:                              ;   in Loop: Header=BB87_184 Depth=2
	global_load_ubyte v26, v[4:5], off
	s_waitcnt vmcnt(0)
	v_add_u32_sdwa v27, sext(v26), s46 dst_sel:DWORD dst_unused:UNUSED_PAD src0_sel:BYTE_0 src1_sel:DWORD
	v_and_b32_e32 v27, v27, v44
	v_cmp_eq_u32_e32 vcc, v27, v41
	s_and_b64 exec, exec, vcc
	s_cbranch_execz .LBB87_182
; %bb.186:                              ;   in Loop: Header=BB87_184 Depth=2
	v_lshlrev_b16_e32 v26, 8, v26
	v_or_b32_e32 v26, 1, v26
	ds_write_b16 v3, v26 offset:3072
	s_branch .LBB87_182
.LBB87_187:                             ;   in Loop: Header=BB87_184 Depth=2
	v_add_co_u32_e32 v10, vcc, s33, v10
	v_addc_co_u32_e32 v11, vcc, 0, v11, vcc
	v_mov_b32_e32 v27, s48
	v_add_co_u32_e32 v4, vcc, s49, v4
	v_addc_co_u32_e32 v5, vcc, v5, v27, vcc
	v_cmp_le_u64_e32 vcc, s[6:7], v[10:11]
	s_mov_b64 s[40:41], 0
	s_orn2_b64 s[34:35], vcc, exec
	s_branch .LBB87_183
.LBB87_188:                             ;   in Loop: Header=BB87_36 Depth=1
	s_or_b64 exec, exec, s[8:9]
	s_andn2_b64 s[2:3], s[38:39], exec
	s_and_b64 s[6:7], s[14:15], exec
	v_lshrrev_b32_sdwa v45, v43, v26 dst_sel:DWORD dst_unused:UNUSED_PAD src0_sel:DWORD src1_sel:WORD_0
	s_or_b64 s[38:39], s[2:3], s[6:7]
.LBB87_189:                             ;   in Loop: Header=BB87_36 Depth=1
	s_or_b64 exec, exec, s[4:5]
	s_mov_b64 s[14:15], 0
	s_mov_b64 s[82:83], -1
.LBB87_190:                             ;   in Loop: Header=BB87_36 Depth=1
	s_orn2_b64 s[4:5], s[38:39], exec
.LBB87_191:                             ;   in Loop: Header=BB87_36 Depth=1
	s_or_b64 exec, exec, s[84:85]
	s_mov_b64 s[6:7], 0
	s_and_saveexec_b64 s[84:85], s[4:5]
	s_cbranch_execz .LBB87_299
; %bb.192:                              ;   in Loop: Header=BB87_36 Depth=1
	v_mov_b32_e32 v4, 1
	s_xor_b64 s[2:3], s[86:87], -1
	v_mov_b32_e32 v2, 1
	v_mov_b32_e32 v5, 0
	s_mov_b64 s[8:9], 0
	s_and_saveexec_b64 s[6:7], s[2:3]
	s_cbranch_execz .LBB87_202
; %bb.193:                              ;   in Loop: Header=BB87_36 Depth=1
	v_cmp_le_u64_e32 vcc, v[8:9], v[6:7]
	s_and_saveexec_b64 s[2:3], vcc
	s_xor_b64 s[4:5], exec, s[2:3]
	s_cbranch_execz .LBB87_199
; %bb.194:                              ;   in Loop: Header=BB87_36 Depth=1
	ds_read_b64 v[4:5], v3 offset:5120
	v_and_b32_e32 v2, s53, v41
	v_lshl_or_b32 v41, 1, s63, v2
	v_or_b32_e32 v44, s52, v44
	s_waitcnt lgkmcnt(0)
	v_cmp_ne_u64_e32 vcc, 0, v[4:5]
	s_cbranch_vccnz .LBB87_198
; %bb.195:                              ;   in Loop: Header=BB87_36 Depth=1
	s_and_saveexec_b64 s[2:3], s[56:57]
; %bb.196:                              ;   in Loop: Header=BB87_36 Depth=1
	ds_write_b64 v3, v[6:7] offset:5128
; %bb.197:                              ;   in Loop: Header=BB87_36 Depth=1
	s_or_b64 exec, exec, s[2:3]
	s_waitcnt lgkmcnt(0)
	s_barrier
.LBB87_198:                             ;   in Loop: Header=BB87_36 Depth=1
                                        ; implicit-def: $vgpr4_vgpr5_vgpr6_vgpr7
.LBB87_199:                             ;   in Loop: Header=BB87_36 Depth=1
	s_or_saveexec_b64 s[4:5], s[4:5]
	v_mov_b32_e32 v2, 8
	s_xor_b64 exec, exec, s[4:5]
; %bb.200:                              ;   in Loop: Header=BB87_36 Depth=1
	v_sub_co_u32_e32 v8, vcc, v8, v6
	v_subb_co_u32_e32 v9, vcc, v9, v7, vcc
	v_mov_b32_e32 v2, 0
	s_mov_b64 s[8:9], exec
; %bb.201:                              ;   in Loop: Header=BB87_36 Depth=1
	s_or_b64 exec, exec, s[4:5]
	v_mov_b32_e32 v4, v8
	s_and_b64 s[8:9], s[8:9], exec
	v_mov_b32_e32 v5, v9
.LBB87_202:                             ;   in Loop: Header=BB87_36 Depth=1
	s_or_b64 exec, exec, s[6:7]
	s_mov_b64 s[4:5], -1
                                        ; implicit-def: $sgpr88_sgpr89
                                        ; implicit-def: $sgpr90_sgpr91
	s_and_saveexec_b64 s[86:87], s[8:9]
	s_cbranch_execz .LBB87_298
; %bb.203:                              ;   in Loop: Header=BB87_36 Depth=1
	s_cmp_eq_u64 s[80:81], 1
	v_cmp_eq_u64_e32 vcc, 1, v[4:5]
	s_cselect_b64 s[2:3], -1, 0
	s_and_b64 s[94:95], s[2:3], vcc
                                        ; implicit-def: $sgpr90_sgpr91
                                        ; implicit-def: $sgpr88_sgpr89
	s_and_saveexec_b64 s[92:93], s[94:95]
	s_cbranch_execz .LBB87_238
; %bb.204:                              ;   in Loop: Header=BB87_36 Depth=1
	ds_read_b64 v[6:7], v3 offset:5120
	s_waitcnt lgkmcnt(0)
	s_barrier
	v_readfirstlane_b32 s6, v6
	v_readfirstlane_b32 s7, v7
	s_mov_b64 s[2:3], exec
	v_readlane_b32 s4, v56, 31
	v_readlane_b32 s5, v56, 32
	s_and_b64 s[4:5], s[2:3], s[4:5]
	s_mov_b64 exec, s[4:5]
; %bb.205:                              ;   in Loop: Header=BB87_36 Depth=1
	ds_write_b8 v0, v3 offset:3072
; %bb.206:                              ;   in Loop: Header=BB87_36 Depth=1
	s_or_b64 exec, exec, s[2:3]
	v_and_b32_e32 v6, s53, v41
	v_lshl_or_b32 v41, 2, s63, v6
	v_or_b32_e32 v44, s52, v44
	s_mov_b64 s[88:89], -1
	s_mov_b64 s[90:91], 0
	s_cmp_eq_u64 s[6:7], 0
	s_mov_b64 s[38:39], 0
	s_mov_b64 s[34:35], -1
	s_waitcnt lgkmcnt(0)
	s_barrier
                                        ; implicit-def: $vgpr45
	s_cbranch_scc1 .LBB87_220
; %bb.207:                              ;   in Loop: Header=BB87_36 Depth=1
	v_readlane_b32 s2, v56, 14
	s_add_u32 s8, s6, s2
	v_readlane_b32 s2, v56, 15
	s_addc_u32 s35, s7, s2
	s_mov_b32 s34, s61
	s_cmp_lg_u64 s[34:35], 0
	s_cbranch_scc0 .LBB87_223
; %bb.208:                              ;   in Loop: Header=BB87_36 Depth=1
	v_cvt_f32_u32_e32 v6, s33
	s_sub_u32 s4, 0, s33
	s_subb_u32 s5, 0, 0
	v_mac_f32_e32 v6, 0, v42
	v_rcp_f32_e32 v6, v6
	v_mul_f32_e32 v6, 0x5f7ffffc, v6
	v_mul_f32_e32 v7, 0x2f800000, v6
	v_trunc_f32_e32 v7, v7
	v_mac_f32_e32 v6, 0xcf800000, v7
	v_cvt_u32_f32_e32 v7, v7
	v_cvt_u32_f32_e32 v6, v6
	v_readfirstlane_b32 s9, v7
	v_readfirstlane_b32 s2, v6
	s_mul_i32 s3, s4, s9
	s_mul_hi_u32 s38, s4, s2
	s_mul_i32 s34, s5, s2
	s_add_i32 s3, s38, s3
	s_mul_i32 s39, s4, s2
	s_add_i32 s3, s3, s34
	s_mul_hi_u32 s38, s2, s39
	s_mul_i32 s40, s2, s3
	s_mul_hi_u32 s34, s2, s3
	s_add_u32 s38, s38, s40
	s_addc_u32 s34, 0, s34
	s_mul_hi_u32 s41, s9, s39
	s_mul_i32 s39, s9, s39
	s_add_u32 s38, s38, s39
	s_mul_hi_u32 s40, s9, s3
	s_addc_u32 s34, s34, s41
	s_addc_u32 s38, s40, 0
	s_mul_i32 s3, s9, s3
	s_add_u32 s3, s34, s3
	s_addc_u32 s34, 0, s38
	s_add_u32 s38, s2, s3
	s_cselect_b64 s[2:3], -1, 0
	s_cmp_lg_u64 s[2:3], 0
	s_addc_u32 s9, s9, s34
	s_mul_i32 s2, s4, s9
	s_mul_hi_u32 s3, s4, s38
	s_add_i32 s2, s3, s2
	s_mul_i32 s5, s5, s38
	s_add_i32 s2, s2, s5
	s_mul_i32 s4, s4, s38
	s_mul_hi_u32 s5, s9, s4
	s_mul_i32 s34, s9, s4
	s_mul_i32 s40, s38, s2
	s_mul_hi_u32 s4, s38, s4
	s_mul_hi_u32 s39, s38, s2
	s_add_u32 s4, s4, s40
	s_addc_u32 s39, 0, s39
	s_add_u32 s4, s4, s34
	s_mul_hi_u32 s3, s9, s2
	s_addc_u32 s4, s39, s5
	s_addc_u32 s3, s3, 0
	s_mul_i32 s2, s9, s2
	s_add_u32 s2, s4, s2
	s_addc_u32 s4, 0, s3
	s_add_u32 s5, s38, s2
	s_cselect_b64 s[2:3], -1, 0
	s_cmp_lg_u64 s[2:3], 0
	s_addc_u32 s2, s9, s4
	s_mul_i32 s4, s8, s2
	s_mul_hi_u32 s9, s8, s5
	s_mul_hi_u32 s3, s8, s2
	s_add_u32 s4, s9, s4
	s_addc_u32 s3, 0, s3
	s_mul_hi_u32 s34, s35, s5
	s_mul_i32 s5, s35, s5
	s_add_u32 s4, s4, s5
	s_mul_hi_u32 s9, s35, s2
	s_addc_u32 s3, s3, s34
	s_addc_u32 s4, s9, 0
	s_mul_i32 s2, s35, s2
	s_add_u32 s2, s3, s2
	s_addc_u32 s3, 0, s4
	s_mul_i32 s3, s33, s3
	s_mul_hi_u32 s4, s33, s2
	s_add_i32 s4, s4, s3
	s_mul_i32 s2, s33, s2
	s_sub_u32 s9, s8, s2
	s_cselect_b64 s[2:3], -1, 0
	s_cmp_lg_u64 s[2:3], 0
	s_subb_u32 s4, s35, s4
	s_sub_u32 s5, s9, s33
	s_cselect_b64 s[2:3], -1, 0
	s_cmp_lg_u64 s[2:3], 0
	s_subb_u32 s34, s4, 0
	;; [unrolled: 4-line block ×3, first 2 shown]
	s_cmp_ge_u32 s5, s33
	s_cselect_b32 s3, -1, 0
	s_cmp_eq_u32 s34, 0
	s_cselect_b32 s3, s3, -1
	s_cmp_lg_u32 s3, 0
	s_cselect_b32 s2, s2, s34
	s_cselect_b32 s3, s38, s5
	s_cmp_ge_u32 s9, s33
	s_cselect_b32 s5, -1, 0
	s_cmp_eq_u32 s4, 0
	s_cselect_b32 s5, s5, -1
	s_cmp_lg_u32 s5, 0
	s_cselect_b32 s5, s2, s4
	s_cselect_b32 s4, s3, s9
	s_cbranch_execnz .LBB87_210
.LBB87_209:                             ;   in Loop: Header=BB87_36 Depth=1
	v_cvt_f32_u32_e32 v6, s33
	s_sub_i32 s2, 0, s33
	v_rcp_iflag_f32_e32 v6, v6
	v_mul_f32_e32 v6, 0x4f7ffffe, v6
	v_cvt_u32_f32_e32 v6, v6
	v_readfirstlane_b32 s3, v6
	s_mul_i32 s2, s2, s3
	s_mul_hi_u32 s2, s3, s2
	s_add_i32 s3, s3, s2
	s_mul_hi_u32 s2, s8, s3
	s_mul_i32 s2, s2, s33
	s_sub_i32 s2, s8, s2
	s_sub_i32 s3, s2, s33
	s_cmp_ge_u32 s2, s33
	s_cselect_b32 s2, s3, s2
	s_sub_i32 s3, s2, s33
	s_cmp_ge_u32 s2, s33
	s_cselect_b32 s60, s3, s2
	s_mov_b64 s[4:5], s[60:61]
	v_readlane_b32 s60, v56, 37
.LBB87_210:                             ;   in Loop: Header=BB87_36 Depth=1
	s_sub_u32 s8, s8, s4
	s_subb_u32 s9, s35, s5
	v_cmp_gt_u64_e32 vcc, s[8:9], v[0:1]
	s_mov_b64 s[34:35], 0
	s_mov_b64 s[38:39], 0
                                        ; implicit-def: $vgpr45
	s_and_saveexec_b64 s[4:5], vcc
	s_cbranch_execz .LBB87_219
; %bb.211:                              ;   in Loop: Header=BB87_36 Depth=1
	v_mov_b32_e32 v7, v1
	v_mov_b32_e32 v8, v0
	;; [unrolled: 1-line block ×3, first 2 shown]
                                        ; implicit-def: $sgpr40_sgpr41
	s_branch .LBB87_214
.LBB87_212:                             ;   in Loop: Header=BB87_214 Depth=2
	s_or_b64 exec, exec, s[42:43]
	s_waitcnt lgkmcnt(0)
	s_barrier
	ds_read_u16 v9, v3 offset:3072
	s_mov_b64 s[42:43], -1
	s_mov_b64 s[54:55], -1
	s_waitcnt lgkmcnt(0)
	s_barrier
	v_cmp_ne_u32_sdwa s[2:3], v9, v3 src0_sel:BYTE_0 src1_sel:DWORD
	s_and_b64 vcc, exec, s[2:3]
	s_cbranch_vccz .LBB87_217
.LBB87_213:                             ;   in Loop: Header=BB87_214 Depth=2
	s_and_b64 s[2:3], exec, s[42:43]
	s_or_b64 s[38:39], s[2:3], s[38:39]
	s_andn2_b64 s[2:3], s[40:41], exec
	s_and_b64 s[40:41], s[54:55], exec
	s_or_b64 s[40:41], s[2:3], s[40:41]
	s_andn2_b64 exec, exec, s[38:39]
	s_cbranch_execz .LBB87_218
.LBB87_214:                             ;   Parent Loop BB87_36 Depth=1
                                        ; =>  This Inner Loop Header: Depth=2
	v_cmp_gt_u64_e32 vcc, s[6:7], v[6:7]
	s_and_saveexec_b64 s[42:43], vcc
	s_cbranch_execz .LBB87_212
; %bb.215:                              ;   in Loop: Header=BB87_214 Depth=2
	ds_read_u8 v9, v8
	s_waitcnt lgkmcnt(0)
	v_add_u32_sdwa v10, sext(v9), s46 dst_sel:DWORD dst_unused:UNUSED_PAD src0_sel:BYTE_0 src1_sel:DWORD
	v_and_b32_e32 v10, v10, v44
	v_cmp_eq_u32_e32 vcc, v10, v41
	s_and_b64 exec, exec, vcc
	s_cbranch_execz .LBB87_212
; %bb.216:                              ;   in Loop: Header=BB87_214 Depth=2
	v_lshlrev_b16_e32 v9, 8, v9
	v_or_b32_e32 v9, 1, v9
	ds_write_b16 v3, v9 offset:3072
	s_branch .LBB87_212
.LBB87_217:                             ;   in Loop: Header=BB87_214 Depth=2
	v_add_co_u32_e32 v6, vcc, s33, v6
	v_addc_co_u32_e32 v7, vcc, 0, v7, vcc
	v_cmp_le_u64_e32 vcc, s[8:9], v[6:7]
	v_add_u32_e32 v8, s33, v8
	s_mov_b64 s[54:55], 0
	s_orn2_b64 s[42:43], vcc, exec
	s_branch .LBB87_213
.LBB87_218:                             ;   in Loop: Header=BB87_36 Depth=1
	s_or_b64 exec, exec, s[38:39]
	v_lshrrev_b32_sdwa v45, v43, v9 dst_sel:DWORD dst_unused:UNUSED_PAD src0_sel:DWORD src1_sel:WORD_0
	s_and_b64 s[38:39], s[40:41], exec
.LBB87_219:                             ;   in Loop: Header=BB87_36 Depth=1
	s_or_b64 exec, exec, s[4:5]
.LBB87_220:                             ;   in Loop: Header=BB87_36 Depth=1
	s_and_b64 vcc, exec, s[34:35]
	s_cbranch_vccz .LBB87_237
; %bb.221:                              ;   in Loop: Header=BB87_36 Depth=1
	s_mov_b32 s50, s61
	s_cmp_lg_u64 s[50:51], 0
	s_cbranch_scc0 .LBB87_224
; %bb.222:                              ;   in Loop: Header=BB87_36 Depth=1
	v_cvt_f32_u32_e32 v6, s33
	s_sub_u32 s4, 0, s33
	s_subb_u32 s5, 0, 0
	v_mac_f32_e32 v6, 0, v42
	v_rcp_f32_e32 v6, v6
	v_mul_f32_e32 v6, 0x5f7ffffc, v6
	v_mul_f32_e32 v7, 0x2f800000, v6
	v_trunc_f32_e32 v7, v7
	v_mac_f32_e32 v6, 0xcf800000, v7
	v_cvt_u32_f32_e32 v7, v7
	v_cvt_u32_f32_e32 v6, v6
	v_readfirstlane_b32 s6, v7
	v_readfirstlane_b32 s2, v6
	s_mul_i32 s3, s4, s6
	s_mul_hi_u32 s8, s4, s2
	s_mul_i32 s7, s5, s2
	s_add_i32 s3, s8, s3
	s_mul_i32 s9, s4, s2
	s_add_i32 s3, s3, s7
	s_mul_hi_u32 s8, s2, s9
	s_mul_i32 s34, s2, s3
	s_mul_hi_u32 s7, s2, s3
	s_add_u32 s8, s8, s34
	s_addc_u32 s7, 0, s7
	s_mul_hi_u32 s35, s6, s9
	s_mul_i32 s9, s6, s9
	s_add_u32 s8, s8, s9
	s_mul_hi_u32 s34, s6, s3
	s_addc_u32 s7, s7, s35
	s_addc_u32 s8, s34, 0
	s_mul_i32 s3, s6, s3
	s_add_u32 s3, s7, s3
	s_addc_u32 s7, 0, s8
	s_add_u32 s8, s2, s3
	s_cselect_b64 s[2:3], -1, 0
	s_cmp_lg_u64 s[2:3], 0
	s_addc_u32 s6, s6, s7
	s_mul_i32 s2, s4, s6
	s_mul_hi_u32 s3, s4, s8
	s_add_i32 s2, s3, s2
	s_mul_i32 s5, s5, s8
	s_add_i32 s2, s2, s5
	s_mul_i32 s4, s4, s8
	s_mul_hi_u32 s5, s6, s4
	s_mul_i32 s7, s6, s4
	s_mul_i32 s34, s8, s2
	s_mul_hi_u32 s4, s8, s4
	s_mul_hi_u32 s9, s8, s2
	s_add_u32 s4, s4, s34
	s_addc_u32 s9, 0, s9
	s_add_u32 s4, s4, s7
	s_mul_hi_u32 s3, s6, s2
	s_addc_u32 s4, s9, s5
	s_addc_u32 s3, s3, 0
	s_mul_i32 s2, s6, s2
	s_add_u32 s2, s4, s2
	s_addc_u32 s4, 0, s3
	s_add_u32 s5, s8, s2
	s_cselect_b64 s[2:3], -1, 0
	s_cmp_lg_u64 s[2:3], 0
	s_addc_u32 s2, s6, s4
	s_mul_i32 s4, s0, s2
	s_mul_hi_u32 s6, s0, s5
	s_mul_hi_u32 s3, s0, s2
	s_add_u32 s4, s6, s4
	s_addc_u32 s3, 0, s3
	s_mul_hi_u32 s7, s51, s5
	s_mul_i32 s5, s51, s5
	s_add_u32 s4, s4, s5
	s_mul_hi_u32 s6, s51, s2
	s_addc_u32 s3, s3, s7
	s_addc_u32 s4, s6, 0
	s_mul_i32 s2, s51, s2
	s_add_u32 s2, s3, s2
	s_addc_u32 s3, 0, s4
	s_mul_i32 s3, s33, s3
	s_mul_hi_u32 s4, s33, s2
	s_add_i32 s4, s4, s3
	s_mul_i32 s2, s33, s2
	s_sub_u32 s6, s0, s2
	s_cselect_b64 s[2:3], -1, 0
	s_cmp_lg_u64 s[2:3], 0
	s_subb_u32 s4, s51, s4
	s_sub_u32 s5, s6, s33
	s_cselect_b64 s[2:3], -1, 0
	s_cmp_lg_u64 s[2:3], 0
	s_subb_u32 s7, s4, 0
	;; [unrolled: 4-line block ×3, first 2 shown]
	s_cmp_ge_u32 s5, s33
	s_cselect_b32 s3, -1, 0
	s_cmp_eq_u32 s7, 0
	s_cselect_b32 s3, s3, -1
	s_cmp_lg_u32 s3, 0
	s_cselect_b32 s2, s2, s7
	s_cselect_b32 s3, s8, s5
	s_cmp_ge_u32 s6, s33
	s_cselect_b32 s5, -1, 0
	s_cmp_eq_u32 s4, 0
	s_cselect_b32 s5, s5, -1
	s_cmp_lg_u32 s5, 0
	s_cselect_b32 s5, s2, s4
	s_cselect_b32 s4, s3, s6
	s_mov_b64 s[2:3], 0
	s_branch .LBB87_225
.LBB87_223:                             ;   in Loop: Header=BB87_36 Depth=1
                                        ; implicit-def: $sgpr4_sgpr5
	s_branch .LBB87_209
.LBB87_224:                             ;   in Loop: Header=BB87_36 Depth=1
	s_mov_b64 s[2:3], -1
                                        ; implicit-def: $sgpr4_sgpr5
.LBB87_225:                             ;   in Loop: Header=BB87_36 Depth=1
	s_andn2_b64 vcc, exec, s[2:3]
	v_readlane_b32 s50, v56, 36
	s_cbranch_vccnz .LBB87_227
; %bb.226:                              ;   in Loop: Header=BB87_36 Depth=1
	v_cvt_f32_u32_e32 v6, s33
	s_sub_i32 s2, 0, s33
	v_rcp_iflag_f32_e32 v6, v6
	v_mul_f32_e32 v6, 0x4f7ffffe, v6
	v_cvt_u32_f32_e32 v6, v6
	v_readfirstlane_b32 s3, v6
	s_mul_i32 s2, s2, s3
	s_mul_hi_u32 s2, s3, s2
	s_add_i32 s3, s3, s2
	s_mul_hi_u32 s2, s0, s3
	s_mul_i32 s2, s2, s33
	s_sub_i32 s2, s0, s2
	s_sub_i32 s3, s2, s33
	s_cmp_ge_u32 s2, s33
	s_cselect_b32 s2, s3, s2
	s_sub_i32 s3, s2, s33
	s_cmp_ge_u32 s2, s33
	s_cselect_b32 s60, s3, s2
	s_mov_b64 s[4:5], s[60:61]
	v_readlane_b32 s60, v56, 37
.LBB87_227:                             ;   in Loop: Header=BB87_36 Depth=1
	s_sub_u32 s6, s0, s4
	s_subb_u32 s7, s51, s5
	v_cmp_gt_u64_e32 vcc, s[6:7], v[0:1]
                                        ; implicit-def: $vgpr45
	s_and_saveexec_b64 s[4:5], vcc
	s_cbranch_execz .LBB87_236
; %bb.228:                              ;   in Loop: Header=BB87_36 Depth=1
	v_mov_b32_e32 v6, v12
	v_mov_b32_e32 v9, v1
	s_mov_b64 s[8:9], 0
	v_mov_b32_e32 v7, v13
	v_mov_b32_e32 v8, v0
                                        ; implicit-def: $sgpr34_sgpr35
	s_branch .LBB87_231
.LBB87_229:                             ;   in Loop: Header=BB87_231 Depth=2
	s_or_b64 exec, exec, s[40:41]
	s_waitcnt lgkmcnt(0)
	s_barrier
	ds_read_u16 v10, v3 offset:3072
	s_mov_b64 s[40:41], -1
	s_mov_b64 s[42:43], -1
	s_waitcnt lgkmcnt(0)
	s_barrier
	v_cmp_eq_u32_sdwa s[2:3], v10, v3 src0_sel:BYTE_0 src1_sel:DWORD
	s_and_b64 vcc, exec, s[2:3]
	s_cbranch_vccnz .LBB87_234
.LBB87_230:                             ;   in Loop: Header=BB87_231 Depth=2
	s_and_b64 s[2:3], exec, s[40:41]
	s_or_b64 s[8:9], s[2:3], s[8:9]
	s_andn2_b64 s[2:3], s[34:35], exec
	s_and_b64 s[34:35], s[42:43], exec
	s_or_b64 s[34:35], s[2:3], s[34:35]
	s_andn2_b64 exec, exec, s[8:9]
	s_cbranch_execz .LBB87_235
.LBB87_231:                             ;   Parent Loop BB87_36 Depth=1
                                        ; =>  This Inner Loop Header: Depth=2
	v_cmp_gt_u64_e32 vcc, s[24:25], v[8:9]
	s_and_saveexec_b64 s[40:41], vcc
	s_cbranch_execz .LBB87_229
; %bb.232:                              ;   in Loop: Header=BB87_231 Depth=2
	global_load_ubyte v10, v[6:7], off
	s_waitcnt vmcnt(0)
	v_add_u32_sdwa v11, sext(v10), s46 dst_sel:DWORD dst_unused:UNUSED_PAD src0_sel:BYTE_0 src1_sel:DWORD
	v_and_b32_e32 v11, v11, v44
	v_cmp_eq_u32_e32 vcc, v11, v41
	s_and_b64 exec, exec, vcc
	s_cbranch_execz .LBB87_229
; %bb.233:                              ;   in Loop: Header=BB87_231 Depth=2
	v_lshlrev_b16_e32 v10, 8, v10
	v_or_b32_e32 v10, 1, v10
	ds_write_b16 v3, v10 offset:3072
	s_branch .LBB87_229
.LBB87_234:                             ;   in Loop: Header=BB87_231 Depth=2
	v_add_co_u32_e32 v8, vcc, s33, v8
	v_addc_co_u32_e32 v9, vcc, 0, v9, vcc
	v_mov_b32_e32 v11, s48
	v_add_co_u32_e32 v6, vcc, s49, v6
	v_addc_co_u32_e32 v7, vcc, v7, v11, vcc
	v_cmp_le_u64_e32 vcc, s[6:7], v[8:9]
	s_mov_b64 s[42:43], 0
	s_orn2_b64 s[40:41], vcc, exec
	s_branch .LBB87_230
.LBB87_235:                             ;   in Loop: Header=BB87_36 Depth=1
	s_or_b64 exec, exec, s[8:9]
	s_andn2_b64 s[2:3], s[38:39], exec
	s_and_b64 s[6:7], s[34:35], exec
	v_lshrrev_b32_sdwa v45, v43, v10 dst_sel:DWORD dst_unused:UNUSED_PAD src0_sel:DWORD src1_sel:WORD_0
	s_or_b64 s[38:39], s[2:3], s[6:7]
.LBB87_236:                             ;   in Loop: Header=BB87_36 Depth=1
	s_or_b64 exec, exec, s[4:5]
	s_mov_b64 s[88:89], 0
	s_mov_b64 s[90:91], -1
.LBB87_237:                             ;   in Loop: Header=BB87_36 Depth=1
	s_orn2_b64 s[4:5], s[38:39], exec
.LBB87_238:                             ;   in Loop: Header=BB87_36 Depth=1
	s_or_b64 exec, exec, s[92:93]
	s_mov_b64 s[6:7], 0
	s_and_saveexec_b64 s[92:93], s[4:5]
	s_cbranch_execz .LBB87_297
; %bb.239:                              ;   in Loop: Header=BB87_36 Depth=1
	v_mov_b32_e32 v6, 1
	s_xor_b64 s[2:3], s[94:95], -1
	v_mov_b32_e32 v2, 1
	v_mov_b32_e32 v7, 0
	s_mov_b64 s[8:9], 0
	s_and_saveexec_b64 s[6:7], s[2:3]
	s_cbranch_execz .LBB87_248
; %bb.240:                              ;   in Loop: Header=BB87_36 Depth=1
	v_cmp_ge_u64_e32 vcc, s[80:81], v[4:5]
	s_and_saveexec_b64 s[2:3], vcc
	s_xor_b64 s[4:5], exec, s[2:3]
	s_cbranch_execz .LBB87_245
; %bb.241:                              ;   in Loop: Header=BB87_36 Depth=1
	ds_read_b64 v[6:7], v3 offset:5120
	v_and_b32_e32 v2, s53, v41
	v_lshl_or_b32 v41, 2, s63, v2
	v_or_b32_e32 v44, s52, v44
	s_waitcnt lgkmcnt(0)
	v_cmp_ne_u64_e32 vcc, 0, v[6:7]
	s_cbranch_vccnz .LBB87_245
; %bb.242:                              ;   in Loop: Header=BB87_36 Depth=1
	s_and_saveexec_b64 s[2:3], s[56:57]
; %bb.243:                              ;   in Loop: Header=BB87_36 Depth=1
	v_mov_b32_e32 v6, s80
	v_mov_b32_e32 v7, s81
	ds_write_b64 v3, v[6:7] offset:5128
; %bb.244:                              ;   in Loop: Header=BB87_36 Depth=1
	s_or_b64 exec, exec, s[2:3]
	s_waitcnt lgkmcnt(0)
	s_barrier
.LBB87_245:                             ;   in Loop: Header=BB87_36 Depth=1
	s_or_saveexec_b64 s[4:5], s[4:5]
	v_mov_b32_e32 v2, 8
	s_xor_b64 exec, exec, s[4:5]
; %bb.246:                              ;   in Loop: Header=BB87_36 Depth=1
	v_subrev_co_u32_e32 v4, vcc, s80, v4
	v_mov_b32_e32 v2, s81
	v_subb_co_u32_e32 v5, vcc, v5, v2, vcc
	v_mov_b32_e32 v2, 0
	s_mov_b64 s[8:9], exec
; %bb.247:                              ;   in Loop: Header=BB87_36 Depth=1
	s_or_b64 exec, exec, s[4:5]
	v_mov_b32_e32 v7, v5
	s_and_b64 s[8:9], s[8:9], exec
	v_mov_b32_e32 v6, v4
.LBB87_248:                             ;   in Loop: Header=BB87_36 Depth=1
	s_or_b64 exec, exec, s[6:7]
	s_mov_b64 s[4:5], -1
                                        ; implicit-def: $sgpr42_sgpr43
                                        ; implicit-def: $sgpr38_sgpr39
	s_and_saveexec_b64 s[80:81], s[8:9]
	s_cbranch_execz .LBB87_296
; %bb.249:                              ;   in Loop: Header=BB87_36 Depth=1
	s_cmp_eq_u64 s[16:17], 1
	v_cmp_eq_u64_e32 vcc, 1, v[6:7]
	s_cselect_b64 s[2:3], -1, 0
	s_and_b64 s[94:95], s[2:3], vcc
                                        ; implicit-def: $sgpr42_sgpr43
                                        ; implicit-def: $sgpr38_sgpr39
	s_and_saveexec_b64 s[40:41], s[94:95]
	s_cbranch_execz .LBB87_284
; %bb.250:                              ;   in Loop: Header=BB87_36 Depth=1
	ds_read_b64 v[4:5], v3 offset:5120
	s_waitcnt lgkmcnt(0)
	s_barrier
	v_readfirstlane_b32 s34, v4
	v_readfirstlane_b32 s35, v5
	s_mov_b64 s[2:3], exec
	v_readlane_b32 s4, v56, 31
	v_readlane_b32 s5, v56, 32
	s_and_b64 s[4:5], s[2:3], s[4:5]
	s_mov_b64 exec, s[4:5]
; %bb.251:                              ;   in Loop: Header=BB87_36 Depth=1
	ds_write_b8 v0, v3 offset:3072
; %bb.252:                              ;   in Loop: Header=BB87_36 Depth=1
	s_or_b64 exec, exec, s[2:3]
	v_or_b32_e32 v41, s52, v41
	v_or_b32_e32 v44, s52, v44
	s_mov_b64 s[38:39], -1
	s_mov_b64 s[42:43], 0
	s_cmp_eq_u64 s[34:35], 0
	s_mov_b64 s[6:7], 0
	s_mov_b64 s[4:5], -1
	s_waitcnt lgkmcnt(0)
	s_barrier
                                        ; implicit-def: $vgpr45
	s_cbranch_scc1 .LBB87_266
; %bb.253:                              ;   in Loop: Header=BB87_36 Depth=1
	v_readlane_b32 s2, v56, 14
	s_add_u32 s8, s34, s2
	v_readlane_b32 s2, v56, 15
	s_addc_u32 s7, s35, s2
	s_mov_b32 s6, s61
	s_cmp_lg_u64 s[6:7], 0
	s_cbranch_scc0 .LBB87_269
; %bb.254:                              ;   in Loop: Header=BB87_36 Depth=1
	v_cvt_f32_u32_e32 v4, s33
	s_sub_u32 s4, 0, s33
	s_subb_u32 s5, 0, 0
	v_mac_f32_e32 v4, 0, v42
	v_rcp_f32_e32 v4, v4
	v_mul_f32_e32 v4, 0x5f7ffffc, v4
	v_mul_f32_e32 v5, 0x2f800000, v4
	v_trunc_f32_e32 v5, v5
	v_mac_f32_e32 v4, 0xcf800000, v5
	v_cvt_u32_f32_e32 v5, v5
	v_cvt_u32_f32_e32 v4, v4
	v_readfirstlane_b32 s6, v5
	v_readfirstlane_b32 s2, v4
	s_mul_i32 s3, s4, s6
	s_mul_hi_u32 s50, s4, s2
	s_mul_i32 s9, s5, s2
	s_add_i32 s3, s50, s3
	s_mul_i32 s53, s4, s2
	s_add_i32 s3, s3, s9
	s_mul_hi_u32 s50, s2, s53
	s_mul_i32 s54, s2, s3
	s_mul_hi_u32 s9, s2, s3
	s_add_u32 s50, s50, s54
	s_addc_u32 s9, 0, s9
	s_mul_hi_u32 s55, s6, s53
	s_mul_i32 s53, s6, s53
	s_add_u32 s50, s50, s53
	s_mul_hi_u32 s54, s6, s3
	s_addc_u32 s9, s9, s55
	s_addc_u32 s50, s54, 0
	s_mul_i32 s3, s6, s3
	s_add_u32 s3, s9, s3
	s_addc_u32 s9, 0, s50
	s_add_u32 s50, s2, s3
	s_cselect_b64 s[2:3], -1, 0
	s_cmp_lg_u64 s[2:3], 0
	s_addc_u32 s6, s6, s9
	s_mul_i32 s2, s4, s6
	s_mul_hi_u32 s3, s4, s50
	s_add_i32 s2, s3, s2
	s_mul_i32 s5, s5, s50
	s_add_i32 s2, s2, s5
	s_mul_i32 s4, s4, s50
	s_mul_hi_u32 s5, s6, s4
	s_mul_i32 s9, s6, s4
	s_mul_i32 s54, s50, s2
	s_mul_hi_u32 s4, s50, s4
	s_mul_hi_u32 s53, s50, s2
	s_add_u32 s4, s4, s54
	s_addc_u32 s53, 0, s53
	s_add_u32 s4, s4, s9
	s_mul_hi_u32 s3, s6, s2
	s_addc_u32 s4, s53, s5
	s_addc_u32 s3, s3, 0
	s_mul_i32 s2, s6, s2
	s_add_u32 s2, s4, s2
	s_addc_u32 s4, 0, s3
	s_add_u32 s5, s50, s2
	s_cselect_b64 s[2:3], -1, 0
	s_cmp_lg_u64 s[2:3], 0
	s_addc_u32 s2, s6, s4
	s_mul_i32 s4, s8, s2
	s_mul_hi_u32 s6, s8, s5
	s_mul_hi_u32 s3, s8, s2
	s_add_u32 s4, s6, s4
	s_addc_u32 s3, 0, s3
	s_mul_hi_u32 s9, s7, s5
	s_mul_i32 s5, s7, s5
	s_add_u32 s4, s4, s5
	s_mul_hi_u32 s6, s7, s2
	s_addc_u32 s3, s3, s9
	s_addc_u32 s4, s6, 0
	s_mul_i32 s2, s7, s2
	s_add_u32 s2, s3, s2
	s_addc_u32 s3, 0, s4
	s_mul_i32 s3, s33, s3
	s_mul_hi_u32 s4, s33, s2
	s_add_i32 s4, s4, s3
	s_mul_i32 s2, s33, s2
	s_sub_u32 s6, s8, s2
	s_cselect_b64 s[2:3], -1, 0
	s_cmp_lg_u64 s[2:3], 0
	s_subb_u32 s4, s7, s4
	s_sub_u32 s5, s6, s33
	s_cselect_b64 s[2:3], -1, 0
	s_cmp_lg_u64 s[2:3], 0
	s_subb_u32 s9, s4, 0
	;; [unrolled: 4-line block ×3, first 2 shown]
	s_cmp_ge_u32 s5, s33
	s_cselect_b32 s3, -1, 0
	s_cmp_eq_u32 s9, 0
	s_cselect_b32 s3, s3, -1
	s_cmp_lg_u32 s3, 0
	s_cselect_b32 s2, s2, s9
	s_cselect_b32 s3, s50, s5
	s_cmp_ge_u32 s6, s33
	s_cselect_b32 s5, -1, 0
	s_cmp_eq_u32 s4, 0
	s_cselect_b32 s5, s5, -1
	s_cmp_lg_u32 s5, 0
	s_cselect_b32 s5, s2, s4
	s_cselect_b32 s4, s3, s6
	s_cbranch_execnz .LBB87_256
.LBB87_255:                             ;   in Loop: Header=BB87_36 Depth=1
	v_cvt_f32_u32_e32 v4, s33
	s_sub_i32 s2, 0, s33
	v_rcp_iflag_f32_e32 v4, v4
	v_mul_f32_e32 v4, 0x4f7ffffe, v4
	v_cvt_u32_f32_e32 v4, v4
	v_readfirstlane_b32 s3, v4
	s_mul_i32 s2, s2, s3
	s_mul_hi_u32 s2, s3, s2
	s_add_i32 s3, s3, s2
	s_mul_hi_u32 s2, s8, s3
	s_mul_i32 s2, s2, s33
	s_sub_i32 s2, s8, s2
	s_sub_i32 s3, s2, s33
	s_cmp_ge_u32 s2, s33
	s_cselect_b32 s2, s3, s2
	s_sub_i32 s3, s2, s33
	s_cmp_ge_u32 s2, s33
	s_cselect_b32 s60, s3, s2
	s_mov_b64 s[4:5], s[60:61]
	v_readlane_b32 s60, v56, 37
.LBB87_256:                             ;   in Loop: Header=BB87_36 Depth=1
	s_sub_u32 s58, s8, s4
	s_subb_u32 s59, s7, s5
	v_cmp_gt_u64_e32 vcc, s[58:59], v[0:1]
	s_mov_b64 s[4:5], 0
	s_mov_b64 s[6:7], 0
                                        ; implicit-def: $vgpr45
	s_and_saveexec_b64 s[8:9], vcc
	v_readlane_b32 s50, v56, 36
	s_cbranch_execz .LBB87_265
; %bb.257:                              ;   in Loop: Header=BB87_36 Depth=1
	v_mov_b32_e32 v5, v1
	v_writelane_b32 v56, s56, 38
	v_mov_b32_e32 v8, v0
	v_mov_b32_e32 v4, v0
	v_writelane_b32 v56, s57, 39
                                        ; implicit-def: $sgpr54_sgpr55
	s_branch .LBB87_260
.LBB87_258:                             ;   in Loop: Header=BB87_260 Depth=2
	s_or_b64 exec, exec, s[56:57]
	s_waitcnt lgkmcnt(0)
	s_barrier
	ds_read_u16 v9, v3 offset:3072
	s_mov_b64 s[56:57], -1
	s_waitcnt lgkmcnt(0)
	s_barrier
	v_cmp_ne_u32_sdwa s[2:3], v9, v3 src0_sel:BYTE_0 src1_sel:DWORD
	s_and_b64 vcc, exec, s[2:3]
	s_mov_b64 s[2:3], -1
	s_cbranch_vccz .LBB87_263
.LBB87_259:                             ;   in Loop: Header=BB87_260 Depth=2
	s_and_b64 s[56:57], exec, s[56:57]
	s_or_b64 s[6:7], s[56:57], s[6:7]
	s_andn2_b64 s[54:55], s[54:55], exec
	s_and_b64 s[2:3], s[2:3], exec
	s_or_b64 s[54:55], s[54:55], s[2:3]
	s_andn2_b64 exec, exec, s[6:7]
	s_cbranch_execz .LBB87_264
.LBB87_260:                             ;   Parent Loop BB87_36 Depth=1
                                        ; =>  This Inner Loop Header: Depth=2
	v_cmp_gt_u64_e32 vcc, s[34:35], v[4:5]
	s_and_saveexec_b64 s[56:57], vcc
	s_cbranch_execz .LBB87_258
; %bb.261:                              ;   in Loop: Header=BB87_260 Depth=2
	ds_read_u8 v9, v8
	s_waitcnt lgkmcnt(0)
	v_add_u32_sdwa v10, sext(v9), s46 dst_sel:DWORD dst_unused:UNUSED_PAD src0_sel:BYTE_0 src1_sel:DWORD
	v_and_b32_e32 v10, v10, v44
	v_cmp_eq_u32_e32 vcc, v10, v41
	s_and_b64 exec, exec, vcc
	s_cbranch_execz .LBB87_258
; %bb.262:                              ;   in Loop: Header=BB87_260 Depth=2
	v_lshlrev_b16_e32 v9, 8, v9
	v_or_b32_e32 v9, 1, v9
	ds_write_b16 v3, v9 offset:3072
	s_branch .LBB87_258
.LBB87_263:                             ;   in Loop: Header=BB87_260 Depth=2
	v_add_co_u32_e32 v4, vcc, s33, v4
	v_addc_co_u32_e32 v5, vcc, 0, v5, vcc
	v_cmp_le_u64_e32 vcc, s[58:59], v[4:5]
	v_add_u32_e32 v8, s33, v8
	s_mov_b64 s[2:3], 0
	s_orn2_b64 s[56:57], vcc, exec
	s_branch .LBB87_259
.LBB87_264:                             ;   in Loop: Header=BB87_36 Depth=1
	s_or_b64 exec, exec, s[6:7]
	v_readlane_b32 s56, v56, 38
	v_lshrrev_b32_sdwa v45, v43, v9 dst_sel:DWORD dst_unused:UNUSED_PAD src0_sel:DWORD src1_sel:WORD_0
	s_and_b64 s[6:7], s[54:55], exec
	v_readlane_b32 s57, v56, 39
.LBB87_265:                             ;   in Loop: Header=BB87_36 Depth=1
	s_or_b64 exec, exec, s[8:9]
.LBB87_266:                             ;   in Loop: Header=BB87_36 Depth=1
	s_and_b64 vcc, exec, s[4:5]
	s_cbranch_vccz .LBB87_283
; %bb.267:                              ;   in Loop: Header=BB87_36 Depth=1
	s_mov_b32 s50, s61
	s_cmp_lg_u64 s[50:51], 0
	s_cbranch_scc0 .LBB87_270
; %bb.268:                              ;   in Loop: Header=BB87_36 Depth=1
	v_cvt_f32_u32_e32 v4, s33
	s_sub_u32 s4, 0, s33
	s_subb_u32 s5, 0, 0
	v_mac_f32_e32 v4, 0, v42
	v_rcp_f32_e32 v4, v4
	v_mul_f32_e32 v4, 0x5f7ffffc, v4
	v_mul_f32_e32 v5, 0x2f800000, v4
	v_trunc_f32_e32 v5, v5
	v_mac_f32_e32 v4, 0xcf800000, v5
	v_cvt_u32_f32_e32 v5, v5
	v_cvt_u32_f32_e32 v4, v4
	v_readfirstlane_b32 s8, v5
	v_readfirstlane_b32 s2, v4
	s_mul_i32 s3, s4, s8
	s_mul_hi_u32 s34, s4, s2
	s_mul_i32 s9, s5, s2
	s_add_i32 s3, s34, s3
	s_mul_i32 s35, s4, s2
	s_add_i32 s3, s3, s9
	s_mul_hi_u32 s34, s2, s35
	s_mul_i32 s38, s2, s3
	s_mul_hi_u32 s9, s2, s3
	s_add_u32 s34, s34, s38
	s_addc_u32 s9, 0, s9
	s_mul_hi_u32 s39, s8, s35
	s_mul_i32 s35, s8, s35
	s_add_u32 s34, s34, s35
	s_mul_hi_u32 s38, s8, s3
	s_addc_u32 s9, s9, s39
	s_addc_u32 s34, s38, 0
	s_mul_i32 s3, s8, s3
	s_add_u32 s3, s9, s3
	s_addc_u32 s9, 0, s34
	s_add_u32 s34, s2, s3
	s_cselect_b64 s[2:3], -1, 0
	s_cmp_lg_u64 s[2:3], 0
	s_addc_u32 s8, s8, s9
	s_mul_i32 s2, s4, s8
	s_mul_hi_u32 s3, s4, s34
	s_add_i32 s2, s3, s2
	s_mul_i32 s5, s5, s34
	s_add_i32 s2, s2, s5
	s_mul_i32 s4, s4, s34
	s_mul_hi_u32 s5, s8, s4
	s_mul_i32 s9, s8, s4
	s_mul_i32 s38, s34, s2
	s_mul_hi_u32 s4, s34, s4
	s_mul_hi_u32 s35, s34, s2
	s_add_u32 s4, s4, s38
	s_addc_u32 s35, 0, s35
	s_add_u32 s4, s4, s9
	s_mul_hi_u32 s3, s8, s2
	s_addc_u32 s4, s35, s5
	s_addc_u32 s3, s3, 0
	s_mul_i32 s2, s8, s2
	s_add_u32 s2, s4, s2
	s_addc_u32 s4, 0, s3
	s_add_u32 s5, s34, s2
	s_cselect_b64 s[2:3], -1, 0
	s_cmp_lg_u64 s[2:3], 0
	s_addc_u32 s2, s8, s4
	s_mul_i32 s4, s0, s2
	s_mul_hi_u32 s8, s0, s5
	s_mul_hi_u32 s3, s0, s2
	s_add_u32 s4, s8, s4
	s_addc_u32 s3, 0, s3
	s_mul_hi_u32 s9, s51, s5
	s_mul_i32 s5, s51, s5
	s_add_u32 s4, s4, s5
	s_mul_hi_u32 s8, s51, s2
	s_addc_u32 s3, s3, s9
	s_addc_u32 s4, s8, 0
	s_mul_i32 s2, s51, s2
	s_add_u32 s2, s3, s2
	s_addc_u32 s3, 0, s4
	s_mul_i32 s3, s33, s3
	s_mul_hi_u32 s4, s33, s2
	s_add_i32 s4, s4, s3
	s_mul_i32 s2, s33, s2
	s_sub_u32 s8, s0, s2
	s_cselect_b64 s[2:3], -1, 0
	s_cmp_lg_u64 s[2:3], 0
	s_subb_u32 s4, s51, s4
	s_sub_u32 s5, s8, s33
	s_cselect_b64 s[2:3], -1, 0
	s_cmp_lg_u64 s[2:3], 0
	s_subb_u32 s9, s4, 0
	;; [unrolled: 4-line block ×3, first 2 shown]
	s_cmp_ge_u32 s5, s33
	s_cselect_b32 s3, -1, 0
	s_cmp_eq_u32 s9, 0
	s_cselect_b32 s3, s3, -1
	s_cmp_lg_u32 s3, 0
	s_cselect_b32 s2, s2, s9
	s_cselect_b32 s3, s34, s5
	s_cmp_ge_u32 s8, s33
	s_cselect_b32 s5, -1, 0
	s_cmp_eq_u32 s4, 0
	s_cselect_b32 s5, s5, -1
	s_cmp_lg_u32 s5, 0
	s_cselect_b32 s5, s2, s4
	s_cselect_b32 s4, s3, s8
	s_mov_b64 s[2:3], 0
	s_branch .LBB87_271
.LBB87_269:                             ;   in Loop: Header=BB87_36 Depth=1
                                        ; implicit-def: $sgpr4_sgpr5
	s_branch .LBB87_255
.LBB87_270:                             ;   in Loop: Header=BB87_36 Depth=1
	s_mov_b64 s[2:3], -1
                                        ; implicit-def: $sgpr4_sgpr5
.LBB87_271:                             ;   in Loop: Header=BB87_36 Depth=1
	s_andn2_b64 vcc, exec, s[2:3]
	v_readlane_b32 s50, v56, 36
	s_cbranch_vccnz .LBB87_273
; %bb.272:                              ;   in Loop: Header=BB87_36 Depth=1
	v_cvt_f32_u32_e32 v4, s33
	s_sub_i32 s2, 0, s33
	v_rcp_iflag_f32_e32 v4, v4
	v_mul_f32_e32 v4, 0x4f7ffffe, v4
	v_cvt_u32_f32_e32 v4, v4
	v_readfirstlane_b32 s3, v4
	s_mul_i32 s2, s2, s3
	s_mul_hi_u32 s2, s3, s2
	s_add_i32 s3, s3, s2
	s_mul_hi_u32 s2, s0, s3
	s_mul_i32 s2, s2, s33
	s_sub_i32 s2, s0, s2
	s_sub_i32 s3, s2, s33
	s_cmp_ge_u32 s2, s33
	s_cselect_b32 s2, s3, s2
	s_sub_i32 s3, s2, s33
	s_cmp_ge_u32 s2, s33
	s_cselect_b32 s60, s3, s2
	s_mov_b64 s[4:5], s[60:61]
	v_readlane_b32 s60, v56, 37
.LBB87_273:                             ;   in Loop: Header=BB87_36 Depth=1
	s_sub_u32 s34, s0, s4
	s_subb_u32 s35, s51, s5
	v_cmp_gt_u64_e32 vcc, s[34:35], v[0:1]
                                        ; implicit-def: $vgpr45
	s_and_saveexec_b64 s[4:5], vcc
	s_cbranch_execz .LBB87_282
; %bb.274:                              ;   in Loop: Header=BB87_36 Depth=1
	v_mov_b32_e32 v4, v12
	v_mov_b32_e32 v9, v1
	s_mov_b64 s[8:9], 0
	v_mov_b32_e32 v5, v13
	v_mov_b32_e32 v8, v0
                                        ; implicit-def: $sgpr38_sgpr39
	s_branch .LBB87_277
.LBB87_275:                             ;   in Loop: Header=BB87_277 Depth=2
	s_or_b64 exec, exec, s[42:43]
	s_waitcnt lgkmcnt(0)
	s_barrier
	ds_read_u16 v10, v3 offset:3072
	s_mov_b64 s[42:43], -1
	s_waitcnt lgkmcnt(0)
	s_barrier
	v_cmp_eq_u32_sdwa s[2:3], v10, v3 src0_sel:BYTE_0 src1_sel:DWORD
	s_and_b64 vcc, exec, s[2:3]
	s_mov_b64 s[2:3], -1
	s_cbranch_vccnz .LBB87_280
.LBB87_276:                             ;   in Loop: Header=BB87_277 Depth=2
	s_and_b64 s[42:43], exec, s[42:43]
	s_or_b64 s[8:9], s[42:43], s[8:9]
	s_andn2_b64 s[38:39], s[38:39], exec
	s_and_b64 s[2:3], s[2:3], exec
	s_or_b64 s[38:39], s[38:39], s[2:3]
	s_andn2_b64 exec, exec, s[8:9]
	s_cbranch_execz .LBB87_281
.LBB87_277:                             ;   Parent Loop BB87_36 Depth=1
                                        ; =>  This Inner Loop Header: Depth=2
	v_cmp_gt_u64_e32 vcc, s[24:25], v[8:9]
	s_and_saveexec_b64 s[42:43], vcc
	s_cbranch_execz .LBB87_275
; %bb.278:                              ;   in Loop: Header=BB87_277 Depth=2
	global_load_ubyte v10, v[4:5], off
	s_waitcnt vmcnt(0)
	v_add_u32_sdwa v11, sext(v10), s46 dst_sel:DWORD dst_unused:UNUSED_PAD src0_sel:BYTE_0 src1_sel:DWORD
	v_and_b32_e32 v11, v11, v44
	v_cmp_eq_u32_e32 vcc, v11, v41
	s_and_b64 exec, exec, vcc
	s_cbranch_execz .LBB87_275
; %bb.279:                              ;   in Loop: Header=BB87_277 Depth=2
	v_lshlrev_b16_e32 v10, 8, v10
	v_or_b32_e32 v10, 1, v10
	ds_write_b16 v3, v10 offset:3072
	s_branch .LBB87_275
.LBB87_280:                             ;   in Loop: Header=BB87_277 Depth=2
	v_add_co_u32_e32 v8, vcc, s33, v8
	v_addc_co_u32_e32 v9, vcc, 0, v9, vcc
	v_mov_b32_e32 v11, s48
	v_add_co_u32_e32 v4, vcc, s49, v4
	v_addc_co_u32_e32 v5, vcc, v5, v11, vcc
	v_cmp_le_u64_e32 vcc, s[34:35], v[8:9]
	s_mov_b64 s[2:3], 0
	s_orn2_b64 s[42:43], vcc, exec
	s_branch .LBB87_276
.LBB87_281:                             ;   in Loop: Header=BB87_36 Depth=1
	s_or_b64 exec, exec, s[8:9]
	s_andn2_b64 s[2:3], s[6:7], exec
	s_and_b64 s[6:7], s[38:39], exec
	v_lshrrev_b32_sdwa v45, v43, v10 dst_sel:DWORD dst_unused:UNUSED_PAD src0_sel:DWORD src1_sel:WORD_0
	s_or_b64 s[6:7], s[2:3], s[6:7]
.LBB87_282:                             ;   in Loop: Header=BB87_36 Depth=1
	s_or_b64 exec, exec, s[4:5]
	s_mov_b64 s[38:39], 0
	s_mov_b64 s[42:43], -1
.LBB87_283:                             ;   in Loop: Header=BB87_36 Depth=1
	s_orn2_b64 s[4:5], s[6:7], exec
.LBB87_284:                             ;   in Loop: Header=BB87_36 Depth=1
	s_or_b64 exec, exec, s[40:41]
	s_mov_b64 s[8:9], 0
	s_and_saveexec_b64 s[6:7], s[4:5]
	s_cbranch_execz .LBB87_295
; %bb.285:                              ;   in Loop: Header=BB87_36 Depth=1
	v_mov_b32_e32 v4, 1
	s_xor_b64 s[2:3], s[94:95], -1
	v_mov_b32_e32 v5, 0
	v_mov_b32_e32 v2, 1
	s_and_saveexec_b64 s[4:5], s[2:3]
	s_cbranch_execz .LBB87_294
; %bb.286:                              ;   in Loop: Header=BB87_36 Depth=1
	v_cmp_ge_u64_e32 vcc, s[16:17], v[6:7]
	s_and_saveexec_b64 s[2:3], vcc
	s_xor_b64 s[8:9], exec, s[2:3]
	s_cbranch_execz .LBB87_291
; %bb.287:                              ;   in Loop: Header=BB87_36 Depth=1
	ds_read_b64 v[4:5], v3 offset:5120
	v_or_b32_e32 v41, s52, v41
	v_or_b32_e32 v44, s52, v44
	s_waitcnt lgkmcnt(0)
	v_cmp_ne_u64_e32 vcc, 0, v[4:5]
	s_cbranch_vccnz .LBB87_291
; %bb.288:                              ;   in Loop: Header=BB87_36 Depth=1
	s_and_saveexec_b64 s[2:3], s[56:57]
; %bb.289:                              ;   in Loop: Header=BB87_36 Depth=1
	v_mov_b32_e32 v4, s16
	v_mov_b32_e32 v5, s17
	ds_write_b64 v3, v[4:5] offset:5128
; %bb.290:                              ;   in Loop: Header=BB87_36 Depth=1
	s_or_b64 exec, exec, s[2:3]
	s_waitcnt lgkmcnt(0)
	s_barrier
.LBB87_291:                             ;   in Loop: Header=BB87_36 Depth=1
	s_andn2_saveexec_b64 s[8:9], s[8:9]
; %bb.292:                              ;   in Loop: Header=BB87_36 Depth=1
	v_mov_b32_e32 v2, s17
	v_subrev_co_u32_e32 v6, vcc, s16, v6
	v_subb_co_u32_e32 v7, vcc, v7, v2, vcc
; %bb.293:                              ;   in Loop: Header=BB87_36 Depth=1
	s_or_b64 exec, exec, s[8:9]
	v_mov_b32_e32 v4, v6
	v_mov_b32_e32 v2, 8
	;; [unrolled: 1-line block ×3, first 2 shown]
.LBB87_294:                             ;   in Loop: Header=BB87_36 Depth=1
	s_or_b64 exec, exec, s[4:5]
	v_mov_b32_e32 v7, v5
	s_mov_b64 s[8:9], exec
	v_mov_b32_e32 v6, v4
.LBB87_295:                             ;   in Loop: Header=BB87_36 Depth=1
	s_or_b64 exec, exec, s[6:7]
	s_orn2_b64 s[4:5], s[8:9], exec
.LBB87_296:                             ;   in Loop: Header=BB87_36 Depth=1
	s_or_b64 exec, exec, s[80:81]
	s_andn2_b64 s[2:3], s[90:91], exec
	s_and_b64 s[6:7], s[42:43], exec
	s_or_b64 s[90:91], s[2:3], s[6:7]
	s_andn2_b64 s[2:3], s[88:89], exec
	s_and_b64 s[6:7], s[38:39], exec
	v_mov_b32_e32 v4, v6
	s_or_b64 s[88:89], s[2:3], s[6:7]
	s_and_b64 s[6:7], s[4:5], exec
	v_mov_b32_e32 v5, v7
.LBB87_297:                             ;   in Loop: Header=BB87_36 Depth=1
	s_or_b64 exec, exec, s[92:93]
	s_orn2_b64 s[4:5], s[6:7], exec
.LBB87_298:                             ;   in Loop: Header=BB87_36 Depth=1
	s_or_b64 exec, exec, s[86:87]
	s_andn2_b64 s[2:3], s[82:83], exec
	s_and_b64 s[6:7], s[90:91], exec
	s_or_b64 s[82:83], s[2:3], s[6:7]
	s_andn2_b64 s[2:3], s[14:15], exec
	s_and_b64 s[6:7], s[88:89], exec
	v_mov_b32_e32 v9, v5
	s_or_b64 s[14:15], s[2:3], s[6:7]
	s_and_b64 s[6:7], s[4:5], exec
	v_mov_b32_e32 v8, v4
.LBB87_299:                             ;   in Loop: Header=BB87_36 Depth=1
	s_or_b64 exec, exec, s[84:85]
	s_orn2_b64 s[4:5], s[6:7], exec
.LBB87_300:                             ;   in Loop: Header=BB87_36 Depth=1
	s_or_b64 exec, exec, s[78:79]
	s_mov_b64 s[6:7], 0
	s_and_saveexec_b64 s[2:3], s[4:5]
	s_xor_b64 s[4:5], exec, s[2:3]
	s_cbranch_execz .LBB87_34
; %bb.301:                              ;   in Loop: Header=BB87_36 Depth=1
	v_and_b32_e32 v2, 7, v2
	v_cmp_eq_u32_e32 vcc, 0, v2
	s_mov_b64 s[8:9], -1
	s_mov_b64 s[6:7], -1
	s_and_saveexec_b64 s[16:17], vcc
	s_cbranch_execz .LBB87_33
; %bb.302:                              ;   in Loop: Header=BB87_36 Depth=1
	s_xor_b32 s47, s47, 1
	s_add_i32 s20, s63, -2
	s_cmp_eq_u32 s63, 0
	s_cselect_b64 s[2:3], -1, 0
	s_xor_b64 s[6:7], exec, -1
	s_orn2_b64 s[8:9], s[2:3], exec
	s_mov_b32 s63, s20
	s_branch .LBB87_33
.LBB87_303:
	s_or_b64 exec, exec, s[64:65]
	s_xor_b64 s[6:7], s[70:71], -1
	s_xor_b64 s[0:1], s[66:67], -1
	;; [unrolled: 1-line block ×3, first 2 shown]
	s_mov_b64 s[2:3], 0
	s_and_saveexec_b64 s[8:9], s[0:1]
	s_xor_b64 s[0:1], exec, s[8:9]
	s_cbranch_execnz .LBB87_308
; %bb.304:
	s_andn2_saveexec_b64 s[0:1], s[0:1]
	s_cbranch_execnz .LBB87_321
.LBB87_305:
	s_or_b64 exec, exec, s[0:1]
	s_and_saveexec_b64 s[0:1], s[2:3]
.LBB87_306:
	; divergent unreachable
.LBB87_307:
	s_endpgm
.LBB87_308:
	s_and_saveexec_b64 s[2:3], s[6:7]
	s_xor_b64 s[2:3], exec, s[2:3]
	s_cbranch_execz .LBB87_319
; %bb.309:
	s_and_saveexec_b64 s[6:7], s[4:5]
	s_xor_b64 s[4:5], exec, s[6:7]
; %bb.310:
	v_xor_b32_e32 v45, 0xffffff80, v41
; %bb.311:
	s_or_b64 exec, exec, s[4:5]
	v_readlane_b32 s6, v56, 0
	v_readlane_b32 s7, v56, 1
	s_mul_i32 s4, s6, s31
	s_mul_hi_u32 s5, s6, s30
	s_add_i32 s4, s5, s4
	s_mul_i32 s5, s7, s30
	s_add_i32 s4, s4, s5
	s_mul_i32 s5, s6, s30
	v_readlane_b32 s6, v56, 4
	v_readlane_b32 s7, v56, 5
	s_add_u32 s5, s6, s5
	s_addc_u32 s6, s7, s4
	s_add_u32 s4, s5, s22
	s_addc_u32 s5, s6, s23
	v_mov_b32_e32 v2, 0
	global_store_byte v2, v45, s[4:5]
	s_mov_b64 s[4:5], exec
	v_readlane_b32 s6, v56, 29
	v_readlane_b32 s7, v56, 30
	s_and_b64 s[6:7], s[4:5], s[6:7]
	s_mov_b64 exec, s[6:7]
	s_cbranch_execz .LBB87_318
; %bb.312:
	s_mov_b64 s[6:7], 0
                                        ; implicit-def: $sgpr8_sgpr9
                                        ; implicit-def: $sgpr12_sgpr13
                                        ; implicit-def: $sgpr10_sgpr11
	s_branch .LBB87_314
.LBB87_313:                             ;   in Loop: Header=BB87_314 Depth=1
	s_or_b64 exec, exec, s[14:15]
	s_and_b64 s[14:15], exec, s[12:13]
	s_or_b64 s[6:7], s[14:15], s[6:7]
	s_andn2_b64 s[8:9], s[8:9], exec
	s_and_b64 s[14:15], s[10:11], exec
	s_or_b64 s[8:9], s[8:9], s[14:15]
	s_andn2_b64 exec, exec, s[6:7]
	s_cbranch_execz .LBB87_316
.LBB87_314:                             ; =>This Inner Loop Header: Depth=1
	global_load_ubyte v4, v[12:13], off
	v_mov_b32_e32 v3, v1
	v_mov_b32_e32 v2, v0
	s_or_b64 s[10:11], s[10:11], exec
	s_or_b64 s[12:13], s[12:13], exec
                                        ; implicit-def: $vgpr0_vgpr1
	s_waitcnt vmcnt(0)
	v_cmp_ne_u16_sdwa s[16:17], v4, v45 src0_sel:DWORD src1_sel:BYTE_0
	s_and_saveexec_b64 s[14:15], s[16:17]
	s_cbranch_execz .LBB87_313
; %bb.315:                              ;   in Loop: Header=BB87_314 Depth=1
	v_add_co_u32_e32 v0, vcc, s33, v2
	v_addc_co_u32_e32 v1, vcc, 0, v3, vcc
	v_mov_b32_e32 v4, s48
	v_add_co_u32_e32 v12, vcc, s49, v12
	v_addc_co_u32_e32 v13, vcc, v13, v4, vcc
	v_cmp_le_u64_e32 vcc, s[24:25], v[0:1]
	s_andn2_b64 s[12:13], s[12:13], exec
	s_and_b64 s[16:17], vcc, exec
	s_andn2_b64 s[10:11], s[10:11], exec
	s_or_b64 s[12:13], s[12:13], s[16:17]
	s_branch .LBB87_313
.LBB87_316:
	s_or_b64 exec, exec, s[6:7]
	s_and_saveexec_b64 s[6:7], s[8:9]
	s_xor_b64 s[6:7], exec, s[6:7]
	s_cbranch_execz .LBB87_318
; %bb.317:
	v_readlane_b32 s8, v56, 2
	v_readlane_b32 s9, v56, 3
	s_mul_i32 s6, s8, s37
	s_mul_hi_u32 s7, s8, s36
	s_add_i32 s6, s7, s6
	s_mul_i32 s7, s9, s36
	s_add_i32 s7, s6, s7
	s_mul_i32 s6, s8, s36
	s_lshl_b64 s[6:7], s[6:7], 3
	v_readlane_b32 s8, v56, 6
	v_readlane_b32 s9, v56, 7
	s_add_u32 s8, s8, s6
	s_addc_u32 s9, s9, s7
	s_lshl_b64 s[6:7], s[28:29], 3
	s_add_u32 s6, s8, s6
	s_addc_u32 s7, s9, s7
	v_mov_b32_e32 v0, 0
	global_store_dwordx2 v0, v[2:3], s[6:7]
.LBB87_318:
	s_or_b64 exec, exec, s[4:5]
.LBB87_319:
	s_or_saveexec_b64 s[2:3], s[2:3]
	s_mov_b64 s[4:5], 0
	s_xor_b64 exec, exec, s[2:3]
	s_cbranch_execnz .LBB87_322
.LBB87_320:
	s_or_b64 exec, exec, s[2:3]
	s_and_b64 s[2:3], s[4:5], exec
	s_andn2_saveexec_b64 s[0:1], s[0:1]
	s_cbranch_execz .LBB87_305
.LBB87_321:
	s_or_b64 s[2:3], s[2:3], exec
	s_trap 2
	s_or_b64 exec, exec, s[0:1]
	s_and_saveexec_b64 s[0:1], s[2:3]
	s_cbranch_execnz .LBB87_306
	s_branch .LBB87_307
.LBB87_322:
	s_mov_b64 s[4:5], exec
	s_trap 2
	s_branch .LBB87_320
	.section	.rodata,"a",@progbits
	.p2align	6, 0x0
	.amdhsa_kernel _ZN2at6native12_GLOBAL__N_112gatherMedianIamLin1EEEvNS_4cuda6detail10TensorInfoIT_T0_EENS5_IlS7_EENS5_IKS6_S7_EES7_S7_S7_b
		.amdhsa_group_segment_fixed_size 5152
		.amdhsa_private_segment_fixed_size 0
		.amdhsa_kernarg_size 1536
		.amdhsa_user_sgpr_count 6
		.amdhsa_user_sgpr_private_segment_buffer 1
		.amdhsa_user_sgpr_dispatch_ptr 0
		.amdhsa_user_sgpr_queue_ptr 0
		.amdhsa_user_sgpr_kernarg_segment_ptr 1
		.amdhsa_user_sgpr_dispatch_id 0
		.amdhsa_user_sgpr_flat_scratch_init 0
		.amdhsa_user_sgpr_private_segment_size 0
		.amdhsa_uses_dynamic_stack 0
		.amdhsa_system_sgpr_private_segment_wavefront_offset 0
		.amdhsa_system_sgpr_workgroup_id_x 1
		.amdhsa_system_sgpr_workgroup_id_y 1
		.amdhsa_system_sgpr_workgroup_id_z 1
		.amdhsa_system_sgpr_workgroup_info 0
		.amdhsa_system_vgpr_workitem_id 0
		.amdhsa_next_free_vgpr 57
		.amdhsa_next_free_sgpr 96
		.amdhsa_reserve_vcc 1
		.amdhsa_reserve_flat_scratch 0
		.amdhsa_float_round_mode_32 0
		.amdhsa_float_round_mode_16_64 0
		.amdhsa_float_denorm_mode_32 3
		.amdhsa_float_denorm_mode_16_64 3
		.amdhsa_dx10_clamp 1
		.amdhsa_ieee_mode 1
		.amdhsa_fp16_overflow 0
		.amdhsa_exception_fp_ieee_invalid_op 0
		.amdhsa_exception_fp_denorm_src 0
		.amdhsa_exception_fp_ieee_div_zero 0
		.amdhsa_exception_fp_ieee_overflow 0
		.amdhsa_exception_fp_ieee_underflow 0
		.amdhsa_exception_fp_ieee_inexact 0
		.amdhsa_exception_int_div_zero 0
	.end_amdhsa_kernel
	.section	.text._ZN2at6native12_GLOBAL__N_112gatherMedianIamLin1EEEvNS_4cuda6detail10TensorInfoIT_T0_EENS5_IlS7_EENS5_IKS6_S7_EES7_S7_S7_b,"axG",@progbits,_ZN2at6native12_GLOBAL__N_112gatherMedianIamLin1EEEvNS_4cuda6detail10TensorInfoIT_T0_EENS5_IlS7_EENS5_IKS6_S7_EES7_S7_S7_b,comdat
.Lfunc_end87:
	.size	_ZN2at6native12_GLOBAL__N_112gatherMedianIamLin1EEEvNS_4cuda6detail10TensorInfoIT_T0_EENS5_IlS7_EENS5_IKS6_S7_EES7_S7_S7_b, .Lfunc_end87-_ZN2at6native12_GLOBAL__N_112gatherMedianIamLin1EEEvNS_4cuda6detail10TensorInfoIT_T0_EENS5_IlS7_EENS5_IKS6_S7_EES7_S7_S7_b
                                        ; -- End function
	.set _ZN2at6native12_GLOBAL__N_112gatherMedianIamLin1EEEvNS_4cuda6detail10TensorInfoIT_T0_EENS5_IlS7_EENS5_IKS6_S7_EES7_S7_S7_b.num_vgpr, 57
	.set _ZN2at6native12_GLOBAL__N_112gatherMedianIamLin1EEEvNS_4cuda6detail10TensorInfoIT_T0_EENS5_IlS7_EENS5_IKS6_S7_EES7_S7_S7_b.num_agpr, 0
	.set _ZN2at6native12_GLOBAL__N_112gatherMedianIamLin1EEEvNS_4cuda6detail10TensorInfoIT_T0_EENS5_IlS7_EENS5_IKS6_S7_EES7_S7_S7_b.numbered_sgpr, 96
	.set _ZN2at6native12_GLOBAL__N_112gatherMedianIamLin1EEEvNS_4cuda6detail10TensorInfoIT_T0_EENS5_IlS7_EENS5_IKS6_S7_EES7_S7_S7_b.num_named_barrier, 0
	.set _ZN2at6native12_GLOBAL__N_112gatherMedianIamLin1EEEvNS_4cuda6detail10TensorInfoIT_T0_EENS5_IlS7_EENS5_IKS6_S7_EES7_S7_S7_b.private_seg_size, 0
	.set _ZN2at6native12_GLOBAL__N_112gatherMedianIamLin1EEEvNS_4cuda6detail10TensorInfoIT_T0_EENS5_IlS7_EENS5_IKS6_S7_EES7_S7_S7_b.uses_vcc, 1
	.set _ZN2at6native12_GLOBAL__N_112gatherMedianIamLin1EEEvNS_4cuda6detail10TensorInfoIT_T0_EENS5_IlS7_EENS5_IKS6_S7_EES7_S7_S7_b.uses_flat_scratch, 0
	.set _ZN2at6native12_GLOBAL__N_112gatherMedianIamLin1EEEvNS_4cuda6detail10TensorInfoIT_T0_EENS5_IlS7_EENS5_IKS6_S7_EES7_S7_S7_b.has_dyn_sized_stack, 0
	.set _ZN2at6native12_GLOBAL__N_112gatherMedianIamLin1EEEvNS_4cuda6detail10TensorInfoIT_T0_EENS5_IlS7_EENS5_IKS6_S7_EES7_S7_S7_b.has_recursion, 0
	.set _ZN2at6native12_GLOBAL__N_112gatherMedianIamLin1EEEvNS_4cuda6detail10TensorInfoIT_T0_EENS5_IlS7_EENS5_IKS6_S7_EES7_S7_S7_b.has_indirect_call, 0
	.section	.AMDGPU.csdata,"",@progbits
; Kernel info:
; codeLenInByte = 17716
; TotalNumSgprs: 100
; NumVgprs: 57
; ScratchSize: 0
; MemoryBound: 0
; FloatMode: 240
; IeeeMode: 1
; LDSByteSize: 5152 bytes/workgroup (compile time only)
; SGPRBlocks: 12
; VGPRBlocks: 14
; NumSGPRsForWavesPerEU: 100
; NumVGPRsForWavesPerEU: 57
; Occupancy: 4
; WaveLimiterHint : 1
; COMPUTE_PGM_RSRC2:SCRATCH_EN: 0
; COMPUTE_PGM_RSRC2:USER_SGPR: 6
; COMPUTE_PGM_RSRC2:TRAP_HANDLER: 0
; COMPUTE_PGM_RSRC2:TGID_X_EN: 1
; COMPUTE_PGM_RSRC2:TGID_Y_EN: 1
; COMPUTE_PGM_RSRC2:TGID_Z_EN: 1
; COMPUTE_PGM_RSRC2:TIDIG_COMP_CNT: 0
	.section	.text._ZN2at6native12_GLOBAL__N_112gatherMedianIijLi1EEEvNS_4cuda6detail10TensorInfoIT_T0_EENS5_IlS7_EENS5_IKS6_S7_EES7_S7_S7_b,"axG",@progbits,_ZN2at6native12_GLOBAL__N_112gatherMedianIijLi1EEEvNS_4cuda6detail10TensorInfoIT_T0_EENS5_IlS7_EENS5_IKS6_S7_EES7_S7_S7_b,comdat
	.globl	_ZN2at6native12_GLOBAL__N_112gatherMedianIijLi1EEEvNS_4cuda6detail10TensorInfoIT_T0_EENS5_IlS7_EENS5_IKS6_S7_EES7_S7_S7_b ; -- Begin function _ZN2at6native12_GLOBAL__N_112gatherMedianIijLi1EEEvNS_4cuda6detail10TensorInfoIT_T0_EENS5_IlS7_EENS5_IKS6_S7_EES7_S7_S7_b
	.p2align	8
	.type	_ZN2at6native12_GLOBAL__N_112gatherMedianIijLi1EEEvNS_4cuda6detail10TensorInfoIT_T0_EENS5_IlS7_EENS5_IKS6_S7_EES7_S7_S7_b,@function
_ZN2at6native12_GLOBAL__N_112gatherMedianIijLi1EEEvNS_4cuda6detail10TensorInfoIT_T0_EENS5_IlS7_EENS5_IKS6_S7_EES7_S7_S7_b: ; @_ZN2at6native12_GLOBAL__N_112gatherMedianIijLi1EEEvNS_4cuda6detail10TensorInfoIT_T0_EENS5_IlS7_EENS5_IKS6_S7_EES7_S7_S7_b
; %bb.0:
	s_load_dwordx2 s[12:13], s[4:5], 0x298
	s_load_dwordx4 s[56:59], s[4:5], 0x288
	s_add_u32 s10, s4, 0x298
	s_addc_u32 s11, s5, 0
	s_waitcnt lgkmcnt(0)
	s_mul_i32 s0, s13, s8
	s_add_i32 s0, s0, s7
	s_mul_i32 s0, s0, s12
	s_add_i32 s18, s0, s6
	s_cmp_ge_u32 s18, s57
	s_cbranch_scc1 .LBB88_236
; %bb.1:
	v_cmp_eq_u32_e64 s[0:1], 0, v0
	s_and_saveexec_b64 s[2:3], s[0:1]
; %bb.2:
	v_mov_b32_e32 v1, 0
	v_mov_b32_e32 v2, v1
	ds_write_b64 v1, v[1:2] offset:4096
; %bb.3:
	s_or_b64 exec, exec, s[2:3]
	v_mov_b32_e32 v1, 0
	s_waitcnt lgkmcnt(0)
	s_barrier
	s_barrier
	ds_read_b64 v[1:2], v1 offset:4096
	s_load_dwordx2 s[2:3], s[4:5], 0x1b0
	s_bitcmp1_b32 s59, 0
	s_cselect_b64 s[16:17], -1, 0
	s_mov_b32 s7, s56
	s_waitcnt lgkmcnt(0)
	v_readfirstlane_b32 s8, v1
	v_readfirstlane_b32 s9, v2
	v_cmp_lt_i64_e64 s[14:15], s[8:9], 1
	s_or_b64 s[14:15], s[16:17], s[14:15]
	s_andn2_b64 vcc, exec, s[14:15]
	s_cbranch_vccnz .LBB88_5
; %bb.4:
	s_not_b64 s[8:9], s[8:9]
	s_add_u32 s7, s8, s56
	s_addc_u32 s9, s9, 0
	s_lshr_b32 s8, s9, 31
	s_add_u32 s8, s7, s8
	s_addc_u32 s9, s9, 0
	s_lshr_b64 s[8:9], s[8:9], 1
	s_add_i32 s7, s8, 1
.LBB88_5:
	s_load_dwordx2 s[8:9], s[4:5], 0xd8
                                        ; implicit-def: $vgpr48 : SGPR spill to VGPR lane
	s_waitcnt lgkmcnt(0)
	v_writelane_b32 v48, s8, 0
	v_writelane_b32 v48, s9, 1
	s_load_dword s13, s[4:5], 0x21c
	s_load_dwordx2 s[8:9], s[4:5], 0x0
	s_waitcnt lgkmcnt(0)
	v_writelane_b32 v48, s8, 2
	v_writelane_b32 v48, s9, 3
	s_and_saveexec_b64 s[8:9], s[0:1]
	s_cbranch_execz .LBB88_7
; %bb.6:
	v_mov_b32_e32 v1, 0
	v_mov_b32_e32 v2, s56
	ds_write_b32 v1, v1 offset:4112
	ds_write_b64 v1, v[1:2] offset:4104
.LBB88_7:
	s_or_b64 exec, exec, s[8:9]
	s_load_dword s8, s[4:5], 0x144
                                        ; kill: killed $sgpr4 killed $sgpr5
	s_waitcnt lgkmcnt(0)
	s_barrier
	v_mul_lo_u32 v5, s58, v0
	v_writelane_b32 v48, s8, 4
	s_load_dword s8, s[4:5], 0x6c
	s_mul_i32 s4, s13, s18
	s_mov_b32 s5, 0
	s_lshl_b64 s[4:5], s[4:5], 2
	s_add_u32 s59, s2, s4
	s_waitcnt lgkmcnt(0)
	v_writelane_b32 v48, s8, 5
	s_load_dword s8, s[10:11], 0xc
	v_mov_b32_e32 v7, 0
	v_writelane_b32 v48, s18, 6
	s_addc_u32 s95, s3, s5
	v_cmp_gt_u32_e64 s[2:3], s56, v0
	v_mbcnt_lo_u32_b32 v1, -1, 0
	v_mov_b32_e32 v6, v7
	v_writelane_b32 v48, s2, 7
	v_mbcnt_hi_u32_b32 v16, -1, v1
	v_lshlrev_b64 v[1:2], 2, v[5:6]
	v_writelane_b32 v48, s3, 8
	s_waitcnt lgkmcnt(0)
	s_and_b32 s94, s8, 0xffff
	s_bfe_u32 s2, s8, 0xa0006
	v_cmp_gt_u32_e32 vcc, 64, v0
	v_cmp_gt_i32_e64 s[8:9], 4, v16
	s_and_b64 s[64:65], vcc, s[8:9]
	v_mov_b32_e32 v18, s95
	v_add_co_u32_e32 v8, vcc, s59, v1
	v_addc_co_u32_e32 v9, vcc, v18, v2, vcc
	v_lshlrev_b64 v[1:2], v16, -1
	s_lshl_b32 s60, s94, 2
	v_not_b32_e32 v21, v1
	v_lshrrev_b32_e32 v1, 2, v0
	s_add_i32 s57, s94, -1
	v_and_b32_e32 v1, 0xf0, v1
	s_add_i32 s3, s57, s56
	v_or_b32_e32 v22, 0xc00, v1
	v_cvt_f32_u32_e32 v1, s60
	s_cmpk_gt_u32 s56, 0x300
	s_cselect_b64 s[66:67], -1, 0
	s_cmp_gt_u32 s94, 63
	s_cselect_b64 s[68:69], -1, 0
	s_cmp_lt_u32 s6, s12
	s_cselect_b32 s6, 12, 18
	v_rcp_iflag_f32_e32 v1, v1
	s_add_u32 s8, s10, s6
	s_addc_u32 s9, s11, 0
	v_writelane_b32 v48, s8, 9
	s_add_i32 s6, s2, -1
	v_writelane_b32 v48, s9, 10
	s_bfe_u32 s8, s94, 0x30006
	s_and_b32 s6, s6, 0xffff
	v_mul_f32_e32 v1, 0x4f7ffffe, v1
	s_cmp_gt_u32 s6, 6
	v_cvt_u32_f32_e32 v1, v1
	s_cselect_b64 s[10:11], -1, 0
	v_writelane_b32 v48, s10, 11
	s_and_b32 s63, s2, 0x3f8
	v_writelane_b32 v48, s11, 12
	s_cmp_lg_u32 s8, 0
	v_writelane_b32 v48, s8, 13
	s_cselect_b64 s[8:9], -1, 0
	s_sub_i32 s2, 0, s60
	v_readfirstlane_b32 s6, v1
	v_cvt_f32_u32_e32 v1, s94
	s_mul_i32 s2, s2, s6
	s_mul_hi_u32 s2, s6, s2
	s_add_i32 s33, s6, s2
	s_mul_hi_u32 s2, s56, s33
	v_rcp_iflag_f32_e32 v4, v1
	s_mul_i32 s2, s2, s60
	s_sub_i32 s2, s56, s2
	s_sub_i32 s6, s2, s60
	s_cmp_ge_u32 s2, s60
	v_mul_f32_e32 v4, 0x4f7ffffe, v4
	s_cselect_b32 s2, s6, s2
	v_cvt_u32_f32_e32 v4, v4
	s_sub_i32 s6, s2, s60
	s_cmp_ge_u32 s2, s60
	s_cselect_b32 s2, s6, s2
	s_sub_i32 s62, s56, s2
	s_sub_i32 s6, 0, s94
	v_readfirstlane_b32 s12, v4
	v_add_u32_e32 v23, s62, v0
	s_mul_i32 s6, s6, s12
	v_mul_lo_u32 v6, v23, s58
	s_mul_hi_u32 s6, s12, s6
	s_add_i32 s70, s12, s6
	s_mul_hi_u32 s6, s3, s70
	s_mul_i32 s6, s6, s94
	v_not_b32_e32 v20, v2
	v_lshlrev_b64 v[1:2], 2, v[6:7]
	s_sub_i32 s6, s3, s6
	v_lshlrev_b32_e32 v15, 2, v0
	s_sub_i32 s12, s6, s94
	v_add_co_u32_e32 v10, vcc, s59, v1
	s_cmp_ge_u32 s6, s94
	v_mul_lo_u32 v1, s58, v15
	s_cselect_b32 s6, s12, s6
	s_sub_i32 s12, s6, s94
	s_cmp_ge_u32 s6, s94
	s_cselect_b32 s6, s12, s6
	v_add_u32_e32 v24, s58, v1
	v_or_b32_e32 v1, 2, v15
	s_sub_i32 s71, s3, s6
	v_mul_lo_u32 v25, s58, v1
	v_or_b32_e32 v1, 3, v15
	s_add_i32 s3, s94, s56
	v_mul_lo_u32 v27, s58, v1
	v_add_u32_e32 v1, s3, v0
	v_subrev_u32_e32 v1, s2, v1
	v_mul_lo_u32 v29, s58, v1
	v_writelane_b32 v48, s8, 14
	v_lshlrev_b32_e32 v3, 2, v16
	v_writelane_b32 v48, s9, 15
	v_mov_b32_e32 v6, s95
	v_cmp_gt_u32_e64 s[12:13], s71, v0
	s_mul_i32 s61, s58, s94
	v_cmp_eq_u32_e64 s[4:5], 0, v16
	v_cmp_gt_u32_e64 s[16:17], 2, v0
	v_add_u32_e32 v17, 0xc00, v15
	v_and_b32_e32 v19, 0x100, v3
	v_cmp_gt_u32_e64 s[8:9], s62, v15
	v_cmp_gt_u32_e64 s[10:11], s56, v23
	v_addc_co_u32_e32 v11, vcc, v6, v2, vcc
	v_writelane_b32 v48, s12, 16
	s_lshl_b32 s72, s61, 2
	v_lshlrev_b32_e32 v28, 2, v5
	v_lshlrev_b32_e32 v30, 4, v0
	s_lshl_b32 s73, s94, 4
	v_or_b32_e32 v31, 0xc00, v3
	s_mov_b64 s[76:77], 0
	v_mov_b32_e32 v32, 30
	v_mov_b32_e32 v35, s7
	;; [unrolled: 1-line block ×7, first 2 shown]
	v_writelane_b32 v48, s13, 17
                                        ; implicit-def: $sgpr78_sgpr79
                                        ; implicit-def: $sgpr82_sgpr83
                                        ; implicit-def: $sgpr80_sgpr81
                                        ; implicit-def: $sgpr86_sgpr87
                                        ; implicit-def: $sgpr88_sgpr89
                                        ; implicit-def: $sgpr84_sgpr85
	s_branch .LBB88_11
.LBB88_8:                               ;   in Loop: Header=BB88_11 Depth=1
	s_or_b64 exec, exec, s[26:27]
	s_and_b64 s[26:27], s[24:25], exec
	s_andn2_b64 s[22:23], s[22:23], exec
	s_andn2_b64 s[20:21], s[20:21], exec
	s_orn2_b64 s[14:15], s[14:15], exec
.LBB88_9:                               ;   in Loop: Header=BB88_11 Depth=1
	s_or_b64 exec, exec, s[18:19]
	s_andn2_b64 s[2:3], s[84:85], exec
	s_and_b64 s[12:13], s[26:27], exec
	s_or_b64 s[84:85], s[2:3], s[12:13]
	s_andn2_b64 s[2:3], s[88:89], exec
	s_and_b64 s[12:13], s[22:23], exec
	s_or_b64 s[88:89], s[2:3], s[12:13]
	;; [unrolled: 3-line block ×3, first 2 shown]
	s_orn2_b64 s[14:15], s[14:15], exec
.LBB88_10:                              ;   in Loop: Header=BB88_11 Depth=1
	s_or_b64 exec, exec, s[6:7]
	s_and_b64 s[2:3], exec, s[14:15]
	s_or_b64 s[76:77], s[2:3], s[76:77]
	s_andn2_b64 s[2:3], s[80:81], exec
	s_and_b64 s[6:7], s[84:85], exec
	s_or_b64 s[80:81], s[2:3], s[6:7]
	s_andn2_b64 s[2:3], s[82:83], exec
	s_and_b64 s[6:7], s[88:89], exec
	s_or_b64 s[82:83], s[2:3], s[6:7]
	s_andn2_b64 s[2:3], s[78:79], exec
	s_and_b64 s[6:7], s[86:87], exec
	s_or_b64 s[78:79], s[2:3], s[6:7]
	v_mov_b32_e32 v35, v4
	s_andn2_b64 exec, exec, s[76:77]
	s_cbranch_execz .LBB88_232
.LBB88_11:                              ; =>This Loop Header: Depth=1
                                        ;     Child Loop BB88_17 Depth 2
                                        ;     Child Loop BB88_30 Depth 2
	;; [unrolled: 1-line block ×16, first 2 shown]
	ds_read_b64 v[1:2], v7 offset:4104
	s_waitcnt lgkmcnt(0)
	v_readfirstlane_b32 s74, v1
	s_cmp_lg_u32 s74, 0
	s_cbranch_scc1 .LBB88_38
; %bb.12:                               ;   in Loop: Header=BB88_11 Depth=1
	s_and_b64 vcc, exec, s[66:67]
	s_cbranch_vccz .LBB88_25
; %bb.13:                               ;   in Loop: Header=BB88_11 Depth=1
	s_movk_i32 s2, 0x301
	v_cmp_gt_u32_e32 vcc, s2, v2
	s_mov_b64 s[18:19], 0
	s_mov_b64 s[6:7], 0
	s_cbranch_vccz .LBB88_26
; %bb.14:                               ;   in Loop: Header=BB88_11 Depth=1
	s_mov_b64 s[20:21], exec
	v_readlane_b32 s2, v48, 7
	v_readlane_b32 s3, v48, 8
	s_and_b64 s[2:3], s[20:21], s[2:3]
	s_mov_b64 exec, s[2:3]
	s_cbranch_execz .LBB88_122
; %bb.15:                               ;   in Loop: Header=BB88_11 Depth=1
	v_readlane_b32 s2, v48, 9
	v_readlane_b32 s3, v48, 10
	s_nop 4
	global_load_ushort v1, v7, s[2:3]
	global_load_dword v3, v[8:9], off
	s_mov_b64 s[22:23], 0
	v_mov_b32_e32 v4, v0
	s_waitcnt vmcnt(1)
	v_add_u32_e32 v2, v0, v1
	v_mul_lo_u32 v6, s58, v2
	v_mul_lo_u32 v2, s58, v1
	s_branch .LBB88_17
.LBB88_16:                              ;   in Loop: Header=BB88_17 Depth=2
	s_or_b64 exec, exec, s[6:7]
	v_add_u32_e32 v6, v6, v2
	v_mov_b32_e32 v3, v13
	s_andn2_b64 exec, exec, s[22:23]
	s_cbranch_execz .LBB88_122
.LBB88_17:                              ;   Parent Loop BB88_11 Depth=1
                                        ; =>  This Inner Loop Header: Depth=2
	v_add_u32_e32 v4, v4, v1
	v_cmp_gt_u32_e64 s[6:7], s56, v4
	v_cmp_le_u32_e32 vcc, s56, v4
	s_waitcnt lgkmcnt(0)
	v_mov_b32_e32 v36, 0
	v_mov_b32_e32 v13, 0
	s_and_saveexec_b64 s[14:15], s[6:7]
	s_cbranch_execz .LBB88_19
; %bb.18:                               ;   in Loop: Header=BB88_17 Depth=2
	v_lshlrev_b64 v[37:38], 2, v[6:7]
	v_add_co_u32_e64 v37, s[6:7], s59, v37
	v_addc_co_u32_e64 v38, s[6:7], v18, v38, s[6:7]
	global_load_dword v13, v[37:38], off
.LBB88_19:                              ;   in Loop: Header=BB88_17 Depth=2
	s_or_b64 exec, exec, s[14:15]
	s_waitcnt vmcnt(0)
	v_xor_b32_e32 v37, 0x80000000, v3
	v_and_b32_e32 v37, v37, v34
	v_cmp_eq_u32_e64 s[14:15], v37, v26
	s_cmp_lg_u64 s[14:15], 0
	s_cselect_b64 s[2:3], -1, 0
	s_and_b64 s[2:3], s[4:5], s[2:3]
	s_and_saveexec_b64 s[24:25], s[2:3]
	s_cbranch_execz .LBB88_23
; %bb.20:                               ;   in Loop: Header=BB88_17 Depth=2
	s_mov_b64 s[28:29], exec
	v_mbcnt_lo_u32_b32 v36, s28, 0
	v_mbcnt_hi_u32_b32 v36, s29, v36
	s_bcnt1_i32_b64 s2, s[14:15]
	v_cmp_eq_u32_e64 s[6:7], 0, v36
                                        ; implicit-def: $vgpr37
	s_and_saveexec_b64 s[26:27], s[6:7]
; %bb.21:                               ;   in Loop: Header=BB88_17 Depth=2
	s_bcnt1_i32_b64 s3, s[28:29]
	s_mul_i32 s3, s2, s3
	v_mov_b32_e32 v37, s3
	ds_add_rtn_u32 v37, v7, v37 offset:4112
; %bb.22:                               ;   in Loop: Header=BB88_17 Depth=2
	s_or_b64 exec, exec, s[26:27]
	s_waitcnt lgkmcnt(0)
	v_readfirstlane_b32 s3, v37
	v_mov_b32_e32 v37, s3
	v_mad_u32_u24 v36, s2, v36, v37
.LBB88_23:                              ;   in Loop: Header=BB88_17 Depth=2
	s_or_b64 exec, exec, s[24:25]
	ds_bpermute_b32 v36, v19, v36
	s_and_b64 s[2:3], exec, vcc
	s_or_b64 s[22:23], s[2:3], s[22:23]
	s_and_saveexec_b64 s[6:7], s[14:15]
	s_cbranch_execz .LBB88_16
; %bb.24:                               ;   in Loop: Header=BB88_17 Depth=2
	v_and_b32_e32 v38, s14, v21
	v_and_b32_e32 v37, s15, v20
	v_bcnt_u32_b32 v38, v38, 0
	v_bcnt_u32_b32 v37, v37, v38
	v_lshlrev_b32_e32 v37, 2, v37
	s_waitcnt lgkmcnt(0)
	v_lshl_add_u32 v36, v36, 2, v37
	ds_write_b32 v36, v3
	s_branch .LBB88_16
.LBB88_25:                              ;   in Loop: Header=BB88_11 Depth=1
	s_mov_b64 s[18:19], -1
	s_mov_b64 s[6:7], 0
.LBB88_26:                              ;   in Loop: Header=BB88_11 Depth=1
	s_and_b64 vcc, exec, s[18:19]
	s_cbranch_vccz .LBB88_36
.LBB88_27:                              ;   in Loop: Header=BB88_11 Depth=1
	s_mov_b64 s[6:7], exec
	v_readlane_b32 s2, v48, 7
	v_readlane_b32 s3, v48, 8
	s_and_b64 s[2:3], s[6:7], s[2:3]
	s_mov_b64 exec, s[2:3]
	s_cbranch_execz .LBB88_33
; %bb.28:                               ;   in Loop: Header=BB88_11 Depth=1
	v_readlane_b32 s2, v48, 9
	v_readlane_b32 s3, v48, 10
	s_nop 4
	global_load_ushort v1, v7, s[2:3]
	global_load_dword v3, v[8:9], off
	v_mov_b32_e32 v2, v0
	s_waitcnt vmcnt(1)
	v_add_u32_e32 v6, v0, v1
	v_cmp_gt_u32_e32 vcc, s56, v6
	s_and_saveexec_b64 s[14:15], vcc
	s_cbranch_execz .LBB88_32
; %bb.29:                               ;   in Loop: Header=BB88_11 Depth=1
	v_mul_lo_u32 v6, s58, v6
	v_mul_lo_u32 v13, s58, v1
	v_lshlrev_b32_e32 v4, 2, v1
	s_mov_b64 s[18:19], 0
	v_mov_b32_e32 v36, v15
	v_mov_b32_e32 v2, v0
.LBB88_30:                              ;   Parent Loop BB88_11 Depth=1
                                        ; =>  This Inner Loop Header: Depth=2
	v_lshlrev_b64 v[37:38], 2, v[6:7]
	v_mov_b32_e32 v39, s95
	v_add_co_u32_e32 v37, vcc, s59, v37
	v_addc_co_u32_e32 v38, vcc, v39, v38, vcc
	global_load_dword v37, v[37:38], off
	v_add_u32_e32 v2, v2, v1
	s_waitcnt vmcnt(1)
	ds_write_b32 v36, v3
	v_add_u32_e32 v3, v1, v2
	v_cmp_le_u32_e32 vcc, s56, v3
	v_add_u32_e32 v36, v36, v4
	v_add_u32_e32 v6, v6, v13
	s_or_b64 s[18:19], vcc, s[18:19]
	s_waitcnt vmcnt(0)
	v_mov_b32_e32 v3, v37
	s_andn2_b64 exec, exec, s[18:19]
	s_cbranch_execnz .LBB88_30
; %bb.31:                               ;   in Loop: Header=BB88_11 Depth=1
	s_or_b64 exec, exec, s[18:19]
	v_mov_b32_e32 v3, v37
.LBB88_32:                              ;   in Loop: Header=BB88_11 Depth=1
	s_or_b64 exec, exec, s[14:15]
	v_lshlrev_b32_e32 v1, 2, v2
	s_waitcnt vmcnt(0)
	ds_write_b32 v1, v3
.LBB88_33:                              ;   in Loop: Header=BB88_11 Depth=1
	s_or_b64 exec, exec, s[6:7]
	s_waitcnt lgkmcnt(0)
	s_barrier
	s_and_saveexec_b64 s[6:7], s[0:1]
; %bb.34:                               ;   in Loop: Header=BB88_11 Depth=1
	v_mov_b32_e32 v1, s56
	ds_write_b32 v7, v1 offset:4104
; %bb.35:                               ;   in Loop: Header=BB88_11 Depth=1
	s_or_b64 exec, exec, s[6:7]
	s_mov_b64 s[6:7], -1
	s_waitcnt lgkmcnt(0)
	s_barrier
.LBB88_36:                              ;   in Loop: Header=BB88_11 Depth=1
	s_mov_b32 s74, 0
	s_and_b64 vcc, exec, s[6:7]
	s_cbranch_vccz .LBB88_38
; %bb.37:                               ;   in Loop: Header=BB88_11 Depth=1
	ds_read_b32 v1, v7 offset:4104
	s_waitcnt lgkmcnt(0)
	v_readfirstlane_b32 s74, v1
.LBB88_38:                              ;   in Loop: Header=BB88_11 Depth=1
	s_cmp_lt_i32 s74, 1
	s_mov_b64 s[6:7], -1
                                        ; implicit-def: $vgpr4
	s_cbranch_scc1 .LBB88_48
; %bb.39:                               ;   in Loop: Header=BB88_11 Depth=1
	s_and_b64 vcc, exec, s[6:7]
	s_cbranch_vccnz .LBB88_59
.LBB88_40:                              ;   in Loop: Header=BB88_11 Depth=1
	v_lshlrev_b32_e32 v6, 6, v33
	s_and_saveexec_b64 s[6:7], s[4:5]
.LBB88_41:                              ;   in Loop: Header=BB88_11 Depth=1
	v_lshl_add_u32 v13, v6, 2, v22
	ds_write_b128 v13, v[1:4]
.LBB88_42:                              ;   in Loop: Header=BB88_11 Depth=1
	s_or_b64 exec, exec, s[6:7]
	s_waitcnt lgkmcnt(0)
	s_barrier
	s_and_saveexec_b64 s[6:7], s[64:65]
	s_cbranch_execz .LBB88_73
; %bb.43:                               ;   in Loop: Header=BB88_11 Depth=1
	s_andn2_b64 vcc, exec, s[68:69]
	v_mov_b32_e32 v1, 0
	s_cbranch_vccnz .LBB88_72
; %bb.44:                               ;   in Loop: Header=BB88_11 Depth=1
	v_readlane_b32 s2, v48, 11
	v_readlane_b32 s3, v48, 12
	s_andn2_b64 vcc, exec, s[2:3]
	s_cbranch_vccnz .LBB88_68
; %bb.45:                               ;   in Loop: Header=BB88_11 Depth=1
	v_lshl_add_u32 v2, v33, 8, v31
	s_mov_b32 s2, 0
	v_mov_b32_e32 v1, 0
.LBB88_46:                              ;   Parent Loop BB88_11 Depth=1
                                        ; =>  This Inner Loop Header: Depth=2
	ds_read2_b32 v[3:4], v2 offset1:4
	ds_read2_b32 v[36:37], v2 offset0:8 offset1:12
	ds_read2_b32 v[38:39], v2 offset0:16 offset1:20
	ds_read2_b32 v[40:41], v2 offset0:24 offset1:28
	s_add_i32 s2, s2, 8
	s_waitcnt lgkmcnt(3)
	v_add3_u32 v1, v3, v1, v4
	s_waitcnt lgkmcnt(2)
	v_add3_u32 v1, v36, v1, v37
	;; [unrolled: 2-line block ×3, first 2 shown]
	v_add_u32_e32 v2, 0x80, v2
	s_cmp_eq_u32 s63, s2
	s_waitcnt lgkmcnt(0)
	v_add3_u32 v1, v40, v1, v41
	s_cbranch_scc0 .LBB88_46
; %bb.47:                               ;   in Loop: Header=BB88_11 Depth=1
	s_mov_b32 s2, s63
	s_branch .LBB88_69
.LBB88_48:                              ;   in Loop: Header=BB88_11 Depth=1
	v_mov_b32_e32 v1, 0
	v_mov_b32_e32 v2, 0
	;; [unrolled: 1-line block ×4, first 2 shown]
	s_and_saveexec_b64 s[44:45], s[8:9]
	s_cbranch_execz .LBB88_52
; %bb.49:                               ;   in Loop: Header=BB88_11 Depth=1
	s_mov_b32 s48, 0
	s_mov_b64 s[46:47], 0
	s_mov_b32 s49, 0
	s_mov_b32 s50, 0
	;; [unrolled: 1-line block ×4, first 2 shown]
	v_mov_b32_e32 v13, v15
.LBB88_50:                              ;   Parent Loop BB88_11 Depth=1
                                        ; =>  This Inner Loop Header: Depth=2
	v_add_u32_e32 v6, s48, v28
	v_lshlrev_b64 v[2:3], 2, v[6:7]
	v_add_u32_e32 v6, s48, v24
	v_mov_b32_e32 v1, s95
	v_lshlrev_b64 v[36:37], 2, v[6:7]
	v_add_co_u32_e64 v2, s[6:7], s59, v2
	v_add_u32_e32 v6, s48, v25
	v_addc_co_u32_e64 v3, s[6:7], v1, v3, s[6:7]
	v_lshlrev_b64 v[38:39], 2, v[6:7]
	v_add_u32_e32 v6, s48, v27
	v_add_co_u32_e64 v36, s[6:7], s59, v36
	v_lshlrev_b64 v[40:41], 2, v[6:7]
	v_addc_co_u32_e64 v37, s[6:7], v1, v37, s[6:7]
	global_load_dword v4, v[2:3], off
	global_load_dword v6, v[36:37], off
	v_add_co_u32_e64 v2, s[6:7], s59, v38
	v_addc_co_u32_e64 v3, s[6:7], v1, v39, s[6:7]
	global_load_dword v36, v[2:3], off
	v_add_co_u32_e64 v2, s[6:7], s59, v40
	v_addc_co_u32_e64 v3, s[6:7], v1, v41, s[6:7]
	global_load_dword v1, v[2:3], off
	v_add_u32_e32 v13, s60, v13
	v_cmp_le_u32_e32 vcc, s62, v13
	s_add_i32 s48, s48, s72
	s_waitcnt vmcnt(3)
	v_xor_b32_e32 v2, 0x80000000, v4
	v_and_b32_e32 v4, v2, v34
	v_bfe_u32 v2, v2, v32, 2
	s_waitcnt vmcnt(2)
	v_xor_b32_e32 v3, 0x80000000, v6
	v_cmp_eq_u32_e64 s[6:7], v4, v26
	v_cmp_eq_u32_e64 s[14:15], 0, v2
	v_and_b32_e32 v4, v3, v34
	v_bfe_u32 v3, v3, v32, 2
	v_cmp_eq_u32_e64 s[18:19], 1, v2
	s_and_b64 s[2:3], s[6:7], s[14:15]
	s_waitcnt vmcnt(1)
	v_xor_b32_e32 v6, 0x80000000, v36
	v_cmp_eq_u32_e64 s[20:21], 2, v2
	v_cmp_eq_u32_e64 s[26:27], 0, v3
	;; [unrolled: 1-line block ×5, first 2 shown]
	v_cndmask_b32_e64 v3, 0, 1, s[2:3]
	s_and_b64 s[2:3], s[6:7], s[18:19]
	v_cmp_eq_u32_e64 s[22:23], 3, v2
	v_cmp_eq_u32_e64 s[24:25], v4, v26
	v_and_b32_e32 v2, v6, v34
	v_bfe_u32 v4, v6, v32, 2
	v_cndmask_b32_e64 v6, 0, 1, s[2:3]
	s_and_b64 s[2:3], s[6:7], s[20:21]
	v_cndmask_b32_e64 v36, 0, 1, s[2:3]
	s_and_b64 s[2:3], s[6:7], s[22:23]
	;; [unrolled: 2-line block ×3, first 2 shown]
	v_cmp_ne_u32_e64 s[36:37], 0, v3
	v_cndmask_b32_e64 v3, 0, 1, s[2:3]
	s_and_b64 s[2:3], s[24:25], s[28:29]
	v_cmp_eq_u32_e64 s[14:15], 0, v4
	v_cmp_eq_u32_e64 s[18:19], 1, v4
	;; [unrolled: 1-line block ×4, first 2 shown]
	v_cndmask_b32_e64 v4, 0, 1, s[2:3]
	s_and_b64 s[2:3], s[24:25], s[30:31]
	s_waitcnt vmcnt(0)
	v_xor_b32_e32 v1, 0x80000000, v1
	v_cmp_eq_u32_e64 s[6:7], v2, v26
	v_cmp_ne_u32_e64 s[26:27], 0, v6
	v_cndmask_b32_e64 v6, 0, 1, s[2:3]
	s_and_b64 s[2:3], s[24:25], s[34:35]
	v_and_b32_e32 v2, v1, v34
	v_bfe_u32 v1, v1, v32, 2
	v_cmp_ne_u32_e64 s[28:29], 0, v36
	v_cndmask_b32_e64 v36, 0, 1, s[2:3]
	s_and_b64 s[2:3], s[6:7], s[14:15]
	v_cmp_eq_u32_e64 s[34:35], 0, v1
	v_cmp_eq_u32_e64 s[38:39], 1, v1
	;; [unrolled: 1-line block ×4, first 2 shown]
	v_cndmask_b32_e64 v1, 0, 1, s[2:3]
	s_and_b64 s[2:3], s[6:7], s[18:19]
	v_cmp_eq_u32_e64 s[24:25], v2, v26
	v_cndmask_b32_e64 v2, 0, 1, s[2:3]
	s_and_b64 s[2:3], s[6:7], s[20:21]
	s_bcnt1_i32_b64 s12, s[36:37]
	v_cmp_ne_u32_e64 s[36:37], 0, v3
	v_cndmask_b32_e64 v3, 0, 1, s[2:3]
	s_and_b64 s[2:3], s[6:7], s[22:23]
	v_cmp_ne_u32_e64 s[14:15], 0, v4
	v_cndmask_b32_e64 v4, 0, 1, s[2:3]
	s_and_b64 s[2:3], s[24:25], s[34:35]
	;; [unrolled: 3-line block ×3, first 2 shown]
	v_cmp_ne_u32_e64 s[30:31], 0, v37
	v_cmp_ne_u32_e64 s[18:19], 0, v6
	s_bcnt1_i32_b64 s23, s[14:15]
	v_cmp_ne_u32_e64 s[14:15], 0, v2
	v_cndmask_b32_e64 v2, 0, 1, s[2:3]
	s_and_b64 s[2:3], s[24:25], s[40:41]
	s_bcnt1_i32_b64 s13, s[26:27]
	s_bcnt1_i32_b64 s26, s[28:29]
	;; [unrolled: 1-line block ×3, first 2 shown]
	v_cmp_ne_u32_e64 s[20:21], 0, v36
	s_bcnt1_i32_b64 s28, s[18:19]
	v_cmp_ne_u32_e64 s[18:19], 0, v3
	v_cndmask_b32_e64 v3, 0, 1, s[2:3]
	s_and_b64 s[2:3], s[24:25], s[42:43]
	s_bcnt1_i32_b64 s22, s[36:37]
	s_add_i32 s12, s52, s12
	s_add_i32 s13, s51, s13
	;; [unrolled: 1-line block ×3, first 2 shown]
	s_bcnt1_i32_b64 s29, s[20:21]
	v_cmp_ne_u32_e64 s[20:21], 0, v4
	v_cndmask_b32_e64 v4, 0, 1, s[2:3]
	s_add_i32 s2, s49, s27
	s_bcnt1_i32_b64 s3, s[6:7]
	v_cmp_ne_u32_e64 s[6:7], 0, v1
	s_add_i32 s12, s12, s22
	s_bcnt1_i32_b64 s22, s[14:15]
	v_cmp_ne_u32_e64 s[14:15], 0, v2
	;; [unrolled: 3-line block ×4, first 2 shown]
	s_add_i32 s2, s2, s29
	s_bcnt1_i32_b64 s6, s[6:7]
	s_add_i32 s3, s12, s3
	s_bcnt1_i32_b64 s7, s[14:15]
	;; [unrolled: 2-line block ×4, first 2 shown]
	s_add_i32 s2, s2, s25
	s_add_i32 s52, s3, s6
	;; [unrolled: 1-line block ×5, first 2 shown]
	s_or_b64 s[46:47], vcc, s[46:47]
	v_mov_b32_e32 v1, s52
	v_mov_b32_e32 v2, s51
	;; [unrolled: 1-line block ×4, first 2 shown]
	s_andn2_b64 exec, exec, s[46:47]
	s_cbranch_execnz .LBB88_50
; %bb.51:                               ;   in Loop: Header=BB88_11 Depth=1
	s_or_b64 exec, exec, s[46:47]
.LBB88_52:                              ;   in Loop: Header=BB88_11 Depth=1
	s_or_b64 exec, exec, s[44:45]
	s_and_saveexec_b64 s[14:15], s[10:11]
	s_cbranch_execz .LBB88_58
; %bb.53:                               ;   in Loop: Header=BB88_11 Depth=1
	global_load_dword v36, v[10:11], off
	s_mov_b64 s[18:19], 0
	v_mov_b32_e32 v6, v29
	v_mov_b32_e32 v13, v23
	s_branch .LBB88_55
.LBB88_54:                              ;   in Loop: Header=BB88_55 Depth=2
	s_or_b64 exec, exec, s[20:21]
	s_waitcnt vmcnt(0)
	v_xor_b32_e32 v36, 0x80000000, v36
	s_and_b64 s[2:3], exec, vcc
	v_and_b32_e32 v38, v36, v34
	v_bfe_u32 v36, v36, v32, 2
	s_or_b64 s[18:19], s[2:3], s[18:19]
	v_cmp_eq_u32_e32 vcc, v38, v26
	v_cmp_eq_u32_e64 s[6:7], 0, v36
	s_and_b64 s[2:3], vcc, s[6:7]
	v_cndmask_b32_e64 v38, 0, 1, s[2:3]
	v_cmp_ne_u32_e64 s[6:7], 0, v38
	s_bcnt1_i32_b64 s2, s[6:7]
	v_cmp_eq_u32_e64 s[6:7], 1, v36
	v_add_u32_e32 v1, s2, v1
	s_and_b64 s[2:3], vcc, s[6:7]
	v_cndmask_b32_e64 v38, 0, 1, s[2:3]
	v_cmp_ne_u32_e64 s[6:7], 0, v38
	s_bcnt1_i32_b64 s2, s[6:7]
	v_cmp_eq_u32_e64 s[6:7], 2, v36
	v_add_u32_e32 v2, s2, v2
	;; [unrolled: 6-line block ×3, first 2 shown]
	s_and_b64 s[2:3], vcc, s[6:7]
	v_cndmask_b32_e64 v36, 0, 1, s[2:3]
	v_cmp_ne_u32_e32 vcc, 0, v36
	s_bcnt1_i32_b64 s2, vcc
	v_add_u32_e32 v4, s2, v4
	v_add_u32_e32 v6, s61, v6
	v_mov_b32_e32 v36, v37
	s_andn2_b64 exec, exec, s[18:19]
	s_cbranch_execz .LBB88_57
.LBB88_55:                              ;   Parent Loop BB88_11 Depth=1
                                        ; =>  This Inner Loop Header: Depth=2
	v_add_u32_e32 v13, s94, v13
	v_cmp_gt_u32_e64 s[6:7], s56, v13
	v_cmp_le_u32_e32 vcc, s56, v13
	v_mov_b32_e32 v37, 0
	s_and_saveexec_b64 s[20:21], s[6:7]
	s_cbranch_execz .LBB88_54
; %bb.56:                               ;   in Loop: Header=BB88_55 Depth=2
	v_lshlrev_b64 v[37:38], 2, v[6:7]
	v_mov_b32_e32 v39, s95
	v_add_co_u32_e64 v37, s[6:7], s59, v37
	v_addc_co_u32_e64 v38, s[6:7], v39, v38, s[6:7]
	global_load_dword v37, v[37:38], off
	s_branch .LBB88_54
.LBB88_57:                              ;   in Loop: Header=BB88_11 Depth=1
	s_or_b64 exec, exec, s[18:19]
.LBB88_58:                              ;   in Loop: Header=BB88_11 Depth=1
	s_or_b64 exec, exec, s[14:15]
	s_branch .LBB88_40
.LBB88_59:                              ;   in Loop: Header=BB88_11 Depth=1
	s_mul_hi_u32 s2, s74, s33
	s_mul_i32 s2, s2, s60
	s_sub_i32 s2, s74, s2
	s_sub_i32 s3, s2, s60
	s_cmp_ge_u32 s2, s60
	s_cselect_b32 s2, s3, s2
	s_sub_i32 s3, s2, s60
	s_cmp_ge_u32 s2, s60
	s_cselect_b32 s2, s3, s2
	s_sub_i32 s75, s74, s2
	v_cmp_gt_u32_e32 vcc, s75, v15
	v_mov_b32_e32 v1, 0
	v_mov_b32_e32 v2, 0
	;; [unrolled: 1-line block ×4, first 2 shown]
	s_and_saveexec_b64 s[90:91], vcc
	s_cbranch_execz .LBB88_63
; %bb.60:                               ;   in Loop: Header=BB88_11 Depth=1
	s_mov_b32 s2, 0
	s_mov_b64 s[92:93], 0
	v_mov_b32_e32 v6, v30
	s_mov_b32 s3, 0
	s_mov_b32 s12, 0
	;; [unrolled: 1-line block ×3, first 2 shown]
	v_mov_b32_e32 v13, v15
.LBB88_61:                              ;   Parent Loop BB88_11 Depth=1
                                        ; =>  This Inner Loop Header: Depth=2
	ds_read_b128 v[1:4], v6
	v_add_u32_e32 v13, s60, v13
	v_cmp_le_u32_e32 vcc, s75, v13
	v_add_u32_e32 v6, s73, v6
	s_waitcnt lgkmcnt(0)
	v_xor_b32_e32 v1, 0x80000000, v1
	v_xor_b32_e32 v2, 0x80000000, v2
	v_and_b32_e32 v36, v1, v34
	v_bfe_u32 v1, v1, v32, 2
	v_xor_b32_e32 v3, 0x80000000, v3
	v_and_b32_e32 v37, v2, v34
	v_bfe_u32 v2, v2, v32, 2
	v_cmp_eq_u32_e64 s[6:7], v36, v26
	v_cmp_eq_u32_e64 s[22:23], 0, v1
	v_xor_b32_e32 v4, 0x80000000, v4
	v_and_b32_e32 v38, v3, v34
	v_bfe_u32 v3, v3, v32, 2
	v_cmp_eq_u32_e64 s[14:15], v37, v26
	v_cmp_eq_u32_e64 s[24:25], 0, v2
	s_and_b64 s[22:23], s[6:7], s[22:23]
	v_and_b32_e32 v39, v4, v34
	v_bfe_u32 v4, v4, v32, 2
	v_cmp_eq_u32_e64 s[18:19], v38, v26
	v_cmp_eq_u32_e64 s[26:27], 0, v3
	;; [unrolled: 1-line block ×5, first 2 shown]
	v_cndmask_b32_e64 v1, 0, 1, s[22:23]
	s_and_b64 s[22:23], s[14:15], s[24:25]
	v_cmp_eq_u32_e64 s[20:21], v39, v26
	v_cmp_eq_u32_e64 s[28:29], 0, v4
	;; [unrolled: 1-line block ×5, first 2 shown]
	v_cndmask_b32_e64 v2, 0, 1, s[22:23]
	s_and_b64 s[22:23], s[18:19], s[26:27]
	v_cmp_eq_u32_e64 s[36:37], 1, v3
	v_cmp_eq_u32_e64 s[44:45], 2, v3
	;; [unrolled: 1-line block ×3, first 2 shown]
	v_cndmask_b32_e64 v3, 0, 1, s[22:23]
	s_and_b64 s[22:23], s[20:21], s[28:29]
	v_cmp_eq_u32_e64 s[38:39], 1, v4
	v_cmp_eq_u32_e64 s[46:47], 2, v4
	;; [unrolled: 1-line block ×3, first 2 shown]
	v_cndmask_b32_e64 v4, 0, 1, s[22:23]
	s_and_b64 s[22:23], s[6:7], s[30:31]
	v_cndmask_b32_e64 v36, 0, 1, s[22:23]
	s_and_b64 s[22:23], s[14:15], s[34:35]
	v_cndmask_b32_e64 v37, 0, 1, s[22:23]
	s_and_b64 s[22:23], s[18:19], s[36:37]
	v_cndmask_b32_e64 v38, 0, 1, s[22:23]
	s_and_b64 s[22:23], s[20:21], s[38:39]
	v_cndmask_b32_e64 v39, 0, 1, s[22:23]
	s_and_b64 s[22:23], s[6:7], s[40:41]
	s_and_b64 s[6:7], s[6:7], s[48:49]
	v_cndmask_b32_e64 v40, 0, 1, s[22:23]
	s_and_b64 s[22:23], s[14:15], s[42:43]
	v_cndmask_b32_e64 v44, 0, 1, s[6:7]
	;; [unrolled: 2-line block ×7, first 2 shown]
	v_cndmask_b32_e64 v47, 0, 1, s[6:7]
	v_cmp_ne_u32_e64 s[6:7], 0, v1
	v_cmp_ne_u32_e64 s[14:15], 0, v2
	;; [unrolled: 1-line block ×11, first 2 shown]
	s_bcnt1_i32_b64 s6, s[6:7]
	s_bcnt1_i32_b64 s7, s[14:15]
	;; [unrolled: 1-line block ×8, first 2 shown]
	v_cmp_ne_u32_e64 s[28:29], 0, v39
	v_cmp_ne_u32_e64 s[36:37], 0, v42
	;; [unrolled: 1-line block ×3, first 2 shown]
	s_bcnt1_i32_b64 s19, s[24:25]
	s_bcnt1_i32_b64 s23, s[34:35]
	;; [unrolled: 1-line block ×3, first 2 shown]
	s_add_i32 s6, s13, s6
	s_add_i32 s12, s12, s18
	;; [unrolled: 1-line block ×4, first 2 shown]
	v_cmp_ne_u32_e64 s[38:39], 0, v43
	v_cmp_ne_u32_e64 s[46:47], 0, v47
	s_bcnt1_i32_b64 s21, s[28:29]
	s_bcnt1_i32_b64 s24, s[36:37]
	;; [unrolled: 1-line block ×3, first 2 shown]
	s_add_i32 s6, s6, s7
	s_add_i32 s7, s12, s19
	;; [unrolled: 1-line block ×4, first 2 shown]
	s_bcnt1_i32_b64 s25, s[38:39]
	s_bcnt1_i32_b64 s29, s[46:47]
	s_add_i32 s6, s6, s14
	s_add_i32 s7, s7, s20
	;; [unrolled: 1-line block ×8, first 2 shown]
	s_or_b64 s[92:93], vcc, s[92:93]
	v_mov_b32_e32 v1, s13
	v_mov_b32_e32 v2, s12
	v_mov_b32_e32 v3, s3
	v_mov_b32_e32 v4, s2
	s_andn2_b64 exec, exec, s[92:93]
	s_cbranch_execnz .LBB88_61
; %bb.62:                               ;   in Loop: Header=BB88_11 Depth=1
	s_or_b64 exec, exec, s[92:93]
.LBB88_63:                              ;   in Loop: Header=BB88_11 Depth=1
	s_or_b64 exec, exec, s[90:91]
	v_add_u32_e32 v6, s75, v0
	v_cmp_gt_u32_e32 vcc, s74, v6
	s_and_saveexec_b64 s[24:25], vcc
	s_cbranch_execz .LBB88_67
; %bb.64:                               ;   in Loop: Header=BB88_11 Depth=1
	v_lshlrev_b32_e32 v13, 2, v6
	s_mov_b64 s[26:27], 0
.LBB88_65:                              ;   Parent Loop BB88_11 Depth=1
                                        ; =>  This Inner Loop Header: Depth=2
	ds_read_b32 v36, v13
	v_add_u32_e32 v6, s94, v6
	v_cmp_le_u32_e32 vcc, s74, v6
	v_add_u32_e32 v13, s60, v13
	s_waitcnt lgkmcnt(0)
	v_xor_b32_e32 v36, 0x80000000, v36
	v_and_b32_e32 v37, v36, v34
	v_bfe_u32 v36, v36, v32, 2
	v_cmp_eq_u32_e64 s[6:7], v37, v26
	v_cmp_eq_u32_e64 s[14:15], 0, v36
	;; [unrolled: 1-line block ×3, first 2 shown]
	s_and_b64 s[2:3], s[6:7], s[14:15]
	v_cmp_eq_u32_e64 s[20:21], 2, v36
	v_cmp_eq_u32_e64 s[22:23], 3, v36
	v_cndmask_b32_e64 v36, 0, 1, s[2:3]
	s_and_b64 s[2:3], s[6:7], s[18:19]
	v_cndmask_b32_e64 v37, 0, 1, s[2:3]
	s_and_b64 s[2:3], s[6:7], s[20:21]
	;; [unrolled: 2-line block ×3, first 2 shown]
	v_cndmask_b32_e64 v39, 0, 1, s[2:3]
	v_cmp_ne_u32_e64 s[6:7], 0, v36
	v_cmp_ne_u32_e64 s[14:15], 0, v37
	;; [unrolled: 1-line block ×4, first 2 shown]
	s_bcnt1_i32_b64 s2, s[6:7]
	s_bcnt1_i32_b64 s3, s[14:15]
	;; [unrolled: 1-line block ×4, first 2 shown]
	v_add_u32_e32 v1, s2, v1
	v_add_u32_e32 v2, s3, v2
	;; [unrolled: 1-line block ×3, first 2 shown]
	s_or_b64 s[26:27], vcc, s[26:27]
	v_add_u32_e32 v4, s7, v4
	s_andn2_b64 exec, exec, s[26:27]
	s_cbranch_execnz .LBB88_65
; %bb.66:                               ;   in Loop: Header=BB88_11 Depth=1
	s_or_b64 exec, exec, s[26:27]
.LBB88_67:                              ;   in Loop: Header=BB88_11 Depth=1
	s_or_b64 exec, exec, s[24:25]
	v_lshlrev_b32_e32 v6, 6, v33
	s_and_saveexec_b64 s[6:7], s[4:5]
	s_cbranch_execnz .LBB88_41
	s_branch .LBB88_42
.LBB88_68:                              ;   in Loop: Header=BB88_11 Depth=1
	v_mov_b32_e32 v1, 0
	s_mov_b32 s2, 0
.LBB88_69:                              ;   in Loop: Header=BB88_11 Depth=1
	v_readlane_b32 s12, v48, 14
	v_readlane_b32 s13, v48, 15
	s_andn2_b64 vcc, exec, s[12:13]
	s_cbranch_vccnz .LBB88_72
; %bb.70:                               ;   in Loop: Header=BB88_11 Depth=1
	v_lshlrev_b32_e32 v2, 8, v33
	s_lshl_b32 s2, s2, 4
	v_add_u32_e32 v2, s2, v2
	v_add_u32_e32 v2, v31, v2
	v_readlane_b32 s2, v48, 13
.LBB88_71:                              ;   Parent Loop BB88_11 Depth=1
                                        ; =>  This Inner Loop Header: Depth=2
	ds_read_b32 v3, v2
	s_add_i32 s2, s2, -1
	v_add_u32_e32 v2, 16, v2
	s_cmp_lg_u32 s2, 0
	s_waitcnt lgkmcnt(0)
	v_add_u32_e32 v1, v3, v1
	s_cbranch_scc1 .LBB88_71
.LBB88_72:                              ;   in Loop: Header=BB88_11 Depth=1
	v_add_lshl_u32 v2, v6, v16, 2
	ds_write_b32 v2, v1 offset:3072
.LBB88_73:                              ;   in Loop: Header=BB88_11 Depth=1
	s_or_b64 exec, exec, s[6:7]
	v_lshlrev_b32_e32 v1, 2, v6
	s_waitcnt lgkmcnt(0)
	s_barrier
	ds_read_b128 v[1:4], v1 offset:3072
	v_cmp_eq_u32_e32 vcc, 1, v35
	s_mov_b64 s[14:15], -1
	s_mov_b64 s[24:25], -1
                                        ; implicit-def: $sgpr22_sgpr23
                                        ; implicit-def: $sgpr20_sgpr21
	s_waitcnt lgkmcnt(0)
	v_readfirstlane_b32 s38, v1
	s_cmp_eq_u32 s38, 1
	v_lshlrev_b32_e64 v1, v32, 3
	s_cselect_b64 s[2:3], -1, 0
	v_readfirstlane_b32 s42, v2
	v_readfirstlane_b32 s50, v3
	;; [unrolled: 1-line block ×3, first 2 shown]
	v_not_b32_e32 v3, v1
	s_and_b64 s[18:19], s[2:3], vcc
	s_and_saveexec_b64 s[6:7], s[18:19]
	s_cbranch_execz .LBB88_99
; %bb.74:                               ;   in Loop: Header=BB88_11 Depth=1
	ds_read_b32 v2, v7 offset:4104
	s_waitcnt lgkmcnt(0)
	s_barrier
	v_readfirstlane_b32 s2, v2
	s_and_saveexec_b64 s[20:21], s[16:17]
; %bb.75:                               ;   in Loop: Header=BB88_11 Depth=1
	ds_write_b32 v17, v7
; %bb.76:                               ;   in Loop: Header=BB88_11 Depth=1
	s_or_b64 exec, exec, s[20:21]
	v_and_b32_e32 v26, v26, v3
	v_or_b32_e32 v34, v34, v1
	s_mov_b64 s[20:21], -1
	s_mov_b64 s[22:23], 0
	s_cmp_eq_u32 s2, 0
	s_mov_b64 s[24:25], 0
	s_mov_b64 s[26:27], -1
	s_waitcnt lgkmcnt(0)
	s_barrier
                                        ; implicit-def: $vgpr14
	s_cbranch_scc1 .LBB88_87
; %bb.77:                               ;   in Loop: Header=BB88_11 Depth=1
	s_add_i32 s3, s2, s57
	s_mul_hi_u32 s12, s3, s70
	s_mul_i32 s12, s12, s94
	s_sub_i32 s12, s3, s12
	s_sub_i32 s13, s12, s94
	s_cmp_ge_u32 s12, s94
	s_cselect_b32 s12, s13, s12
	s_sub_i32 s13, s12, s94
	s_cmp_ge_u32 s12, s94
	s_cselect_b32 s12, s13, s12
	s_sub_i32 s3, s3, s12
	v_cmp_gt_u32_e32 vcc, s3, v0
	s_mov_b64 s[26:27], 0
                                        ; implicit-def: $vgpr14
	s_and_saveexec_b64 s[28:29], vcc
	s_cbranch_execz .LBB88_86
; %bb.78:                               ;   in Loop: Header=BB88_11 Depth=1
	v_mov_b32_e32 v2, v15
	v_mov_b32_e32 v4, v0
                                        ; implicit-def: $sgpr30_sgpr31
	s_branch .LBB88_81
.LBB88_79:                              ;   in Loop: Header=BB88_81 Depth=2
	s_or_b64 exec, exec, s[34:35]
	s_waitcnt lgkmcnt(0)
	s_barrier
	ds_read_b64 v[13:14], v7 offset:3072
	s_mov_b64 s[34:35], -1
	s_mov_b64 s[36:37], -1
	s_waitcnt lgkmcnt(0)
	s_barrier
	v_cmp_ne_u32_e32 vcc, 0, v13
	s_cbranch_vccz .LBB88_84
.LBB88_80:                              ;   in Loop: Header=BB88_81 Depth=2
	s_and_b64 s[12:13], exec, s[34:35]
	s_or_b64 s[24:25], s[12:13], s[24:25]
	s_andn2_b64 s[12:13], s[30:31], exec
	s_and_b64 s[30:31], s[36:37], exec
	s_or_b64 s[30:31], s[12:13], s[30:31]
	s_andn2_b64 exec, exec, s[24:25]
	s_cbranch_execz .LBB88_85
.LBB88_81:                              ;   Parent Loop BB88_11 Depth=1
                                        ; =>  This Inner Loop Header: Depth=2
	v_cmp_gt_u32_e32 vcc, s2, v4
	s_and_saveexec_b64 s[34:35], vcc
	s_cbranch_execz .LBB88_79
; %bb.82:                               ;   in Loop: Header=BB88_81 Depth=2
	ds_read_b32 v13, v2
	s_waitcnt lgkmcnt(0)
	v_xor_b32_e32 v6, 0x80000000, v13
	v_and_b32_e32 v6, v6, v34
	v_cmp_eq_u32_e32 vcc, v6, v26
	s_and_b64 exec, exec, vcc
	s_cbranch_execz .LBB88_79
; %bb.83:                               ;   in Loop: Header=BB88_81 Depth=2
	ds_write_b64 v7, v[12:13] offset:3072
	s_branch .LBB88_79
.LBB88_84:                              ;   in Loop: Header=BB88_81 Depth=2
	v_add_u32_e32 v4, s94, v4
	v_cmp_le_u32_e32 vcc, s3, v4
	v_add_u32_e32 v2, s60, v2
	s_mov_b64 s[36:37], 0
	s_orn2_b64 s[34:35], vcc, exec
	s_branch .LBB88_80
.LBB88_85:                              ;   in Loop: Header=BB88_11 Depth=1
	s_or_b64 exec, exec, s[24:25]
	s_and_b64 s[24:25], s[30:31], exec
.LBB88_86:                              ;   in Loop: Header=BB88_11 Depth=1
	s_or_b64 exec, exec, s[28:29]
.LBB88_87:                              ;   in Loop: Header=BB88_11 Depth=1
	s_and_b64 vcc, exec, s[26:27]
	s_cbranch_vccz .LBB88_98
; %bb.88:                               ;   in Loop: Header=BB88_11 Depth=1
                                        ; implicit-def: $vgpr14
	s_mov_b64 s[20:21], exec
	v_readlane_b32 s2, v48, 16
	v_readlane_b32 s3, v48, 17
	s_and_b64 s[2:3], s[20:21], s[2:3]
	s_mov_b64 exec, s[2:3]
	s_cbranch_execz .LBB88_97
; %bb.89:                               ;   in Loop: Header=BB88_11 Depth=1
	s_mov_b64 s[22:23], 0
	v_mov_b32_e32 v6, v5
	v_mov_b32_e32 v2, v0
                                        ; implicit-def: $sgpr26_sgpr27
	s_branch .LBB88_92
.LBB88_90:                              ;   in Loop: Header=BB88_92 Depth=2
	s_or_b64 exec, exec, s[28:29]
	s_waitcnt lgkmcnt(0)
	s_barrier
	ds_read_b64 v[13:14], v7 offset:3072
	s_mov_b64 s[28:29], -1
	s_mov_b64 s[30:31], -1
	s_waitcnt lgkmcnt(0)
	s_barrier
	v_cmp_ne_u32_e32 vcc, 0, v13
	s_cbranch_vccz .LBB88_95
.LBB88_91:                              ;   in Loop: Header=BB88_92 Depth=2
	s_and_b64 s[2:3], exec, s[28:29]
	s_or_b64 s[22:23], s[2:3], s[22:23]
	s_andn2_b64 s[2:3], s[26:27], exec
	s_and_b64 s[12:13], s[30:31], exec
	s_or_b64 s[26:27], s[2:3], s[12:13]
	s_andn2_b64 exec, exec, s[22:23]
	s_cbranch_execz .LBB88_96
.LBB88_92:                              ;   Parent Loop BB88_11 Depth=1
                                        ; =>  This Inner Loop Header: Depth=2
	v_cmp_gt_u32_e32 vcc, s56, v2
	s_and_saveexec_b64 s[28:29], vcc
	s_cbranch_execz .LBB88_90
; %bb.93:                               ;   in Loop: Header=BB88_92 Depth=2
	v_lshlrev_b64 v[13:14], 2, v[6:7]
	v_mov_b32_e32 v4, s95
	v_add_co_u32_e32 v13, vcc, s59, v13
	v_addc_co_u32_e32 v14, vcc, v4, v14, vcc
	global_load_dword v13, v[13:14], off
	s_waitcnt vmcnt(0)
	v_xor_b32_e32 v4, 0x80000000, v13
	v_and_b32_e32 v4, v4, v34
	v_cmp_eq_u32_e32 vcc, v4, v26
	s_and_b64 exec, exec, vcc
	s_cbranch_execz .LBB88_90
; %bb.94:                               ;   in Loop: Header=BB88_92 Depth=2
	ds_write_b64 v7, v[12:13] offset:3072
	s_branch .LBB88_90
.LBB88_95:                              ;   in Loop: Header=BB88_92 Depth=2
	v_add_u32_e32 v2, s94, v2
	v_cmp_le_u32_e32 vcc, s71, v2
	v_add_u32_e32 v6, s61, v6
	s_mov_b64 s[30:31], 0
	s_orn2_b64 s[28:29], vcc, exec
	s_branch .LBB88_91
.LBB88_96:                              ;   in Loop: Header=BB88_11 Depth=1
	s_or_b64 exec, exec, s[22:23]
	s_andn2_b64 s[2:3], s[24:25], exec
	s_and_b64 s[12:13], s[26:27], exec
	s_or_b64 s[24:25], s[2:3], s[12:13]
.LBB88_97:                              ;   in Loop: Header=BB88_11 Depth=1
	s_or_b64 exec, exec, s[20:21]
	s_mov_b64 s[20:21], 0
	s_mov_b64 s[22:23], -1
.LBB88_98:                              ;   in Loop: Header=BB88_11 Depth=1
	s_orn2_b64 s[24:25], s[24:25], exec
.LBB88_99:                              ;   in Loop: Header=BB88_11 Depth=1
	s_or_b64 exec, exec, s[6:7]
	s_andn2_b64 s[2:3], s[88:89], exec
	s_and_b64 s[6:7], s[22:23], exec
	s_or_b64 s[88:89], s[2:3], s[6:7]
	s_andn2_b64 s[2:3], s[86:87], exec
	s_and_b64 s[6:7], s[20:21], exec
	s_andn2_b64 s[84:85], s[84:85], exec
	s_or_b64 s[86:87], s[2:3], s[6:7]
                                        ; implicit-def: $vgpr4
	s_and_saveexec_b64 s[6:7], s[24:25]
	s_cbranch_execz .LBB88_10
; %bb.100:                              ;   in Loop: Header=BB88_11 Depth=1
	s_xor_b64 s[2:3], s[18:19], -1
	s_mov_b64 s[18:19], 0
	v_mov_b32_e32 v4, 1
	v_mov_b32_e32 v2, 1
	s_and_saveexec_b64 s[14:15], s[2:3]
	s_cbranch_execz .LBB88_109
; %bb.101:                              ;   in Loop: Header=BB88_11 Depth=1
	v_cmp_ge_u32_e32 vcc, s38, v35
	s_and_saveexec_b64 s[2:3], vcc
	s_xor_b64 s[18:19], exec, s[2:3]
	s_cbranch_execz .LBB88_106
; %bb.102:                              ;   in Loop: Header=BB88_11 Depth=1
	ds_read_b32 v2, v7 offset:4104
	v_and_b32_e32 v26, v26, v3
	v_or_b32_e32 v34, v34, v1
	s_waitcnt lgkmcnt(0)
	v_cmp_ne_u32_e32 vcc, 0, v2
	s_cbranch_vccnz .LBB88_106
; %bb.103:                              ;   in Loop: Header=BB88_11 Depth=1
	s_and_saveexec_b64 s[20:21], s[0:1]
; %bb.104:                              ;   in Loop: Header=BB88_11 Depth=1
	v_mov_b32_e32 v2, s38
	ds_write_b32 v7, v2 offset:4108
; %bb.105:                              ;   in Loop: Header=BB88_11 Depth=1
	s_or_b64 exec, exec, s[20:21]
	s_waitcnt lgkmcnt(0)
	s_barrier
.LBB88_106:                             ;   in Loop: Header=BB88_11 Depth=1
	s_or_saveexec_b64 s[18:19], s[18:19]
	s_mov_b64 s[20:21], 0
	v_mov_b32_e32 v2, 8
	s_xor_b64 exec, exec, s[18:19]
; %bb.107:                              ;   in Loop: Header=BB88_11 Depth=1
	s_mov_b64 s[20:21], exec
	v_subrev_u32_e32 v35, s38, v35
	v_mov_b32_e32 v2, 0
; %bb.108:                              ;   in Loop: Header=BB88_11 Depth=1
	s_or_b64 exec, exec, s[18:19]
	s_and_b64 s[18:19], s[20:21], exec
	v_mov_b32_e32 v4, v35
.LBB88_109:                             ;   in Loop: Header=BB88_11 Depth=1
	s_or_b64 exec, exec, s[14:15]
	s_mov_b64 s[14:15], -1
	s_mov_b64 s[24:25], -1
                                        ; implicit-def: $sgpr20_sgpr21
                                        ; implicit-def: $sgpr22_sgpr23
	s_and_saveexec_b64 s[2:3], s[18:19]
	s_xor_b64 s[18:19], exec, s[2:3]
	s_cbranch_execz .LBB88_229
; %bb.110:                              ;   in Loop: Header=BB88_11 Depth=1
	s_cmp_eq_u32 s42, 1
	s_cselect_b64 s[2:3], -1, 0
	v_cmp_eq_u32_e32 vcc, 1, v4
	s_and_b64 s[26:27], s[2:3], vcc
	s_mov_b64 s[28:29], -1
                                        ; implicit-def: $sgpr22_sgpr23
                                        ; implicit-def: $sgpr20_sgpr21
	s_and_saveexec_b64 s[24:25], s[26:27]
	s_cbranch_execz .LBB88_139
; %bb.111:                              ;   in Loop: Header=BB88_11 Depth=1
	ds_read_b32 v6, v7 offset:4104
	s_waitcnt lgkmcnt(0)
	s_barrier
	v_readfirstlane_b32 s2, v6
	s_and_saveexec_b64 s[20:21], s[16:17]
; %bb.112:                              ;   in Loop: Header=BB88_11 Depth=1
	ds_write_b32 v17, v7
; %bb.113:                              ;   in Loop: Header=BB88_11 Depth=1
	s_or_b64 exec, exec, s[20:21]
	v_and_b32_e32 v6, v26, v3
	v_lshl_or_b32 v26, 1, v32, v6
	v_or_b32_e32 v34, v34, v1
	s_mov_b64 s[20:21], -1
	s_mov_b64 s[22:23], 0
	s_cmp_eq_u32 s2, 0
	s_mov_b64 s[28:29], 0
	s_mov_b64 s[30:31], -1
	s_waitcnt lgkmcnt(0)
	s_barrier
                                        ; implicit-def: $vgpr14
	s_cbranch_scc1 .LBB88_127
; %bb.114:                              ;   in Loop: Header=BB88_11 Depth=1
	s_add_i32 s3, s2, s57
	s_mul_hi_u32 s12, s3, s70
	s_mul_i32 s12, s12, s94
	s_sub_i32 s12, s3, s12
	s_sub_i32 s13, s12, s94
	s_cmp_ge_u32 s12, s94
	s_cselect_b32 s12, s13, s12
	s_sub_i32 s13, s12, s94
	s_cmp_ge_u32 s12, s94
	s_cselect_b32 s12, s13, s12
	s_sub_i32 s3, s3, s12
	v_cmp_gt_u32_e32 vcc, s3, v0
	s_mov_b64 s[30:31], 0
                                        ; implicit-def: $vgpr14
	s_and_saveexec_b64 s[34:35], vcc
	s_cbranch_execz .LBB88_126
; %bb.115:                              ;   in Loop: Header=BB88_11 Depth=1
	v_mov_b32_e32 v6, v15
	v_mov_b32_e32 v35, v0
                                        ; implicit-def: $sgpr36_sgpr37
	s_branch .LBB88_118
.LBB88_116:                             ;   in Loop: Header=BB88_118 Depth=2
	s_or_b64 exec, exec, s[38:39]
	s_waitcnt lgkmcnt(0)
	s_barrier
	ds_read_b64 v[13:14], v7 offset:3072
	s_mov_b64 s[38:39], -1
	s_mov_b64 s[40:41], -1
	s_waitcnt lgkmcnt(0)
	s_barrier
	v_cmp_ne_u32_e32 vcc, 0, v13
	s_cbranch_vccz .LBB88_121
.LBB88_117:                             ;   in Loop: Header=BB88_118 Depth=2
	s_and_b64 s[12:13], exec, s[38:39]
	s_or_b64 s[28:29], s[12:13], s[28:29]
	s_andn2_b64 s[12:13], s[36:37], exec
	s_and_b64 s[36:37], s[40:41], exec
	s_or_b64 s[36:37], s[12:13], s[36:37]
	s_andn2_b64 exec, exec, s[28:29]
	s_cbranch_execz .LBB88_125
.LBB88_118:                             ;   Parent Loop BB88_11 Depth=1
                                        ; =>  This Inner Loop Header: Depth=2
	v_cmp_gt_u32_e32 vcc, s2, v35
	s_and_saveexec_b64 s[38:39], vcc
	s_cbranch_execz .LBB88_116
; %bb.119:                              ;   in Loop: Header=BB88_118 Depth=2
	ds_read_b32 v13, v6
	s_waitcnt lgkmcnt(0)
	v_xor_b32_e32 v14, 0x80000000, v13
	v_and_b32_e32 v14, v14, v34
	v_cmp_eq_u32_e32 vcc, v14, v26
	s_and_b64 exec, exec, vcc
	s_cbranch_execz .LBB88_116
; %bb.120:                              ;   in Loop: Header=BB88_118 Depth=2
	ds_write_b64 v7, v[12:13] offset:3072
	s_branch .LBB88_116
.LBB88_121:                             ;   in Loop: Header=BB88_118 Depth=2
	v_add_u32_e32 v35, s94, v35
	v_cmp_le_u32_e32 vcc, s3, v35
	v_add_u32_e32 v6, s60, v6
	s_mov_b64 s[40:41], 0
	s_orn2_b64 s[38:39], vcc, exec
	s_branch .LBB88_117
.LBB88_122:                             ;   in Loop: Header=BB88_11 Depth=1
	s_or_b64 exec, exec, s[20:21]
	s_waitcnt lgkmcnt(0)
	s_barrier
	s_and_saveexec_b64 s[6:7], s[0:1]
	s_cbranch_execz .LBB88_124
; %bb.123:                              ;   in Loop: Header=BB88_11 Depth=1
	ds_read_b32 v1, v7 offset:4112
	s_waitcnt lgkmcnt(0)
	ds_write_b32 v7, v1 offset:4104
.LBB88_124:                             ;   in Loop: Header=BB88_11 Depth=1
	s_or_b64 exec, exec, s[6:7]
	s_waitcnt lgkmcnt(0)
	s_barrier
	s_mov_b64 s[6:7], -1
	s_and_b64 vcc, exec, s[18:19]
	s_cbranch_vccnz .LBB88_27
	s_branch .LBB88_36
.LBB88_125:                             ;   in Loop: Header=BB88_11 Depth=1
	s_or_b64 exec, exec, s[28:29]
	s_and_b64 s[28:29], s[36:37], exec
.LBB88_126:                             ;   in Loop: Header=BB88_11 Depth=1
	s_or_b64 exec, exec, s[34:35]
.LBB88_127:                             ;   in Loop: Header=BB88_11 Depth=1
	s_and_b64 vcc, exec, s[30:31]
	s_cbranch_vccz .LBB88_138
; %bb.128:                              ;   in Loop: Header=BB88_11 Depth=1
                                        ; implicit-def: $vgpr14
	s_mov_b64 s[20:21], exec
	v_readlane_b32 s2, v48, 16
	v_readlane_b32 s3, v48, 17
	s_and_b64 s[2:3], s[20:21], s[2:3]
	s_mov_b64 exec, s[2:3]
	s_cbranch_execz .LBB88_137
; %bb.129:                              ;   in Loop: Header=BB88_11 Depth=1
	s_mov_b64 s[22:23], 0
	v_mov_b32_e32 v6, v5
	v_mov_b32_e32 v35, v0
                                        ; implicit-def: $sgpr30_sgpr31
	s_branch .LBB88_132
.LBB88_130:                             ;   in Loop: Header=BB88_132 Depth=2
	s_or_b64 exec, exec, s[34:35]
	s_waitcnt lgkmcnt(0)
	s_barrier
	ds_read_b64 v[13:14], v7 offset:3072
	s_mov_b64 s[34:35], -1
	s_mov_b64 s[36:37], -1
	s_waitcnt lgkmcnt(0)
	s_barrier
	v_cmp_eq_u32_e32 vcc, 0, v13
	s_cbranch_vccnz .LBB88_135
.LBB88_131:                             ;   in Loop: Header=BB88_132 Depth=2
	s_and_b64 s[2:3], exec, s[34:35]
	s_or_b64 s[22:23], s[2:3], s[22:23]
	s_andn2_b64 s[2:3], s[30:31], exec
	s_and_b64 s[12:13], s[36:37], exec
	s_or_b64 s[30:31], s[2:3], s[12:13]
	s_andn2_b64 exec, exec, s[22:23]
	s_cbranch_execz .LBB88_136
.LBB88_132:                             ;   Parent Loop BB88_11 Depth=1
                                        ; =>  This Inner Loop Header: Depth=2
	v_cmp_gt_u32_e32 vcc, s56, v35
	s_and_saveexec_b64 s[34:35], vcc
	s_cbranch_execz .LBB88_130
; %bb.133:                              ;   in Loop: Header=BB88_132 Depth=2
	v_lshlrev_b64 v[13:14], 2, v[6:7]
	v_mov_b32_e32 v36, s95
	v_add_co_u32_e32 v13, vcc, s59, v13
	v_addc_co_u32_e32 v14, vcc, v36, v14, vcc
	global_load_dword v13, v[13:14], off
	s_waitcnt vmcnt(0)
	v_xor_b32_e32 v14, 0x80000000, v13
	v_and_b32_e32 v14, v14, v34
	v_cmp_eq_u32_e32 vcc, v14, v26
	s_and_b64 exec, exec, vcc
	s_cbranch_execz .LBB88_130
; %bb.134:                              ;   in Loop: Header=BB88_132 Depth=2
	ds_write_b64 v7, v[12:13] offset:3072
	s_branch .LBB88_130
.LBB88_135:                             ;   in Loop: Header=BB88_132 Depth=2
	v_add_u32_e32 v35, s94, v35
	v_cmp_le_u32_e32 vcc, s71, v35
	v_add_u32_e32 v6, s61, v6
	s_mov_b64 s[36:37], 0
	s_orn2_b64 s[34:35], vcc, exec
	s_branch .LBB88_131
.LBB88_136:                             ;   in Loop: Header=BB88_11 Depth=1
	s_or_b64 exec, exec, s[22:23]
	s_andn2_b64 s[2:3], s[28:29], exec
	s_and_b64 s[12:13], s[30:31], exec
	s_or_b64 s[28:29], s[2:3], s[12:13]
.LBB88_137:                             ;   in Loop: Header=BB88_11 Depth=1
	s_or_b64 exec, exec, s[20:21]
	s_mov_b64 s[20:21], 0
	s_mov_b64 s[22:23], -1
.LBB88_138:                             ;   in Loop: Header=BB88_11 Depth=1
	s_orn2_b64 s[28:29], s[28:29], exec
.LBB88_139:                             ;   in Loop: Header=BB88_11 Depth=1
	s_or_b64 exec, exec, s[24:25]
	s_mov_b64 s[30:31], 0
	s_and_saveexec_b64 s[24:25], s[28:29]
	s_cbranch_execz .LBB88_228
; %bb.140:                              ;   in Loop: Header=BB88_11 Depth=1
	s_xor_b64 s[2:3], s[26:27], -1
	s_mov_b64 s[36:37], 0
	v_mov_b32_e32 v35, 1
	v_mov_b32_e32 v2, 1
	s_and_saveexec_b64 s[26:27], s[2:3]
	s_cbranch_execz .LBB88_149
; %bb.141:                              ;   in Loop: Header=BB88_11 Depth=1
	v_cmp_ge_u32_e32 vcc, s42, v4
	s_and_saveexec_b64 s[2:3], vcc
	s_xor_b64 s[28:29], exec, s[2:3]
	s_cbranch_execz .LBB88_146
; %bb.142:                              ;   in Loop: Header=BB88_11 Depth=1
	ds_read_b32 v2, v7 offset:4104
	v_and_b32_e32 v6, v26, v3
	v_lshl_or_b32 v26, 1, v32, v6
	v_or_b32_e32 v34, v34, v1
	s_waitcnt lgkmcnt(0)
	v_cmp_ne_u32_e32 vcc, 0, v2
	s_cbranch_vccnz .LBB88_146
; %bb.143:                              ;   in Loop: Header=BB88_11 Depth=1
	s_and_saveexec_b64 s[30:31], s[0:1]
; %bb.144:                              ;   in Loop: Header=BB88_11 Depth=1
	v_mov_b32_e32 v2, s42
	ds_write_b32 v7, v2 offset:4108
; %bb.145:                              ;   in Loop: Header=BB88_11 Depth=1
	s_or_b64 exec, exec, s[30:31]
	s_waitcnt lgkmcnt(0)
	s_barrier
.LBB88_146:                             ;   in Loop: Header=BB88_11 Depth=1
	s_or_saveexec_b64 s[28:29], s[28:29]
	s_mov_b64 s[30:31], 0
	v_mov_b32_e32 v2, 8
	s_xor_b64 exec, exec, s[28:29]
; %bb.147:                              ;   in Loop: Header=BB88_11 Depth=1
	s_mov_b64 s[30:31], exec
	v_subrev_u32_e32 v4, s42, v4
	v_mov_b32_e32 v2, 0
; %bb.148:                              ;   in Loop: Header=BB88_11 Depth=1
	s_or_b64 exec, exec, s[28:29]
	s_and_b64 s[36:37], s[30:31], exec
	v_mov_b32_e32 v35, v4
.LBB88_149:                             ;   in Loop: Header=BB88_11 Depth=1
	s_or_b64 exec, exec, s[26:27]
	s_mov_b64 s[34:35], -1
                                        ; implicit-def: $sgpr28_sgpr29
                                        ; implicit-def: $sgpr30_sgpr31
	s_and_saveexec_b64 s[26:27], s[36:37]
	s_cbranch_execz .LBB88_227
; %bb.150:                              ;   in Loop: Header=BB88_11 Depth=1
	s_cmp_eq_u32 s50, 1
	s_cselect_b64 s[2:3], -1, 0
	v_cmp_eq_u32_e32 vcc, 1, v35
	s_and_b64 s[36:37], s[2:3], vcc
	s_mov_b64 s[38:39], -1
                                        ; implicit-def: $sgpr30_sgpr31
                                        ; implicit-def: $sgpr28_sgpr29
	s_and_saveexec_b64 s[34:35], s[36:37]
	s_cbranch_execz .LBB88_176
; %bb.151:                              ;   in Loop: Header=BB88_11 Depth=1
	ds_read_b32 v4, v7 offset:4104
	s_waitcnt lgkmcnt(0)
	s_barrier
	v_readfirstlane_b32 s2, v4
	s_and_saveexec_b64 s[28:29], s[16:17]
; %bb.152:                              ;   in Loop: Header=BB88_11 Depth=1
	ds_write_b32 v17, v7
; %bb.153:                              ;   in Loop: Header=BB88_11 Depth=1
	s_or_b64 exec, exec, s[28:29]
	v_and_b32_e32 v4, v26, v3
	v_lshl_or_b32 v26, 2, v32, v4
	v_or_b32_e32 v34, v34, v1
	s_mov_b64 s[28:29], -1
	s_mov_b64 s[30:31], 0
	s_cmp_eq_u32 s2, 0
	s_mov_b64 s[38:39], 0
	s_mov_b64 s[40:41], -1
	s_waitcnt lgkmcnt(0)
	s_barrier
                                        ; implicit-def: $vgpr14
	s_cbranch_scc1 .LBB88_164
; %bb.154:                              ;   in Loop: Header=BB88_11 Depth=1
	s_add_i32 s3, s2, s57
	s_mul_hi_u32 s12, s3, s70
	s_mul_i32 s12, s12, s94
	s_sub_i32 s12, s3, s12
	s_sub_i32 s13, s12, s94
	s_cmp_ge_u32 s12, s94
	s_cselect_b32 s12, s13, s12
	s_sub_i32 s13, s12, s94
	s_cmp_ge_u32 s12, s94
	s_cselect_b32 s12, s13, s12
	s_sub_i32 s3, s3, s12
	v_cmp_gt_u32_e32 vcc, s3, v0
	s_mov_b64 s[40:41], 0
                                        ; implicit-def: $vgpr14
	s_and_saveexec_b64 s[42:43], vcc
	s_cbranch_execz .LBB88_163
; %bb.155:                              ;   in Loop: Header=BB88_11 Depth=1
	v_mov_b32_e32 v4, v15
	v_mov_b32_e32 v6, v0
                                        ; implicit-def: $sgpr44_sgpr45
	s_branch .LBB88_158
.LBB88_156:                             ;   in Loop: Header=BB88_158 Depth=2
	s_or_b64 exec, exec, s[46:47]
	s_waitcnt lgkmcnt(0)
	s_barrier
	ds_read_b64 v[13:14], v7 offset:3072
	s_mov_b64 s[46:47], -1
	s_mov_b64 s[48:49], -1
	s_waitcnt lgkmcnt(0)
	s_barrier
	v_cmp_ne_u32_e32 vcc, 0, v13
	s_cbranch_vccz .LBB88_161
.LBB88_157:                             ;   in Loop: Header=BB88_158 Depth=2
	s_and_b64 s[12:13], exec, s[46:47]
	s_or_b64 s[38:39], s[12:13], s[38:39]
	s_andn2_b64 s[12:13], s[44:45], exec
	s_and_b64 s[44:45], s[48:49], exec
	s_or_b64 s[44:45], s[12:13], s[44:45]
	s_andn2_b64 exec, exec, s[38:39]
	s_cbranch_execz .LBB88_162
.LBB88_158:                             ;   Parent Loop BB88_11 Depth=1
                                        ; =>  This Inner Loop Header: Depth=2
	v_cmp_gt_u32_e32 vcc, s2, v6
	s_and_saveexec_b64 s[46:47], vcc
	s_cbranch_execz .LBB88_156
; %bb.159:                              ;   in Loop: Header=BB88_158 Depth=2
	ds_read_b32 v13, v4
	s_waitcnt lgkmcnt(0)
	v_xor_b32_e32 v14, 0x80000000, v13
	v_and_b32_e32 v14, v14, v34
	v_cmp_eq_u32_e32 vcc, v14, v26
	s_and_b64 exec, exec, vcc
	s_cbranch_execz .LBB88_156
; %bb.160:                              ;   in Loop: Header=BB88_158 Depth=2
	ds_write_b64 v7, v[12:13] offset:3072
	s_branch .LBB88_156
.LBB88_161:                             ;   in Loop: Header=BB88_158 Depth=2
	v_add_u32_e32 v6, s94, v6
	v_cmp_le_u32_e32 vcc, s3, v6
	v_add_u32_e32 v4, s60, v4
	s_mov_b64 s[48:49], 0
	s_orn2_b64 s[46:47], vcc, exec
	s_branch .LBB88_157
.LBB88_162:                             ;   in Loop: Header=BB88_11 Depth=1
	s_or_b64 exec, exec, s[38:39]
	s_and_b64 s[38:39], s[44:45], exec
.LBB88_163:                             ;   in Loop: Header=BB88_11 Depth=1
	s_or_b64 exec, exec, s[42:43]
.LBB88_164:                             ;   in Loop: Header=BB88_11 Depth=1
	s_and_b64 vcc, exec, s[40:41]
	s_cbranch_vccz .LBB88_175
; %bb.165:                              ;   in Loop: Header=BB88_11 Depth=1
                                        ; implicit-def: $vgpr14
	s_mov_b64 s[28:29], exec
	v_readlane_b32 s2, v48, 16
	v_readlane_b32 s3, v48, 17
	s_and_b64 s[2:3], s[28:29], s[2:3]
	s_mov_b64 exec, s[2:3]
	s_cbranch_execz .LBB88_174
; %bb.166:                              ;   in Loop: Header=BB88_11 Depth=1
	s_mov_b64 s[30:31], 0
	v_mov_b32_e32 v6, v5
	v_mov_b32_e32 v4, v0
                                        ; implicit-def: $sgpr40_sgpr41
	s_branch .LBB88_169
.LBB88_167:                             ;   in Loop: Header=BB88_169 Depth=2
	s_or_b64 exec, exec, s[42:43]
	s_waitcnt lgkmcnt(0)
	s_barrier
	ds_read_b64 v[13:14], v7 offset:3072
	s_mov_b64 s[42:43], -1
	s_mov_b64 s[44:45], -1
	s_waitcnt lgkmcnt(0)
	s_barrier
	v_cmp_eq_u32_e32 vcc, 0, v13
	s_cbranch_vccnz .LBB88_172
.LBB88_168:                             ;   in Loop: Header=BB88_169 Depth=2
	s_and_b64 s[2:3], exec, s[42:43]
	s_or_b64 s[30:31], s[2:3], s[30:31]
	s_andn2_b64 s[2:3], s[40:41], exec
	s_and_b64 s[12:13], s[44:45], exec
	s_or_b64 s[40:41], s[2:3], s[12:13]
	s_andn2_b64 exec, exec, s[30:31]
	s_cbranch_execz .LBB88_173
.LBB88_169:                             ;   Parent Loop BB88_11 Depth=1
                                        ; =>  This Inner Loop Header: Depth=2
	v_cmp_gt_u32_e32 vcc, s56, v4
	s_and_saveexec_b64 s[42:43], vcc
	s_cbranch_execz .LBB88_167
; %bb.170:                              ;   in Loop: Header=BB88_169 Depth=2
	v_lshlrev_b64 v[13:14], 2, v[6:7]
	v_mov_b32_e32 v36, s95
	v_add_co_u32_e32 v13, vcc, s59, v13
	v_addc_co_u32_e32 v14, vcc, v36, v14, vcc
	global_load_dword v13, v[13:14], off
	s_waitcnt vmcnt(0)
	v_xor_b32_e32 v14, 0x80000000, v13
	v_and_b32_e32 v14, v14, v34
	v_cmp_eq_u32_e32 vcc, v14, v26
	s_and_b64 exec, exec, vcc
	s_cbranch_execz .LBB88_167
; %bb.171:                              ;   in Loop: Header=BB88_169 Depth=2
	ds_write_b64 v7, v[12:13] offset:3072
	s_branch .LBB88_167
.LBB88_172:                             ;   in Loop: Header=BB88_169 Depth=2
	v_add_u32_e32 v4, s94, v4
	v_cmp_le_u32_e32 vcc, s71, v4
	v_add_u32_e32 v6, s61, v6
	s_mov_b64 s[44:45], 0
	s_orn2_b64 s[42:43], vcc, exec
	s_branch .LBB88_168
.LBB88_173:                             ;   in Loop: Header=BB88_11 Depth=1
	s_or_b64 exec, exec, s[30:31]
	s_andn2_b64 s[2:3], s[38:39], exec
	s_and_b64 s[12:13], s[40:41], exec
	s_or_b64 s[38:39], s[2:3], s[12:13]
.LBB88_174:                             ;   in Loop: Header=BB88_11 Depth=1
	s_or_b64 exec, exec, s[28:29]
	s_mov_b64 s[28:29], 0
	s_mov_b64 s[30:31], -1
.LBB88_175:                             ;   in Loop: Header=BB88_11 Depth=1
	s_orn2_b64 s[38:39], s[38:39], exec
.LBB88_176:                             ;   in Loop: Header=BB88_11 Depth=1
	s_or_b64 exec, exec, s[34:35]
	s_mov_b64 s[40:41], 0
	s_and_saveexec_b64 s[34:35], s[38:39]
	s_cbranch_execz .LBB88_226
; %bb.177:                              ;   in Loop: Header=BB88_11 Depth=1
	s_xor_b64 s[2:3], s[36:37], -1
	s_mov_b64 s[44:45], 0
	v_mov_b32_e32 v4, 1
	v_mov_b32_e32 v2, 1
	s_and_saveexec_b64 s[36:37], s[2:3]
	s_cbranch_execz .LBB88_186
; %bb.178:                              ;   in Loop: Header=BB88_11 Depth=1
	v_cmp_ge_u32_e32 vcc, s50, v35
	s_and_saveexec_b64 s[2:3], vcc
	s_xor_b64 s[38:39], exec, s[2:3]
	s_cbranch_execz .LBB88_183
; %bb.179:                              ;   in Loop: Header=BB88_11 Depth=1
	ds_read_b32 v2, v7 offset:4104
	v_and_b32_e32 v3, v26, v3
	v_lshl_or_b32 v26, 2, v32, v3
	v_or_b32_e32 v34, v34, v1
	s_waitcnt lgkmcnt(0)
	v_cmp_ne_u32_e32 vcc, 0, v2
	s_cbranch_vccnz .LBB88_183
; %bb.180:                              ;   in Loop: Header=BB88_11 Depth=1
	s_and_saveexec_b64 s[40:41], s[0:1]
; %bb.181:                              ;   in Loop: Header=BB88_11 Depth=1
	v_mov_b32_e32 v2, s50
	ds_write_b32 v7, v2 offset:4108
; %bb.182:                              ;   in Loop: Header=BB88_11 Depth=1
	s_or_b64 exec, exec, s[40:41]
	s_waitcnt lgkmcnt(0)
	s_barrier
.LBB88_183:                             ;   in Loop: Header=BB88_11 Depth=1
	s_or_saveexec_b64 s[38:39], s[38:39]
	s_mov_b64 s[40:41], 0
	v_mov_b32_e32 v2, 8
	s_xor_b64 exec, exec, s[38:39]
; %bb.184:                              ;   in Loop: Header=BB88_11 Depth=1
	s_mov_b64 s[40:41], exec
	v_subrev_u32_e32 v35, s50, v35
	v_mov_b32_e32 v2, 0
; %bb.185:                              ;   in Loop: Header=BB88_11 Depth=1
	s_or_b64 exec, exec, s[38:39]
	s_and_b64 s[44:45], s[40:41], exec
	v_mov_b32_e32 v4, v35
.LBB88_186:                             ;   in Loop: Header=BB88_11 Depth=1
	s_or_b64 exec, exec, s[36:37]
	s_mov_b64 s[42:43], -1
                                        ; implicit-def: $sgpr40_sgpr41
                                        ; implicit-def: $sgpr38_sgpr39
	s_and_saveexec_b64 s[36:37], s[44:45]
	s_cbranch_execz .LBB88_225
; %bb.187:                              ;   in Loop: Header=BB88_11 Depth=1
	s_cmp_eq_u32 s92, 1
	s_cselect_b64 s[2:3], -1, 0
	v_cmp_eq_u32_e32 vcc, 1, v4
	s_and_b64 s[42:43], s[2:3], vcc
	s_mov_b64 s[46:47], -1
                                        ; implicit-def: $sgpr40_sgpr41
                                        ; implicit-def: $sgpr38_sgpr39
	s_and_saveexec_b64 s[44:45], s[42:43]
	s_cbranch_execz .LBB88_213
; %bb.188:                              ;   in Loop: Header=BB88_11 Depth=1
	ds_read_b32 v3, v7 offset:4104
	s_waitcnt lgkmcnt(0)
	s_barrier
	v_readfirstlane_b32 s2, v3
	s_and_saveexec_b64 s[38:39], s[16:17]
; %bb.189:                              ;   in Loop: Header=BB88_11 Depth=1
	ds_write_b32 v17, v7
; %bb.190:                              ;   in Loop: Header=BB88_11 Depth=1
	s_or_b64 exec, exec, s[38:39]
	v_or_b32_e32 v26, v26, v1
	v_or_b32_e32 v34, v34, v1
	s_mov_b64 s[38:39], -1
	s_mov_b64 s[40:41], 0
	s_cmp_eq_u32 s2, 0
	s_mov_b64 s[46:47], 0
	s_mov_b64 s[48:49], -1
	s_waitcnt lgkmcnt(0)
	s_barrier
                                        ; implicit-def: $vgpr14
	s_cbranch_scc1 .LBB88_201
; %bb.191:                              ;   in Loop: Header=BB88_11 Depth=1
	s_add_i32 s3, s2, s57
	s_mul_hi_u32 s12, s3, s70
	s_mul_i32 s12, s12, s94
	s_sub_i32 s12, s3, s12
	s_sub_i32 s13, s12, s94
	s_cmp_ge_u32 s12, s94
	s_cselect_b32 s12, s13, s12
	s_sub_i32 s13, s12, s94
	s_cmp_ge_u32 s12, s94
	s_cselect_b32 s12, s13, s12
	s_sub_i32 s3, s3, s12
	v_cmp_gt_u32_e32 vcc, s3, v0
	s_mov_b64 s[48:49], 0
                                        ; implicit-def: $vgpr14
	s_and_saveexec_b64 s[50:51], vcc
	s_cbranch_execz .LBB88_200
; %bb.192:                              ;   in Loop: Header=BB88_11 Depth=1
	v_mov_b32_e32 v3, v15
	v_mov_b32_e32 v6, v0
                                        ; implicit-def: $sgpr52_sgpr53
	s_branch .LBB88_195
.LBB88_193:                             ;   in Loop: Header=BB88_195 Depth=2
	s_or_b64 exec, exec, s[54:55]
	s_waitcnt lgkmcnt(0)
	s_barrier
	ds_read_b64 v[13:14], v7 offset:3072
	s_mov_b64 s[54:55], -1
	s_mov_b64 s[90:91], -1
	s_waitcnt lgkmcnt(0)
	s_barrier
	v_cmp_ne_u32_e32 vcc, 0, v13
	s_cbranch_vccz .LBB88_198
.LBB88_194:                             ;   in Loop: Header=BB88_195 Depth=2
	s_and_b64 s[12:13], exec, s[54:55]
	s_or_b64 s[46:47], s[12:13], s[46:47]
	s_andn2_b64 s[12:13], s[52:53], exec
	s_and_b64 s[52:53], s[90:91], exec
	s_or_b64 s[52:53], s[12:13], s[52:53]
	s_andn2_b64 exec, exec, s[46:47]
	s_cbranch_execz .LBB88_199
.LBB88_195:                             ;   Parent Loop BB88_11 Depth=1
                                        ; =>  This Inner Loop Header: Depth=2
	v_cmp_gt_u32_e32 vcc, s2, v6
	s_and_saveexec_b64 s[54:55], vcc
	s_cbranch_execz .LBB88_193
; %bb.196:                              ;   in Loop: Header=BB88_195 Depth=2
	ds_read_b32 v13, v3
	s_waitcnt lgkmcnt(0)
	v_xor_b32_e32 v14, 0x80000000, v13
	v_and_b32_e32 v14, v14, v34
	v_cmp_eq_u32_e32 vcc, v14, v26
	s_and_b64 exec, exec, vcc
	s_cbranch_execz .LBB88_193
; %bb.197:                              ;   in Loop: Header=BB88_195 Depth=2
	ds_write_b64 v7, v[12:13] offset:3072
	s_branch .LBB88_193
.LBB88_198:                             ;   in Loop: Header=BB88_195 Depth=2
	v_add_u32_e32 v6, s94, v6
	v_cmp_le_u32_e32 vcc, s3, v6
	v_add_u32_e32 v3, s60, v3
	s_mov_b64 s[90:91], 0
	s_orn2_b64 s[54:55], vcc, exec
	s_branch .LBB88_194
.LBB88_199:                             ;   in Loop: Header=BB88_11 Depth=1
	s_or_b64 exec, exec, s[46:47]
	s_and_b64 s[46:47], s[52:53], exec
.LBB88_200:                             ;   in Loop: Header=BB88_11 Depth=1
	s_or_b64 exec, exec, s[50:51]
.LBB88_201:                             ;   in Loop: Header=BB88_11 Depth=1
	s_and_b64 vcc, exec, s[48:49]
	s_cbranch_vccz .LBB88_212
; %bb.202:                              ;   in Loop: Header=BB88_11 Depth=1
                                        ; implicit-def: $vgpr14
	s_mov_b64 s[38:39], exec
	v_readlane_b32 s2, v48, 16
	v_readlane_b32 s3, v48, 17
	s_and_b64 s[2:3], s[38:39], s[2:3]
	s_mov_b64 exec, s[2:3]
	s_cbranch_execz .LBB88_211
; %bb.203:                              ;   in Loop: Header=BB88_11 Depth=1
	s_mov_b64 s[40:41], 0
	v_mov_b32_e32 v6, v5
	v_mov_b32_e32 v3, v0
                                        ; implicit-def: $sgpr48_sgpr49
	s_branch .LBB88_206
.LBB88_204:                             ;   in Loop: Header=BB88_206 Depth=2
	s_or_b64 exec, exec, s[50:51]
	s_waitcnt lgkmcnt(0)
	s_barrier
	ds_read_b64 v[13:14], v7 offset:3072
	s_mov_b64 s[50:51], -1
	s_mov_b64 s[52:53], -1
	s_waitcnt lgkmcnt(0)
	s_barrier
	v_cmp_eq_u32_e32 vcc, 0, v13
	s_cbranch_vccnz .LBB88_209
.LBB88_205:                             ;   in Loop: Header=BB88_206 Depth=2
	s_and_b64 s[2:3], exec, s[50:51]
	s_or_b64 s[40:41], s[2:3], s[40:41]
	s_andn2_b64 s[2:3], s[48:49], exec
	s_and_b64 s[12:13], s[52:53], exec
	s_or_b64 s[48:49], s[2:3], s[12:13]
	s_andn2_b64 exec, exec, s[40:41]
	s_cbranch_execz .LBB88_210
.LBB88_206:                             ;   Parent Loop BB88_11 Depth=1
                                        ; =>  This Inner Loop Header: Depth=2
	v_cmp_gt_u32_e32 vcc, s56, v3
	s_and_saveexec_b64 s[50:51], vcc
	s_cbranch_execz .LBB88_204
; %bb.207:                              ;   in Loop: Header=BB88_206 Depth=2
	v_lshlrev_b64 v[13:14], 2, v[6:7]
	v_mov_b32_e32 v35, s95
	v_add_co_u32_e32 v13, vcc, s59, v13
	v_addc_co_u32_e32 v14, vcc, v35, v14, vcc
	global_load_dword v13, v[13:14], off
	s_waitcnt vmcnt(0)
	v_xor_b32_e32 v14, 0x80000000, v13
	v_and_b32_e32 v14, v14, v34
	v_cmp_eq_u32_e32 vcc, v14, v26
	s_and_b64 exec, exec, vcc
	s_cbranch_execz .LBB88_204
; %bb.208:                              ;   in Loop: Header=BB88_206 Depth=2
	ds_write_b64 v7, v[12:13] offset:3072
	s_branch .LBB88_204
.LBB88_209:                             ;   in Loop: Header=BB88_206 Depth=2
	v_add_u32_e32 v3, s94, v3
	v_cmp_le_u32_e32 vcc, s71, v3
	v_add_u32_e32 v6, s61, v6
	s_mov_b64 s[52:53], 0
	s_orn2_b64 s[50:51], vcc, exec
	s_branch .LBB88_205
.LBB88_210:                             ;   in Loop: Header=BB88_11 Depth=1
	s_or_b64 exec, exec, s[40:41]
	s_andn2_b64 s[2:3], s[46:47], exec
	s_and_b64 s[12:13], s[48:49], exec
	s_or_b64 s[46:47], s[2:3], s[12:13]
.LBB88_211:                             ;   in Loop: Header=BB88_11 Depth=1
	s_or_b64 exec, exec, s[38:39]
	s_mov_b64 s[38:39], 0
	s_mov_b64 s[40:41], -1
.LBB88_212:                             ;   in Loop: Header=BB88_11 Depth=1
	s_orn2_b64 s[46:47], s[46:47], exec
.LBB88_213:                             ;   in Loop: Header=BB88_11 Depth=1
	s_or_b64 exec, exec, s[44:45]
	s_mov_b64 s[48:49], 0
	s_and_saveexec_b64 s[44:45], s[46:47]
	s_cbranch_execz .LBB88_224
; %bb.214:                              ;   in Loop: Header=BB88_11 Depth=1
	s_xor_b64 s[2:3], s[42:43], -1
	v_mov_b32_e32 v2, 1
	v_mov_b32_e32 v3, 1
	s_and_saveexec_b64 s[42:43], s[2:3]
	s_cbranch_execz .LBB88_223
; %bb.215:                              ;   in Loop: Header=BB88_11 Depth=1
	v_cmp_ge_u32_e32 vcc, s92, v4
	s_and_saveexec_b64 s[2:3], vcc
	s_xor_b64 s[46:47], exec, s[2:3]
	s_cbranch_execz .LBB88_220
; %bb.216:                              ;   in Loop: Header=BB88_11 Depth=1
	ds_read_b32 v2, v7 offset:4104
	v_or_b32_e32 v26, v26, v1
	v_or_b32_e32 v34, v34, v1
	s_waitcnt lgkmcnt(0)
	v_cmp_ne_u32_e32 vcc, 0, v2
	s_cbranch_vccnz .LBB88_220
; %bb.217:                              ;   in Loop: Header=BB88_11 Depth=1
	s_and_saveexec_b64 s[48:49], s[0:1]
; %bb.218:                              ;   in Loop: Header=BB88_11 Depth=1
	v_mov_b32_e32 v1, s92
	ds_write_b32 v7, v1 offset:4108
; %bb.219:                              ;   in Loop: Header=BB88_11 Depth=1
	s_or_b64 exec, exec, s[48:49]
	s_waitcnt lgkmcnt(0)
	s_barrier
.LBB88_220:                             ;   in Loop: Header=BB88_11 Depth=1
	s_andn2_saveexec_b64 s[46:47], s[46:47]
; %bb.221:                              ;   in Loop: Header=BB88_11 Depth=1
	v_subrev_u32_e32 v4, s92, v4
; %bb.222:                              ;   in Loop: Header=BB88_11 Depth=1
	s_or_b64 exec, exec, s[46:47]
	v_mov_b32_e32 v2, 8
	v_mov_b32_e32 v3, v4
.LBB88_223:                             ;   in Loop: Header=BB88_11 Depth=1
	s_or_b64 exec, exec, s[42:43]
	s_mov_b64 s[48:49], exec
	v_mov_b32_e32 v4, v3
.LBB88_224:                             ;   in Loop: Header=BB88_11 Depth=1
	s_or_b64 exec, exec, s[44:45]
	s_orn2_b64 s[42:43], s[48:49], exec
.LBB88_225:                             ;   in Loop: Header=BB88_11 Depth=1
	s_or_b64 exec, exec, s[36:37]
	s_andn2_b64 s[2:3], s[30:31], exec
	s_and_b64 s[12:13], s[40:41], exec
	s_or_b64 s[30:31], s[2:3], s[12:13]
	s_andn2_b64 s[2:3], s[28:29], exec
	s_and_b64 s[12:13], s[38:39], exec
	s_or_b64 s[28:29], s[2:3], s[12:13]
	s_and_b64 s[40:41], s[42:43], exec
	v_mov_b32_e32 v35, v4
.LBB88_226:                             ;   in Loop: Header=BB88_11 Depth=1
	s_or_b64 exec, exec, s[34:35]
	s_orn2_b64 s[34:35], s[40:41], exec
.LBB88_227:                             ;   in Loop: Header=BB88_11 Depth=1
	s_or_b64 exec, exec, s[26:27]
	s_andn2_b64 s[2:3], s[22:23], exec
	s_and_b64 s[12:13], s[30:31], exec
	s_or_b64 s[22:23], s[2:3], s[12:13]
	s_andn2_b64 s[2:3], s[20:21], exec
	s_and_b64 s[12:13], s[28:29], exec
	s_or_b64 s[20:21], s[2:3], s[12:13]
	s_and_b64 s[30:31], s[34:35], exec
	v_mov_b32_e32 v4, v35
.LBB88_228:                             ;   in Loop: Header=BB88_11 Depth=1
	s_or_b64 exec, exec, s[24:25]
	s_orn2_b64 s[24:25], s[30:31], exec
.LBB88_229:                             ;   in Loop: Header=BB88_11 Depth=1
	s_or_b64 exec, exec, s[18:19]
	s_mov_b64 s[26:27], 0
	s_and_saveexec_b64 s[2:3], s[24:25]
	s_xor_b64 s[18:19], exec, s[2:3]
	s_cbranch_execz .LBB88_9
; %bb.230:                              ;   in Loop: Header=BB88_11 Depth=1
	v_and_b32_e32 v1, 7, v2
	v_cmp_eq_u32_e32 vcc, 0, v1
	s_mov_b64 s[14:15], -1
	s_mov_b64 s[24:25], -1
	s_and_saveexec_b64 s[26:27], vcc
	s_cbranch_execz .LBB88_8
; %bb.231:                              ;   in Loop: Header=BB88_11 Depth=1
	v_add_u32_e32 v1, -2, v32
	v_cmp_eq_u32_e32 vcc, 0, v32
	v_xor_b32_e32 v33, 1, v33
	s_xor_b64 s[24:25], exec, -1
	s_orn2_b64 s[14:15], vcc, exec
	v_mov_b32_e32 v32, v1
	s_branch .LBB88_8
.LBB88_232:
	s_or_b64 exec, exec, s[76:77]
	s_xor_b64 s[8:9], s[82:83], -1
	s_xor_b64 s[0:1], s[78:79], -1
	;; [unrolled: 1-line block ×3, first 2 shown]
	s_mov_b64 s[4:5], 0
	s_and_saveexec_b64 s[2:3], s[0:1]
	s_xor_b64 s[0:1], exec, s[2:3]
	s_cbranch_execnz .LBB88_237
; %bb.233:
	s_andn2_saveexec_b64 s[0:1], s[0:1]
	s_cbranch_execnz .LBB88_250
.LBB88_234:
	s_or_b64 exec, exec, s[0:1]
	s_and_saveexec_b64 s[0:1], s[4:5]
.LBB88_235:
	; divergent unreachable
.LBB88_236:
	s_endpgm
.LBB88_237:
	s_and_saveexec_b64 s[2:3], s[8:9]
	s_xor_b64 s[4:5], exec, s[2:3]
	s_cbranch_execz .LBB88_248
; %bb.238:
	s_and_saveexec_b64 s[2:3], s[6:7]
	s_xor_b64 s[6:7], exec, s[2:3]
; %bb.239:
	v_xor_b32_e32 v14, 0x80000000, v26
; %bb.240:
	s_or_b64 exec, exec, s[6:7]
	v_readlane_b32 s18, v48, 6
	v_readlane_b32 s2, v48, 5
	s_mul_i32 s2, s2, s18
	s_mov_b32 s3, 0
	s_lshl_b64 s[2:3], s[2:3], 2
	v_readlane_b32 s6, v48, 2
	v_readlane_b32 s7, v48, 3
	s_add_u32 s2, s6, s2
	s_addc_u32 s3, s7, s3
	v_mov_b32_e32 v6, 0
	global_store_dword v6, v14, s[2:3]
	s_mov_b64 s[6:7], exec
	v_readlane_b32 s2, v48, 7
	v_readlane_b32 s3, v48, 8
	s_and_b64 s[2:3], s[6:7], s[2:3]
	s_mov_b64 exec, s[2:3]
	s_cbranch_execz .LBB88_247
; %bb.241:
	s_mov_b64 s[2:3], 0
	v_mov_b32_e32 v2, s95
                                        ; implicit-def: $sgpr8_sgpr9
                                        ; implicit-def: $sgpr12_sgpr13
                                        ; implicit-def: $sgpr10_sgpr11
	s_branch .LBB88_243
.LBB88_242:                             ;   in Loop: Header=BB88_243 Depth=1
	s_or_b64 exec, exec, s[14:15]
	s_and_b64 s[14:15], exec, s[12:13]
	s_or_b64 s[2:3], s[14:15], s[2:3]
	s_andn2_b64 s[8:9], s[8:9], exec
	s_and_b64 s[14:15], s[10:11], exec
	s_or_b64 s[8:9], s[8:9], s[14:15]
	s_andn2_b64 exec, exec, s[2:3]
	s_cbranch_execz .LBB88_245
.LBB88_243:                             ; =>This Inner Loop Header: Depth=1
	v_lshlrev_b64 v[3:4], 2, v[5:6]
	v_mov_b32_e32 v1, v0
	v_add_co_u32_e32 v3, vcc, s59, v3
	v_addc_co_u32_e32 v4, vcc, v2, v4, vcc
	global_load_dword v3, v[3:4], off
	s_or_b64 s[10:11], s[10:11], exec
	s_or_b64 s[12:13], s[12:13], exec
                                        ; implicit-def: $vgpr0
	s_waitcnt vmcnt(0)
	v_cmp_ne_u32_e32 vcc, v3, v14
	s_and_saveexec_b64 s[14:15], vcc
	s_cbranch_execz .LBB88_242
; %bb.244:                              ;   in Loop: Header=BB88_243 Depth=1
	v_add_u32_e32 v0, s94, v1
	v_cmp_le_u32_e32 vcc, s56, v0
	s_andn2_b64 s[12:13], s[12:13], exec
	s_and_b64 s[16:17], vcc, exec
	v_add_u32_e32 v5, s61, v5
	s_andn2_b64 s[10:11], s[10:11], exec
	s_or_b64 s[12:13], s[12:13], s[16:17]
	s_branch .LBB88_242
.LBB88_245:
	s_or_b64 exec, exec, s[2:3]
	s_and_saveexec_b64 s[2:3], s[8:9]
	s_xor_b64 s[2:3], exec, s[2:3]
	s_cbranch_execz .LBB88_247
; %bb.246:
	v_readlane_b32 s2, v48, 4
	s_mul_i32 s2, s2, s18
	s_mov_b32 s3, 0
	s_lshl_b64 s[2:3], s[2:3], 3
	v_readlane_b32 s8, v48, 0
	v_readlane_b32 s9, v48, 1
	s_add_u32 s2, s8, s2
	s_addc_u32 s3, s9, s3
	v_mov_b32_e32 v2, 0
	global_store_dwordx2 v2, v[1:2], s[2:3]
.LBB88_247:
	s_or_b64 exec, exec, s[6:7]
.LBB88_248:
	s_or_saveexec_b64 s[2:3], s[4:5]
	s_mov_b64 s[4:5], 0
	s_xor_b64 exec, exec, s[2:3]
	s_cbranch_execnz .LBB88_251
.LBB88_249:
	s_or_b64 exec, exec, s[2:3]
	s_and_b64 s[4:5], s[4:5], exec
	s_andn2_saveexec_b64 s[0:1], s[0:1]
	s_cbranch_execz .LBB88_234
.LBB88_250:
	s_or_b64 s[4:5], s[4:5], exec
	s_trap 2
	s_or_b64 exec, exec, s[0:1]
	s_and_saveexec_b64 s[0:1], s[4:5]
	s_cbranch_execnz .LBB88_235
	s_branch .LBB88_236
.LBB88_251:
	s_mov_b64 s[4:5], exec
	s_trap 2
	s_branch .LBB88_249
	.section	.rodata,"a",@progbits
	.p2align	6, 0x0
	.amdhsa_kernel _ZN2at6native12_GLOBAL__N_112gatherMedianIijLi1EEEvNS_4cuda6detail10TensorInfoIT_T0_EENS5_IlS7_EENS5_IKS6_S7_EES7_S7_S7_b
		.amdhsa_group_segment_fixed_size 4120
		.amdhsa_private_segment_fixed_size 0
		.amdhsa_kernarg_size 920
		.amdhsa_user_sgpr_count 6
		.amdhsa_user_sgpr_private_segment_buffer 1
		.amdhsa_user_sgpr_dispatch_ptr 0
		.amdhsa_user_sgpr_queue_ptr 0
		.amdhsa_user_sgpr_kernarg_segment_ptr 1
		.amdhsa_user_sgpr_dispatch_id 0
		.amdhsa_user_sgpr_flat_scratch_init 0
		.amdhsa_user_sgpr_private_segment_size 0
		.amdhsa_uses_dynamic_stack 0
		.amdhsa_system_sgpr_private_segment_wavefront_offset 0
		.amdhsa_system_sgpr_workgroup_id_x 1
		.amdhsa_system_sgpr_workgroup_id_y 1
		.amdhsa_system_sgpr_workgroup_id_z 1
		.amdhsa_system_sgpr_workgroup_info 0
		.amdhsa_system_vgpr_workitem_id 0
		.amdhsa_next_free_vgpr 49
		.amdhsa_next_free_sgpr 96
		.amdhsa_reserve_vcc 1
		.amdhsa_reserve_flat_scratch 0
		.amdhsa_float_round_mode_32 0
		.amdhsa_float_round_mode_16_64 0
		.amdhsa_float_denorm_mode_32 3
		.amdhsa_float_denorm_mode_16_64 3
		.amdhsa_dx10_clamp 1
		.amdhsa_ieee_mode 1
		.amdhsa_fp16_overflow 0
		.amdhsa_exception_fp_ieee_invalid_op 0
		.amdhsa_exception_fp_denorm_src 0
		.amdhsa_exception_fp_ieee_div_zero 0
		.amdhsa_exception_fp_ieee_overflow 0
		.amdhsa_exception_fp_ieee_underflow 0
		.amdhsa_exception_fp_ieee_inexact 0
		.amdhsa_exception_int_div_zero 0
	.end_amdhsa_kernel
	.section	.text._ZN2at6native12_GLOBAL__N_112gatherMedianIijLi1EEEvNS_4cuda6detail10TensorInfoIT_T0_EENS5_IlS7_EENS5_IKS6_S7_EES7_S7_S7_b,"axG",@progbits,_ZN2at6native12_GLOBAL__N_112gatherMedianIijLi1EEEvNS_4cuda6detail10TensorInfoIT_T0_EENS5_IlS7_EENS5_IKS6_S7_EES7_S7_S7_b,comdat
.Lfunc_end88:
	.size	_ZN2at6native12_GLOBAL__N_112gatherMedianIijLi1EEEvNS_4cuda6detail10TensorInfoIT_T0_EENS5_IlS7_EENS5_IKS6_S7_EES7_S7_S7_b, .Lfunc_end88-_ZN2at6native12_GLOBAL__N_112gatherMedianIijLi1EEEvNS_4cuda6detail10TensorInfoIT_T0_EENS5_IlS7_EENS5_IKS6_S7_EES7_S7_S7_b
                                        ; -- End function
	.set _ZN2at6native12_GLOBAL__N_112gatherMedianIijLi1EEEvNS_4cuda6detail10TensorInfoIT_T0_EENS5_IlS7_EENS5_IKS6_S7_EES7_S7_S7_b.num_vgpr, 49
	.set _ZN2at6native12_GLOBAL__N_112gatherMedianIijLi1EEEvNS_4cuda6detail10TensorInfoIT_T0_EENS5_IlS7_EENS5_IKS6_S7_EES7_S7_S7_b.num_agpr, 0
	.set _ZN2at6native12_GLOBAL__N_112gatherMedianIijLi1EEEvNS_4cuda6detail10TensorInfoIT_T0_EENS5_IlS7_EENS5_IKS6_S7_EES7_S7_S7_b.numbered_sgpr, 96
	.set _ZN2at6native12_GLOBAL__N_112gatherMedianIijLi1EEEvNS_4cuda6detail10TensorInfoIT_T0_EENS5_IlS7_EENS5_IKS6_S7_EES7_S7_S7_b.num_named_barrier, 0
	.set _ZN2at6native12_GLOBAL__N_112gatherMedianIijLi1EEEvNS_4cuda6detail10TensorInfoIT_T0_EENS5_IlS7_EENS5_IKS6_S7_EES7_S7_S7_b.private_seg_size, 0
	.set _ZN2at6native12_GLOBAL__N_112gatherMedianIijLi1EEEvNS_4cuda6detail10TensorInfoIT_T0_EENS5_IlS7_EENS5_IKS6_S7_EES7_S7_S7_b.uses_vcc, 1
	.set _ZN2at6native12_GLOBAL__N_112gatherMedianIijLi1EEEvNS_4cuda6detail10TensorInfoIT_T0_EENS5_IlS7_EENS5_IKS6_S7_EES7_S7_S7_b.uses_flat_scratch, 0
	.set _ZN2at6native12_GLOBAL__N_112gatherMedianIijLi1EEEvNS_4cuda6detail10TensorInfoIT_T0_EENS5_IlS7_EENS5_IKS6_S7_EES7_S7_S7_b.has_dyn_sized_stack, 0
	.set _ZN2at6native12_GLOBAL__N_112gatherMedianIijLi1EEEvNS_4cuda6detail10TensorInfoIT_T0_EENS5_IlS7_EENS5_IKS6_S7_EES7_S7_S7_b.has_recursion, 0
	.set _ZN2at6native12_GLOBAL__N_112gatherMedianIijLi1EEEvNS_4cuda6detail10TensorInfoIT_T0_EENS5_IlS7_EENS5_IKS6_S7_EES7_S7_S7_b.has_indirect_call, 0
	.section	.AMDGPU.csdata,"",@progbits
; Kernel info:
; codeLenInByte = 8532
; TotalNumSgprs: 100
; NumVgprs: 49
; ScratchSize: 0
; MemoryBound: 0
; FloatMode: 240
; IeeeMode: 1
; LDSByteSize: 4120 bytes/workgroup (compile time only)
; SGPRBlocks: 12
; VGPRBlocks: 12
; NumSGPRsForWavesPerEU: 100
; NumVGPRsForWavesPerEU: 49
; Occupancy: 4
; WaveLimiterHint : 1
; COMPUTE_PGM_RSRC2:SCRATCH_EN: 0
; COMPUTE_PGM_RSRC2:USER_SGPR: 6
; COMPUTE_PGM_RSRC2:TRAP_HANDLER: 0
; COMPUTE_PGM_RSRC2:TGID_X_EN: 1
; COMPUTE_PGM_RSRC2:TGID_Y_EN: 1
; COMPUTE_PGM_RSRC2:TGID_Z_EN: 1
; COMPUTE_PGM_RSRC2:TIDIG_COMP_CNT: 0
	.section	.text._ZN2at6native12_GLOBAL__N_112gatherMedianIijLi2EEEvNS_4cuda6detail10TensorInfoIT_T0_EENS5_IlS7_EENS5_IKS6_S7_EES7_S7_S7_b,"axG",@progbits,_ZN2at6native12_GLOBAL__N_112gatherMedianIijLi2EEEvNS_4cuda6detail10TensorInfoIT_T0_EENS5_IlS7_EENS5_IKS6_S7_EES7_S7_S7_b,comdat
	.globl	_ZN2at6native12_GLOBAL__N_112gatherMedianIijLi2EEEvNS_4cuda6detail10TensorInfoIT_T0_EENS5_IlS7_EENS5_IKS6_S7_EES7_S7_S7_b ; -- Begin function _ZN2at6native12_GLOBAL__N_112gatherMedianIijLi2EEEvNS_4cuda6detail10TensorInfoIT_T0_EENS5_IlS7_EENS5_IKS6_S7_EES7_S7_S7_b
	.p2align	8
	.type	_ZN2at6native12_GLOBAL__N_112gatherMedianIijLi2EEEvNS_4cuda6detail10TensorInfoIT_T0_EENS5_IlS7_EENS5_IKS6_S7_EES7_S7_S7_b,@function
_ZN2at6native12_GLOBAL__N_112gatherMedianIijLi2EEEvNS_4cuda6detail10TensorInfoIT_T0_EENS5_IlS7_EENS5_IKS6_S7_EES7_S7_S7_b: ; @_ZN2at6native12_GLOBAL__N_112gatherMedianIijLi2EEEvNS_4cuda6detail10TensorInfoIT_T0_EENS5_IlS7_EENS5_IKS6_S7_EES7_S7_S7_b
; %bb.0:
	s_load_dwordx2 s[12:13], s[4:5], 0x298
	s_load_dwordx4 s[56:59], s[4:5], 0x288
	s_add_u32 s10, s4, 0x298
	s_addc_u32 s11, s5, 0
	s_waitcnt lgkmcnt(0)
	s_mul_i32 s0, s13, s8
	s_add_i32 s0, s0, s7
	s_mul_i32 s0, s0, s12
	s_add_i32 s19, s0, s6
	s_cmp_ge_u32 s19, s57
	s_cbranch_scc1 .LBB89_236
; %bb.1:
	s_load_dword s0, s[4:5], 0xc
	s_load_dword s1, s[4:5], 0xe4
	s_load_dword s13, s[4:5], 0x1bc
                                        ; implicit-def: $vgpr48 : SGPR spill to VGPR lane
	s_waitcnt lgkmcnt(0)
	v_cvt_f32_u32_e32 v1, s0
	v_cvt_f32_u32_e32 v2, s1
	;; [unrolled: 1-line block ×3, first 2 shown]
	v_writelane_b32 v48, s0, 0
	v_rcp_iflag_f32_e32 v1, v1
	v_rcp_iflag_f32_e32 v2, v2
	v_rcp_iflag_f32_e32 v3, v3
	s_sub_i32 s0, 0, s0
	v_mul_f32_e32 v1, 0x4f7ffffe, v1
	v_cvt_u32_f32_e32 v1, v1
	v_mul_f32_e32 v3, 0x4f7ffffe, v3
	v_mul_f32_e32 v2, 0x4f7ffffe, v2
	v_cvt_u32_f32_e32 v3, v3
	v_cvt_u32_f32_e32 v2, v2
	v_readfirstlane_b32 s17, v1
	s_mul_i32 s0, s0, s17
	s_mul_hi_u32 s8, s17, s0
	s_sub_i32 s0, 0, s13
	v_readfirstlane_b32 s7, v3
	v_writelane_b32 v48, s1, 1
	s_sub_i32 s1, 0, s1
	v_readfirstlane_b32 s18, v2
	s_mul_i32 s0, s0, s7
	s_mul_i32 s1, s1, s18
	s_mul_hi_u32 s0, s7, s0
	s_mul_hi_u32 s9, s18, s1
	s_add_i32 s7, s7, s0
	v_cmp_eq_u32_e64 s[0:1], 0, v0
	s_and_saveexec_b64 s[2:3], s[0:1]
; %bb.2:
	v_mov_b32_e32 v1, 0
	v_mov_b32_e32 v2, v1
	ds_write_b64 v1, v[1:2] offset:4096
; %bb.3:
	s_or_b64 exec, exec, s[2:3]
	v_mov_b32_e32 v1, 0
	s_waitcnt lgkmcnt(0)
	s_barrier
	s_barrier
	ds_read_b64 v[1:2], v1 offset:4096
	s_add_i32 s17, s17, s8
	s_add_i32 s18, s18, s9
	s_load_dwordx2 s[8:9], s[4:5], 0x21c
	s_load_dwordx2 s[2:3], s[4:5], 0x1b0
	s_bitcmp1_b32 s59, 0
	s_waitcnt lgkmcnt(0)
	v_readfirstlane_b32 s14, v1
	v_readfirstlane_b32 s15, v2
	v_cmp_lt_i64_e64 s[20:21], s[14:15], 1
	s_cselect_b64 s[22:23], -1, 0
	s_or_b64 s[20:21], s[22:23], s[20:21]
	s_mul_hi_u32 s16, s19, s7
	s_andn2_b64 vcc, exec, s[20:21]
	s_mov_b32 s7, s56
	s_cbranch_vccnz .LBB89_5
; %bb.4:
	s_not_b64 s[14:15], s[14:15]
	s_add_u32 s7, s14, s56
	s_addc_u32 s15, s15, 0
	s_lshr_b32 s14, s15, 31
	s_add_u32 s14, s7, s14
	s_addc_u32 s15, s15, 0
	s_lshr_b64 s[14:15], s[14:15], 1
	s_add_i32 s7, s14, 1
.LBB89_5:
	s_load_dwordx2 s[14:15], s[4:5], 0x144
                                        ; kill: killed $sgpr4 killed $sgpr5
	s_waitcnt lgkmcnt(0)
	v_writelane_b32 v48, s14, 2
	v_writelane_b32 v48, s15, 3
	s_load_dwordx2 s[14:15], s[4:5], 0xd8
	s_waitcnt lgkmcnt(0)
	v_writelane_b32 v48, s14, 4
	v_writelane_b32 v48, s15, 5
	s_load_dwordx2 s[14:15], s[4:5], 0x6c
	;; [unrolled: 4-line block ×3, first 2 shown]
	s_mul_hi_u32 s4, s19, s17
	s_waitcnt lgkmcnt(0)
	v_writelane_b32 v48, s14, 8
	v_writelane_b32 v48, s15, 9
	v_writelane_b32 v48, s4, 10
	s_mul_hi_u32 s4, s19, s18
	v_writelane_b32 v48, s4, 11
	s_and_saveexec_b64 s[4:5], s[0:1]
	s_cbranch_execz .LBB89_7
; %bb.6:
	v_mov_b32_e32 v1, 0
	v_mov_b32_e32 v2, s56
	ds_write_b32 v1, v1 offset:4112
	ds_write_b64 v1, v[1:2] offset:4104
.LBB89_7:
	s_or_b64 exec, exec, s[4:5]
	s_mul_i32 s4, s16, s13
	s_sub_i32 s4, s19, s4
	s_add_i32 s5, s16, 1
	s_sub_i32 s14, s4, s13
	s_cmp_ge_u32 s4, s13
	s_cselect_b32 s5, s5, s16
	s_cselect_b32 s4, s14, s4
	s_add_i32 s14, s5, 1
	s_cmp_ge_u32 s4, s13
	s_cselect_b32 s4, s14, s5
	s_mul_i32 s5, s4, s13
	s_sub_i32 s5, s19, s5
	s_mul_i32 s5, s5, s9
	s_mul_i32 s4, s4, s8
	s_add_i32 s4, s4, s5
	s_mov_b32 s5, 0
	s_waitcnt lgkmcnt(0)
	s_barrier
	s_load_dword s8, s[10:11], 0xc
	v_mul_lo_u32 v5, s58, v0
	s_lshl_b64 s[4:5], s[4:5], 2
	s_add_u32 s63, s2, s4
	v_mov_b32_e32 v7, 0
	v_writelane_b32 v48, s19, 12
	s_addc_u32 s65, s3, s5
	v_cmp_gt_u32_e64 s[2:3], s56, v0
	v_mbcnt_lo_u32_b32 v1, -1, 0
	v_mov_b32_e32 v6, v7
	v_writelane_b32 v48, s2, 13
	v_mbcnt_hi_u32_b32 v16, -1, v1
	v_lshlrev_b64 v[1:2], 2, v[5:6]
	v_writelane_b32 v48, s3, 14
	s_waitcnt lgkmcnt(0)
	s_and_b32 s59, s8, 0xffff
	s_bfe_u32 s2, s8, 0xa0006
	v_cmp_gt_u32_e32 vcc, 64, v0
	v_cmp_gt_i32_e64 s[8:9], 4, v16
	s_and_b64 s[68:69], vcc, s[8:9]
	v_mov_b32_e32 v18, s65
	v_add_co_u32_e32 v8, vcc, s63, v1
	v_addc_co_u32_e32 v9, vcc, v18, v2, vcc
	v_lshlrev_b64 v[1:2], v16, -1
	s_lshl_b32 s67, s59, 2
	v_not_b32_e32 v21, v1
	v_lshrrev_b32_e32 v1, 2, v0
	s_add_i32 s64, s59, -1
	v_and_b32_e32 v1, 0xf0, v1
	s_add_i32 s3, s64, s56
	v_or_b32_e32 v22, 0xc00, v1
	v_cvt_f32_u32_e32 v1, s67
	s_cmpk_gt_u32 s56, 0x300
	s_cselect_b64 s[70:71], -1, 0
	s_cmp_gt_u32 s59, 63
	s_cselect_b64 s[72:73], -1, 0
	s_cmp_lt_u32 s6, s12
	s_cselect_b32 s6, 12, 18
	v_rcp_iflag_f32_e32 v1, v1
	s_add_u32 s8, s10, s6
	s_addc_u32 s9, s11, 0
	v_writelane_b32 v48, s8, 15
	s_add_i32 s6, s2, -1
	v_writelane_b32 v48, s9, 16
	s_bfe_u32 s8, s59, 0x30006
	s_and_b32 s6, s6, 0xffff
	v_mul_f32_e32 v1, 0x4f7ffffe, v1
	s_cmp_gt_u32 s6, 6
	v_cvt_u32_f32_e32 v1, v1
	s_cselect_b64 s[10:11], -1, 0
	v_writelane_b32 v48, s10, 17
	s_and_b32 s62, s2, 0x3f8
	v_writelane_b32 v48, s11, 18
	s_cmp_lg_u32 s8, 0
	v_writelane_b32 v48, s8, 19
	s_cselect_b64 s[8:9], -1, 0
	s_sub_i32 s2, 0, s67
	v_readfirstlane_b32 s6, v1
	v_cvt_f32_u32_e32 v1, s59
	s_mul_i32 s2, s2, s6
	s_mul_hi_u32 s2, s6, s2
	s_add_i32 s57, s6, s2
	s_mul_hi_u32 s2, s56, s57
	v_rcp_iflag_f32_e32 v4, v1
	s_mul_i32 s2, s2, s67
	s_sub_i32 s2, s56, s2
	s_sub_i32 s6, s2, s67
	s_cmp_ge_u32 s2, s67
	v_mul_f32_e32 v4, 0x4f7ffffe, v4
	s_cselect_b32 s2, s6, s2
	v_cvt_u32_f32_e32 v4, v4
	s_sub_i32 s6, s2, s67
	s_cmp_ge_u32 s2, s67
	s_cselect_b32 s2, s6, s2
	s_sub_i32 s74, s56, s2
	s_sub_i32 s6, 0, s59
	v_readfirstlane_b32 s12, v4
	v_add_u32_e32 v23, s74, v0
	s_mul_i32 s6, s6, s12
	v_mul_lo_u32 v6, v23, s58
	s_mul_hi_u32 s6, s12, s6
	s_add_i32 s75, s12, s6
	s_mul_hi_u32 s6, s3, s75
	s_mul_i32 s6, s6, s59
	v_not_b32_e32 v20, v2
	v_lshlrev_b64 v[1:2], 2, v[6:7]
	s_sub_i32 s6, s3, s6
	v_lshlrev_b32_e32 v15, 2, v0
	s_sub_i32 s12, s6, s59
	v_add_co_u32_e32 v10, vcc, s63, v1
	s_cmp_ge_u32 s6, s59
	v_mul_lo_u32 v1, s58, v15
	s_cselect_b32 s6, s12, s6
	s_sub_i32 s12, s6, s59
	s_cmp_ge_u32 s6, s59
	s_cselect_b32 s6, s12, s6
	v_add_u32_e32 v24, s58, v1
	v_or_b32_e32 v1, 2, v15
	s_sub_i32 s33, s3, s6
	v_mul_lo_u32 v25, s58, v1
	v_or_b32_e32 v1, 3, v15
	s_add_i32 s3, s59, s56
	v_mul_lo_u32 v27, s58, v1
	v_add_u32_e32 v1, s3, v0
	v_subrev_u32_e32 v1, s2, v1
	v_mul_lo_u32 v29, s58, v1
	v_writelane_b32 v48, s8, 20
	v_lshlrev_b32_e32 v3, 2, v16
	v_writelane_b32 v48, s9, 21
	v_mov_b32_e32 v6, s65
	v_cmp_gt_u32_e64 s[12:13], s33, v0
	s_mul_i32 s66, s58, s59
	v_cmp_eq_u32_e64 s[4:5], 0, v16
	v_cmp_gt_u32_e64 s[16:17], 2, v0
	v_add_u32_e32 v17, 0xc00, v15
	v_and_b32_e32 v19, 0x100, v3
	v_cmp_gt_u32_e64 s[8:9], s74, v15
	v_cmp_gt_u32_e64 s[10:11], s56, v23
	v_addc_co_u32_e32 v11, vcc, v6, v2, vcc
	v_writelane_b32 v48, s12, 22
	s_lshl_b32 s76, s66, 2
	v_lshlrev_b32_e32 v28, 2, v5
	v_lshlrev_b32_e32 v30, 4, v0
	s_lshl_b32 s77, s59, 4
	v_or_b32_e32 v31, 0xc00, v3
	s_mov_b64 s[80:81], 0
	v_mov_b32_e32 v32, 30
	v_mov_b32_e32 v35, s7
	;; [unrolled: 1-line block ×7, first 2 shown]
	v_writelane_b32 v48, s13, 23
                                        ; implicit-def: $sgpr82_sgpr83
                                        ; implicit-def: $sgpr86_sgpr87
                                        ; implicit-def: $sgpr84_sgpr85
                                        ; implicit-def: $sgpr90_sgpr91
                                        ; implicit-def: $sgpr92_sgpr93
                                        ; implicit-def: $sgpr88_sgpr89
	s_branch .LBB89_11
.LBB89_8:                               ;   in Loop: Header=BB89_11 Depth=1
	s_or_b64 exec, exec, s[26:27]
	s_and_b64 s[26:27], s[24:25], exec
	s_andn2_b64 s[22:23], s[22:23], exec
	s_andn2_b64 s[20:21], s[20:21], exec
	s_orn2_b64 s[14:15], s[14:15], exec
.LBB89_9:                               ;   in Loop: Header=BB89_11 Depth=1
	s_or_b64 exec, exec, s[18:19]
	s_andn2_b64 s[2:3], s[88:89], exec
	s_and_b64 s[12:13], s[26:27], exec
	s_or_b64 s[88:89], s[2:3], s[12:13]
	s_andn2_b64 s[2:3], s[92:93], exec
	s_and_b64 s[12:13], s[22:23], exec
	s_or_b64 s[92:93], s[2:3], s[12:13]
	;; [unrolled: 3-line block ×3, first 2 shown]
	s_orn2_b64 s[14:15], s[14:15], exec
.LBB89_10:                              ;   in Loop: Header=BB89_11 Depth=1
	s_or_b64 exec, exec, s[6:7]
	s_and_b64 s[2:3], exec, s[14:15]
	s_or_b64 s[80:81], s[2:3], s[80:81]
	s_andn2_b64 s[2:3], s[84:85], exec
	s_and_b64 s[6:7], s[88:89], exec
	s_or_b64 s[84:85], s[2:3], s[6:7]
	s_andn2_b64 s[2:3], s[86:87], exec
	s_and_b64 s[6:7], s[92:93], exec
	;; [unrolled: 3-line block ×3, first 2 shown]
	s_or_b64 s[82:83], s[2:3], s[6:7]
	v_mov_b32_e32 v35, v4
	s_andn2_b64 exec, exec, s[80:81]
	s_cbranch_execz .LBB89_232
.LBB89_11:                              ; =>This Loop Header: Depth=1
                                        ;     Child Loop BB89_17 Depth 2
                                        ;     Child Loop BB89_30 Depth 2
	;; [unrolled: 1-line block ×16, first 2 shown]
	ds_read_b64 v[1:2], v7 offset:4104
	s_waitcnt lgkmcnt(0)
	v_readfirstlane_b32 s78, v1
	s_cmp_lg_u32 s78, 0
	s_cbranch_scc1 .LBB89_38
; %bb.12:                               ;   in Loop: Header=BB89_11 Depth=1
	s_and_b64 vcc, exec, s[70:71]
	s_cbranch_vccz .LBB89_25
; %bb.13:                               ;   in Loop: Header=BB89_11 Depth=1
	s_movk_i32 s2, 0x301
	v_cmp_gt_u32_e32 vcc, s2, v2
	s_mov_b64 s[18:19], 0
	s_mov_b64 s[6:7], 0
	s_cbranch_vccz .LBB89_26
; %bb.14:                               ;   in Loop: Header=BB89_11 Depth=1
	s_mov_b64 s[20:21], exec
	v_readlane_b32 s2, v48, 13
	v_readlane_b32 s3, v48, 14
	s_and_b64 s[2:3], s[20:21], s[2:3]
	s_mov_b64 exec, s[2:3]
	s_cbranch_execz .LBB89_122
; %bb.15:                               ;   in Loop: Header=BB89_11 Depth=1
	v_readlane_b32 s2, v48, 15
	v_readlane_b32 s3, v48, 16
	s_nop 4
	global_load_ushort v1, v7, s[2:3]
	global_load_dword v3, v[8:9], off
	s_mov_b64 s[22:23], 0
	v_mov_b32_e32 v4, v0
	s_waitcnt vmcnt(1)
	v_add_u32_e32 v2, v0, v1
	v_mul_lo_u32 v6, s58, v2
	v_mul_lo_u32 v2, s58, v1
	s_branch .LBB89_17
.LBB89_16:                              ;   in Loop: Header=BB89_17 Depth=2
	s_or_b64 exec, exec, s[6:7]
	v_add_u32_e32 v6, v6, v2
	v_mov_b32_e32 v3, v13
	s_andn2_b64 exec, exec, s[22:23]
	s_cbranch_execz .LBB89_122
.LBB89_17:                              ;   Parent Loop BB89_11 Depth=1
                                        ; =>  This Inner Loop Header: Depth=2
	v_add_u32_e32 v4, v4, v1
	v_cmp_gt_u32_e64 s[6:7], s56, v4
	v_cmp_le_u32_e32 vcc, s56, v4
	s_waitcnt lgkmcnt(0)
	v_mov_b32_e32 v36, 0
	v_mov_b32_e32 v13, 0
	s_and_saveexec_b64 s[14:15], s[6:7]
	s_cbranch_execz .LBB89_19
; %bb.18:                               ;   in Loop: Header=BB89_17 Depth=2
	v_lshlrev_b64 v[37:38], 2, v[6:7]
	v_add_co_u32_e64 v37, s[6:7], s63, v37
	v_addc_co_u32_e64 v38, s[6:7], v18, v38, s[6:7]
	global_load_dword v13, v[37:38], off
.LBB89_19:                              ;   in Loop: Header=BB89_17 Depth=2
	s_or_b64 exec, exec, s[14:15]
	s_waitcnt vmcnt(0)
	v_xor_b32_e32 v37, 0x80000000, v3
	v_and_b32_e32 v37, v37, v34
	v_cmp_eq_u32_e64 s[14:15], v37, v26
	s_cmp_lg_u64 s[14:15], 0
	s_cselect_b64 s[2:3], -1, 0
	s_and_b64 s[2:3], s[4:5], s[2:3]
	s_and_saveexec_b64 s[24:25], s[2:3]
	s_cbranch_execz .LBB89_23
; %bb.20:                               ;   in Loop: Header=BB89_17 Depth=2
	s_mov_b64 s[28:29], exec
	v_mbcnt_lo_u32_b32 v36, s28, 0
	v_mbcnt_hi_u32_b32 v36, s29, v36
	s_bcnt1_i32_b64 s2, s[14:15]
	v_cmp_eq_u32_e64 s[6:7], 0, v36
                                        ; implicit-def: $vgpr37
	s_and_saveexec_b64 s[26:27], s[6:7]
; %bb.21:                               ;   in Loop: Header=BB89_17 Depth=2
	s_bcnt1_i32_b64 s3, s[28:29]
	s_mul_i32 s3, s2, s3
	v_mov_b32_e32 v37, s3
	ds_add_rtn_u32 v37, v7, v37 offset:4112
; %bb.22:                               ;   in Loop: Header=BB89_17 Depth=2
	s_or_b64 exec, exec, s[26:27]
	s_waitcnt lgkmcnt(0)
	v_readfirstlane_b32 s3, v37
	v_mov_b32_e32 v37, s3
	v_mad_u32_u24 v36, s2, v36, v37
.LBB89_23:                              ;   in Loop: Header=BB89_17 Depth=2
	s_or_b64 exec, exec, s[24:25]
	ds_bpermute_b32 v36, v19, v36
	s_and_b64 s[2:3], exec, vcc
	s_or_b64 s[22:23], s[2:3], s[22:23]
	s_and_saveexec_b64 s[6:7], s[14:15]
	s_cbranch_execz .LBB89_16
; %bb.24:                               ;   in Loop: Header=BB89_17 Depth=2
	v_and_b32_e32 v38, s14, v21
	v_and_b32_e32 v37, s15, v20
	v_bcnt_u32_b32 v38, v38, 0
	v_bcnt_u32_b32 v37, v37, v38
	v_lshlrev_b32_e32 v37, 2, v37
	s_waitcnt lgkmcnt(0)
	v_lshl_add_u32 v36, v36, 2, v37
	ds_write_b32 v36, v3
	s_branch .LBB89_16
.LBB89_25:                              ;   in Loop: Header=BB89_11 Depth=1
	s_mov_b64 s[18:19], -1
	s_mov_b64 s[6:7], 0
.LBB89_26:                              ;   in Loop: Header=BB89_11 Depth=1
	s_and_b64 vcc, exec, s[18:19]
	s_cbranch_vccz .LBB89_36
.LBB89_27:                              ;   in Loop: Header=BB89_11 Depth=1
	s_mov_b64 s[6:7], exec
	v_readlane_b32 s2, v48, 13
	v_readlane_b32 s3, v48, 14
	s_and_b64 s[2:3], s[6:7], s[2:3]
	s_mov_b64 exec, s[2:3]
	s_cbranch_execz .LBB89_33
; %bb.28:                               ;   in Loop: Header=BB89_11 Depth=1
	v_readlane_b32 s2, v48, 15
	v_readlane_b32 s3, v48, 16
	s_nop 4
	global_load_ushort v1, v7, s[2:3]
	global_load_dword v3, v[8:9], off
	v_mov_b32_e32 v2, v0
	s_waitcnt vmcnt(1)
	v_add_u32_e32 v6, v0, v1
	v_cmp_gt_u32_e32 vcc, s56, v6
	s_and_saveexec_b64 s[14:15], vcc
	s_cbranch_execz .LBB89_32
; %bb.29:                               ;   in Loop: Header=BB89_11 Depth=1
	v_mul_lo_u32 v6, s58, v6
	v_mul_lo_u32 v13, s58, v1
	v_lshlrev_b32_e32 v4, 2, v1
	s_mov_b64 s[18:19], 0
	v_mov_b32_e32 v36, v15
	v_mov_b32_e32 v2, v0
.LBB89_30:                              ;   Parent Loop BB89_11 Depth=1
                                        ; =>  This Inner Loop Header: Depth=2
	v_lshlrev_b64 v[37:38], 2, v[6:7]
	v_mov_b32_e32 v39, s65
	v_add_co_u32_e32 v37, vcc, s63, v37
	v_addc_co_u32_e32 v38, vcc, v39, v38, vcc
	global_load_dword v37, v[37:38], off
	v_add_u32_e32 v2, v2, v1
	s_waitcnt vmcnt(1)
	ds_write_b32 v36, v3
	v_add_u32_e32 v3, v1, v2
	v_cmp_le_u32_e32 vcc, s56, v3
	v_add_u32_e32 v36, v36, v4
	v_add_u32_e32 v6, v6, v13
	s_or_b64 s[18:19], vcc, s[18:19]
	s_waitcnt vmcnt(0)
	v_mov_b32_e32 v3, v37
	s_andn2_b64 exec, exec, s[18:19]
	s_cbranch_execnz .LBB89_30
; %bb.31:                               ;   in Loop: Header=BB89_11 Depth=1
	s_or_b64 exec, exec, s[18:19]
	v_mov_b32_e32 v3, v37
.LBB89_32:                              ;   in Loop: Header=BB89_11 Depth=1
	s_or_b64 exec, exec, s[14:15]
	v_lshlrev_b32_e32 v1, 2, v2
	s_waitcnt vmcnt(0)
	ds_write_b32 v1, v3
.LBB89_33:                              ;   in Loop: Header=BB89_11 Depth=1
	s_or_b64 exec, exec, s[6:7]
	s_waitcnt lgkmcnt(0)
	s_barrier
	s_and_saveexec_b64 s[6:7], s[0:1]
; %bb.34:                               ;   in Loop: Header=BB89_11 Depth=1
	v_mov_b32_e32 v1, s56
	ds_write_b32 v7, v1 offset:4104
; %bb.35:                               ;   in Loop: Header=BB89_11 Depth=1
	s_or_b64 exec, exec, s[6:7]
	s_mov_b64 s[6:7], -1
	s_waitcnt lgkmcnt(0)
	s_barrier
.LBB89_36:                              ;   in Loop: Header=BB89_11 Depth=1
	s_mov_b32 s78, 0
	s_and_b64 vcc, exec, s[6:7]
	s_cbranch_vccz .LBB89_38
; %bb.37:                               ;   in Loop: Header=BB89_11 Depth=1
	ds_read_b32 v1, v7 offset:4104
	s_waitcnt lgkmcnt(0)
	v_readfirstlane_b32 s78, v1
.LBB89_38:                              ;   in Loop: Header=BB89_11 Depth=1
	s_cmp_lt_i32 s78, 1
	s_mov_b64 s[6:7], -1
                                        ; implicit-def: $vgpr4
	s_cbranch_scc1 .LBB89_48
; %bb.39:                               ;   in Loop: Header=BB89_11 Depth=1
	s_and_b64 vcc, exec, s[6:7]
	s_cbranch_vccnz .LBB89_59
.LBB89_40:                              ;   in Loop: Header=BB89_11 Depth=1
	v_lshlrev_b32_e32 v6, 6, v33
	s_and_saveexec_b64 s[6:7], s[4:5]
.LBB89_41:                              ;   in Loop: Header=BB89_11 Depth=1
	v_lshl_add_u32 v13, v6, 2, v22
	ds_write_b128 v13, v[1:4]
.LBB89_42:                              ;   in Loop: Header=BB89_11 Depth=1
	s_or_b64 exec, exec, s[6:7]
	s_waitcnt lgkmcnt(0)
	s_barrier
	s_and_saveexec_b64 s[6:7], s[68:69]
	s_cbranch_execz .LBB89_73
; %bb.43:                               ;   in Loop: Header=BB89_11 Depth=1
	s_andn2_b64 vcc, exec, s[72:73]
	v_mov_b32_e32 v1, 0
	s_cbranch_vccnz .LBB89_72
; %bb.44:                               ;   in Loop: Header=BB89_11 Depth=1
	v_readlane_b32 s2, v48, 17
	v_readlane_b32 s3, v48, 18
	s_andn2_b64 vcc, exec, s[2:3]
	s_cbranch_vccnz .LBB89_68
; %bb.45:                               ;   in Loop: Header=BB89_11 Depth=1
	v_lshl_add_u32 v2, v33, 8, v31
	s_mov_b32 s2, 0
	v_mov_b32_e32 v1, 0
.LBB89_46:                              ;   Parent Loop BB89_11 Depth=1
                                        ; =>  This Inner Loop Header: Depth=2
	ds_read2_b32 v[3:4], v2 offset1:4
	ds_read2_b32 v[36:37], v2 offset0:8 offset1:12
	ds_read2_b32 v[38:39], v2 offset0:16 offset1:20
	;; [unrolled: 1-line block ×3, first 2 shown]
	s_add_i32 s2, s2, 8
	s_waitcnt lgkmcnt(3)
	v_add3_u32 v1, v3, v1, v4
	s_waitcnt lgkmcnt(2)
	v_add3_u32 v1, v36, v1, v37
	;; [unrolled: 2-line block ×3, first 2 shown]
	v_add_u32_e32 v2, 0x80, v2
	s_cmp_eq_u32 s62, s2
	s_waitcnt lgkmcnt(0)
	v_add3_u32 v1, v40, v1, v41
	s_cbranch_scc0 .LBB89_46
; %bb.47:                               ;   in Loop: Header=BB89_11 Depth=1
	s_mov_b32 s2, s62
	s_branch .LBB89_69
.LBB89_48:                              ;   in Loop: Header=BB89_11 Depth=1
	v_mov_b32_e32 v1, 0
	v_mov_b32_e32 v2, 0
	v_mov_b32_e32 v3, 0
	v_mov_b32_e32 v4, 0
	s_and_saveexec_b64 s[44:45], s[8:9]
	s_cbranch_execz .LBB89_52
; %bb.49:                               ;   in Loop: Header=BB89_11 Depth=1
	s_mov_b32 s48, 0
	s_mov_b64 s[46:47], 0
	s_mov_b32 s49, 0
	s_mov_b32 s50, 0
	;; [unrolled: 1-line block ×4, first 2 shown]
	v_mov_b32_e32 v13, v15
.LBB89_50:                              ;   Parent Loop BB89_11 Depth=1
                                        ; =>  This Inner Loop Header: Depth=2
	v_add_u32_e32 v6, s48, v28
	v_lshlrev_b64 v[2:3], 2, v[6:7]
	v_add_u32_e32 v6, s48, v24
	v_mov_b32_e32 v1, s65
	v_lshlrev_b64 v[36:37], 2, v[6:7]
	v_add_co_u32_e64 v2, s[6:7], s63, v2
	v_add_u32_e32 v6, s48, v25
	v_addc_co_u32_e64 v3, s[6:7], v1, v3, s[6:7]
	v_lshlrev_b64 v[38:39], 2, v[6:7]
	v_add_u32_e32 v6, s48, v27
	v_add_co_u32_e64 v36, s[6:7], s63, v36
	v_lshlrev_b64 v[40:41], 2, v[6:7]
	v_addc_co_u32_e64 v37, s[6:7], v1, v37, s[6:7]
	global_load_dword v4, v[2:3], off
	global_load_dword v6, v[36:37], off
	v_add_co_u32_e64 v2, s[6:7], s63, v38
	v_addc_co_u32_e64 v3, s[6:7], v1, v39, s[6:7]
	global_load_dword v36, v[2:3], off
	v_add_co_u32_e64 v2, s[6:7], s63, v40
	v_addc_co_u32_e64 v3, s[6:7], v1, v41, s[6:7]
	global_load_dword v1, v[2:3], off
	v_add_u32_e32 v13, s67, v13
	v_cmp_le_u32_e32 vcc, s74, v13
	s_add_i32 s48, s48, s76
	s_waitcnt vmcnt(3)
	v_xor_b32_e32 v2, 0x80000000, v4
	v_and_b32_e32 v4, v2, v34
	v_bfe_u32 v2, v2, v32, 2
	s_waitcnt vmcnt(2)
	v_xor_b32_e32 v3, 0x80000000, v6
	v_cmp_eq_u32_e64 s[6:7], v4, v26
	v_cmp_eq_u32_e64 s[14:15], 0, v2
	v_and_b32_e32 v4, v3, v34
	v_bfe_u32 v3, v3, v32, 2
	v_cmp_eq_u32_e64 s[18:19], 1, v2
	s_and_b64 s[2:3], s[6:7], s[14:15]
	s_waitcnt vmcnt(1)
	v_xor_b32_e32 v6, 0x80000000, v36
	v_cmp_eq_u32_e64 s[20:21], 2, v2
	v_cmp_eq_u32_e64 s[26:27], 0, v3
	;; [unrolled: 1-line block ×5, first 2 shown]
	v_cndmask_b32_e64 v3, 0, 1, s[2:3]
	s_and_b64 s[2:3], s[6:7], s[18:19]
	v_cmp_eq_u32_e64 s[22:23], 3, v2
	v_cmp_eq_u32_e64 s[24:25], v4, v26
	v_and_b32_e32 v2, v6, v34
	v_bfe_u32 v4, v6, v32, 2
	v_cndmask_b32_e64 v6, 0, 1, s[2:3]
	s_and_b64 s[2:3], s[6:7], s[20:21]
	v_cndmask_b32_e64 v36, 0, 1, s[2:3]
	s_and_b64 s[2:3], s[6:7], s[22:23]
	;; [unrolled: 2-line block ×3, first 2 shown]
	v_cmp_ne_u32_e64 s[36:37], 0, v3
	v_cndmask_b32_e64 v3, 0, 1, s[2:3]
	s_and_b64 s[2:3], s[24:25], s[28:29]
	v_cmp_eq_u32_e64 s[14:15], 0, v4
	v_cmp_eq_u32_e64 s[18:19], 1, v4
	;; [unrolled: 1-line block ×4, first 2 shown]
	v_cndmask_b32_e64 v4, 0, 1, s[2:3]
	s_and_b64 s[2:3], s[24:25], s[30:31]
	s_waitcnt vmcnt(0)
	v_xor_b32_e32 v1, 0x80000000, v1
	v_cmp_eq_u32_e64 s[6:7], v2, v26
	v_cmp_ne_u32_e64 s[26:27], 0, v6
	v_cndmask_b32_e64 v6, 0, 1, s[2:3]
	s_and_b64 s[2:3], s[24:25], s[34:35]
	v_and_b32_e32 v2, v1, v34
	v_bfe_u32 v1, v1, v32, 2
	v_cmp_ne_u32_e64 s[28:29], 0, v36
	v_cndmask_b32_e64 v36, 0, 1, s[2:3]
	s_and_b64 s[2:3], s[6:7], s[14:15]
	v_cmp_eq_u32_e64 s[34:35], 0, v1
	v_cmp_eq_u32_e64 s[38:39], 1, v1
	;; [unrolled: 1-line block ×4, first 2 shown]
	v_cndmask_b32_e64 v1, 0, 1, s[2:3]
	s_and_b64 s[2:3], s[6:7], s[18:19]
	v_cmp_eq_u32_e64 s[24:25], v2, v26
	v_cndmask_b32_e64 v2, 0, 1, s[2:3]
	s_and_b64 s[2:3], s[6:7], s[20:21]
	s_bcnt1_i32_b64 s12, s[36:37]
	v_cmp_ne_u32_e64 s[36:37], 0, v3
	v_cndmask_b32_e64 v3, 0, 1, s[2:3]
	s_and_b64 s[2:3], s[6:7], s[22:23]
	v_cmp_ne_u32_e64 s[14:15], 0, v4
	v_cndmask_b32_e64 v4, 0, 1, s[2:3]
	s_and_b64 s[2:3], s[24:25], s[34:35]
	;; [unrolled: 3-line block ×3, first 2 shown]
	v_cmp_ne_u32_e64 s[30:31], 0, v37
	v_cmp_ne_u32_e64 s[18:19], 0, v6
	s_bcnt1_i32_b64 s23, s[14:15]
	v_cmp_ne_u32_e64 s[14:15], 0, v2
	v_cndmask_b32_e64 v2, 0, 1, s[2:3]
	s_and_b64 s[2:3], s[24:25], s[40:41]
	s_bcnt1_i32_b64 s13, s[26:27]
	s_bcnt1_i32_b64 s26, s[28:29]
	;; [unrolled: 1-line block ×3, first 2 shown]
	v_cmp_ne_u32_e64 s[20:21], 0, v36
	s_bcnt1_i32_b64 s28, s[18:19]
	v_cmp_ne_u32_e64 s[18:19], 0, v3
	v_cndmask_b32_e64 v3, 0, 1, s[2:3]
	s_and_b64 s[2:3], s[24:25], s[42:43]
	s_bcnt1_i32_b64 s22, s[36:37]
	s_add_i32 s12, s52, s12
	s_add_i32 s13, s51, s13
	;; [unrolled: 1-line block ×3, first 2 shown]
	s_bcnt1_i32_b64 s29, s[20:21]
	v_cmp_ne_u32_e64 s[20:21], 0, v4
	v_cndmask_b32_e64 v4, 0, 1, s[2:3]
	s_add_i32 s2, s49, s27
	s_bcnt1_i32_b64 s3, s[6:7]
	v_cmp_ne_u32_e64 s[6:7], 0, v1
	s_add_i32 s12, s12, s22
	s_bcnt1_i32_b64 s22, s[14:15]
	v_cmp_ne_u32_e64 s[14:15], 0, v2
	;; [unrolled: 3-line block ×4, first 2 shown]
	s_add_i32 s2, s2, s29
	s_bcnt1_i32_b64 s6, s[6:7]
	s_add_i32 s3, s12, s3
	s_bcnt1_i32_b64 s7, s[14:15]
	;; [unrolled: 2-line block ×4, first 2 shown]
	s_add_i32 s2, s2, s25
	s_add_i32 s52, s3, s6
	;; [unrolled: 1-line block ×5, first 2 shown]
	s_or_b64 s[46:47], vcc, s[46:47]
	v_mov_b32_e32 v1, s52
	v_mov_b32_e32 v2, s51
	;; [unrolled: 1-line block ×4, first 2 shown]
	s_andn2_b64 exec, exec, s[46:47]
	s_cbranch_execnz .LBB89_50
; %bb.51:                               ;   in Loop: Header=BB89_11 Depth=1
	s_or_b64 exec, exec, s[46:47]
.LBB89_52:                              ;   in Loop: Header=BB89_11 Depth=1
	s_or_b64 exec, exec, s[44:45]
	s_and_saveexec_b64 s[14:15], s[10:11]
	s_cbranch_execz .LBB89_58
; %bb.53:                               ;   in Loop: Header=BB89_11 Depth=1
	global_load_dword v36, v[10:11], off
	s_mov_b64 s[18:19], 0
	v_mov_b32_e32 v6, v29
	v_mov_b32_e32 v13, v23
	s_branch .LBB89_55
.LBB89_54:                              ;   in Loop: Header=BB89_55 Depth=2
	s_or_b64 exec, exec, s[20:21]
	s_waitcnt vmcnt(0)
	v_xor_b32_e32 v36, 0x80000000, v36
	s_and_b64 s[2:3], exec, vcc
	v_and_b32_e32 v38, v36, v34
	v_bfe_u32 v36, v36, v32, 2
	s_or_b64 s[18:19], s[2:3], s[18:19]
	v_cmp_eq_u32_e32 vcc, v38, v26
	v_cmp_eq_u32_e64 s[6:7], 0, v36
	s_and_b64 s[2:3], vcc, s[6:7]
	v_cndmask_b32_e64 v38, 0, 1, s[2:3]
	v_cmp_ne_u32_e64 s[6:7], 0, v38
	s_bcnt1_i32_b64 s2, s[6:7]
	v_cmp_eq_u32_e64 s[6:7], 1, v36
	v_add_u32_e32 v1, s2, v1
	s_and_b64 s[2:3], vcc, s[6:7]
	v_cndmask_b32_e64 v38, 0, 1, s[2:3]
	v_cmp_ne_u32_e64 s[6:7], 0, v38
	s_bcnt1_i32_b64 s2, s[6:7]
	v_cmp_eq_u32_e64 s[6:7], 2, v36
	v_add_u32_e32 v2, s2, v2
	s_and_b64 s[2:3], vcc, s[6:7]
	v_cndmask_b32_e64 v38, 0, 1, s[2:3]
	v_cmp_ne_u32_e64 s[6:7], 0, v38
	s_bcnt1_i32_b64 s2, s[6:7]
	v_cmp_eq_u32_e64 s[6:7], 3, v36
	v_add_u32_e32 v3, s2, v3
	s_and_b64 s[2:3], vcc, s[6:7]
	v_cndmask_b32_e64 v36, 0, 1, s[2:3]
	v_cmp_ne_u32_e32 vcc, 0, v36
	s_bcnt1_i32_b64 s2, vcc
	v_add_u32_e32 v4, s2, v4
	v_add_u32_e32 v6, s66, v6
	v_mov_b32_e32 v36, v37
	s_andn2_b64 exec, exec, s[18:19]
	s_cbranch_execz .LBB89_57
.LBB89_55:                              ;   Parent Loop BB89_11 Depth=1
                                        ; =>  This Inner Loop Header: Depth=2
	v_add_u32_e32 v13, s59, v13
	v_cmp_gt_u32_e64 s[6:7], s56, v13
	v_cmp_le_u32_e32 vcc, s56, v13
	v_mov_b32_e32 v37, 0
	s_and_saveexec_b64 s[20:21], s[6:7]
	s_cbranch_execz .LBB89_54
; %bb.56:                               ;   in Loop: Header=BB89_55 Depth=2
	v_lshlrev_b64 v[37:38], 2, v[6:7]
	v_mov_b32_e32 v39, s65
	v_add_co_u32_e64 v37, s[6:7], s63, v37
	v_addc_co_u32_e64 v38, s[6:7], v39, v38, s[6:7]
	global_load_dword v37, v[37:38], off
	s_branch .LBB89_54
.LBB89_57:                              ;   in Loop: Header=BB89_11 Depth=1
	s_or_b64 exec, exec, s[18:19]
.LBB89_58:                              ;   in Loop: Header=BB89_11 Depth=1
	s_or_b64 exec, exec, s[14:15]
	s_branch .LBB89_40
.LBB89_59:                              ;   in Loop: Header=BB89_11 Depth=1
	s_mul_hi_u32 s2, s78, s57
	s_mul_i32 s2, s2, s67
	s_sub_i32 s2, s78, s2
	s_sub_i32 s3, s2, s67
	s_cmp_ge_u32 s2, s67
	s_cselect_b32 s2, s3, s2
	s_sub_i32 s3, s2, s67
	s_cmp_ge_u32 s2, s67
	s_cselect_b32 s2, s3, s2
	s_sub_i32 s79, s78, s2
	v_cmp_gt_u32_e32 vcc, s79, v15
	v_mov_b32_e32 v1, 0
	v_mov_b32_e32 v2, 0
	;; [unrolled: 1-line block ×4, first 2 shown]
	s_and_saveexec_b64 s[94:95], vcc
	s_cbranch_execz .LBB89_63
; %bb.60:                               ;   in Loop: Header=BB89_11 Depth=1
	s_mov_b32 s2, 0
	s_mov_b64 s[60:61], 0
	v_mov_b32_e32 v6, v30
	s_mov_b32 s3, 0
	s_mov_b32 s12, 0
	;; [unrolled: 1-line block ×3, first 2 shown]
	v_mov_b32_e32 v13, v15
.LBB89_61:                              ;   Parent Loop BB89_11 Depth=1
                                        ; =>  This Inner Loop Header: Depth=2
	ds_read_b128 v[1:4], v6
	v_add_u32_e32 v13, s67, v13
	v_cmp_le_u32_e32 vcc, s79, v13
	v_add_u32_e32 v6, s77, v6
	s_waitcnt lgkmcnt(0)
	v_xor_b32_e32 v1, 0x80000000, v1
	v_xor_b32_e32 v2, 0x80000000, v2
	v_and_b32_e32 v36, v1, v34
	v_bfe_u32 v1, v1, v32, 2
	v_xor_b32_e32 v3, 0x80000000, v3
	v_and_b32_e32 v37, v2, v34
	v_bfe_u32 v2, v2, v32, 2
	v_cmp_eq_u32_e64 s[6:7], v36, v26
	v_cmp_eq_u32_e64 s[22:23], 0, v1
	v_xor_b32_e32 v4, 0x80000000, v4
	v_and_b32_e32 v38, v3, v34
	v_bfe_u32 v3, v3, v32, 2
	v_cmp_eq_u32_e64 s[14:15], v37, v26
	v_cmp_eq_u32_e64 s[24:25], 0, v2
	s_and_b64 s[22:23], s[6:7], s[22:23]
	v_and_b32_e32 v39, v4, v34
	v_bfe_u32 v4, v4, v32, 2
	v_cmp_eq_u32_e64 s[18:19], v38, v26
	v_cmp_eq_u32_e64 s[26:27], 0, v3
	;; [unrolled: 1-line block ×5, first 2 shown]
	v_cndmask_b32_e64 v1, 0, 1, s[22:23]
	s_and_b64 s[22:23], s[14:15], s[24:25]
	v_cmp_eq_u32_e64 s[20:21], v39, v26
	v_cmp_eq_u32_e64 s[28:29], 0, v4
	;; [unrolled: 1-line block ×5, first 2 shown]
	v_cndmask_b32_e64 v2, 0, 1, s[22:23]
	s_and_b64 s[22:23], s[18:19], s[26:27]
	v_cmp_eq_u32_e64 s[36:37], 1, v3
	v_cmp_eq_u32_e64 s[44:45], 2, v3
	;; [unrolled: 1-line block ×3, first 2 shown]
	v_cndmask_b32_e64 v3, 0, 1, s[22:23]
	s_and_b64 s[22:23], s[20:21], s[28:29]
	v_cmp_eq_u32_e64 s[38:39], 1, v4
	v_cmp_eq_u32_e64 s[46:47], 2, v4
	;; [unrolled: 1-line block ×3, first 2 shown]
	v_cndmask_b32_e64 v4, 0, 1, s[22:23]
	s_and_b64 s[22:23], s[6:7], s[30:31]
	v_cndmask_b32_e64 v36, 0, 1, s[22:23]
	s_and_b64 s[22:23], s[14:15], s[34:35]
	;; [unrolled: 2-line block ×5, first 2 shown]
	s_and_b64 s[6:7], s[6:7], s[48:49]
	v_cndmask_b32_e64 v40, 0, 1, s[22:23]
	s_and_b64 s[22:23], s[14:15], s[42:43]
	v_cndmask_b32_e64 v44, 0, 1, s[6:7]
	;; [unrolled: 2-line block ×7, first 2 shown]
	v_cndmask_b32_e64 v47, 0, 1, s[6:7]
	v_cmp_ne_u32_e64 s[6:7], 0, v1
	v_cmp_ne_u32_e64 s[14:15], 0, v2
	v_cmp_ne_u32_e64 s[18:19], 0, v3
	v_cmp_ne_u32_e64 s[20:21], 0, v4
	v_cmp_ne_u32_e64 s[22:23], 0, v36
	v_cmp_ne_u32_e64 s[26:27], 0, v38
	v_cmp_ne_u32_e64 s[30:31], 0, v40
	v_cmp_ne_u32_e64 s[40:41], 0, v44
	v_cmp_ne_u32_e64 s[24:25], 0, v37
	v_cmp_ne_u32_e64 s[34:35], 0, v41
	v_cmp_ne_u32_e64 s[42:43], 0, v45
	s_bcnt1_i32_b64 s6, s[6:7]
	s_bcnt1_i32_b64 s7, s[14:15]
	;; [unrolled: 1-line block ×8, first 2 shown]
	v_cmp_ne_u32_e64 s[28:29], 0, v39
	v_cmp_ne_u32_e64 s[36:37], 0, v42
	;; [unrolled: 1-line block ×3, first 2 shown]
	s_bcnt1_i32_b64 s19, s[24:25]
	s_bcnt1_i32_b64 s23, s[34:35]
	;; [unrolled: 1-line block ×3, first 2 shown]
	s_add_i32 s6, s13, s6
	s_add_i32 s12, s12, s18
	;; [unrolled: 1-line block ×4, first 2 shown]
	v_cmp_ne_u32_e64 s[38:39], 0, v43
	v_cmp_ne_u32_e64 s[46:47], 0, v47
	s_bcnt1_i32_b64 s21, s[28:29]
	s_bcnt1_i32_b64 s24, s[36:37]
	;; [unrolled: 1-line block ×3, first 2 shown]
	s_add_i32 s6, s6, s7
	s_add_i32 s7, s12, s19
	;; [unrolled: 1-line block ×4, first 2 shown]
	s_bcnt1_i32_b64 s25, s[38:39]
	s_bcnt1_i32_b64 s29, s[46:47]
	s_add_i32 s6, s6, s14
	s_add_i32 s7, s7, s20
	;; [unrolled: 1-line block ×8, first 2 shown]
	s_or_b64 s[60:61], vcc, s[60:61]
	v_mov_b32_e32 v1, s13
	v_mov_b32_e32 v2, s12
	;; [unrolled: 1-line block ×4, first 2 shown]
	s_andn2_b64 exec, exec, s[60:61]
	s_cbranch_execnz .LBB89_61
; %bb.62:                               ;   in Loop: Header=BB89_11 Depth=1
	s_or_b64 exec, exec, s[60:61]
.LBB89_63:                              ;   in Loop: Header=BB89_11 Depth=1
	s_or_b64 exec, exec, s[94:95]
	v_add_u32_e32 v6, s79, v0
	v_cmp_gt_u32_e32 vcc, s78, v6
	s_and_saveexec_b64 s[24:25], vcc
	s_cbranch_execz .LBB89_67
; %bb.64:                               ;   in Loop: Header=BB89_11 Depth=1
	v_lshlrev_b32_e32 v13, 2, v6
	s_mov_b64 s[26:27], 0
.LBB89_65:                              ;   Parent Loop BB89_11 Depth=1
                                        ; =>  This Inner Loop Header: Depth=2
	ds_read_b32 v36, v13
	v_add_u32_e32 v6, s59, v6
	v_cmp_le_u32_e32 vcc, s78, v6
	v_add_u32_e32 v13, s67, v13
	s_waitcnt lgkmcnt(0)
	v_xor_b32_e32 v36, 0x80000000, v36
	v_and_b32_e32 v37, v36, v34
	v_bfe_u32 v36, v36, v32, 2
	v_cmp_eq_u32_e64 s[6:7], v37, v26
	v_cmp_eq_u32_e64 s[14:15], 0, v36
	;; [unrolled: 1-line block ×3, first 2 shown]
	s_and_b64 s[2:3], s[6:7], s[14:15]
	v_cmp_eq_u32_e64 s[20:21], 2, v36
	v_cmp_eq_u32_e64 s[22:23], 3, v36
	v_cndmask_b32_e64 v36, 0, 1, s[2:3]
	s_and_b64 s[2:3], s[6:7], s[18:19]
	v_cndmask_b32_e64 v37, 0, 1, s[2:3]
	s_and_b64 s[2:3], s[6:7], s[20:21]
	;; [unrolled: 2-line block ×3, first 2 shown]
	v_cndmask_b32_e64 v39, 0, 1, s[2:3]
	v_cmp_ne_u32_e64 s[6:7], 0, v36
	v_cmp_ne_u32_e64 s[14:15], 0, v37
	;; [unrolled: 1-line block ×4, first 2 shown]
	s_bcnt1_i32_b64 s2, s[6:7]
	s_bcnt1_i32_b64 s3, s[14:15]
	;; [unrolled: 1-line block ×4, first 2 shown]
	v_add_u32_e32 v1, s2, v1
	v_add_u32_e32 v2, s3, v2
	v_add_u32_e32 v3, s6, v3
	s_or_b64 s[26:27], vcc, s[26:27]
	v_add_u32_e32 v4, s7, v4
	s_andn2_b64 exec, exec, s[26:27]
	s_cbranch_execnz .LBB89_65
; %bb.66:                               ;   in Loop: Header=BB89_11 Depth=1
	s_or_b64 exec, exec, s[26:27]
.LBB89_67:                              ;   in Loop: Header=BB89_11 Depth=1
	s_or_b64 exec, exec, s[24:25]
	v_lshlrev_b32_e32 v6, 6, v33
	s_and_saveexec_b64 s[6:7], s[4:5]
	s_cbranch_execnz .LBB89_41
	s_branch .LBB89_42
.LBB89_68:                              ;   in Loop: Header=BB89_11 Depth=1
	v_mov_b32_e32 v1, 0
	s_mov_b32 s2, 0
.LBB89_69:                              ;   in Loop: Header=BB89_11 Depth=1
	v_readlane_b32 s12, v48, 20
	v_readlane_b32 s13, v48, 21
	s_andn2_b64 vcc, exec, s[12:13]
	s_cbranch_vccnz .LBB89_72
; %bb.70:                               ;   in Loop: Header=BB89_11 Depth=1
	v_lshlrev_b32_e32 v2, 8, v33
	s_lshl_b32 s2, s2, 4
	v_add_u32_e32 v2, s2, v2
	v_add_u32_e32 v2, v31, v2
	v_readlane_b32 s2, v48, 19
.LBB89_71:                              ;   Parent Loop BB89_11 Depth=1
                                        ; =>  This Inner Loop Header: Depth=2
	ds_read_b32 v3, v2
	s_add_i32 s2, s2, -1
	v_add_u32_e32 v2, 16, v2
	s_cmp_lg_u32 s2, 0
	s_waitcnt lgkmcnt(0)
	v_add_u32_e32 v1, v3, v1
	s_cbranch_scc1 .LBB89_71
.LBB89_72:                              ;   in Loop: Header=BB89_11 Depth=1
	v_add_lshl_u32 v2, v6, v16, 2
	ds_write_b32 v2, v1 offset:3072
.LBB89_73:                              ;   in Loop: Header=BB89_11 Depth=1
	s_or_b64 exec, exec, s[6:7]
	v_lshlrev_b32_e32 v1, 2, v6
	s_waitcnt lgkmcnt(0)
	s_barrier
	ds_read_b128 v[1:4], v1 offset:3072
	v_cmp_eq_u32_e32 vcc, 1, v35
	s_mov_b64 s[14:15], -1
	s_mov_b64 s[24:25], -1
                                        ; implicit-def: $sgpr22_sgpr23
                                        ; implicit-def: $sgpr20_sgpr21
	s_waitcnt lgkmcnt(0)
	v_readfirstlane_b32 s38, v1
	s_cmp_eq_u32 s38, 1
	v_lshlrev_b32_e64 v1, v32, 3
	s_cselect_b64 s[2:3], -1, 0
	v_readfirstlane_b32 s42, v2
	v_readfirstlane_b32 s50, v3
	;; [unrolled: 1-line block ×3, first 2 shown]
	v_not_b32_e32 v3, v1
	s_and_b64 s[18:19], s[2:3], vcc
	s_and_saveexec_b64 s[6:7], s[18:19]
	s_cbranch_execz .LBB89_99
; %bb.74:                               ;   in Loop: Header=BB89_11 Depth=1
	ds_read_b32 v2, v7 offset:4104
	s_waitcnt lgkmcnt(0)
	s_barrier
	v_readfirstlane_b32 s2, v2
	s_and_saveexec_b64 s[20:21], s[16:17]
; %bb.75:                               ;   in Loop: Header=BB89_11 Depth=1
	ds_write_b32 v17, v7
; %bb.76:                               ;   in Loop: Header=BB89_11 Depth=1
	s_or_b64 exec, exec, s[20:21]
	v_and_b32_e32 v26, v26, v3
	v_or_b32_e32 v34, v34, v1
	s_mov_b64 s[20:21], -1
	s_mov_b64 s[22:23], 0
	s_cmp_eq_u32 s2, 0
	s_mov_b64 s[24:25], 0
	s_mov_b64 s[26:27], -1
	s_waitcnt lgkmcnt(0)
	s_barrier
                                        ; implicit-def: $vgpr14
	s_cbranch_scc1 .LBB89_87
; %bb.77:                               ;   in Loop: Header=BB89_11 Depth=1
	s_add_i32 s3, s2, s64
	s_mul_hi_u32 s12, s3, s75
	s_mul_i32 s12, s12, s59
	s_sub_i32 s12, s3, s12
	s_sub_i32 s13, s12, s59
	s_cmp_ge_u32 s12, s59
	s_cselect_b32 s12, s13, s12
	s_sub_i32 s13, s12, s59
	s_cmp_ge_u32 s12, s59
	s_cselect_b32 s12, s13, s12
	s_sub_i32 s3, s3, s12
	v_cmp_gt_u32_e32 vcc, s3, v0
	s_mov_b64 s[26:27], 0
                                        ; implicit-def: $vgpr14
	s_and_saveexec_b64 s[28:29], vcc
	s_cbranch_execz .LBB89_86
; %bb.78:                               ;   in Loop: Header=BB89_11 Depth=1
	v_mov_b32_e32 v2, v15
	v_mov_b32_e32 v4, v0
                                        ; implicit-def: $sgpr30_sgpr31
	s_branch .LBB89_81
.LBB89_79:                              ;   in Loop: Header=BB89_81 Depth=2
	s_or_b64 exec, exec, s[34:35]
	s_waitcnt lgkmcnt(0)
	s_barrier
	ds_read_b64 v[13:14], v7 offset:3072
	s_mov_b64 s[34:35], -1
	s_mov_b64 s[36:37], -1
	s_waitcnt lgkmcnt(0)
	s_barrier
	v_cmp_ne_u32_e32 vcc, 0, v13
	s_cbranch_vccz .LBB89_84
.LBB89_80:                              ;   in Loop: Header=BB89_81 Depth=2
	s_and_b64 s[12:13], exec, s[34:35]
	s_or_b64 s[24:25], s[12:13], s[24:25]
	s_andn2_b64 s[12:13], s[30:31], exec
	s_and_b64 s[30:31], s[36:37], exec
	s_or_b64 s[30:31], s[12:13], s[30:31]
	s_andn2_b64 exec, exec, s[24:25]
	s_cbranch_execz .LBB89_85
.LBB89_81:                              ;   Parent Loop BB89_11 Depth=1
                                        ; =>  This Inner Loop Header: Depth=2
	v_cmp_gt_u32_e32 vcc, s2, v4
	s_and_saveexec_b64 s[34:35], vcc
	s_cbranch_execz .LBB89_79
; %bb.82:                               ;   in Loop: Header=BB89_81 Depth=2
	ds_read_b32 v13, v2
	s_waitcnt lgkmcnt(0)
	v_xor_b32_e32 v6, 0x80000000, v13
	v_and_b32_e32 v6, v6, v34
	v_cmp_eq_u32_e32 vcc, v6, v26
	s_and_b64 exec, exec, vcc
	s_cbranch_execz .LBB89_79
; %bb.83:                               ;   in Loop: Header=BB89_81 Depth=2
	ds_write_b64 v7, v[12:13] offset:3072
	s_branch .LBB89_79
.LBB89_84:                              ;   in Loop: Header=BB89_81 Depth=2
	v_add_u32_e32 v4, s59, v4
	v_cmp_le_u32_e32 vcc, s3, v4
	v_add_u32_e32 v2, s67, v2
	s_mov_b64 s[36:37], 0
	s_orn2_b64 s[34:35], vcc, exec
	s_branch .LBB89_80
.LBB89_85:                              ;   in Loop: Header=BB89_11 Depth=1
	s_or_b64 exec, exec, s[24:25]
	s_and_b64 s[24:25], s[30:31], exec
.LBB89_86:                              ;   in Loop: Header=BB89_11 Depth=1
	s_or_b64 exec, exec, s[28:29]
.LBB89_87:                              ;   in Loop: Header=BB89_11 Depth=1
	s_and_b64 vcc, exec, s[26:27]
	s_cbranch_vccz .LBB89_98
; %bb.88:                               ;   in Loop: Header=BB89_11 Depth=1
                                        ; implicit-def: $vgpr14
	s_mov_b64 s[20:21], exec
	v_readlane_b32 s2, v48, 22
	v_readlane_b32 s3, v48, 23
	s_and_b64 s[2:3], s[20:21], s[2:3]
	s_mov_b64 exec, s[2:3]
	s_cbranch_execz .LBB89_97
; %bb.89:                               ;   in Loop: Header=BB89_11 Depth=1
	s_mov_b64 s[22:23], 0
	v_mov_b32_e32 v6, v5
	v_mov_b32_e32 v2, v0
                                        ; implicit-def: $sgpr26_sgpr27
	s_branch .LBB89_92
.LBB89_90:                              ;   in Loop: Header=BB89_92 Depth=2
	s_or_b64 exec, exec, s[28:29]
	s_waitcnt lgkmcnt(0)
	s_barrier
	ds_read_b64 v[13:14], v7 offset:3072
	s_mov_b64 s[28:29], -1
	s_mov_b64 s[30:31], -1
	s_waitcnt lgkmcnt(0)
	s_barrier
	v_cmp_ne_u32_e32 vcc, 0, v13
	s_cbranch_vccz .LBB89_95
.LBB89_91:                              ;   in Loop: Header=BB89_92 Depth=2
	s_and_b64 s[2:3], exec, s[28:29]
	s_or_b64 s[22:23], s[2:3], s[22:23]
	s_andn2_b64 s[2:3], s[26:27], exec
	s_and_b64 s[12:13], s[30:31], exec
	s_or_b64 s[26:27], s[2:3], s[12:13]
	s_andn2_b64 exec, exec, s[22:23]
	s_cbranch_execz .LBB89_96
.LBB89_92:                              ;   Parent Loop BB89_11 Depth=1
                                        ; =>  This Inner Loop Header: Depth=2
	v_cmp_gt_u32_e32 vcc, s56, v2
	s_and_saveexec_b64 s[28:29], vcc
	s_cbranch_execz .LBB89_90
; %bb.93:                               ;   in Loop: Header=BB89_92 Depth=2
	v_lshlrev_b64 v[13:14], 2, v[6:7]
	v_mov_b32_e32 v4, s65
	v_add_co_u32_e32 v13, vcc, s63, v13
	v_addc_co_u32_e32 v14, vcc, v4, v14, vcc
	global_load_dword v13, v[13:14], off
	s_waitcnt vmcnt(0)
	v_xor_b32_e32 v4, 0x80000000, v13
	v_and_b32_e32 v4, v4, v34
	v_cmp_eq_u32_e32 vcc, v4, v26
	s_and_b64 exec, exec, vcc
	s_cbranch_execz .LBB89_90
; %bb.94:                               ;   in Loop: Header=BB89_92 Depth=2
	ds_write_b64 v7, v[12:13] offset:3072
	s_branch .LBB89_90
.LBB89_95:                              ;   in Loop: Header=BB89_92 Depth=2
	v_add_u32_e32 v2, s59, v2
	v_cmp_le_u32_e32 vcc, s33, v2
	v_add_u32_e32 v6, s66, v6
	s_mov_b64 s[30:31], 0
	s_orn2_b64 s[28:29], vcc, exec
	s_branch .LBB89_91
.LBB89_96:                              ;   in Loop: Header=BB89_11 Depth=1
	s_or_b64 exec, exec, s[22:23]
	s_andn2_b64 s[2:3], s[24:25], exec
	s_and_b64 s[12:13], s[26:27], exec
	s_or_b64 s[24:25], s[2:3], s[12:13]
.LBB89_97:                              ;   in Loop: Header=BB89_11 Depth=1
	s_or_b64 exec, exec, s[20:21]
	s_mov_b64 s[20:21], 0
	s_mov_b64 s[22:23], -1
.LBB89_98:                              ;   in Loop: Header=BB89_11 Depth=1
	s_orn2_b64 s[24:25], s[24:25], exec
.LBB89_99:                              ;   in Loop: Header=BB89_11 Depth=1
	s_or_b64 exec, exec, s[6:7]
	s_andn2_b64 s[2:3], s[92:93], exec
	s_and_b64 s[6:7], s[22:23], exec
	s_or_b64 s[92:93], s[2:3], s[6:7]
	s_andn2_b64 s[2:3], s[90:91], exec
	s_and_b64 s[6:7], s[20:21], exec
	s_andn2_b64 s[88:89], s[88:89], exec
	s_or_b64 s[90:91], s[2:3], s[6:7]
                                        ; implicit-def: $vgpr4
	s_and_saveexec_b64 s[6:7], s[24:25]
	s_cbranch_execz .LBB89_10
; %bb.100:                              ;   in Loop: Header=BB89_11 Depth=1
	s_xor_b64 s[2:3], s[18:19], -1
	s_mov_b64 s[18:19], 0
	v_mov_b32_e32 v4, 1
	v_mov_b32_e32 v2, 1
	s_and_saveexec_b64 s[14:15], s[2:3]
	s_cbranch_execz .LBB89_109
; %bb.101:                              ;   in Loop: Header=BB89_11 Depth=1
	v_cmp_ge_u32_e32 vcc, s38, v35
	s_and_saveexec_b64 s[2:3], vcc
	s_xor_b64 s[18:19], exec, s[2:3]
	s_cbranch_execz .LBB89_106
; %bb.102:                              ;   in Loop: Header=BB89_11 Depth=1
	ds_read_b32 v2, v7 offset:4104
	v_and_b32_e32 v26, v26, v3
	v_or_b32_e32 v34, v34, v1
	s_waitcnt lgkmcnt(0)
	v_cmp_ne_u32_e32 vcc, 0, v2
	s_cbranch_vccnz .LBB89_106
; %bb.103:                              ;   in Loop: Header=BB89_11 Depth=1
	s_and_saveexec_b64 s[20:21], s[0:1]
; %bb.104:                              ;   in Loop: Header=BB89_11 Depth=1
	v_mov_b32_e32 v2, s38
	ds_write_b32 v7, v2 offset:4108
; %bb.105:                              ;   in Loop: Header=BB89_11 Depth=1
	s_or_b64 exec, exec, s[20:21]
	s_waitcnt lgkmcnt(0)
	s_barrier
.LBB89_106:                             ;   in Loop: Header=BB89_11 Depth=1
	s_or_saveexec_b64 s[18:19], s[18:19]
	s_mov_b64 s[20:21], 0
	v_mov_b32_e32 v2, 8
	s_xor_b64 exec, exec, s[18:19]
; %bb.107:                              ;   in Loop: Header=BB89_11 Depth=1
	s_mov_b64 s[20:21], exec
	v_subrev_u32_e32 v35, s38, v35
	v_mov_b32_e32 v2, 0
; %bb.108:                              ;   in Loop: Header=BB89_11 Depth=1
	s_or_b64 exec, exec, s[18:19]
	s_and_b64 s[18:19], s[20:21], exec
	v_mov_b32_e32 v4, v35
.LBB89_109:                             ;   in Loop: Header=BB89_11 Depth=1
	s_or_b64 exec, exec, s[14:15]
	s_mov_b64 s[14:15], -1
	s_mov_b64 s[24:25], -1
                                        ; implicit-def: $sgpr20_sgpr21
                                        ; implicit-def: $sgpr22_sgpr23
	s_and_saveexec_b64 s[2:3], s[18:19]
	s_xor_b64 s[18:19], exec, s[2:3]
	s_cbranch_execz .LBB89_229
; %bb.110:                              ;   in Loop: Header=BB89_11 Depth=1
	s_cmp_eq_u32 s42, 1
	s_cselect_b64 s[2:3], -1, 0
	v_cmp_eq_u32_e32 vcc, 1, v4
	s_and_b64 s[26:27], s[2:3], vcc
	s_mov_b64 s[28:29], -1
                                        ; implicit-def: $sgpr22_sgpr23
                                        ; implicit-def: $sgpr20_sgpr21
	s_and_saveexec_b64 s[24:25], s[26:27]
	s_cbranch_execz .LBB89_139
; %bb.111:                              ;   in Loop: Header=BB89_11 Depth=1
	ds_read_b32 v6, v7 offset:4104
	s_waitcnt lgkmcnt(0)
	s_barrier
	v_readfirstlane_b32 s2, v6
	s_and_saveexec_b64 s[20:21], s[16:17]
; %bb.112:                              ;   in Loop: Header=BB89_11 Depth=1
	ds_write_b32 v17, v7
; %bb.113:                              ;   in Loop: Header=BB89_11 Depth=1
	s_or_b64 exec, exec, s[20:21]
	v_and_b32_e32 v6, v26, v3
	v_lshl_or_b32 v26, 1, v32, v6
	v_or_b32_e32 v34, v34, v1
	s_mov_b64 s[20:21], -1
	s_mov_b64 s[22:23], 0
	s_cmp_eq_u32 s2, 0
	s_mov_b64 s[28:29], 0
	s_mov_b64 s[30:31], -1
	s_waitcnt lgkmcnt(0)
	s_barrier
                                        ; implicit-def: $vgpr14
	s_cbranch_scc1 .LBB89_127
; %bb.114:                              ;   in Loop: Header=BB89_11 Depth=1
	s_add_i32 s3, s2, s64
	s_mul_hi_u32 s12, s3, s75
	s_mul_i32 s12, s12, s59
	s_sub_i32 s12, s3, s12
	s_sub_i32 s13, s12, s59
	s_cmp_ge_u32 s12, s59
	s_cselect_b32 s12, s13, s12
	s_sub_i32 s13, s12, s59
	s_cmp_ge_u32 s12, s59
	s_cselect_b32 s12, s13, s12
	s_sub_i32 s3, s3, s12
	v_cmp_gt_u32_e32 vcc, s3, v0
	s_mov_b64 s[30:31], 0
                                        ; implicit-def: $vgpr14
	s_and_saveexec_b64 s[34:35], vcc
	s_cbranch_execz .LBB89_126
; %bb.115:                              ;   in Loop: Header=BB89_11 Depth=1
	v_mov_b32_e32 v6, v15
	v_mov_b32_e32 v35, v0
                                        ; implicit-def: $sgpr36_sgpr37
	s_branch .LBB89_118
.LBB89_116:                             ;   in Loop: Header=BB89_118 Depth=2
	s_or_b64 exec, exec, s[38:39]
	s_waitcnt lgkmcnt(0)
	s_barrier
	ds_read_b64 v[13:14], v7 offset:3072
	s_mov_b64 s[38:39], -1
	s_mov_b64 s[40:41], -1
	s_waitcnt lgkmcnt(0)
	s_barrier
	v_cmp_ne_u32_e32 vcc, 0, v13
	s_cbranch_vccz .LBB89_121
.LBB89_117:                             ;   in Loop: Header=BB89_118 Depth=2
	s_and_b64 s[12:13], exec, s[38:39]
	s_or_b64 s[28:29], s[12:13], s[28:29]
	s_andn2_b64 s[12:13], s[36:37], exec
	s_and_b64 s[36:37], s[40:41], exec
	s_or_b64 s[36:37], s[12:13], s[36:37]
	s_andn2_b64 exec, exec, s[28:29]
	s_cbranch_execz .LBB89_125
.LBB89_118:                             ;   Parent Loop BB89_11 Depth=1
                                        ; =>  This Inner Loop Header: Depth=2
	v_cmp_gt_u32_e32 vcc, s2, v35
	s_and_saveexec_b64 s[38:39], vcc
	s_cbranch_execz .LBB89_116
; %bb.119:                              ;   in Loop: Header=BB89_118 Depth=2
	ds_read_b32 v13, v6
	s_waitcnt lgkmcnt(0)
	v_xor_b32_e32 v14, 0x80000000, v13
	v_and_b32_e32 v14, v14, v34
	v_cmp_eq_u32_e32 vcc, v14, v26
	s_and_b64 exec, exec, vcc
	s_cbranch_execz .LBB89_116
; %bb.120:                              ;   in Loop: Header=BB89_118 Depth=2
	ds_write_b64 v7, v[12:13] offset:3072
	s_branch .LBB89_116
.LBB89_121:                             ;   in Loop: Header=BB89_118 Depth=2
	v_add_u32_e32 v35, s59, v35
	v_cmp_le_u32_e32 vcc, s3, v35
	v_add_u32_e32 v6, s67, v6
	s_mov_b64 s[40:41], 0
	s_orn2_b64 s[38:39], vcc, exec
	s_branch .LBB89_117
.LBB89_122:                             ;   in Loop: Header=BB89_11 Depth=1
	s_or_b64 exec, exec, s[20:21]
	s_waitcnt lgkmcnt(0)
	s_barrier
	s_and_saveexec_b64 s[6:7], s[0:1]
	s_cbranch_execz .LBB89_124
; %bb.123:                              ;   in Loop: Header=BB89_11 Depth=1
	ds_read_b32 v1, v7 offset:4112
	s_waitcnt lgkmcnt(0)
	ds_write_b32 v7, v1 offset:4104
.LBB89_124:                             ;   in Loop: Header=BB89_11 Depth=1
	s_or_b64 exec, exec, s[6:7]
	s_waitcnt lgkmcnt(0)
	s_barrier
	s_mov_b64 s[6:7], -1
	s_and_b64 vcc, exec, s[18:19]
	s_cbranch_vccnz .LBB89_27
	s_branch .LBB89_36
.LBB89_125:                             ;   in Loop: Header=BB89_11 Depth=1
	s_or_b64 exec, exec, s[28:29]
	s_and_b64 s[28:29], s[36:37], exec
.LBB89_126:                             ;   in Loop: Header=BB89_11 Depth=1
	s_or_b64 exec, exec, s[34:35]
.LBB89_127:                             ;   in Loop: Header=BB89_11 Depth=1
	s_and_b64 vcc, exec, s[30:31]
	s_cbranch_vccz .LBB89_138
; %bb.128:                              ;   in Loop: Header=BB89_11 Depth=1
                                        ; implicit-def: $vgpr14
	s_mov_b64 s[20:21], exec
	v_readlane_b32 s2, v48, 22
	v_readlane_b32 s3, v48, 23
	s_and_b64 s[2:3], s[20:21], s[2:3]
	s_mov_b64 exec, s[2:3]
	s_cbranch_execz .LBB89_137
; %bb.129:                              ;   in Loop: Header=BB89_11 Depth=1
	s_mov_b64 s[22:23], 0
	v_mov_b32_e32 v6, v5
	v_mov_b32_e32 v35, v0
                                        ; implicit-def: $sgpr30_sgpr31
	s_branch .LBB89_132
.LBB89_130:                             ;   in Loop: Header=BB89_132 Depth=2
	s_or_b64 exec, exec, s[34:35]
	s_waitcnt lgkmcnt(0)
	s_barrier
	ds_read_b64 v[13:14], v7 offset:3072
	s_mov_b64 s[34:35], -1
	s_mov_b64 s[36:37], -1
	s_waitcnt lgkmcnt(0)
	s_barrier
	v_cmp_eq_u32_e32 vcc, 0, v13
	s_cbranch_vccnz .LBB89_135
.LBB89_131:                             ;   in Loop: Header=BB89_132 Depth=2
	s_and_b64 s[2:3], exec, s[34:35]
	s_or_b64 s[22:23], s[2:3], s[22:23]
	s_andn2_b64 s[2:3], s[30:31], exec
	s_and_b64 s[12:13], s[36:37], exec
	s_or_b64 s[30:31], s[2:3], s[12:13]
	s_andn2_b64 exec, exec, s[22:23]
	s_cbranch_execz .LBB89_136
.LBB89_132:                             ;   Parent Loop BB89_11 Depth=1
                                        ; =>  This Inner Loop Header: Depth=2
	v_cmp_gt_u32_e32 vcc, s56, v35
	s_and_saveexec_b64 s[34:35], vcc
	s_cbranch_execz .LBB89_130
; %bb.133:                              ;   in Loop: Header=BB89_132 Depth=2
	v_lshlrev_b64 v[13:14], 2, v[6:7]
	v_mov_b32_e32 v36, s65
	v_add_co_u32_e32 v13, vcc, s63, v13
	v_addc_co_u32_e32 v14, vcc, v36, v14, vcc
	global_load_dword v13, v[13:14], off
	s_waitcnt vmcnt(0)
	v_xor_b32_e32 v14, 0x80000000, v13
	v_and_b32_e32 v14, v14, v34
	v_cmp_eq_u32_e32 vcc, v14, v26
	s_and_b64 exec, exec, vcc
	s_cbranch_execz .LBB89_130
; %bb.134:                              ;   in Loop: Header=BB89_132 Depth=2
	ds_write_b64 v7, v[12:13] offset:3072
	s_branch .LBB89_130
.LBB89_135:                             ;   in Loop: Header=BB89_132 Depth=2
	v_add_u32_e32 v35, s59, v35
	v_cmp_le_u32_e32 vcc, s33, v35
	v_add_u32_e32 v6, s66, v6
	s_mov_b64 s[36:37], 0
	s_orn2_b64 s[34:35], vcc, exec
	s_branch .LBB89_131
.LBB89_136:                             ;   in Loop: Header=BB89_11 Depth=1
	s_or_b64 exec, exec, s[22:23]
	s_andn2_b64 s[2:3], s[28:29], exec
	s_and_b64 s[12:13], s[30:31], exec
	s_or_b64 s[28:29], s[2:3], s[12:13]
.LBB89_137:                             ;   in Loop: Header=BB89_11 Depth=1
	s_or_b64 exec, exec, s[20:21]
	s_mov_b64 s[20:21], 0
	s_mov_b64 s[22:23], -1
.LBB89_138:                             ;   in Loop: Header=BB89_11 Depth=1
	s_orn2_b64 s[28:29], s[28:29], exec
.LBB89_139:                             ;   in Loop: Header=BB89_11 Depth=1
	s_or_b64 exec, exec, s[24:25]
	s_mov_b64 s[30:31], 0
	s_and_saveexec_b64 s[24:25], s[28:29]
	s_cbranch_execz .LBB89_228
; %bb.140:                              ;   in Loop: Header=BB89_11 Depth=1
	s_xor_b64 s[2:3], s[26:27], -1
	s_mov_b64 s[36:37], 0
	v_mov_b32_e32 v35, 1
	v_mov_b32_e32 v2, 1
	s_and_saveexec_b64 s[26:27], s[2:3]
	s_cbranch_execz .LBB89_149
; %bb.141:                              ;   in Loop: Header=BB89_11 Depth=1
	v_cmp_ge_u32_e32 vcc, s42, v4
	s_and_saveexec_b64 s[2:3], vcc
	s_xor_b64 s[28:29], exec, s[2:3]
	s_cbranch_execz .LBB89_146
; %bb.142:                              ;   in Loop: Header=BB89_11 Depth=1
	ds_read_b32 v2, v7 offset:4104
	v_and_b32_e32 v6, v26, v3
	v_lshl_or_b32 v26, 1, v32, v6
	v_or_b32_e32 v34, v34, v1
	s_waitcnt lgkmcnt(0)
	v_cmp_ne_u32_e32 vcc, 0, v2
	s_cbranch_vccnz .LBB89_146
; %bb.143:                              ;   in Loop: Header=BB89_11 Depth=1
	s_and_saveexec_b64 s[30:31], s[0:1]
; %bb.144:                              ;   in Loop: Header=BB89_11 Depth=1
	v_mov_b32_e32 v2, s42
	ds_write_b32 v7, v2 offset:4108
; %bb.145:                              ;   in Loop: Header=BB89_11 Depth=1
	s_or_b64 exec, exec, s[30:31]
	s_waitcnt lgkmcnt(0)
	s_barrier
.LBB89_146:                             ;   in Loop: Header=BB89_11 Depth=1
	s_or_saveexec_b64 s[28:29], s[28:29]
	s_mov_b64 s[30:31], 0
	v_mov_b32_e32 v2, 8
	s_xor_b64 exec, exec, s[28:29]
; %bb.147:                              ;   in Loop: Header=BB89_11 Depth=1
	s_mov_b64 s[30:31], exec
	v_subrev_u32_e32 v4, s42, v4
	v_mov_b32_e32 v2, 0
; %bb.148:                              ;   in Loop: Header=BB89_11 Depth=1
	s_or_b64 exec, exec, s[28:29]
	s_and_b64 s[36:37], s[30:31], exec
	v_mov_b32_e32 v35, v4
.LBB89_149:                             ;   in Loop: Header=BB89_11 Depth=1
	s_or_b64 exec, exec, s[26:27]
	s_mov_b64 s[34:35], -1
                                        ; implicit-def: $sgpr28_sgpr29
                                        ; implicit-def: $sgpr30_sgpr31
	s_and_saveexec_b64 s[26:27], s[36:37]
	s_cbranch_execz .LBB89_227
; %bb.150:                              ;   in Loop: Header=BB89_11 Depth=1
	s_cmp_eq_u32 s50, 1
	s_cselect_b64 s[2:3], -1, 0
	v_cmp_eq_u32_e32 vcc, 1, v35
	s_and_b64 s[36:37], s[2:3], vcc
	s_mov_b64 s[38:39], -1
                                        ; implicit-def: $sgpr30_sgpr31
                                        ; implicit-def: $sgpr28_sgpr29
	s_and_saveexec_b64 s[34:35], s[36:37]
	s_cbranch_execz .LBB89_176
; %bb.151:                              ;   in Loop: Header=BB89_11 Depth=1
	ds_read_b32 v4, v7 offset:4104
	s_waitcnt lgkmcnt(0)
	s_barrier
	v_readfirstlane_b32 s2, v4
	s_and_saveexec_b64 s[28:29], s[16:17]
; %bb.152:                              ;   in Loop: Header=BB89_11 Depth=1
	ds_write_b32 v17, v7
; %bb.153:                              ;   in Loop: Header=BB89_11 Depth=1
	s_or_b64 exec, exec, s[28:29]
	v_and_b32_e32 v4, v26, v3
	v_lshl_or_b32 v26, 2, v32, v4
	v_or_b32_e32 v34, v34, v1
	s_mov_b64 s[28:29], -1
	s_mov_b64 s[30:31], 0
	s_cmp_eq_u32 s2, 0
	s_mov_b64 s[38:39], 0
	s_mov_b64 s[40:41], -1
	s_waitcnt lgkmcnt(0)
	s_barrier
                                        ; implicit-def: $vgpr14
	s_cbranch_scc1 .LBB89_164
; %bb.154:                              ;   in Loop: Header=BB89_11 Depth=1
	s_add_i32 s3, s2, s64
	s_mul_hi_u32 s12, s3, s75
	s_mul_i32 s12, s12, s59
	s_sub_i32 s12, s3, s12
	s_sub_i32 s13, s12, s59
	s_cmp_ge_u32 s12, s59
	s_cselect_b32 s12, s13, s12
	s_sub_i32 s13, s12, s59
	s_cmp_ge_u32 s12, s59
	s_cselect_b32 s12, s13, s12
	s_sub_i32 s3, s3, s12
	v_cmp_gt_u32_e32 vcc, s3, v0
	s_mov_b64 s[40:41], 0
                                        ; implicit-def: $vgpr14
	s_and_saveexec_b64 s[42:43], vcc
	s_cbranch_execz .LBB89_163
; %bb.155:                              ;   in Loop: Header=BB89_11 Depth=1
	v_mov_b32_e32 v4, v15
	v_mov_b32_e32 v6, v0
                                        ; implicit-def: $sgpr44_sgpr45
	s_branch .LBB89_158
.LBB89_156:                             ;   in Loop: Header=BB89_158 Depth=2
	s_or_b64 exec, exec, s[46:47]
	s_waitcnt lgkmcnt(0)
	s_barrier
	ds_read_b64 v[13:14], v7 offset:3072
	s_mov_b64 s[46:47], -1
	s_mov_b64 s[48:49], -1
	s_waitcnt lgkmcnt(0)
	s_barrier
	v_cmp_ne_u32_e32 vcc, 0, v13
	s_cbranch_vccz .LBB89_161
.LBB89_157:                             ;   in Loop: Header=BB89_158 Depth=2
	s_and_b64 s[12:13], exec, s[46:47]
	s_or_b64 s[38:39], s[12:13], s[38:39]
	s_andn2_b64 s[12:13], s[44:45], exec
	s_and_b64 s[44:45], s[48:49], exec
	s_or_b64 s[44:45], s[12:13], s[44:45]
	s_andn2_b64 exec, exec, s[38:39]
	s_cbranch_execz .LBB89_162
.LBB89_158:                             ;   Parent Loop BB89_11 Depth=1
                                        ; =>  This Inner Loop Header: Depth=2
	v_cmp_gt_u32_e32 vcc, s2, v6
	s_and_saveexec_b64 s[46:47], vcc
	s_cbranch_execz .LBB89_156
; %bb.159:                              ;   in Loop: Header=BB89_158 Depth=2
	ds_read_b32 v13, v4
	s_waitcnt lgkmcnt(0)
	v_xor_b32_e32 v14, 0x80000000, v13
	v_and_b32_e32 v14, v14, v34
	v_cmp_eq_u32_e32 vcc, v14, v26
	s_and_b64 exec, exec, vcc
	s_cbranch_execz .LBB89_156
; %bb.160:                              ;   in Loop: Header=BB89_158 Depth=2
	ds_write_b64 v7, v[12:13] offset:3072
	s_branch .LBB89_156
.LBB89_161:                             ;   in Loop: Header=BB89_158 Depth=2
	v_add_u32_e32 v6, s59, v6
	v_cmp_le_u32_e32 vcc, s3, v6
	v_add_u32_e32 v4, s67, v4
	s_mov_b64 s[48:49], 0
	s_orn2_b64 s[46:47], vcc, exec
	s_branch .LBB89_157
.LBB89_162:                             ;   in Loop: Header=BB89_11 Depth=1
	s_or_b64 exec, exec, s[38:39]
	s_and_b64 s[38:39], s[44:45], exec
.LBB89_163:                             ;   in Loop: Header=BB89_11 Depth=1
	s_or_b64 exec, exec, s[42:43]
.LBB89_164:                             ;   in Loop: Header=BB89_11 Depth=1
	s_and_b64 vcc, exec, s[40:41]
	s_cbranch_vccz .LBB89_175
; %bb.165:                              ;   in Loop: Header=BB89_11 Depth=1
                                        ; implicit-def: $vgpr14
	s_mov_b64 s[28:29], exec
	v_readlane_b32 s2, v48, 22
	v_readlane_b32 s3, v48, 23
	s_and_b64 s[2:3], s[28:29], s[2:3]
	s_mov_b64 exec, s[2:3]
	s_cbranch_execz .LBB89_174
; %bb.166:                              ;   in Loop: Header=BB89_11 Depth=1
	s_mov_b64 s[30:31], 0
	v_mov_b32_e32 v6, v5
	v_mov_b32_e32 v4, v0
                                        ; implicit-def: $sgpr40_sgpr41
	s_branch .LBB89_169
.LBB89_167:                             ;   in Loop: Header=BB89_169 Depth=2
	s_or_b64 exec, exec, s[42:43]
	s_waitcnt lgkmcnt(0)
	s_barrier
	ds_read_b64 v[13:14], v7 offset:3072
	s_mov_b64 s[42:43], -1
	s_mov_b64 s[44:45], -1
	s_waitcnt lgkmcnt(0)
	s_barrier
	v_cmp_eq_u32_e32 vcc, 0, v13
	s_cbranch_vccnz .LBB89_172
.LBB89_168:                             ;   in Loop: Header=BB89_169 Depth=2
	s_and_b64 s[2:3], exec, s[42:43]
	s_or_b64 s[30:31], s[2:3], s[30:31]
	s_andn2_b64 s[2:3], s[40:41], exec
	s_and_b64 s[12:13], s[44:45], exec
	s_or_b64 s[40:41], s[2:3], s[12:13]
	s_andn2_b64 exec, exec, s[30:31]
	s_cbranch_execz .LBB89_173
.LBB89_169:                             ;   Parent Loop BB89_11 Depth=1
                                        ; =>  This Inner Loop Header: Depth=2
	v_cmp_gt_u32_e32 vcc, s56, v4
	s_and_saveexec_b64 s[42:43], vcc
	s_cbranch_execz .LBB89_167
; %bb.170:                              ;   in Loop: Header=BB89_169 Depth=2
	v_lshlrev_b64 v[13:14], 2, v[6:7]
	v_mov_b32_e32 v36, s65
	v_add_co_u32_e32 v13, vcc, s63, v13
	v_addc_co_u32_e32 v14, vcc, v36, v14, vcc
	global_load_dword v13, v[13:14], off
	s_waitcnt vmcnt(0)
	v_xor_b32_e32 v14, 0x80000000, v13
	v_and_b32_e32 v14, v14, v34
	v_cmp_eq_u32_e32 vcc, v14, v26
	s_and_b64 exec, exec, vcc
	s_cbranch_execz .LBB89_167
; %bb.171:                              ;   in Loop: Header=BB89_169 Depth=2
	ds_write_b64 v7, v[12:13] offset:3072
	s_branch .LBB89_167
.LBB89_172:                             ;   in Loop: Header=BB89_169 Depth=2
	v_add_u32_e32 v4, s59, v4
	v_cmp_le_u32_e32 vcc, s33, v4
	v_add_u32_e32 v6, s66, v6
	s_mov_b64 s[44:45], 0
	s_orn2_b64 s[42:43], vcc, exec
	s_branch .LBB89_168
.LBB89_173:                             ;   in Loop: Header=BB89_11 Depth=1
	s_or_b64 exec, exec, s[30:31]
	s_andn2_b64 s[2:3], s[38:39], exec
	s_and_b64 s[12:13], s[40:41], exec
	s_or_b64 s[38:39], s[2:3], s[12:13]
.LBB89_174:                             ;   in Loop: Header=BB89_11 Depth=1
	s_or_b64 exec, exec, s[28:29]
	s_mov_b64 s[28:29], 0
	s_mov_b64 s[30:31], -1
.LBB89_175:                             ;   in Loop: Header=BB89_11 Depth=1
	s_orn2_b64 s[38:39], s[38:39], exec
.LBB89_176:                             ;   in Loop: Header=BB89_11 Depth=1
	s_or_b64 exec, exec, s[34:35]
	s_mov_b64 s[40:41], 0
	s_and_saveexec_b64 s[34:35], s[38:39]
	s_cbranch_execz .LBB89_226
; %bb.177:                              ;   in Loop: Header=BB89_11 Depth=1
	s_xor_b64 s[2:3], s[36:37], -1
	s_mov_b64 s[44:45], 0
	v_mov_b32_e32 v4, 1
	v_mov_b32_e32 v2, 1
	s_and_saveexec_b64 s[36:37], s[2:3]
	s_cbranch_execz .LBB89_186
; %bb.178:                              ;   in Loop: Header=BB89_11 Depth=1
	v_cmp_ge_u32_e32 vcc, s50, v35
	s_and_saveexec_b64 s[2:3], vcc
	s_xor_b64 s[38:39], exec, s[2:3]
	s_cbranch_execz .LBB89_183
; %bb.179:                              ;   in Loop: Header=BB89_11 Depth=1
	ds_read_b32 v2, v7 offset:4104
	v_and_b32_e32 v3, v26, v3
	v_lshl_or_b32 v26, 2, v32, v3
	v_or_b32_e32 v34, v34, v1
	s_waitcnt lgkmcnt(0)
	v_cmp_ne_u32_e32 vcc, 0, v2
	s_cbranch_vccnz .LBB89_183
; %bb.180:                              ;   in Loop: Header=BB89_11 Depth=1
	s_and_saveexec_b64 s[40:41], s[0:1]
; %bb.181:                              ;   in Loop: Header=BB89_11 Depth=1
	v_mov_b32_e32 v2, s50
	ds_write_b32 v7, v2 offset:4108
; %bb.182:                              ;   in Loop: Header=BB89_11 Depth=1
	s_or_b64 exec, exec, s[40:41]
	s_waitcnt lgkmcnt(0)
	s_barrier
.LBB89_183:                             ;   in Loop: Header=BB89_11 Depth=1
	s_or_saveexec_b64 s[38:39], s[38:39]
	s_mov_b64 s[40:41], 0
	v_mov_b32_e32 v2, 8
	s_xor_b64 exec, exec, s[38:39]
; %bb.184:                              ;   in Loop: Header=BB89_11 Depth=1
	s_mov_b64 s[40:41], exec
	v_subrev_u32_e32 v35, s50, v35
	v_mov_b32_e32 v2, 0
; %bb.185:                              ;   in Loop: Header=BB89_11 Depth=1
	s_or_b64 exec, exec, s[38:39]
	s_and_b64 s[44:45], s[40:41], exec
	v_mov_b32_e32 v4, v35
.LBB89_186:                             ;   in Loop: Header=BB89_11 Depth=1
	s_or_b64 exec, exec, s[36:37]
	s_mov_b64 s[42:43], -1
                                        ; implicit-def: $sgpr40_sgpr41
                                        ; implicit-def: $sgpr38_sgpr39
	s_and_saveexec_b64 s[36:37], s[44:45]
	s_cbranch_execz .LBB89_225
; %bb.187:                              ;   in Loop: Header=BB89_11 Depth=1
	s_cmp_eq_u32 s94, 1
	s_cselect_b64 s[2:3], -1, 0
	v_cmp_eq_u32_e32 vcc, 1, v4
	s_and_b64 s[42:43], s[2:3], vcc
	s_mov_b64 s[46:47], -1
                                        ; implicit-def: $sgpr40_sgpr41
                                        ; implicit-def: $sgpr38_sgpr39
	s_and_saveexec_b64 s[44:45], s[42:43]
	s_cbranch_execz .LBB89_213
; %bb.188:                              ;   in Loop: Header=BB89_11 Depth=1
	ds_read_b32 v3, v7 offset:4104
	s_waitcnt lgkmcnt(0)
	s_barrier
	v_readfirstlane_b32 s2, v3
	s_and_saveexec_b64 s[38:39], s[16:17]
; %bb.189:                              ;   in Loop: Header=BB89_11 Depth=1
	ds_write_b32 v17, v7
; %bb.190:                              ;   in Loop: Header=BB89_11 Depth=1
	s_or_b64 exec, exec, s[38:39]
	v_or_b32_e32 v26, v26, v1
	v_or_b32_e32 v34, v34, v1
	s_mov_b64 s[38:39], -1
	s_mov_b64 s[40:41], 0
	s_cmp_eq_u32 s2, 0
	s_mov_b64 s[46:47], 0
	s_mov_b64 s[48:49], -1
	s_waitcnt lgkmcnt(0)
	s_barrier
                                        ; implicit-def: $vgpr14
	s_cbranch_scc1 .LBB89_201
; %bb.191:                              ;   in Loop: Header=BB89_11 Depth=1
	s_add_i32 s3, s2, s64
	s_mul_hi_u32 s12, s3, s75
	s_mul_i32 s12, s12, s59
	s_sub_i32 s12, s3, s12
	s_sub_i32 s13, s12, s59
	s_cmp_ge_u32 s12, s59
	s_cselect_b32 s12, s13, s12
	s_sub_i32 s13, s12, s59
	s_cmp_ge_u32 s12, s59
	s_cselect_b32 s12, s13, s12
	s_sub_i32 s3, s3, s12
	v_cmp_gt_u32_e32 vcc, s3, v0
	s_mov_b64 s[48:49], 0
                                        ; implicit-def: $vgpr14
	s_and_saveexec_b64 s[50:51], vcc
	s_cbranch_execz .LBB89_200
; %bb.192:                              ;   in Loop: Header=BB89_11 Depth=1
	v_mov_b32_e32 v3, v15
	v_mov_b32_e32 v6, v0
                                        ; implicit-def: $sgpr52_sgpr53
	s_branch .LBB89_195
.LBB89_193:                             ;   in Loop: Header=BB89_195 Depth=2
	s_or_b64 exec, exec, s[54:55]
	s_waitcnt lgkmcnt(0)
	s_barrier
	ds_read_b64 v[13:14], v7 offset:3072
	s_mov_b64 s[54:55], -1
	s_mov_b64 s[60:61], -1
	s_waitcnt lgkmcnt(0)
	s_barrier
	v_cmp_ne_u32_e32 vcc, 0, v13
	s_cbranch_vccz .LBB89_198
.LBB89_194:                             ;   in Loop: Header=BB89_195 Depth=2
	s_and_b64 s[12:13], exec, s[54:55]
	s_or_b64 s[46:47], s[12:13], s[46:47]
	s_andn2_b64 s[12:13], s[52:53], exec
	s_and_b64 s[52:53], s[60:61], exec
	s_or_b64 s[52:53], s[12:13], s[52:53]
	s_andn2_b64 exec, exec, s[46:47]
	s_cbranch_execz .LBB89_199
.LBB89_195:                             ;   Parent Loop BB89_11 Depth=1
                                        ; =>  This Inner Loop Header: Depth=2
	v_cmp_gt_u32_e32 vcc, s2, v6
	s_and_saveexec_b64 s[54:55], vcc
	s_cbranch_execz .LBB89_193
; %bb.196:                              ;   in Loop: Header=BB89_195 Depth=2
	ds_read_b32 v13, v3
	s_waitcnt lgkmcnt(0)
	v_xor_b32_e32 v14, 0x80000000, v13
	v_and_b32_e32 v14, v14, v34
	v_cmp_eq_u32_e32 vcc, v14, v26
	s_and_b64 exec, exec, vcc
	s_cbranch_execz .LBB89_193
; %bb.197:                              ;   in Loop: Header=BB89_195 Depth=2
	ds_write_b64 v7, v[12:13] offset:3072
	s_branch .LBB89_193
.LBB89_198:                             ;   in Loop: Header=BB89_195 Depth=2
	v_add_u32_e32 v6, s59, v6
	v_cmp_le_u32_e32 vcc, s3, v6
	v_add_u32_e32 v3, s67, v3
	s_mov_b64 s[60:61], 0
	s_orn2_b64 s[54:55], vcc, exec
	s_branch .LBB89_194
.LBB89_199:                             ;   in Loop: Header=BB89_11 Depth=1
	s_or_b64 exec, exec, s[46:47]
	s_and_b64 s[46:47], s[52:53], exec
.LBB89_200:                             ;   in Loop: Header=BB89_11 Depth=1
	s_or_b64 exec, exec, s[50:51]
.LBB89_201:                             ;   in Loop: Header=BB89_11 Depth=1
	s_and_b64 vcc, exec, s[48:49]
	s_cbranch_vccz .LBB89_212
; %bb.202:                              ;   in Loop: Header=BB89_11 Depth=1
                                        ; implicit-def: $vgpr14
	s_mov_b64 s[38:39], exec
	v_readlane_b32 s2, v48, 22
	v_readlane_b32 s3, v48, 23
	s_and_b64 s[2:3], s[38:39], s[2:3]
	s_mov_b64 exec, s[2:3]
	s_cbranch_execz .LBB89_211
; %bb.203:                              ;   in Loop: Header=BB89_11 Depth=1
	s_mov_b64 s[40:41], 0
	v_mov_b32_e32 v6, v5
	v_mov_b32_e32 v3, v0
                                        ; implicit-def: $sgpr48_sgpr49
	s_branch .LBB89_206
.LBB89_204:                             ;   in Loop: Header=BB89_206 Depth=2
	s_or_b64 exec, exec, s[50:51]
	s_waitcnt lgkmcnt(0)
	s_barrier
	ds_read_b64 v[13:14], v7 offset:3072
	s_mov_b64 s[50:51], -1
	s_mov_b64 s[52:53], -1
	s_waitcnt lgkmcnt(0)
	s_barrier
	v_cmp_eq_u32_e32 vcc, 0, v13
	s_cbranch_vccnz .LBB89_209
.LBB89_205:                             ;   in Loop: Header=BB89_206 Depth=2
	s_and_b64 s[2:3], exec, s[50:51]
	s_or_b64 s[40:41], s[2:3], s[40:41]
	s_andn2_b64 s[2:3], s[48:49], exec
	s_and_b64 s[12:13], s[52:53], exec
	s_or_b64 s[48:49], s[2:3], s[12:13]
	s_andn2_b64 exec, exec, s[40:41]
	s_cbranch_execz .LBB89_210
.LBB89_206:                             ;   Parent Loop BB89_11 Depth=1
                                        ; =>  This Inner Loop Header: Depth=2
	v_cmp_gt_u32_e32 vcc, s56, v3
	s_and_saveexec_b64 s[50:51], vcc
	s_cbranch_execz .LBB89_204
; %bb.207:                              ;   in Loop: Header=BB89_206 Depth=2
	v_lshlrev_b64 v[13:14], 2, v[6:7]
	v_mov_b32_e32 v35, s65
	v_add_co_u32_e32 v13, vcc, s63, v13
	v_addc_co_u32_e32 v14, vcc, v35, v14, vcc
	global_load_dword v13, v[13:14], off
	s_waitcnt vmcnt(0)
	v_xor_b32_e32 v14, 0x80000000, v13
	v_and_b32_e32 v14, v14, v34
	v_cmp_eq_u32_e32 vcc, v14, v26
	s_and_b64 exec, exec, vcc
	s_cbranch_execz .LBB89_204
; %bb.208:                              ;   in Loop: Header=BB89_206 Depth=2
	ds_write_b64 v7, v[12:13] offset:3072
	s_branch .LBB89_204
.LBB89_209:                             ;   in Loop: Header=BB89_206 Depth=2
	v_add_u32_e32 v3, s59, v3
	v_cmp_le_u32_e32 vcc, s33, v3
	v_add_u32_e32 v6, s66, v6
	s_mov_b64 s[52:53], 0
	s_orn2_b64 s[50:51], vcc, exec
	s_branch .LBB89_205
.LBB89_210:                             ;   in Loop: Header=BB89_11 Depth=1
	s_or_b64 exec, exec, s[40:41]
	s_andn2_b64 s[2:3], s[46:47], exec
	s_and_b64 s[12:13], s[48:49], exec
	s_or_b64 s[46:47], s[2:3], s[12:13]
.LBB89_211:                             ;   in Loop: Header=BB89_11 Depth=1
	s_or_b64 exec, exec, s[38:39]
	s_mov_b64 s[38:39], 0
	s_mov_b64 s[40:41], -1
.LBB89_212:                             ;   in Loop: Header=BB89_11 Depth=1
	s_orn2_b64 s[46:47], s[46:47], exec
.LBB89_213:                             ;   in Loop: Header=BB89_11 Depth=1
	s_or_b64 exec, exec, s[44:45]
	s_mov_b64 s[48:49], 0
	s_and_saveexec_b64 s[44:45], s[46:47]
	s_cbranch_execz .LBB89_224
; %bb.214:                              ;   in Loop: Header=BB89_11 Depth=1
	s_xor_b64 s[2:3], s[42:43], -1
	v_mov_b32_e32 v2, 1
	v_mov_b32_e32 v3, 1
	s_and_saveexec_b64 s[42:43], s[2:3]
	s_cbranch_execz .LBB89_223
; %bb.215:                              ;   in Loop: Header=BB89_11 Depth=1
	v_cmp_ge_u32_e32 vcc, s94, v4
	s_and_saveexec_b64 s[2:3], vcc
	s_xor_b64 s[46:47], exec, s[2:3]
	s_cbranch_execz .LBB89_220
; %bb.216:                              ;   in Loop: Header=BB89_11 Depth=1
	ds_read_b32 v2, v7 offset:4104
	v_or_b32_e32 v26, v26, v1
	v_or_b32_e32 v34, v34, v1
	s_waitcnt lgkmcnt(0)
	v_cmp_ne_u32_e32 vcc, 0, v2
	s_cbranch_vccnz .LBB89_220
; %bb.217:                              ;   in Loop: Header=BB89_11 Depth=1
	s_and_saveexec_b64 s[48:49], s[0:1]
; %bb.218:                              ;   in Loop: Header=BB89_11 Depth=1
	v_mov_b32_e32 v1, s94
	ds_write_b32 v7, v1 offset:4108
; %bb.219:                              ;   in Loop: Header=BB89_11 Depth=1
	s_or_b64 exec, exec, s[48:49]
	s_waitcnt lgkmcnt(0)
	s_barrier
.LBB89_220:                             ;   in Loop: Header=BB89_11 Depth=1
	s_andn2_saveexec_b64 s[46:47], s[46:47]
; %bb.221:                              ;   in Loop: Header=BB89_11 Depth=1
	v_subrev_u32_e32 v4, s94, v4
; %bb.222:                              ;   in Loop: Header=BB89_11 Depth=1
	s_or_b64 exec, exec, s[46:47]
	v_mov_b32_e32 v2, 8
	v_mov_b32_e32 v3, v4
.LBB89_223:                             ;   in Loop: Header=BB89_11 Depth=1
	s_or_b64 exec, exec, s[42:43]
	s_mov_b64 s[48:49], exec
	v_mov_b32_e32 v4, v3
.LBB89_224:                             ;   in Loop: Header=BB89_11 Depth=1
	s_or_b64 exec, exec, s[44:45]
	s_orn2_b64 s[42:43], s[48:49], exec
.LBB89_225:                             ;   in Loop: Header=BB89_11 Depth=1
	s_or_b64 exec, exec, s[36:37]
	s_andn2_b64 s[2:3], s[30:31], exec
	s_and_b64 s[12:13], s[40:41], exec
	s_or_b64 s[30:31], s[2:3], s[12:13]
	s_andn2_b64 s[2:3], s[28:29], exec
	s_and_b64 s[12:13], s[38:39], exec
	s_or_b64 s[28:29], s[2:3], s[12:13]
	s_and_b64 s[40:41], s[42:43], exec
	v_mov_b32_e32 v35, v4
.LBB89_226:                             ;   in Loop: Header=BB89_11 Depth=1
	s_or_b64 exec, exec, s[34:35]
	s_orn2_b64 s[34:35], s[40:41], exec
.LBB89_227:                             ;   in Loop: Header=BB89_11 Depth=1
	s_or_b64 exec, exec, s[26:27]
	s_andn2_b64 s[2:3], s[22:23], exec
	s_and_b64 s[12:13], s[30:31], exec
	s_or_b64 s[22:23], s[2:3], s[12:13]
	s_andn2_b64 s[2:3], s[20:21], exec
	s_and_b64 s[12:13], s[28:29], exec
	s_or_b64 s[20:21], s[2:3], s[12:13]
	s_and_b64 s[30:31], s[34:35], exec
	v_mov_b32_e32 v4, v35
.LBB89_228:                             ;   in Loop: Header=BB89_11 Depth=1
	s_or_b64 exec, exec, s[24:25]
	s_orn2_b64 s[24:25], s[30:31], exec
.LBB89_229:                             ;   in Loop: Header=BB89_11 Depth=1
	s_or_b64 exec, exec, s[18:19]
	s_mov_b64 s[26:27], 0
	s_and_saveexec_b64 s[2:3], s[24:25]
	s_xor_b64 s[18:19], exec, s[2:3]
	s_cbranch_execz .LBB89_9
; %bb.230:                              ;   in Loop: Header=BB89_11 Depth=1
	v_and_b32_e32 v1, 7, v2
	v_cmp_eq_u32_e32 vcc, 0, v1
	s_mov_b64 s[14:15], -1
	s_mov_b64 s[24:25], -1
	s_and_saveexec_b64 s[26:27], vcc
	s_cbranch_execz .LBB89_8
; %bb.231:                              ;   in Loop: Header=BB89_11 Depth=1
	v_add_u32_e32 v1, -2, v32
	v_cmp_eq_u32_e32 vcc, 0, v32
	v_xor_b32_e32 v33, 1, v33
	s_xor_b64 s[24:25], exec, -1
	s_orn2_b64 s[14:15], vcc, exec
	v_mov_b32_e32 v32, v1
	s_branch .LBB89_8
.LBB89_232:
	s_or_b64 exec, exec, s[80:81]
	s_xor_b64 s[8:9], s[86:87], -1
	s_xor_b64 s[0:1], s[82:83], -1
	;; [unrolled: 1-line block ×3, first 2 shown]
	s_mov_b64 s[4:5], 0
	s_and_saveexec_b64 s[2:3], s[0:1]
	s_xor_b64 s[0:1], exec, s[2:3]
	s_cbranch_execnz .LBB89_237
; %bb.233:
	s_andn2_saveexec_b64 s[0:1], s[0:1]
	s_cbranch_execnz .LBB89_250
.LBB89_234:
	s_or_b64 exec, exec, s[0:1]
	s_and_saveexec_b64 s[0:1], s[4:5]
.LBB89_235:
	; divergent unreachable
.LBB89_236:
	s_endpgm
.LBB89_237:
	s_and_saveexec_b64 s[2:3], s[8:9]
	s_xor_b64 s[4:5], exec, s[2:3]
	s_cbranch_execz .LBB89_248
; %bb.238:
	s_and_saveexec_b64 s[2:3], s[6:7]
	s_xor_b64 s[6:7], exec, s[2:3]
; %bb.239:
	v_xor_b32_e32 v14, 0x80000000, v26
; %bb.240:
	s_or_b64 exec, exec, s[6:7]
	v_readlane_b32 s7, v48, 0
	v_readlane_b32 s8, v48, 10
	s_mul_i32 s2, s8, s7
	v_readlane_b32 s18, v48, 12
	s_sub_i32 s2, s18, s2
	s_add_i32 s3, s8, 1
	s_sub_i32 s6, s2, s7
	s_cmp_ge_u32 s2, s7
	s_cselect_b32 s3, s3, s8
	s_cselect_b32 s2, s6, s2
	s_add_i32 s6, s3, 1
	s_cmp_ge_u32 s2, s7
	s_cselect_b32 s2, s6, s3
	s_mul_i32 s3, s2, s7
	v_readlane_b32 s6, v48, 6
	s_sub_i32 s3, s18, s3
	v_readlane_b32 s7, v48, 7
	s_mul_i32 s3, s3, s7
	s_mul_i32 s2, s2, s6
	s_add_i32 s2, s2, s3
	s_mov_b32 s3, 0
	s_lshl_b64 s[2:3], s[2:3], 2
	v_readlane_b32 s6, v48, 8
	v_readlane_b32 s7, v48, 9
	s_add_u32 s2, s6, s2
	s_addc_u32 s3, s7, s3
	v_mov_b32_e32 v6, 0
	global_store_dword v6, v14, s[2:3]
	s_mov_b64 s[6:7], exec
	v_readlane_b32 s2, v48, 13
	v_readlane_b32 s3, v48, 14
	s_and_b64 s[2:3], s[6:7], s[2:3]
	s_mov_b64 exec, s[2:3]
	s_cbranch_execz .LBB89_247
; %bb.241:
	s_mov_b64 s[2:3], 0
	v_mov_b32_e32 v2, s65
                                        ; implicit-def: $sgpr8_sgpr9
                                        ; implicit-def: $sgpr12_sgpr13
                                        ; implicit-def: $sgpr10_sgpr11
	s_branch .LBB89_243
.LBB89_242:                             ;   in Loop: Header=BB89_243 Depth=1
	s_or_b64 exec, exec, s[14:15]
	s_and_b64 s[14:15], exec, s[12:13]
	s_or_b64 s[2:3], s[14:15], s[2:3]
	s_andn2_b64 s[8:9], s[8:9], exec
	s_and_b64 s[14:15], s[10:11], exec
	s_or_b64 s[8:9], s[8:9], s[14:15]
	s_andn2_b64 exec, exec, s[2:3]
	s_cbranch_execz .LBB89_245
.LBB89_243:                             ; =>This Inner Loop Header: Depth=1
	v_lshlrev_b64 v[3:4], 2, v[5:6]
	v_mov_b32_e32 v1, v0
	v_add_co_u32_e32 v3, vcc, s63, v3
	v_addc_co_u32_e32 v4, vcc, v2, v4, vcc
	global_load_dword v3, v[3:4], off
	s_or_b64 s[10:11], s[10:11], exec
	s_or_b64 s[12:13], s[12:13], exec
                                        ; implicit-def: $vgpr0
	s_waitcnt vmcnt(0)
	v_cmp_ne_u32_e32 vcc, v3, v14
	s_and_saveexec_b64 s[14:15], vcc
	s_cbranch_execz .LBB89_242
; %bb.244:                              ;   in Loop: Header=BB89_243 Depth=1
	v_add_u32_e32 v0, s59, v1
	v_cmp_le_u32_e32 vcc, s56, v0
	s_andn2_b64 s[12:13], s[12:13], exec
	s_and_b64 s[16:17], vcc, exec
	v_add_u32_e32 v5, s66, v5
	s_andn2_b64 s[10:11], s[10:11], exec
	s_or_b64 s[12:13], s[12:13], s[16:17]
	s_branch .LBB89_242
.LBB89_245:
	s_or_b64 exec, exec, s[2:3]
	s_and_saveexec_b64 s[2:3], s[8:9]
	s_xor_b64 s[2:3], exec, s[2:3]
	s_cbranch_execz .LBB89_247
; %bb.246:
	v_readlane_b32 s9, v48, 1
	v_readlane_b32 s10, v48, 11
	s_mul_i32 s2, s10, s9
	s_sub_i32 s2, s18, s2
	s_add_i32 s3, s10, 1
	s_sub_i32 s8, s2, s9
	s_cmp_ge_u32 s2, s9
	s_cselect_b32 s3, s3, s10
	s_cselect_b32 s2, s8, s2
	s_add_i32 s8, s3, 1
	s_cmp_ge_u32 s2, s9
	s_cselect_b32 s2, s8, s3
	s_mul_i32 s3, s2, s9
	v_readlane_b32 s8, v48, 2
	s_sub_i32 s3, s18, s3
	v_readlane_b32 s9, v48, 3
	s_mul_i32 s3, s3, s9
	s_mul_i32 s2, s2, s8
	s_add_i32 s2, s2, s3
	s_mov_b32 s3, 0
	s_lshl_b64 s[2:3], s[2:3], 3
	v_readlane_b32 s8, v48, 4
	v_readlane_b32 s9, v48, 5
	s_add_u32 s2, s8, s2
	s_addc_u32 s3, s9, s3
	v_mov_b32_e32 v2, 0
	global_store_dwordx2 v2, v[1:2], s[2:3]
.LBB89_247:
	s_or_b64 exec, exec, s[6:7]
.LBB89_248:
	s_or_saveexec_b64 s[2:3], s[4:5]
	s_mov_b64 s[4:5], 0
	s_xor_b64 exec, exec, s[2:3]
	s_cbranch_execnz .LBB89_251
.LBB89_249:
	s_or_b64 exec, exec, s[2:3]
	s_and_b64 s[4:5], s[4:5], exec
	s_andn2_saveexec_b64 s[0:1], s[0:1]
	s_cbranch_execz .LBB89_234
.LBB89_250:
	s_or_b64 s[4:5], s[4:5], exec
	s_trap 2
	s_or_b64 exec, exec, s[0:1]
	s_and_saveexec_b64 s[0:1], s[4:5]
	s_cbranch_execnz .LBB89_235
	s_branch .LBB89_236
.LBB89_251:
	s_mov_b64 s[4:5], exec
	s_trap 2
	s_branch .LBB89_249
	.section	.rodata,"a",@progbits
	.p2align	6, 0x0
	.amdhsa_kernel _ZN2at6native12_GLOBAL__N_112gatherMedianIijLi2EEEvNS_4cuda6detail10TensorInfoIT_T0_EENS5_IlS7_EENS5_IKS6_S7_EES7_S7_S7_b
		.amdhsa_group_segment_fixed_size 4120
		.amdhsa_private_segment_fixed_size 0
		.amdhsa_kernarg_size 920
		.amdhsa_user_sgpr_count 6
		.amdhsa_user_sgpr_private_segment_buffer 1
		.amdhsa_user_sgpr_dispatch_ptr 0
		.amdhsa_user_sgpr_queue_ptr 0
		.amdhsa_user_sgpr_kernarg_segment_ptr 1
		.amdhsa_user_sgpr_dispatch_id 0
		.amdhsa_user_sgpr_flat_scratch_init 0
		.amdhsa_user_sgpr_private_segment_size 0
		.amdhsa_uses_dynamic_stack 0
		.amdhsa_system_sgpr_private_segment_wavefront_offset 0
		.amdhsa_system_sgpr_workgroup_id_x 1
		.amdhsa_system_sgpr_workgroup_id_y 1
		.amdhsa_system_sgpr_workgroup_id_z 1
		.amdhsa_system_sgpr_workgroup_info 0
		.amdhsa_system_vgpr_workitem_id 0
		.amdhsa_next_free_vgpr 49
		.amdhsa_next_free_sgpr 96
		.amdhsa_reserve_vcc 1
		.amdhsa_reserve_flat_scratch 0
		.amdhsa_float_round_mode_32 0
		.amdhsa_float_round_mode_16_64 0
		.amdhsa_float_denorm_mode_32 3
		.amdhsa_float_denorm_mode_16_64 3
		.amdhsa_dx10_clamp 1
		.amdhsa_ieee_mode 1
		.amdhsa_fp16_overflow 0
		.amdhsa_exception_fp_ieee_invalid_op 0
		.amdhsa_exception_fp_denorm_src 0
		.amdhsa_exception_fp_ieee_div_zero 0
		.amdhsa_exception_fp_ieee_overflow 0
		.amdhsa_exception_fp_ieee_underflow 0
		.amdhsa_exception_fp_ieee_inexact 0
		.amdhsa_exception_int_div_zero 0
	.end_amdhsa_kernel
	.section	.text._ZN2at6native12_GLOBAL__N_112gatherMedianIijLi2EEEvNS_4cuda6detail10TensorInfoIT_T0_EENS5_IlS7_EENS5_IKS6_S7_EES7_S7_S7_b,"axG",@progbits,_ZN2at6native12_GLOBAL__N_112gatherMedianIijLi2EEEvNS_4cuda6detail10TensorInfoIT_T0_EENS5_IlS7_EENS5_IKS6_S7_EES7_S7_S7_b,comdat
.Lfunc_end89:
	.size	_ZN2at6native12_GLOBAL__N_112gatherMedianIijLi2EEEvNS_4cuda6detail10TensorInfoIT_T0_EENS5_IlS7_EENS5_IKS6_S7_EES7_S7_S7_b, .Lfunc_end89-_ZN2at6native12_GLOBAL__N_112gatherMedianIijLi2EEEvNS_4cuda6detail10TensorInfoIT_T0_EENS5_IlS7_EENS5_IKS6_S7_EES7_S7_S7_b
                                        ; -- End function
	.set _ZN2at6native12_GLOBAL__N_112gatherMedianIijLi2EEEvNS_4cuda6detail10TensorInfoIT_T0_EENS5_IlS7_EENS5_IKS6_S7_EES7_S7_S7_b.num_vgpr, 49
	.set _ZN2at6native12_GLOBAL__N_112gatherMedianIijLi2EEEvNS_4cuda6detail10TensorInfoIT_T0_EENS5_IlS7_EENS5_IKS6_S7_EES7_S7_S7_b.num_agpr, 0
	.set _ZN2at6native12_GLOBAL__N_112gatherMedianIijLi2EEEvNS_4cuda6detail10TensorInfoIT_T0_EENS5_IlS7_EENS5_IKS6_S7_EES7_S7_S7_b.numbered_sgpr, 96
	.set _ZN2at6native12_GLOBAL__N_112gatherMedianIijLi2EEEvNS_4cuda6detail10TensorInfoIT_T0_EENS5_IlS7_EENS5_IKS6_S7_EES7_S7_S7_b.num_named_barrier, 0
	.set _ZN2at6native12_GLOBAL__N_112gatherMedianIijLi2EEEvNS_4cuda6detail10TensorInfoIT_T0_EENS5_IlS7_EENS5_IKS6_S7_EES7_S7_S7_b.private_seg_size, 0
	.set _ZN2at6native12_GLOBAL__N_112gatherMedianIijLi2EEEvNS_4cuda6detail10TensorInfoIT_T0_EENS5_IlS7_EENS5_IKS6_S7_EES7_S7_S7_b.uses_vcc, 1
	.set _ZN2at6native12_GLOBAL__N_112gatherMedianIijLi2EEEvNS_4cuda6detail10TensorInfoIT_T0_EENS5_IlS7_EENS5_IKS6_S7_EES7_S7_S7_b.uses_flat_scratch, 0
	.set _ZN2at6native12_GLOBAL__N_112gatherMedianIijLi2EEEvNS_4cuda6detail10TensorInfoIT_T0_EENS5_IlS7_EENS5_IKS6_S7_EES7_S7_S7_b.has_dyn_sized_stack, 0
	.set _ZN2at6native12_GLOBAL__N_112gatherMedianIijLi2EEEvNS_4cuda6detail10TensorInfoIT_T0_EENS5_IlS7_EENS5_IKS6_S7_EES7_S7_S7_b.has_recursion, 0
	.set _ZN2at6native12_GLOBAL__N_112gatherMedianIijLi2EEEvNS_4cuda6detail10TensorInfoIT_T0_EENS5_IlS7_EENS5_IKS6_S7_EES7_S7_S7_b.has_indirect_call, 0
	.section	.AMDGPU.csdata,"",@progbits
; Kernel info:
; codeLenInByte = 8960
; TotalNumSgprs: 100
; NumVgprs: 49
; ScratchSize: 0
; MemoryBound: 0
; FloatMode: 240
; IeeeMode: 1
; LDSByteSize: 4120 bytes/workgroup (compile time only)
; SGPRBlocks: 12
; VGPRBlocks: 12
; NumSGPRsForWavesPerEU: 100
; NumVGPRsForWavesPerEU: 49
; Occupancy: 4
; WaveLimiterHint : 1
; COMPUTE_PGM_RSRC2:SCRATCH_EN: 0
; COMPUTE_PGM_RSRC2:USER_SGPR: 6
; COMPUTE_PGM_RSRC2:TRAP_HANDLER: 0
; COMPUTE_PGM_RSRC2:TGID_X_EN: 1
; COMPUTE_PGM_RSRC2:TGID_Y_EN: 1
; COMPUTE_PGM_RSRC2:TGID_Z_EN: 1
; COMPUTE_PGM_RSRC2:TIDIG_COMP_CNT: 0
	.section	.text._ZN2at6native12_GLOBAL__N_112gatherMedianIijLi3EEEvNS_4cuda6detail10TensorInfoIT_T0_EENS5_IlS7_EENS5_IKS6_S7_EES7_S7_S7_b,"axG",@progbits,_ZN2at6native12_GLOBAL__N_112gatherMedianIijLi3EEEvNS_4cuda6detail10TensorInfoIT_T0_EENS5_IlS7_EENS5_IKS6_S7_EES7_S7_S7_b,comdat
	.globl	_ZN2at6native12_GLOBAL__N_112gatherMedianIijLi3EEEvNS_4cuda6detail10TensorInfoIT_T0_EENS5_IlS7_EENS5_IKS6_S7_EES7_S7_S7_b ; -- Begin function _ZN2at6native12_GLOBAL__N_112gatherMedianIijLi3EEEvNS_4cuda6detail10TensorInfoIT_T0_EENS5_IlS7_EENS5_IKS6_S7_EES7_S7_S7_b
	.p2align	8
	.type	_ZN2at6native12_GLOBAL__N_112gatherMedianIijLi3EEEvNS_4cuda6detail10TensorInfoIT_T0_EENS5_IlS7_EENS5_IKS6_S7_EES7_S7_S7_b,@function
_ZN2at6native12_GLOBAL__N_112gatherMedianIijLi3EEEvNS_4cuda6detail10TensorInfoIT_T0_EENS5_IlS7_EENS5_IKS6_S7_EES7_S7_S7_b: ; @_ZN2at6native12_GLOBAL__N_112gatherMedianIijLi3EEEvNS_4cuda6detail10TensorInfoIT_T0_EENS5_IlS7_EENS5_IKS6_S7_EES7_S7_S7_b
; %bb.0:
	s_load_dwordx2 s[14:15], s[4:5], 0x298
	s_load_dwordx4 s[56:59], s[4:5], 0x288
	s_add_u32 s12, s4, 0x298
	s_addc_u32 s13, s5, 0
	s_waitcnt lgkmcnt(0)
	s_mul_i32 s0, s15, s8
	s_add_i32 s0, s0, s7
	s_mul_i32 s0, s0, s14
	s_add_i32 s26, s0, s6
	s_cmp_ge_u32 s26, s57
	s_cbranch_scc1 .LBB90_236
; %bb.1:
	s_load_dwordx2 s[16:17], s[4:5], 0xc
	s_load_dwordx2 s[2:3], s[4:5], 0x1bc
	;; [unrolled: 1-line block ×3, first 2 shown]
	s_load_dwordx4 s[8:11], s[4:5], 0x21c
                                        ; implicit-def: $vgpr48 : SGPR spill to VGPR lane
	s_waitcnt lgkmcnt(0)
	v_cvt_f32_u32_e32 v3, s19
	v_cvt_f32_u32_e32 v1, s17
	s_sub_i32 s0, 0, s17
	v_cvt_f32_u32_e32 v2, s16
	v_rcp_iflag_f32_e32 v3, v3
	v_rcp_iflag_f32_e32 v1, v1
	;; [unrolled: 1-line block ×3, first 2 shown]
	v_mul_f32_e32 v1, 0x4f7ffffe, v1
	v_cvt_u32_f32_e32 v1, v1
	v_mul_f32_e32 v2, 0x4f7ffffe, v2
	v_cvt_u32_f32_e32 v2, v2
	v_readfirstlane_b32 s1, v1
	s_mul_i32 s0, s0, s1
	s_mul_hi_u32 s0, s1, s0
	s_add_i32 s1, s1, s0
	s_mul_hi_u32 s0, s26, s1
	s_mul_i32 s1, s0, s17
	s_sub_i32 s1, s26, s1
	s_add_i32 s7, s0, 1
	s_sub_i32 s11, s1, s17
	s_cmp_ge_u32 s1, s17
	s_cselect_b32 s0, s7, s0
	s_cselect_b32 s1, s11, s1
	s_add_i32 s7, s0, 1
	s_cmp_ge_u32 s1, s17
	v_mul_f32_e32 v1, 0x4f7ffffe, v3
	s_cselect_b32 s0, s7, s0
	v_cvt_u32_f32_e32 v1, v1
	v_writelane_b32 v48, s0, 0
	v_writelane_b32 v48, s16, 1
	s_sub_i32 s0, 0, s16
	v_readfirstlane_b32 s7, v2
	s_mul_i32 s0, s0, s7
	s_mul_hi_u32 s15, s7, s0
	s_sub_i32 s0, 0, s19
	v_readfirstlane_b32 s1, v1
	s_mul_i32 s0, s0, s1
	s_mul_hi_u32 s0, s1, s0
	v_cvt_f32_u32_e32 v1, s18
	s_add_i32 s1, s1, s0
	s_mul_hi_u32 s0, s26, s1
	s_mul_i32 s1, s0, s19
	s_sub_i32 s1, s26, s1
	v_rcp_iflag_f32_e32 v1, v1
	v_writelane_b32 v48, s17, 2
	s_add_i32 s11, s0, 1
	s_sub_i32 s16, s1, s19
	v_cvt_f32_u32_e32 v2, s3
	s_cmp_ge_u32 s1, s19
	s_cselect_b32 s0, s11, s0
	s_cselect_b32 s1, s16, s1
	s_add_i32 s11, s0, 1
	v_mul_f32_e32 v1, 0x4f7ffffe, v1
	s_cmp_ge_u32 s1, s19
	v_cvt_u32_f32_e32 v1, v1
	v_rcp_iflag_f32_e32 v2, v2
	s_cselect_b32 s0, s11, s0
	v_writelane_b32 v48, s0, 3
	v_writelane_b32 v48, s18, 4
	;; [unrolled: 1-line block ×3, first 2 shown]
	s_sub_i32 s0, 0, s18
	v_readfirstlane_b32 s18, v1
	v_mul_f32_e32 v1, 0x4f7ffffe, v2
	v_cvt_u32_f32_e32 v1, v1
	s_mul_i32 s0, s0, s18
	s_mul_hi_u32 s19, s18, s0
	s_sub_i32 s0, 0, s3
	v_readfirstlane_b32 s1, v1
	v_cvt_f32_u32_e32 v1, s2
	s_mul_i32 s0, s0, s1
	s_mul_hi_u32 s0, s1, s0
	s_add_i32 s1, s1, s0
	v_rcp_iflag_f32_e32 v1, v1
	s_mul_hi_u32 s0, s26, s1
	s_mul_i32 s1, s0, s3
	s_sub_i32 s1, s26, s1
	s_add_i32 s11, s0, 1
	s_sub_i32 s16, s1, s3
	v_mul_f32_e32 v1, 0x4f7ffffe, v1
	s_cmp_ge_u32 s1, s3
	v_cvt_u32_f32_e32 v1, v1
	s_cselect_b32 s0, s11, s0
	s_cselect_b32 s1, s16, s1
	s_add_i32 s11, s0, 1
	s_cmp_ge_u32 s1, s3
	s_cselect_b32 s11, s11, s0
	s_sub_i32 s0, 0, s2
	v_readfirstlane_b32 s22, v1
	s_mul_i32 s0, s0, s22
	s_mul_hi_u32 s0, s22, s0
	s_add_i32 s22, s22, s0
	v_cmp_eq_u32_e64 s[0:1], 0, v0
	s_and_saveexec_b64 s[16:17], s[0:1]
; %bb.2:
	v_mov_b32_e32 v1, 0
	v_mov_b32_e32 v2, v1
	ds_write_b64 v1, v[1:2] offset:4096
; %bb.3:
	s_or_b64 exec, exec, s[16:17]
	s_load_dwordx4 s[28:31], s[4:5], 0x144
	v_mov_b32_e32 v1, 0
	s_waitcnt lgkmcnt(0)
	s_barrier
	v_writelane_b32 v48, s28, 6
	v_writelane_b32 v48, s29, 7
	s_barrier
	ds_read_b64 v[1:2], v1 offset:4096
	v_writelane_b32 v48, s30, 8
	v_writelane_b32 v48, s31, 9
	s_load_dwordx4 s[28:31], s[4:5], 0x6c
	s_load_dwordx2 s[16:17], s[4:5], 0x1b0
	s_add_i32 s20, s7, s15
	s_add_i32 s21, s18, s19
	s_waitcnt lgkmcnt(0)
	v_readfirstlane_b32 s18, v1
	v_readfirstlane_b32 s19, v2
	s_mul_hi_u32 s15, s11, s22
	s_bitcmp1_b32 s59, 0
	v_cmp_lt_i64_e64 s[22:23], s[18:19], 1
	v_writelane_b32 v48, s28, 10
	s_cselect_b64 s[24:25], -1, 0
	v_writelane_b32 v48, s29, 11
	s_or_b64 s[22:23], s[24:25], s[22:23]
	v_writelane_b32 v48, s30, 12
	s_andn2_b64 vcc, exec, s[22:23]
	s_mov_b32 s7, s56
	v_writelane_b32 v48, s31, 13
	s_cbranch_vccnz .LBB90_5
; %bb.4:
	s_not_b64 s[18:19], s[18:19]
	s_add_u32 s7, s18, s56
	s_addc_u32 s19, s19, 0
	s_lshr_b32 s18, s19, 31
	s_add_u32 s18, s7, s18
	s_addc_u32 s19, s19, 0
	s_lshr_b64 s[18:19], s[18:19], 1
	s_add_i32 s7, s18, 1
.LBB90_5:
	s_load_dwordx2 s[18:19], s[4:5], 0xd8
                                        ; kill: killed $sgpr4 killed $sgpr5
	s_waitcnt lgkmcnt(0)
	v_writelane_b32 v48, s18, 14
	v_writelane_b32 v48, s19, 15
	s_load_dwordx2 s[18:19], s[4:5], 0x0
	s_waitcnt lgkmcnt(0)
	v_writelane_b32 v48, s18, 16
	v_writelane_b32 v48, s19, 17
	v_readlane_b32 s4, v48, 0
	s_mul_hi_u32 s4, s4, s20
	v_writelane_b32 v48, s4, 18
	v_readlane_b32 s4, v48, 3
	s_mul_hi_u32 s4, s4, s21
	v_writelane_b32 v48, s4, 19
	s_and_saveexec_b64 s[4:5], s[0:1]
	s_cbranch_execz .LBB90_7
; %bb.6:
	v_mov_b32_e32 v1, 0
	v_mov_b32_e32 v2, s56
	ds_write_b32 v1, v1 offset:4112
	ds_write_b64 v1, v[1:2] offset:4104
.LBB90_7:
	s_or_b64 exec, exec, s[4:5]
	s_mul_i32 s3, s11, s3
	s_mul_i32 s4, s15, s2
	s_sub_i32 s3, s26, s3
	s_sub_i32 s4, s11, s4
	s_mul_i32 s3, s3, s10
	s_add_i32 s5, s15, 1
	s_sub_i32 s10, s4, s2
	s_cmp_ge_u32 s4, s2
	s_cselect_b32 s5, s5, s15
	s_cselect_b32 s4, s10, s4
	s_add_i32 s10, s5, 1
	s_cmp_ge_u32 s4, s2
	s_cselect_b32 s4, s10, s5
	s_mul_i32 s2, s4, s2
	s_sub_i32 s2, s11, s2
	s_mul_i32 s2, s2, s9
	v_mul_lo_u32 v5, s58, v0
	s_add_i32 s2, s2, s3
	s_mul_i32 s4, s4, s8
	s_add_i32 s2, s2, s4
	s_mov_b32 s3, 0
	v_mov_b32_e32 v7, 0
	s_lshl_b64 s[2:3], s[2:3], 2
	v_mbcnt_lo_u32_b32 v1, -1, 0
	v_mov_b32_e32 v6, v7
	s_waitcnt lgkmcnt(0)
	s_barrier
	s_load_dword s4, s[12:13], 0xc
	s_add_u32 s67, s16, s2
	v_mbcnt_hi_u32_b32 v16, -1, v1
	v_lshlrev_b64 v[1:2], 2, v[5:6]
	s_addc_u32 s57, s17, s3
	v_cmp_gt_u32_e32 vcc, 64, v0
	v_cmp_gt_i32_e64 s[8:9], 4, v16
	s_and_b64 s[76:77], vcc, s[8:9]
	v_mov_b32_e32 v18, s57
	v_add_co_u32_e32 v8, vcc, s67, v1
	v_addc_co_u32_e32 v9, vcc, v18, v2, vcc
	v_lshlrev_b64 v[1:2], v16, -1
	v_writelane_b32 v48, s26, 20
	v_cmp_gt_u32_e64 s[2:3], s56, v0
	s_waitcnt lgkmcnt(0)
	s_and_b32 s59, s4, 0xffff
	v_not_b32_e32 v21, v1
	v_lshrrev_b32_e32 v1, 2, v0
	v_writelane_b32 v48, s2, 21
	s_lshl_b32 s82, s59, 2
	s_add_i32 s83, s59, -1
	v_and_b32_e32 v1, 0xf0, v1
	v_writelane_b32 v48, s3, 22
	s_bfe_u32 s2, s4, 0xa0006
	s_add_i32 s3, s83, s56
	v_or_b32_e32 v22, 0xc00, v1
	v_cvt_f32_u32_e32 v1, s82
	s_cmpk_gt_u32 s56, 0x300
	s_cselect_b64 s[78:79], -1, 0
	s_cmp_gt_u32 s59, 63
	s_cselect_b64 s[80:81], -1, 0
	s_cmp_lt_u32 s6, s14
	s_cselect_b32 s6, 12, 18
	v_rcp_iflag_f32_e32 v1, v1
	s_add_u32 s8, s12, s6
	s_addc_u32 s9, s13, 0
	v_writelane_b32 v48, s8, 23
	s_add_i32 s6, s2, -1
	v_writelane_b32 v48, s9, 24
	s_bfe_u32 s8, s59, 0x30006
	s_and_b32 s6, s6, 0xffff
	v_mul_f32_e32 v1, 0x4f7ffffe, v1
	s_cmp_gt_u32 s6, 6
	v_cvt_u32_f32_e32 v1, v1
	s_cselect_b64 s[10:11], -1, 0
	v_writelane_b32 v48, s10, 25
	s_and_b32 s68, s2, 0x3f8
	v_writelane_b32 v48, s11, 26
	s_cmp_lg_u32 s8, 0
	v_writelane_b32 v48, s8, 27
	s_cselect_b64 s[8:9], -1, 0
	s_sub_i32 s2, 0, s82
	v_readfirstlane_b32 s6, v1
	v_cvt_f32_u32_e32 v1, s59
	s_mul_i32 s2, s2, s6
	s_mul_hi_u32 s2, s6, s2
	s_add_i32 s69, s6, s2
	s_mul_hi_u32 s2, s56, s69
	v_rcp_iflag_f32_e32 v4, v1
	s_mul_i32 s2, s2, s82
	s_sub_i32 s2, s56, s2
	s_sub_i32 s6, s2, s82
	s_cmp_ge_u32 s2, s82
	v_mul_f32_e32 v4, 0x4f7ffffe, v4
	s_cselect_b32 s2, s6, s2
	v_cvt_u32_f32_e32 v4, v4
	s_sub_i32 s6, s2, s82
	s_cmp_ge_u32 s2, s82
	s_cselect_b32 s2, s6, s2
	s_sub_i32 s84, s56, s2
	s_sub_i32 s6, 0, s59
	v_readfirstlane_b32 s12, v4
	v_add_u32_e32 v23, s84, v0
	s_mul_i32 s6, s6, s12
	v_mul_lo_u32 v6, v23, s58
	s_mul_hi_u32 s6, s12, s6
	s_add_i32 s85, s12, s6
	s_mul_hi_u32 s6, s3, s85
	s_mul_i32 s6, s6, s59
	v_not_b32_e32 v20, v2
	v_lshlrev_b64 v[1:2], 2, v[6:7]
	s_sub_i32 s6, s3, s6
	v_lshlrev_b32_e32 v15, 2, v0
	s_sub_i32 s12, s6, s59
	v_add_co_u32_e32 v10, vcc, s67, v1
	s_cmp_ge_u32 s6, s59
	v_mul_lo_u32 v1, s58, v15
	s_cselect_b32 s6, s12, s6
	s_sub_i32 s12, s6, s59
	s_cmp_ge_u32 s6, s59
	s_cselect_b32 s6, s12, s6
	v_add_u32_e32 v24, s58, v1
	v_or_b32_e32 v1, 2, v15
	s_sub_i32 s86, s3, s6
	v_mul_lo_u32 v25, s58, v1
	v_or_b32_e32 v1, 3, v15
	s_add_i32 s3, s59, s56
	v_mul_lo_u32 v27, s58, v1
	v_add_u32_e32 v1, s3, v0
	v_subrev_u32_e32 v1, s2, v1
	v_mul_lo_u32 v29, s58, v1
	v_writelane_b32 v48, s8, 28
	v_lshlrev_b32_e32 v3, 2, v16
	v_writelane_b32 v48, s9, 29
	v_mov_b32_e32 v6, s57
	v_cmp_gt_u32_e64 s[12:13], s86, v0
	s_mul_i32 s66, s58, s59
	v_cmp_eq_u32_e64 s[4:5], 0, v16
	v_cmp_gt_u32_e64 s[16:17], 2, v0
	v_add_u32_e32 v17, 0xc00, v15
	v_and_b32_e32 v19, 0x100, v3
	v_cmp_gt_u32_e64 s[8:9], s84, v15
	v_cmp_gt_u32_e64 s[10:11], s56, v23
	v_addc_co_u32_e32 v11, vcc, v6, v2, vcc
	v_writelane_b32 v48, s12, 30
	s_lshl_b32 s87, s66, 2
	v_lshlrev_b32_e32 v28, 2, v5
	v_lshlrev_b32_e32 v30, 4, v0
	s_lshl_b32 s70, s59, 4
	v_or_b32_e32 v31, 0xc00, v3
	s_mov_b64 s[88:89], 0
	v_mov_b32_e32 v32, 30
	v_mov_b32_e32 v35, s7
	;; [unrolled: 1-line block ×7, first 2 shown]
	v_writelane_b32 v48, s13, 31
                                        ; implicit-def: $sgpr90_sgpr91
                                        ; implicit-def: $sgpr94_sgpr95
                                        ; implicit-def: $sgpr92_sgpr93
                                        ; implicit-def: $sgpr60_sgpr61
                                        ; implicit-def: $sgpr62_sgpr63
                                        ; implicit-def: $sgpr72_sgpr73
	s_branch .LBB90_11
.LBB90_8:                               ;   in Loop: Header=BB90_11 Depth=1
	s_or_b64 exec, exec, s[26:27]
	s_and_b64 s[26:27], s[24:25], exec
	s_andn2_b64 s[22:23], s[22:23], exec
	s_andn2_b64 s[20:21], s[20:21], exec
	s_orn2_b64 s[14:15], s[14:15], exec
.LBB90_9:                               ;   in Loop: Header=BB90_11 Depth=1
	s_or_b64 exec, exec, s[18:19]
	s_andn2_b64 s[2:3], s[72:73], exec
	s_and_b64 s[12:13], s[26:27], exec
	s_or_b64 s[72:73], s[2:3], s[12:13]
	s_andn2_b64 s[2:3], s[62:63], exec
	s_and_b64 s[12:13], s[22:23], exec
	s_or_b64 s[62:63], s[2:3], s[12:13]
	;; [unrolled: 3-line block ×3, first 2 shown]
	s_orn2_b64 s[14:15], s[14:15], exec
.LBB90_10:                              ;   in Loop: Header=BB90_11 Depth=1
	s_or_b64 exec, exec, s[6:7]
	s_and_b64 s[2:3], exec, s[14:15]
	s_or_b64 s[88:89], s[2:3], s[88:89]
	s_andn2_b64 s[2:3], s[92:93], exec
	s_and_b64 s[6:7], s[72:73], exec
	s_or_b64 s[92:93], s[2:3], s[6:7]
	s_andn2_b64 s[2:3], s[94:95], exec
	s_and_b64 s[6:7], s[62:63], exec
	;; [unrolled: 3-line block ×3, first 2 shown]
	s_or_b64 s[90:91], s[2:3], s[6:7]
	v_mov_b32_e32 v35, v4
	s_andn2_b64 exec, exec, s[88:89]
	s_cbranch_execz .LBB90_232
.LBB90_11:                              ; =>This Loop Header: Depth=1
                                        ;     Child Loop BB90_17 Depth 2
                                        ;     Child Loop BB90_30 Depth 2
	;; [unrolled: 1-line block ×16, first 2 shown]
	ds_read_b64 v[1:2], v7 offset:4104
	s_waitcnt lgkmcnt(0)
	v_readfirstlane_b32 s71, v1
	s_cmp_lg_u32 s71, 0
	s_cbranch_scc1 .LBB90_38
; %bb.12:                               ;   in Loop: Header=BB90_11 Depth=1
	s_and_b64 vcc, exec, s[78:79]
	s_cbranch_vccz .LBB90_25
; %bb.13:                               ;   in Loop: Header=BB90_11 Depth=1
	s_movk_i32 s2, 0x301
	v_cmp_gt_u32_e32 vcc, s2, v2
	s_mov_b64 s[18:19], 0
	s_mov_b64 s[6:7], 0
	s_cbranch_vccz .LBB90_26
; %bb.14:                               ;   in Loop: Header=BB90_11 Depth=1
	s_mov_b64 s[20:21], exec
	v_readlane_b32 s2, v48, 21
	v_readlane_b32 s3, v48, 22
	s_and_b64 s[2:3], s[20:21], s[2:3]
	s_mov_b64 exec, s[2:3]
	s_cbranch_execz .LBB90_122
; %bb.15:                               ;   in Loop: Header=BB90_11 Depth=1
	v_readlane_b32 s2, v48, 23
	v_readlane_b32 s3, v48, 24
	s_nop 4
	global_load_ushort v1, v7, s[2:3]
	global_load_dword v3, v[8:9], off
	s_mov_b64 s[22:23], 0
	v_mov_b32_e32 v4, v0
	s_waitcnt vmcnt(1)
	v_add_u32_e32 v2, v0, v1
	v_mul_lo_u32 v6, s58, v2
	v_mul_lo_u32 v2, s58, v1
	s_branch .LBB90_17
.LBB90_16:                              ;   in Loop: Header=BB90_17 Depth=2
	s_or_b64 exec, exec, s[6:7]
	v_add_u32_e32 v6, v6, v2
	v_mov_b32_e32 v3, v13
	s_andn2_b64 exec, exec, s[22:23]
	s_cbranch_execz .LBB90_122
.LBB90_17:                              ;   Parent Loop BB90_11 Depth=1
                                        ; =>  This Inner Loop Header: Depth=2
	v_add_u32_e32 v4, v4, v1
	v_cmp_gt_u32_e64 s[6:7], s56, v4
	v_cmp_le_u32_e32 vcc, s56, v4
	s_waitcnt lgkmcnt(0)
	v_mov_b32_e32 v36, 0
	v_mov_b32_e32 v13, 0
	s_and_saveexec_b64 s[14:15], s[6:7]
	s_cbranch_execz .LBB90_19
; %bb.18:                               ;   in Loop: Header=BB90_17 Depth=2
	v_lshlrev_b64 v[37:38], 2, v[6:7]
	v_add_co_u32_e64 v37, s[6:7], s67, v37
	v_addc_co_u32_e64 v38, s[6:7], v18, v38, s[6:7]
	global_load_dword v13, v[37:38], off
.LBB90_19:                              ;   in Loop: Header=BB90_17 Depth=2
	s_or_b64 exec, exec, s[14:15]
	s_waitcnt vmcnt(0)
	v_xor_b32_e32 v37, 0x80000000, v3
	v_and_b32_e32 v37, v37, v34
	v_cmp_eq_u32_e64 s[14:15], v37, v26
	s_cmp_lg_u64 s[14:15], 0
	s_cselect_b64 s[2:3], -1, 0
	s_and_b64 s[2:3], s[4:5], s[2:3]
	s_and_saveexec_b64 s[24:25], s[2:3]
	s_cbranch_execz .LBB90_23
; %bb.20:                               ;   in Loop: Header=BB90_17 Depth=2
	s_mov_b64 s[28:29], exec
	v_mbcnt_lo_u32_b32 v36, s28, 0
	v_mbcnt_hi_u32_b32 v36, s29, v36
	s_bcnt1_i32_b64 s2, s[14:15]
	v_cmp_eq_u32_e64 s[6:7], 0, v36
                                        ; implicit-def: $vgpr37
	s_and_saveexec_b64 s[26:27], s[6:7]
; %bb.21:                               ;   in Loop: Header=BB90_17 Depth=2
	s_bcnt1_i32_b64 s3, s[28:29]
	s_mul_i32 s3, s2, s3
	v_mov_b32_e32 v37, s3
	ds_add_rtn_u32 v37, v7, v37 offset:4112
; %bb.22:                               ;   in Loop: Header=BB90_17 Depth=2
	s_or_b64 exec, exec, s[26:27]
	s_waitcnt lgkmcnt(0)
	v_readfirstlane_b32 s3, v37
	v_mov_b32_e32 v37, s3
	v_mad_u32_u24 v36, s2, v36, v37
.LBB90_23:                              ;   in Loop: Header=BB90_17 Depth=2
	s_or_b64 exec, exec, s[24:25]
	ds_bpermute_b32 v36, v19, v36
	s_and_b64 s[2:3], exec, vcc
	s_or_b64 s[22:23], s[2:3], s[22:23]
	s_and_saveexec_b64 s[6:7], s[14:15]
	s_cbranch_execz .LBB90_16
; %bb.24:                               ;   in Loop: Header=BB90_17 Depth=2
	v_and_b32_e32 v38, s14, v21
	v_and_b32_e32 v37, s15, v20
	v_bcnt_u32_b32 v38, v38, 0
	v_bcnt_u32_b32 v37, v37, v38
	v_lshlrev_b32_e32 v37, 2, v37
	s_waitcnt lgkmcnt(0)
	v_lshl_add_u32 v36, v36, 2, v37
	ds_write_b32 v36, v3
	s_branch .LBB90_16
.LBB90_25:                              ;   in Loop: Header=BB90_11 Depth=1
	s_mov_b64 s[18:19], -1
	s_mov_b64 s[6:7], 0
.LBB90_26:                              ;   in Loop: Header=BB90_11 Depth=1
	s_and_b64 vcc, exec, s[18:19]
	s_cbranch_vccz .LBB90_36
.LBB90_27:                              ;   in Loop: Header=BB90_11 Depth=1
	s_mov_b64 s[6:7], exec
	v_readlane_b32 s2, v48, 21
	v_readlane_b32 s3, v48, 22
	s_and_b64 s[2:3], s[6:7], s[2:3]
	s_mov_b64 exec, s[2:3]
	s_cbranch_execz .LBB90_33
; %bb.28:                               ;   in Loop: Header=BB90_11 Depth=1
	v_readlane_b32 s2, v48, 23
	v_readlane_b32 s3, v48, 24
	s_nop 4
	global_load_ushort v1, v7, s[2:3]
	global_load_dword v3, v[8:9], off
	v_mov_b32_e32 v2, v0
	s_waitcnt vmcnt(1)
	v_add_u32_e32 v6, v0, v1
	v_cmp_gt_u32_e32 vcc, s56, v6
	s_and_saveexec_b64 s[14:15], vcc
	s_cbranch_execz .LBB90_32
; %bb.29:                               ;   in Loop: Header=BB90_11 Depth=1
	v_mul_lo_u32 v6, s58, v6
	v_mul_lo_u32 v13, s58, v1
	v_lshlrev_b32_e32 v4, 2, v1
	s_mov_b64 s[18:19], 0
	v_mov_b32_e32 v36, v15
	v_mov_b32_e32 v2, v0
.LBB90_30:                              ;   Parent Loop BB90_11 Depth=1
                                        ; =>  This Inner Loop Header: Depth=2
	v_lshlrev_b64 v[37:38], 2, v[6:7]
	v_mov_b32_e32 v39, s57
	v_add_co_u32_e32 v37, vcc, s67, v37
	v_addc_co_u32_e32 v38, vcc, v39, v38, vcc
	global_load_dword v37, v[37:38], off
	v_add_u32_e32 v2, v2, v1
	s_waitcnt vmcnt(1)
	ds_write_b32 v36, v3
	v_add_u32_e32 v3, v1, v2
	v_cmp_le_u32_e32 vcc, s56, v3
	v_add_u32_e32 v36, v36, v4
	v_add_u32_e32 v6, v6, v13
	s_or_b64 s[18:19], vcc, s[18:19]
	s_waitcnt vmcnt(0)
	v_mov_b32_e32 v3, v37
	s_andn2_b64 exec, exec, s[18:19]
	s_cbranch_execnz .LBB90_30
; %bb.31:                               ;   in Loop: Header=BB90_11 Depth=1
	s_or_b64 exec, exec, s[18:19]
	v_mov_b32_e32 v3, v37
.LBB90_32:                              ;   in Loop: Header=BB90_11 Depth=1
	s_or_b64 exec, exec, s[14:15]
	v_lshlrev_b32_e32 v1, 2, v2
	s_waitcnt vmcnt(0)
	ds_write_b32 v1, v3
.LBB90_33:                              ;   in Loop: Header=BB90_11 Depth=1
	s_or_b64 exec, exec, s[6:7]
	s_waitcnt lgkmcnt(0)
	s_barrier
	s_and_saveexec_b64 s[6:7], s[0:1]
; %bb.34:                               ;   in Loop: Header=BB90_11 Depth=1
	v_mov_b32_e32 v1, s56
	ds_write_b32 v7, v1 offset:4104
; %bb.35:                               ;   in Loop: Header=BB90_11 Depth=1
	s_or_b64 exec, exec, s[6:7]
	s_mov_b64 s[6:7], -1
	s_waitcnt lgkmcnt(0)
	s_barrier
.LBB90_36:                              ;   in Loop: Header=BB90_11 Depth=1
	s_mov_b32 s71, 0
	s_and_b64 vcc, exec, s[6:7]
	s_cbranch_vccz .LBB90_38
; %bb.37:                               ;   in Loop: Header=BB90_11 Depth=1
	ds_read_b32 v1, v7 offset:4104
	s_waitcnt lgkmcnt(0)
	v_readfirstlane_b32 s71, v1
.LBB90_38:                              ;   in Loop: Header=BB90_11 Depth=1
	s_cmp_lt_i32 s71, 1
	s_mov_b64 s[6:7], -1
                                        ; implicit-def: $vgpr4
	s_cbranch_scc1 .LBB90_48
; %bb.39:                               ;   in Loop: Header=BB90_11 Depth=1
	s_and_b64 vcc, exec, s[6:7]
	s_cbranch_vccnz .LBB90_59
.LBB90_40:                              ;   in Loop: Header=BB90_11 Depth=1
	v_lshlrev_b32_e32 v6, 6, v33
	s_and_saveexec_b64 s[6:7], s[4:5]
.LBB90_41:                              ;   in Loop: Header=BB90_11 Depth=1
	v_lshl_add_u32 v13, v6, 2, v22
	ds_write_b128 v13, v[1:4]
.LBB90_42:                              ;   in Loop: Header=BB90_11 Depth=1
	s_or_b64 exec, exec, s[6:7]
	s_waitcnt lgkmcnt(0)
	s_barrier
	s_and_saveexec_b64 s[6:7], s[76:77]
	s_cbranch_execz .LBB90_73
; %bb.43:                               ;   in Loop: Header=BB90_11 Depth=1
	s_andn2_b64 vcc, exec, s[80:81]
	v_mov_b32_e32 v1, 0
	s_cbranch_vccnz .LBB90_72
; %bb.44:                               ;   in Loop: Header=BB90_11 Depth=1
	v_readlane_b32 s2, v48, 25
	v_readlane_b32 s3, v48, 26
	s_andn2_b64 vcc, exec, s[2:3]
	s_cbranch_vccnz .LBB90_68
; %bb.45:                               ;   in Loop: Header=BB90_11 Depth=1
	v_lshl_add_u32 v2, v33, 8, v31
	s_mov_b32 s2, 0
	v_mov_b32_e32 v1, 0
.LBB90_46:                              ;   Parent Loop BB90_11 Depth=1
                                        ; =>  This Inner Loop Header: Depth=2
	ds_read2_b32 v[3:4], v2 offset1:4
	ds_read2_b32 v[36:37], v2 offset0:8 offset1:12
	ds_read2_b32 v[38:39], v2 offset0:16 offset1:20
	;; [unrolled: 1-line block ×3, first 2 shown]
	s_add_i32 s2, s2, 8
	s_waitcnt lgkmcnt(3)
	v_add3_u32 v1, v3, v1, v4
	s_waitcnt lgkmcnt(2)
	v_add3_u32 v1, v36, v1, v37
	;; [unrolled: 2-line block ×3, first 2 shown]
	v_add_u32_e32 v2, 0x80, v2
	s_cmp_eq_u32 s68, s2
	s_waitcnt lgkmcnt(0)
	v_add3_u32 v1, v40, v1, v41
	s_cbranch_scc0 .LBB90_46
; %bb.47:                               ;   in Loop: Header=BB90_11 Depth=1
	s_mov_b32 s2, s68
	s_branch .LBB90_69
.LBB90_48:                              ;   in Loop: Header=BB90_11 Depth=1
	v_mov_b32_e32 v1, 0
	v_mov_b32_e32 v2, 0
	;; [unrolled: 1-line block ×4, first 2 shown]
	s_and_saveexec_b64 s[44:45], s[8:9]
	s_cbranch_execz .LBB90_52
; %bb.49:                               ;   in Loop: Header=BB90_11 Depth=1
	s_mov_b32 s48, 0
	s_mov_b64 s[46:47], 0
	s_mov_b32 s49, 0
	s_mov_b32 s50, 0
	;; [unrolled: 1-line block ×4, first 2 shown]
	v_mov_b32_e32 v13, v15
.LBB90_50:                              ;   Parent Loop BB90_11 Depth=1
                                        ; =>  This Inner Loop Header: Depth=2
	v_add_u32_e32 v6, s48, v28
	v_lshlrev_b64 v[2:3], 2, v[6:7]
	v_add_u32_e32 v6, s48, v24
	v_mov_b32_e32 v1, s57
	v_lshlrev_b64 v[36:37], 2, v[6:7]
	v_add_co_u32_e64 v2, s[6:7], s67, v2
	v_add_u32_e32 v6, s48, v25
	v_addc_co_u32_e64 v3, s[6:7], v1, v3, s[6:7]
	v_lshlrev_b64 v[38:39], 2, v[6:7]
	v_add_u32_e32 v6, s48, v27
	v_add_co_u32_e64 v36, s[6:7], s67, v36
	v_lshlrev_b64 v[40:41], 2, v[6:7]
	v_addc_co_u32_e64 v37, s[6:7], v1, v37, s[6:7]
	global_load_dword v4, v[2:3], off
	global_load_dword v6, v[36:37], off
	v_add_co_u32_e64 v2, s[6:7], s67, v38
	v_addc_co_u32_e64 v3, s[6:7], v1, v39, s[6:7]
	global_load_dword v36, v[2:3], off
	v_add_co_u32_e64 v2, s[6:7], s67, v40
	v_addc_co_u32_e64 v3, s[6:7], v1, v41, s[6:7]
	global_load_dword v1, v[2:3], off
	v_add_u32_e32 v13, s82, v13
	v_cmp_le_u32_e32 vcc, s84, v13
	s_add_i32 s48, s48, s87
	s_waitcnt vmcnt(3)
	v_xor_b32_e32 v2, 0x80000000, v4
	v_and_b32_e32 v4, v2, v34
	v_bfe_u32 v2, v2, v32, 2
	s_waitcnt vmcnt(2)
	v_xor_b32_e32 v3, 0x80000000, v6
	v_cmp_eq_u32_e64 s[6:7], v4, v26
	v_cmp_eq_u32_e64 s[14:15], 0, v2
	v_and_b32_e32 v4, v3, v34
	v_bfe_u32 v3, v3, v32, 2
	v_cmp_eq_u32_e64 s[18:19], 1, v2
	s_and_b64 s[2:3], s[6:7], s[14:15]
	s_waitcnt vmcnt(1)
	v_xor_b32_e32 v6, 0x80000000, v36
	v_cmp_eq_u32_e64 s[20:21], 2, v2
	v_cmp_eq_u32_e64 s[26:27], 0, v3
	;; [unrolled: 1-line block ×5, first 2 shown]
	v_cndmask_b32_e64 v3, 0, 1, s[2:3]
	s_and_b64 s[2:3], s[6:7], s[18:19]
	v_cmp_eq_u32_e64 s[22:23], 3, v2
	v_cmp_eq_u32_e64 s[24:25], v4, v26
	v_and_b32_e32 v2, v6, v34
	v_bfe_u32 v4, v6, v32, 2
	v_cndmask_b32_e64 v6, 0, 1, s[2:3]
	s_and_b64 s[2:3], s[6:7], s[20:21]
	v_cndmask_b32_e64 v36, 0, 1, s[2:3]
	s_and_b64 s[2:3], s[6:7], s[22:23]
	v_cndmask_b32_e64 v37, 0, 1, s[2:3]
	s_and_b64 s[2:3], s[24:25], s[26:27]
	v_cmp_ne_u32_e64 s[36:37], 0, v3
	v_cndmask_b32_e64 v3, 0, 1, s[2:3]
	s_and_b64 s[2:3], s[24:25], s[28:29]
	v_cmp_eq_u32_e64 s[14:15], 0, v4
	v_cmp_eq_u32_e64 s[18:19], 1, v4
	;; [unrolled: 1-line block ×4, first 2 shown]
	v_cndmask_b32_e64 v4, 0, 1, s[2:3]
	s_and_b64 s[2:3], s[24:25], s[30:31]
	s_waitcnt vmcnt(0)
	v_xor_b32_e32 v1, 0x80000000, v1
	v_cmp_eq_u32_e64 s[6:7], v2, v26
	v_cmp_ne_u32_e64 s[26:27], 0, v6
	v_cndmask_b32_e64 v6, 0, 1, s[2:3]
	s_and_b64 s[2:3], s[24:25], s[34:35]
	v_and_b32_e32 v2, v1, v34
	v_bfe_u32 v1, v1, v32, 2
	v_cmp_ne_u32_e64 s[28:29], 0, v36
	v_cndmask_b32_e64 v36, 0, 1, s[2:3]
	s_and_b64 s[2:3], s[6:7], s[14:15]
	v_cmp_eq_u32_e64 s[34:35], 0, v1
	v_cmp_eq_u32_e64 s[38:39], 1, v1
	;; [unrolled: 1-line block ×4, first 2 shown]
	v_cndmask_b32_e64 v1, 0, 1, s[2:3]
	s_and_b64 s[2:3], s[6:7], s[18:19]
	v_cmp_eq_u32_e64 s[24:25], v2, v26
	v_cndmask_b32_e64 v2, 0, 1, s[2:3]
	s_and_b64 s[2:3], s[6:7], s[20:21]
	s_bcnt1_i32_b64 s12, s[36:37]
	v_cmp_ne_u32_e64 s[36:37], 0, v3
	v_cndmask_b32_e64 v3, 0, 1, s[2:3]
	s_and_b64 s[2:3], s[6:7], s[22:23]
	v_cmp_ne_u32_e64 s[14:15], 0, v4
	v_cndmask_b32_e64 v4, 0, 1, s[2:3]
	s_and_b64 s[2:3], s[24:25], s[34:35]
	;; [unrolled: 3-line block ×3, first 2 shown]
	v_cmp_ne_u32_e64 s[30:31], 0, v37
	v_cmp_ne_u32_e64 s[18:19], 0, v6
	s_bcnt1_i32_b64 s23, s[14:15]
	v_cmp_ne_u32_e64 s[14:15], 0, v2
	v_cndmask_b32_e64 v2, 0, 1, s[2:3]
	s_and_b64 s[2:3], s[24:25], s[40:41]
	s_bcnt1_i32_b64 s13, s[26:27]
	s_bcnt1_i32_b64 s26, s[28:29]
	;; [unrolled: 1-line block ×3, first 2 shown]
	v_cmp_ne_u32_e64 s[20:21], 0, v36
	s_bcnt1_i32_b64 s28, s[18:19]
	v_cmp_ne_u32_e64 s[18:19], 0, v3
	v_cndmask_b32_e64 v3, 0, 1, s[2:3]
	s_and_b64 s[2:3], s[24:25], s[42:43]
	s_bcnt1_i32_b64 s22, s[36:37]
	s_add_i32 s12, s52, s12
	s_add_i32 s13, s51, s13
	;; [unrolled: 1-line block ×3, first 2 shown]
	s_bcnt1_i32_b64 s29, s[20:21]
	v_cmp_ne_u32_e64 s[20:21], 0, v4
	v_cndmask_b32_e64 v4, 0, 1, s[2:3]
	s_add_i32 s2, s49, s27
	s_bcnt1_i32_b64 s3, s[6:7]
	v_cmp_ne_u32_e64 s[6:7], 0, v1
	s_add_i32 s12, s12, s22
	s_bcnt1_i32_b64 s22, s[14:15]
	v_cmp_ne_u32_e64 s[14:15], 0, v2
	;; [unrolled: 3-line block ×4, first 2 shown]
	s_add_i32 s2, s2, s29
	s_bcnt1_i32_b64 s6, s[6:7]
	s_add_i32 s3, s12, s3
	s_bcnt1_i32_b64 s7, s[14:15]
	;; [unrolled: 2-line block ×4, first 2 shown]
	s_add_i32 s2, s2, s25
	s_add_i32 s52, s3, s6
	;; [unrolled: 1-line block ×5, first 2 shown]
	s_or_b64 s[46:47], vcc, s[46:47]
	v_mov_b32_e32 v1, s52
	v_mov_b32_e32 v2, s51
	;; [unrolled: 1-line block ×4, first 2 shown]
	s_andn2_b64 exec, exec, s[46:47]
	s_cbranch_execnz .LBB90_50
; %bb.51:                               ;   in Loop: Header=BB90_11 Depth=1
	s_or_b64 exec, exec, s[46:47]
.LBB90_52:                              ;   in Loop: Header=BB90_11 Depth=1
	s_or_b64 exec, exec, s[44:45]
	s_and_saveexec_b64 s[14:15], s[10:11]
	s_cbranch_execz .LBB90_58
; %bb.53:                               ;   in Loop: Header=BB90_11 Depth=1
	global_load_dword v36, v[10:11], off
	s_mov_b64 s[18:19], 0
	v_mov_b32_e32 v6, v29
	v_mov_b32_e32 v13, v23
	s_branch .LBB90_55
.LBB90_54:                              ;   in Loop: Header=BB90_55 Depth=2
	s_or_b64 exec, exec, s[20:21]
	s_waitcnt vmcnt(0)
	v_xor_b32_e32 v36, 0x80000000, v36
	s_and_b64 s[2:3], exec, vcc
	v_and_b32_e32 v38, v36, v34
	v_bfe_u32 v36, v36, v32, 2
	s_or_b64 s[18:19], s[2:3], s[18:19]
	v_cmp_eq_u32_e32 vcc, v38, v26
	v_cmp_eq_u32_e64 s[6:7], 0, v36
	s_and_b64 s[2:3], vcc, s[6:7]
	v_cndmask_b32_e64 v38, 0, 1, s[2:3]
	v_cmp_ne_u32_e64 s[6:7], 0, v38
	s_bcnt1_i32_b64 s2, s[6:7]
	v_cmp_eq_u32_e64 s[6:7], 1, v36
	v_add_u32_e32 v1, s2, v1
	s_and_b64 s[2:3], vcc, s[6:7]
	v_cndmask_b32_e64 v38, 0, 1, s[2:3]
	v_cmp_ne_u32_e64 s[6:7], 0, v38
	s_bcnt1_i32_b64 s2, s[6:7]
	v_cmp_eq_u32_e64 s[6:7], 2, v36
	v_add_u32_e32 v2, s2, v2
	;; [unrolled: 6-line block ×3, first 2 shown]
	s_and_b64 s[2:3], vcc, s[6:7]
	v_cndmask_b32_e64 v36, 0, 1, s[2:3]
	v_cmp_ne_u32_e32 vcc, 0, v36
	s_bcnt1_i32_b64 s2, vcc
	v_add_u32_e32 v4, s2, v4
	v_add_u32_e32 v6, s66, v6
	v_mov_b32_e32 v36, v37
	s_andn2_b64 exec, exec, s[18:19]
	s_cbranch_execz .LBB90_57
.LBB90_55:                              ;   Parent Loop BB90_11 Depth=1
                                        ; =>  This Inner Loop Header: Depth=2
	v_add_u32_e32 v13, s59, v13
	v_cmp_gt_u32_e64 s[6:7], s56, v13
	v_cmp_le_u32_e32 vcc, s56, v13
	v_mov_b32_e32 v37, 0
	s_and_saveexec_b64 s[20:21], s[6:7]
	s_cbranch_execz .LBB90_54
; %bb.56:                               ;   in Loop: Header=BB90_55 Depth=2
	v_lshlrev_b64 v[37:38], 2, v[6:7]
	v_mov_b32_e32 v39, s57
	v_add_co_u32_e64 v37, s[6:7], s67, v37
	v_addc_co_u32_e64 v38, s[6:7], v39, v38, s[6:7]
	global_load_dword v37, v[37:38], off
	s_branch .LBB90_54
.LBB90_57:                              ;   in Loop: Header=BB90_11 Depth=1
	s_or_b64 exec, exec, s[18:19]
.LBB90_58:                              ;   in Loop: Header=BB90_11 Depth=1
	s_or_b64 exec, exec, s[14:15]
	s_branch .LBB90_40
.LBB90_59:                              ;   in Loop: Header=BB90_11 Depth=1
	s_mul_hi_u32 s2, s71, s69
	s_mul_i32 s2, s2, s82
	s_sub_i32 s2, s71, s2
	s_sub_i32 s3, s2, s82
	s_cmp_ge_u32 s2, s82
	s_cselect_b32 s2, s3, s2
	s_sub_i32 s3, s2, s82
	s_cmp_ge_u32 s2, s82
	s_cselect_b32 s2, s3, s2
	s_sub_i32 s2, s71, s2
	v_cmp_gt_u32_e32 vcc, s2, v15
	v_mov_b32_e32 v1, 0
	v_mov_b32_e32 v2, 0
	;; [unrolled: 1-line block ×4, first 2 shown]
	s_and_saveexec_b64 s[74:75], vcc
	s_cbranch_execz .LBB90_63
; %bb.60:                               ;   in Loop: Header=BB90_11 Depth=1
	s_mov_b32 s3, 0
	s_mov_b64 s[64:65], 0
	v_mov_b32_e32 v6, v30
	s_mov_b32 s33, 0
	s_mov_b32 s12, 0
	;; [unrolled: 1-line block ×3, first 2 shown]
	v_mov_b32_e32 v13, v15
.LBB90_61:                              ;   Parent Loop BB90_11 Depth=1
                                        ; =>  This Inner Loop Header: Depth=2
	ds_read_b128 v[1:4], v6
	v_add_u32_e32 v13, s82, v13
	v_cmp_le_u32_e32 vcc, s2, v13
	v_add_u32_e32 v6, s70, v6
	s_waitcnt lgkmcnt(0)
	v_xor_b32_e32 v1, 0x80000000, v1
	v_xor_b32_e32 v2, 0x80000000, v2
	v_and_b32_e32 v36, v1, v34
	v_bfe_u32 v1, v1, v32, 2
	v_xor_b32_e32 v3, 0x80000000, v3
	v_and_b32_e32 v37, v2, v34
	v_bfe_u32 v2, v2, v32, 2
	v_cmp_eq_u32_e64 s[6:7], v36, v26
	v_cmp_eq_u32_e64 s[22:23], 0, v1
	v_xor_b32_e32 v4, 0x80000000, v4
	v_and_b32_e32 v38, v3, v34
	v_bfe_u32 v3, v3, v32, 2
	v_cmp_eq_u32_e64 s[14:15], v37, v26
	v_cmp_eq_u32_e64 s[24:25], 0, v2
	s_and_b64 s[22:23], s[6:7], s[22:23]
	v_and_b32_e32 v39, v4, v34
	v_bfe_u32 v4, v4, v32, 2
	v_cmp_eq_u32_e64 s[18:19], v38, v26
	v_cmp_eq_u32_e64 s[26:27], 0, v3
	v_cmp_eq_u32_e64 s[30:31], 1, v1
	v_cmp_eq_u32_e64 s[40:41], 2, v1
	v_cmp_eq_u32_e64 s[48:49], 3, v1
	v_cndmask_b32_e64 v1, 0, 1, s[22:23]
	s_and_b64 s[22:23], s[14:15], s[24:25]
	v_cmp_eq_u32_e64 s[20:21], v39, v26
	v_cmp_eq_u32_e64 s[28:29], 0, v4
	;; [unrolled: 1-line block ×5, first 2 shown]
	v_cndmask_b32_e64 v2, 0, 1, s[22:23]
	s_and_b64 s[22:23], s[18:19], s[26:27]
	v_cmp_eq_u32_e64 s[36:37], 1, v3
	v_cmp_eq_u32_e64 s[44:45], 2, v3
	;; [unrolled: 1-line block ×3, first 2 shown]
	v_cndmask_b32_e64 v3, 0, 1, s[22:23]
	s_and_b64 s[22:23], s[20:21], s[28:29]
	v_cmp_eq_u32_e64 s[38:39], 1, v4
	v_cmp_eq_u32_e64 s[46:47], 2, v4
	v_cmp_eq_u32_e64 s[54:55], 3, v4
	v_cndmask_b32_e64 v4, 0, 1, s[22:23]
	s_and_b64 s[22:23], s[6:7], s[30:31]
	v_cndmask_b32_e64 v36, 0, 1, s[22:23]
	s_and_b64 s[22:23], s[14:15], s[34:35]
	;; [unrolled: 2-line block ×5, first 2 shown]
	s_and_b64 s[6:7], s[6:7], s[48:49]
	v_cndmask_b32_e64 v40, 0, 1, s[22:23]
	s_and_b64 s[22:23], s[14:15], s[42:43]
	v_cndmask_b32_e64 v44, 0, 1, s[6:7]
	;; [unrolled: 2-line block ×7, first 2 shown]
	v_cndmask_b32_e64 v47, 0, 1, s[6:7]
	v_cmp_ne_u32_e64 s[6:7], 0, v1
	v_cmp_ne_u32_e64 s[14:15], 0, v2
	v_cmp_ne_u32_e64 s[18:19], 0, v3
	v_cmp_ne_u32_e64 s[20:21], 0, v4
	v_cmp_ne_u32_e64 s[22:23], 0, v36
	v_cmp_ne_u32_e64 s[26:27], 0, v38
	v_cmp_ne_u32_e64 s[30:31], 0, v40
	v_cmp_ne_u32_e64 s[40:41], 0, v44
	v_cmp_ne_u32_e64 s[24:25], 0, v37
	v_cmp_ne_u32_e64 s[34:35], 0, v41
	v_cmp_ne_u32_e64 s[42:43], 0, v45
	s_bcnt1_i32_b64 s6, s[6:7]
	s_bcnt1_i32_b64 s7, s[14:15]
	;; [unrolled: 1-line block ×8, first 2 shown]
	v_cmp_ne_u32_e64 s[28:29], 0, v39
	v_cmp_ne_u32_e64 s[36:37], 0, v42
	v_cmp_ne_u32_e64 s[44:45], 0, v46
	s_bcnt1_i32_b64 s19, s[24:25]
	s_bcnt1_i32_b64 s23, s[34:35]
	;; [unrolled: 1-line block ×3, first 2 shown]
	s_add_i32 s6, s13, s6
	s_add_i32 s12, s12, s18
	;; [unrolled: 1-line block ×4, first 2 shown]
	v_cmp_ne_u32_e64 s[38:39], 0, v43
	v_cmp_ne_u32_e64 s[46:47], 0, v47
	s_bcnt1_i32_b64 s21, s[28:29]
	s_bcnt1_i32_b64 s24, s[36:37]
	;; [unrolled: 1-line block ×3, first 2 shown]
	s_add_i32 s6, s6, s7
	s_add_i32 s7, s12, s19
	;; [unrolled: 1-line block ×4, first 2 shown]
	s_bcnt1_i32_b64 s25, s[38:39]
	s_bcnt1_i32_b64 s29, s[46:47]
	s_add_i32 s6, s6, s14
	s_add_i32 s7, s7, s20
	;; [unrolled: 1-line block ×8, first 2 shown]
	s_or_b64 s[64:65], vcc, s[64:65]
	v_mov_b32_e32 v1, s13
	v_mov_b32_e32 v2, s12
	;; [unrolled: 1-line block ×4, first 2 shown]
	s_andn2_b64 exec, exec, s[64:65]
	s_cbranch_execnz .LBB90_61
; %bb.62:                               ;   in Loop: Header=BB90_11 Depth=1
	s_or_b64 exec, exec, s[64:65]
.LBB90_63:                              ;   in Loop: Header=BB90_11 Depth=1
	s_or_b64 exec, exec, s[74:75]
	v_add_u32_e32 v6, s2, v0
	v_cmp_gt_u32_e32 vcc, s71, v6
	s_and_saveexec_b64 s[24:25], vcc
	s_cbranch_execz .LBB90_67
; %bb.64:                               ;   in Loop: Header=BB90_11 Depth=1
	v_lshlrev_b32_e32 v13, 2, v6
	s_mov_b64 s[26:27], 0
.LBB90_65:                              ;   Parent Loop BB90_11 Depth=1
                                        ; =>  This Inner Loop Header: Depth=2
	ds_read_b32 v36, v13
	v_add_u32_e32 v6, s59, v6
	v_cmp_le_u32_e32 vcc, s71, v6
	v_add_u32_e32 v13, s82, v13
	s_waitcnt lgkmcnt(0)
	v_xor_b32_e32 v36, 0x80000000, v36
	v_and_b32_e32 v37, v36, v34
	v_bfe_u32 v36, v36, v32, 2
	v_cmp_eq_u32_e64 s[6:7], v37, v26
	v_cmp_eq_u32_e64 s[14:15], 0, v36
	;; [unrolled: 1-line block ×3, first 2 shown]
	s_and_b64 s[2:3], s[6:7], s[14:15]
	v_cmp_eq_u32_e64 s[20:21], 2, v36
	v_cmp_eq_u32_e64 s[22:23], 3, v36
	v_cndmask_b32_e64 v36, 0, 1, s[2:3]
	s_and_b64 s[2:3], s[6:7], s[18:19]
	v_cndmask_b32_e64 v37, 0, 1, s[2:3]
	s_and_b64 s[2:3], s[6:7], s[20:21]
	v_cndmask_b32_e64 v38, 0, 1, s[2:3]
	s_and_b64 s[2:3], s[6:7], s[22:23]
	v_cndmask_b32_e64 v39, 0, 1, s[2:3]
	v_cmp_ne_u32_e64 s[6:7], 0, v36
	v_cmp_ne_u32_e64 s[14:15], 0, v37
	;; [unrolled: 1-line block ×4, first 2 shown]
	s_bcnt1_i32_b64 s2, s[6:7]
	s_bcnt1_i32_b64 s3, s[14:15]
	;; [unrolled: 1-line block ×4, first 2 shown]
	v_add_u32_e32 v1, s2, v1
	v_add_u32_e32 v2, s3, v2
	;; [unrolled: 1-line block ×3, first 2 shown]
	s_or_b64 s[26:27], vcc, s[26:27]
	v_add_u32_e32 v4, s7, v4
	s_andn2_b64 exec, exec, s[26:27]
	s_cbranch_execnz .LBB90_65
; %bb.66:                               ;   in Loop: Header=BB90_11 Depth=1
	s_or_b64 exec, exec, s[26:27]
.LBB90_67:                              ;   in Loop: Header=BB90_11 Depth=1
	s_or_b64 exec, exec, s[24:25]
	v_lshlrev_b32_e32 v6, 6, v33
	s_and_saveexec_b64 s[6:7], s[4:5]
	s_cbranch_execnz .LBB90_41
	s_branch .LBB90_42
.LBB90_68:                              ;   in Loop: Header=BB90_11 Depth=1
	v_mov_b32_e32 v1, 0
	s_mov_b32 s2, 0
.LBB90_69:                              ;   in Loop: Header=BB90_11 Depth=1
	v_readlane_b32 s12, v48, 28
	v_readlane_b32 s13, v48, 29
	s_andn2_b64 vcc, exec, s[12:13]
	s_cbranch_vccnz .LBB90_72
; %bb.70:                               ;   in Loop: Header=BB90_11 Depth=1
	v_lshlrev_b32_e32 v2, 8, v33
	s_lshl_b32 s2, s2, 4
	v_add_u32_e32 v2, s2, v2
	v_add_u32_e32 v2, v31, v2
	v_readlane_b32 s2, v48, 27
.LBB90_71:                              ;   Parent Loop BB90_11 Depth=1
                                        ; =>  This Inner Loop Header: Depth=2
	ds_read_b32 v3, v2
	s_add_i32 s2, s2, -1
	v_add_u32_e32 v2, 16, v2
	s_cmp_lg_u32 s2, 0
	s_waitcnt lgkmcnt(0)
	v_add_u32_e32 v1, v3, v1
	s_cbranch_scc1 .LBB90_71
.LBB90_72:                              ;   in Loop: Header=BB90_11 Depth=1
	v_add_lshl_u32 v2, v6, v16, 2
	ds_write_b32 v2, v1 offset:3072
.LBB90_73:                              ;   in Loop: Header=BB90_11 Depth=1
	s_or_b64 exec, exec, s[6:7]
	v_lshlrev_b32_e32 v1, 2, v6
	s_waitcnt lgkmcnt(0)
	s_barrier
	ds_read_b128 v[1:4], v1 offset:3072
	v_cmp_eq_u32_e32 vcc, 1, v35
	s_mov_b64 s[14:15], -1
	s_mov_b64 s[24:25], -1
                                        ; implicit-def: $sgpr22_sgpr23
                                        ; implicit-def: $sgpr20_sgpr21
	s_waitcnt lgkmcnt(0)
	v_readfirstlane_b32 s38, v1
	s_cmp_eq_u32 s38, 1
	v_lshlrev_b32_e64 v1, v32, 3
	s_cselect_b64 s[2:3], -1, 0
	v_readfirstlane_b32 s42, v2
	v_readfirstlane_b32 s50, v3
	;; [unrolled: 1-line block ×3, first 2 shown]
	v_not_b32_e32 v3, v1
	s_and_b64 s[18:19], s[2:3], vcc
	s_and_saveexec_b64 s[6:7], s[18:19]
	s_cbranch_execz .LBB90_99
; %bb.74:                               ;   in Loop: Header=BB90_11 Depth=1
	ds_read_b32 v2, v7 offset:4104
	s_waitcnt lgkmcnt(0)
	s_barrier
	v_readfirstlane_b32 s2, v2
	s_and_saveexec_b64 s[20:21], s[16:17]
; %bb.75:                               ;   in Loop: Header=BB90_11 Depth=1
	ds_write_b32 v17, v7
; %bb.76:                               ;   in Loop: Header=BB90_11 Depth=1
	s_or_b64 exec, exec, s[20:21]
	v_and_b32_e32 v26, v26, v3
	v_or_b32_e32 v34, v34, v1
	s_mov_b64 s[20:21], -1
	s_mov_b64 s[22:23], 0
	s_cmp_eq_u32 s2, 0
	s_mov_b64 s[24:25], 0
	s_mov_b64 s[26:27], -1
	s_waitcnt lgkmcnt(0)
	s_barrier
                                        ; implicit-def: $vgpr14
	s_cbranch_scc1 .LBB90_87
; %bb.77:                               ;   in Loop: Header=BB90_11 Depth=1
	s_add_i32 s3, s2, s83
	s_mul_hi_u32 s12, s3, s85
	s_mul_i32 s12, s12, s59
	s_sub_i32 s12, s3, s12
	s_sub_i32 s13, s12, s59
	s_cmp_ge_u32 s12, s59
	s_cselect_b32 s12, s13, s12
	s_sub_i32 s13, s12, s59
	s_cmp_ge_u32 s12, s59
	s_cselect_b32 s12, s13, s12
	s_sub_i32 s3, s3, s12
	v_cmp_gt_u32_e32 vcc, s3, v0
	s_mov_b64 s[26:27], 0
                                        ; implicit-def: $vgpr14
	s_and_saveexec_b64 s[28:29], vcc
	s_cbranch_execz .LBB90_86
; %bb.78:                               ;   in Loop: Header=BB90_11 Depth=1
	v_mov_b32_e32 v2, v15
	v_mov_b32_e32 v4, v0
                                        ; implicit-def: $sgpr30_sgpr31
	s_branch .LBB90_81
.LBB90_79:                              ;   in Loop: Header=BB90_81 Depth=2
	s_or_b64 exec, exec, s[34:35]
	s_waitcnt lgkmcnt(0)
	s_barrier
	ds_read_b64 v[13:14], v7 offset:3072
	s_mov_b64 s[34:35], -1
	s_mov_b64 s[36:37], -1
	s_waitcnt lgkmcnt(0)
	s_barrier
	v_cmp_ne_u32_e32 vcc, 0, v13
	s_cbranch_vccz .LBB90_84
.LBB90_80:                              ;   in Loop: Header=BB90_81 Depth=2
	s_and_b64 s[12:13], exec, s[34:35]
	s_or_b64 s[24:25], s[12:13], s[24:25]
	s_andn2_b64 s[12:13], s[30:31], exec
	s_and_b64 s[30:31], s[36:37], exec
	s_or_b64 s[30:31], s[12:13], s[30:31]
	s_andn2_b64 exec, exec, s[24:25]
	s_cbranch_execz .LBB90_85
.LBB90_81:                              ;   Parent Loop BB90_11 Depth=1
                                        ; =>  This Inner Loop Header: Depth=2
	v_cmp_gt_u32_e32 vcc, s2, v4
	s_and_saveexec_b64 s[34:35], vcc
	s_cbranch_execz .LBB90_79
; %bb.82:                               ;   in Loop: Header=BB90_81 Depth=2
	ds_read_b32 v13, v2
	s_waitcnt lgkmcnt(0)
	v_xor_b32_e32 v6, 0x80000000, v13
	v_and_b32_e32 v6, v6, v34
	v_cmp_eq_u32_e32 vcc, v6, v26
	s_and_b64 exec, exec, vcc
	s_cbranch_execz .LBB90_79
; %bb.83:                               ;   in Loop: Header=BB90_81 Depth=2
	ds_write_b64 v7, v[12:13] offset:3072
	s_branch .LBB90_79
.LBB90_84:                              ;   in Loop: Header=BB90_81 Depth=2
	v_add_u32_e32 v4, s59, v4
	v_cmp_le_u32_e32 vcc, s3, v4
	v_add_u32_e32 v2, s82, v2
	s_mov_b64 s[36:37], 0
	s_orn2_b64 s[34:35], vcc, exec
	s_branch .LBB90_80
.LBB90_85:                              ;   in Loop: Header=BB90_11 Depth=1
	s_or_b64 exec, exec, s[24:25]
	s_and_b64 s[24:25], s[30:31], exec
.LBB90_86:                              ;   in Loop: Header=BB90_11 Depth=1
	s_or_b64 exec, exec, s[28:29]
.LBB90_87:                              ;   in Loop: Header=BB90_11 Depth=1
	s_and_b64 vcc, exec, s[26:27]
	s_cbranch_vccz .LBB90_98
; %bb.88:                               ;   in Loop: Header=BB90_11 Depth=1
                                        ; implicit-def: $vgpr14
	s_mov_b64 s[20:21], exec
	v_readlane_b32 s2, v48, 30
	v_readlane_b32 s3, v48, 31
	s_and_b64 s[2:3], s[20:21], s[2:3]
	s_mov_b64 exec, s[2:3]
	s_cbranch_execz .LBB90_97
; %bb.89:                               ;   in Loop: Header=BB90_11 Depth=1
	s_mov_b64 s[22:23], 0
	v_mov_b32_e32 v6, v5
	v_mov_b32_e32 v2, v0
                                        ; implicit-def: $sgpr26_sgpr27
	s_branch .LBB90_92
.LBB90_90:                              ;   in Loop: Header=BB90_92 Depth=2
	s_or_b64 exec, exec, s[28:29]
	s_waitcnt lgkmcnt(0)
	s_barrier
	ds_read_b64 v[13:14], v7 offset:3072
	s_mov_b64 s[28:29], -1
	s_mov_b64 s[30:31], -1
	s_waitcnt lgkmcnt(0)
	s_barrier
	v_cmp_ne_u32_e32 vcc, 0, v13
	s_cbranch_vccz .LBB90_95
.LBB90_91:                              ;   in Loop: Header=BB90_92 Depth=2
	s_and_b64 s[2:3], exec, s[28:29]
	s_or_b64 s[22:23], s[2:3], s[22:23]
	s_andn2_b64 s[2:3], s[26:27], exec
	s_and_b64 s[12:13], s[30:31], exec
	s_or_b64 s[26:27], s[2:3], s[12:13]
	s_andn2_b64 exec, exec, s[22:23]
	s_cbranch_execz .LBB90_96
.LBB90_92:                              ;   Parent Loop BB90_11 Depth=1
                                        ; =>  This Inner Loop Header: Depth=2
	v_cmp_gt_u32_e32 vcc, s56, v2
	s_and_saveexec_b64 s[28:29], vcc
	s_cbranch_execz .LBB90_90
; %bb.93:                               ;   in Loop: Header=BB90_92 Depth=2
	v_lshlrev_b64 v[13:14], 2, v[6:7]
	v_mov_b32_e32 v4, s57
	v_add_co_u32_e32 v13, vcc, s67, v13
	v_addc_co_u32_e32 v14, vcc, v4, v14, vcc
	global_load_dword v13, v[13:14], off
	s_waitcnt vmcnt(0)
	v_xor_b32_e32 v4, 0x80000000, v13
	v_and_b32_e32 v4, v4, v34
	v_cmp_eq_u32_e32 vcc, v4, v26
	s_and_b64 exec, exec, vcc
	s_cbranch_execz .LBB90_90
; %bb.94:                               ;   in Loop: Header=BB90_92 Depth=2
	ds_write_b64 v7, v[12:13] offset:3072
	s_branch .LBB90_90
.LBB90_95:                              ;   in Loop: Header=BB90_92 Depth=2
	v_add_u32_e32 v2, s59, v2
	v_cmp_le_u32_e32 vcc, s86, v2
	v_add_u32_e32 v6, s66, v6
	s_mov_b64 s[30:31], 0
	s_orn2_b64 s[28:29], vcc, exec
	s_branch .LBB90_91
.LBB90_96:                              ;   in Loop: Header=BB90_11 Depth=1
	s_or_b64 exec, exec, s[22:23]
	s_andn2_b64 s[2:3], s[24:25], exec
	s_and_b64 s[12:13], s[26:27], exec
	s_or_b64 s[24:25], s[2:3], s[12:13]
.LBB90_97:                              ;   in Loop: Header=BB90_11 Depth=1
	s_or_b64 exec, exec, s[20:21]
	s_mov_b64 s[20:21], 0
	s_mov_b64 s[22:23], -1
.LBB90_98:                              ;   in Loop: Header=BB90_11 Depth=1
	s_orn2_b64 s[24:25], s[24:25], exec
.LBB90_99:                              ;   in Loop: Header=BB90_11 Depth=1
	s_or_b64 exec, exec, s[6:7]
	s_andn2_b64 s[2:3], s[62:63], exec
	s_and_b64 s[6:7], s[22:23], exec
	s_or_b64 s[62:63], s[2:3], s[6:7]
	s_andn2_b64 s[2:3], s[60:61], exec
	s_and_b64 s[6:7], s[20:21], exec
	s_andn2_b64 s[72:73], s[72:73], exec
	s_or_b64 s[60:61], s[2:3], s[6:7]
                                        ; implicit-def: $vgpr4
	s_and_saveexec_b64 s[6:7], s[24:25]
	s_cbranch_execz .LBB90_10
; %bb.100:                              ;   in Loop: Header=BB90_11 Depth=1
	s_xor_b64 s[2:3], s[18:19], -1
	s_mov_b64 s[18:19], 0
	v_mov_b32_e32 v4, 1
	v_mov_b32_e32 v2, 1
	s_and_saveexec_b64 s[14:15], s[2:3]
	s_cbranch_execz .LBB90_109
; %bb.101:                              ;   in Loop: Header=BB90_11 Depth=1
	v_cmp_ge_u32_e32 vcc, s38, v35
	s_and_saveexec_b64 s[2:3], vcc
	s_xor_b64 s[18:19], exec, s[2:3]
	s_cbranch_execz .LBB90_106
; %bb.102:                              ;   in Loop: Header=BB90_11 Depth=1
	ds_read_b32 v2, v7 offset:4104
	v_and_b32_e32 v26, v26, v3
	v_or_b32_e32 v34, v34, v1
	s_waitcnt lgkmcnt(0)
	v_cmp_ne_u32_e32 vcc, 0, v2
	s_cbranch_vccnz .LBB90_106
; %bb.103:                              ;   in Loop: Header=BB90_11 Depth=1
	s_and_saveexec_b64 s[20:21], s[0:1]
; %bb.104:                              ;   in Loop: Header=BB90_11 Depth=1
	v_mov_b32_e32 v2, s38
	ds_write_b32 v7, v2 offset:4108
; %bb.105:                              ;   in Loop: Header=BB90_11 Depth=1
	s_or_b64 exec, exec, s[20:21]
	s_waitcnt lgkmcnt(0)
	s_barrier
.LBB90_106:                             ;   in Loop: Header=BB90_11 Depth=1
	s_or_saveexec_b64 s[18:19], s[18:19]
	s_mov_b64 s[20:21], 0
	v_mov_b32_e32 v2, 8
	s_xor_b64 exec, exec, s[18:19]
; %bb.107:                              ;   in Loop: Header=BB90_11 Depth=1
	s_mov_b64 s[20:21], exec
	v_subrev_u32_e32 v35, s38, v35
	v_mov_b32_e32 v2, 0
; %bb.108:                              ;   in Loop: Header=BB90_11 Depth=1
	s_or_b64 exec, exec, s[18:19]
	s_and_b64 s[18:19], s[20:21], exec
	v_mov_b32_e32 v4, v35
.LBB90_109:                             ;   in Loop: Header=BB90_11 Depth=1
	s_or_b64 exec, exec, s[14:15]
	s_mov_b64 s[14:15], -1
	s_mov_b64 s[24:25], -1
                                        ; implicit-def: $sgpr20_sgpr21
                                        ; implicit-def: $sgpr22_sgpr23
	s_and_saveexec_b64 s[2:3], s[18:19]
	s_xor_b64 s[18:19], exec, s[2:3]
	s_cbranch_execz .LBB90_229
; %bb.110:                              ;   in Loop: Header=BB90_11 Depth=1
	s_cmp_eq_u32 s42, 1
	s_cselect_b64 s[2:3], -1, 0
	v_cmp_eq_u32_e32 vcc, 1, v4
	s_and_b64 s[26:27], s[2:3], vcc
	s_mov_b64 s[28:29], -1
                                        ; implicit-def: $sgpr22_sgpr23
                                        ; implicit-def: $sgpr20_sgpr21
	s_and_saveexec_b64 s[24:25], s[26:27]
	s_cbranch_execz .LBB90_139
; %bb.111:                              ;   in Loop: Header=BB90_11 Depth=1
	ds_read_b32 v6, v7 offset:4104
	s_waitcnt lgkmcnt(0)
	s_barrier
	v_readfirstlane_b32 s2, v6
	s_and_saveexec_b64 s[20:21], s[16:17]
; %bb.112:                              ;   in Loop: Header=BB90_11 Depth=1
	ds_write_b32 v17, v7
; %bb.113:                              ;   in Loop: Header=BB90_11 Depth=1
	s_or_b64 exec, exec, s[20:21]
	v_and_b32_e32 v6, v26, v3
	v_lshl_or_b32 v26, 1, v32, v6
	v_or_b32_e32 v34, v34, v1
	s_mov_b64 s[20:21], -1
	s_mov_b64 s[22:23], 0
	s_cmp_eq_u32 s2, 0
	s_mov_b64 s[28:29], 0
	s_mov_b64 s[30:31], -1
	s_waitcnt lgkmcnt(0)
	s_barrier
                                        ; implicit-def: $vgpr14
	s_cbranch_scc1 .LBB90_127
; %bb.114:                              ;   in Loop: Header=BB90_11 Depth=1
	s_add_i32 s3, s2, s83
	s_mul_hi_u32 s12, s3, s85
	s_mul_i32 s12, s12, s59
	s_sub_i32 s12, s3, s12
	s_sub_i32 s13, s12, s59
	s_cmp_ge_u32 s12, s59
	s_cselect_b32 s12, s13, s12
	s_sub_i32 s13, s12, s59
	s_cmp_ge_u32 s12, s59
	s_cselect_b32 s12, s13, s12
	s_sub_i32 s3, s3, s12
	v_cmp_gt_u32_e32 vcc, s3, v0
	s_mov_b64 s[30:31], 0
                                        ; implicit-def: $vgpr14
	s_and_saveexec_b64 s[34:35], vcc
	s_cbranch_execz .LBB90_126
; %bb.115:                              ;   in Loop: Header=BB90_11 Depth=1
	v_mov_b32_e32 v6, v15
	v_mov_b32_e32 v35, v0
                                        ; implicit-def: $sgpr36_sgpr37
	s_branch .LBB90_118
.LBB90_116:                             ;   in Loop: Header=BB90_118 Depth=2
	s_or_b64 exec, exec, s[38:39]
	s_waitcnt lgkmcnt(0)
	s_barrier
	ds_read_b64 v[13:14], v7 offset:3072
	s_mov_b64 s[38:39], -1
	s_mov_b64 s[40:41], -1
	s_waitcnt lgkmcnt(0)
	s_barrier
	v_cmp_ne_u32_e32 vcc, 0, v13
	s_cbranch_vccz .LBB90_121
.LBB90_117:                             ;   in Loop: Header=BB90_118 Depth=2
	s_and_b64 s[12:13], exec, s[38:39]
	s_or_b64 s[28:29], s[12:13], s[28:29]
	s_andn2_b64 s[12:13], s[36:37], exec
	s_and_b64 s[36:37], s[40:41], exec
	s_or_b64 s[36:37], s[12:13], s[36:37]
	s_andn2_b64 exec, exec, s[28:29]
	s_cbranch_execz .LBB90_125
.LBB90_118:                             ;   Parent Loop BB90_11 Depth=1
                                        ; =>  This Inner Loop Header: Depth=2
	v_cmp_gt_u32_e32 vcc, s2, v35
	s_and_saveexec_b64 s[38:39], vcc
	s_cbranch_execz .LBB90_116
; %bb.119:                              ;   in Loop: Header=BB90_118 Depth=2
	ds_read_b32 v13, v6
	s_waitcnt lgkmcnt(0)
	v_xor_b32_e32 v14, 0x80000000, v13
	v_and_b32_e32 v14, v14, v34
	v_cmp_eq_u32_e32 vcc, v14, v26
	s_and_b64 exec, exec, vcc
	s_cbranch_execz .LBB90_116
; %bb.120:                              ;   in Loop: Header=BB90_118 Depth=2
	ds_write_b64 v7, v[12:13] offset:3072
	s_branch .LBB90_116
.LBB90_121:                             ;   in Loop: Header=BB90_118 Depth=2
	v_add_u32_e32 v35, s59, v35
	v_cmp_le_u32_e32 vcc, s3, v35
	v_add_u32_e32 v6, s82, v6
	s_mov_b64 s[40:41], 0
	s_orn2_b64 s[38:39], vcc, exec
	s_branch .LBB90_117
.LBB90_122:                             ;   in Loop: Header=BB90_11 Depth=1
	s_or_b64 exec, exec, s[20:21]
	s_waitcnt lgkmcnt(0)
	s_barrier
	s_and_saveexec_b64 s[6:7], s[0:1]
	s_cbranch_execz .LBB90_124
; %bb.123:                              ;   in Loop: Header=BB90_11 Depth=1
	ds_read_b32 v1, v7 offset:4112
	s_waitcnt lgkmcnt(0)
	ds_write_b32 v7, v1 offset:4104
.LBB90_124:                             ;   in Loop: Header=BB90_11 Depth=1
	s_or_b64 exec, exec, s[6:7]
	s_waitcnt lgkmcnt(0)
	s_barrier
	s_mov_b64 s[6:7], -1
	s_and_b64 vcc, exec, s[18:19]
	s_cbranch_vccnz .LBB90_27
	s_branch .LBB90_36
.LBB90_125:                             ;   in Loop: Header=BB90_11 Depth=1
	s_or_b64 exec, exec, s[28:29]
	s_and_b64 s[28:29], s[36:37], exec
.LBB90_126:                             ;   in Loop: Header=BB90_11 Depth=1
	s_or_b64 exec, exec, s[34:35]
.LBB90_127:                             ;   in Loop: Header=BB90_11 Depth=1
	s_and_b64 vcc, exec, s[30:31]
	s_cbranch_vccz .LBB90_138
; %bb.128:                              ;   in Loop: Header=BB90_11 Depth=1
                                        ; implicit-def: $vgpr14
	s_mov_b64 s[20:21], exec
	v_readlane_b32 s2, v48, 30
	v_readlane_b32 s3, v48, 31
	s_and_b64 s[2:3], s[20:21], s[2:3]
	s_mov_b64 exec, s[2:3]
	s_cbranch_execz .LBB90_137
; %bb.129:                              ;   in Loop: Header=BB90_11 Depth=1
	s_mov_b64 s[22:23], 0
	v_mov_b32_e32 v6, v5
	v_mov_b32_e32 v35, v0
                                        ; implicit-def: $sgpr30_sgpr31
	s_branch .LBB90_132
.LBB90_130:                             ;   in Loop: Header=BB90_132 Depth=2
	s_or_b64 exec, exec, s[34:35]
	s_waitcnt lgkmcnt(0)
	s_barrier
	ds_read_b64 v[13:14], v7 offset:3072
	s_mov_b64 s[34:35], -1
	s_mov_b64 s[36:37], -1
	s_waitcnt lgkmcnt(0)
	s_barrier
	v_cmp_eq_u32_e32 vcc, 0, v13
	s_cbranch_vccnz .LBB90_135
.LBB90_131:                             ;   in Loop: Header=BB90_132 Depth=2
	s_and_b64 s[2:3], exec, s[34:35]
	s_or_b64 s[22:23], s[2:3], s[22:23]
	s_andn2_b64 s[2:3], s[30:31], exec
	s_and_b64 s[12:13], s[36:37], exec
	s_or_b64 s[30:31], s[2:3], s[12:13]
	s_andn2_b64 exec, exec, s[22:23]
	s_cbranch_execz .LBB90_136
.LBB90_132:                             ;   Parent Loop BB90_11 Depth=1
                                        ; =>  This Inner Loop Header: Depth=2
	v_cmp_gt_u32_e32 vcc, s56, v35
	s_and_saveexec_b64 s[34:35], vcc
	s_cbranch_execz .LBB90_130
; %bb.133:                              ;   in Loop: Header=BB90_132 Depth=2
	v_lshlrev_b64 v[13:14], 2, v[6:7]
	v_mov_b32_e32 v36, s57
	v_add_co_u32_e32 v13, vcc, s67, v13
	v_addc_co_u32_e32 v14, vcc, v36, v14, vcc
	global_load_dword v13, v[13:14], off
	s_waitcnt vmcnt(0)
	v_xor_b32_e32 v14, 0x80000000, v13
	v_and_b32_e32 v14, v14, v34
	v_cmp_eq_u32_e32 vcc, v14, v26
	s_and_b64 exec, exec, vcc
	s_cbranch_execz .LBB90_130
; %bb.134:                              ;   in Loop: Header=BB90_132 Depth=2
	ds_write_b64 v7, v[12:13] offset:3072
	s_branch .LBB90_130
.LBB90_135:                             ;   in Loop: Header=BB90_132 Depth=2
	v_add_u32_e32 v35, s59, v35
	v_cmp_le_u32_e32 vcc, s86, v35
	v_add_u32_e32 v6, s66, v6
	s_mov_b64 s[36:37], 0
	s_orn2_b64 s[34:35], vcc, exec
	s_branch .LBB90_131
.LBB90_136:                             ;   in Loop: Header=BB90_11 Depth=1
	s_or_b64 exec, exec, s[22:23]
	s_andn2_b64 s[2:3], s[28:29], exec
	s_and_b64 s[12:13], s[30:31], exec
	s_or_b64 s[28:29], s[2:3], s[12:13]
.LBB90_137:                             ;   in Loop: Header=BB90_11 Depth=1
	s_or_b64 exec, exec, s[20:21]
	s_mov_b64 s[20:21], 0
	s_mov_b64 s[22:23], -1
.LBB90_138:                             ;   in Loop: Header=BB90_11 Depth=1
	s_orn2_b64 s[28:29], s[28:29], exec
.LBB90_139:                             ;   in Loop: Header=BB90_11 Depth=1
	s_or_b64 exec, exec, s[24:25]
	s_mov_b64 s[30:31], 0
	s_and_saveexec_b64 s[24:25], s[28:29]
	s_cbranch_execz .LBB90_228
; %bb.140:                              ;   in Loop: Header=BB90_11 Depth=1
	s_xor_b64 s[2:3], s[26:27], -1
	s_mov_b64 s[36:37], 0
	v_mov_b32_e32 v35, 1
	v_mov_b32_e32 v2, 1
	s_and_saveexec_b64 s[26:27], s[2:3]
	s_cbranch_execz .LBB90_149
; %bb.141:                              ;   in Loop: Header=BB90_11 Depth=1
	v_cmp_ge_u32_e32 vcc, s42, v4
	s_and_saveexec_b64 s[2:3], vcc
	s_xor_b64 s[28:29], exec, s[2:3]
	s_cbranch_execz .LBB90_146
; %bb.142:                              ;   in Loop: Header=BB90_11 Depth=1
	ds_read_b32 v2, v7 offset:4104
	v_and_b32_e32 v6, v26, v3
	v_lshl_or_b32 v26, 1, v32, v6
	v_or_b32_e32 v34, v34, v1
	s_waitcnt lgkmcnt(0)
	v_cmp_ne_u32_e32 vcc, 0, v2
	s_cbranch_vccnz .LBB90_146
; %bb.143:                              ;   in Loop: Header=BB90_11 Depth=1
	s_and_saveexec_b64 s[30:31], s[0:1]
; %bb.144:                              ;   in Loop: Header=BB90_11 Depth=1
	v_mov_b32_e32 v2, s42
	ds_write_b32 v7, v2 offset:4108
; %bb.145:                              ;   in Loop: Header=BB90_11 Depth=1
	s_or_b64 exec, exec, s[30:31]
	s_waitcnt lgkmcnt(0)
	s_barrier
.LBB90_146:                             ;   in Loop: Header=BB90_11 Depth=1
	s_or_saveexec_b64 s[28:29], s[28:29]
	s_mov_b64 s[30:31], 0
	v_mov_b32_e32 v2, 8
	s_xor_b64 exec, exec, s[28:29]
; %bb.147:                              ;   in Loop: Header=BB90_11 Depth=1
	s_mov_b64 s[30:31], exec
	v_subrev_u32_e32 v4, s42, v4
	v_mov_b32_e32 v2, 0
; %bb.148:                              ;   in Loop: Header=BB90_11 Depth=1
	s_or_b64 exec, exec, s[28:29]
	s_and_b64 s[36:37], s[30:31], exec
	v_mov_b32_e32 v35, v4
.LBB90_149:                             ;   in Loop: Header=BB90_11 Depth=1
	s_or_b64 exec, exec, s[26:27]
	s_mov_b64 s[34:35], -1
                                        ; implicit-def: $sgpr28_sgpr29
                                        ; implicit-def: $sgpr30_sgpr31
	s_and_saveexec_b64 s[26:27], s[36:37]
	s_cbranch_execz .LBB90_227
; %bb.150:                              ;   in Loop: Header=BB90_11 Depth=1
	s_cmp_eq_u32 s50, 1
	s_cselect_b64 s[2:3], -1, 0
	v_cmp_eq_u32_e32 vcc, 1, v35
	s_and_b64 s[36:37], s[2:3], vcc
	s_mov_b64 s[38:39], -1
                                        ; implicit-def: $sgpr30_sgpr31
                                        ; implicit-def: $sgpr28_sgpr29
	s_and_saveexec_b64 s[34:35], s[36:37]
	s_cbranch_execz .LBB90_176
; %bb.151:                              ;   in Loop: Header=BB90_11 Depth=1
	ds_read_b32 v4, v7 offset:4104
	s_waitcnt lgkmcnt(0)
	s_barrier
	v_readfirstlane_b32 s2, v4
	s_and_saveexec_b64 s[28:29], s[16:17]
; %bb.152:                              ;   in Loop: Header=BB90_11 Depth=1
	ds_write_b32 v17, v7
; %bb.153:                              ;   in Loop: Header=BB90_11 Depth=1
	s_or_b64 exec, exec, s[28:29]
	v_and_b32_e32 v4, v26, v3
	v_lshl_or_b32 v26, 2, v32, v4
	v_or_b32_e32 v34, v34, v1
	s_mov_b64 s[28:29], -1
	s_mov_b64 s[30:31], 0
	s_cmp_eq_u32 s2, 0
	s_mov_b64 s[38:39], 0
	s_mov_b64 s[40:41], -1
	s_waitcnt lgkmcnt(0)
	s_barrier
                                        ; implicit-def: $vgpr14
	s_cbranch_scc1 .LBB90_164
; %bb.154:                              ;   in Loop: Header=BB90_11 Depth=1
	s_add_i32 s3, s2, s83
	s_mul_hi_u32 s12, s3, s85
	s_mul_i32 s12, s12, s59
	s_sub_i32 s12, s3, s12
	s_sub_i32 s13, s12, s59
	s_cmp_ge_u32 s12, s59
	s_cselect_b32 s12, s13, s12
	s_sub_i32 s13, s12, s59
	s_cmp_ge_u32 s12, s59
	s_cselect_b32 s12, s13, s12
	s_sub_i32 s3, s3, s12
	v_cmp_gt_u32_e32 vcc, s3, v0
	s_mov_b64 s[40:41], 0
                                        ; implicit-def: $vgpr14
	s_and_saveexec_b64 s[42:43], vcc
	s_cbranch_execz .LBB90_163
; %bb.155:                              ;   in Loop: Header=BB90_11 Depth=1
	v_mov_b32_e32 v4, v15
	v_mov_b32_e32 v6, v0
                                        ; implicit-def: $sgpr44_sgpr45
	s_branch .LBB90_158
.LBB90_156:                             ;   in Loop: Header=BB90_158 Depth=2
	s_or_b64 exec, exec, s[46:47]
	s_waitcnt lgkmcnt(0)
	s_barrier
	ds_read_b64 v[13:14], v7 offset:3072
	s_mov_b64 s[46:47], -1
	s_mov_b64 s[48:49], -1
	s_waitcnt lgkmcnt(0)
	s_barrier
	v_cmp_ne_u32_e32 vcc, 0, v13
	s_cbranch_vccz .LBB90_161
.LBB90_157:                             ;   in Loop: Header=BB90_158 Depth=2
	s_and_b64 s[12:13], exec, s[46:47]
	s_or_b64 s[38:39], s[12:13], s[38:39]
	s_andn2_b64 s[12:13], s[44:45], exec
	s_and_b64 s[44:45], s[48:49], exec
	s_or_b64 s[44:45], s[12:13], s[44:45]
	s_andn2_b64 exec, exec, s[38:39]
	s_cbranch_execz .LBB90_162
.LBB90_158:                             ;   Parent Loop BB90_11 Depth=1
                                        ; =>  This Inner Loop Header: Depth=2
	v_cmp_gt_u32_e32 vcc, s2, v6
	s_and_saveexec_b64 s[46:47], vcc
	s_cbranch_execz .LBB90_156
; %bb.159:                              ;   in Loop: Header=BB90_158 Depth=2
	ds_read_b32 v13, v4
	s_waitcnt lgkmcnt(0)
	v_xor_b32_e32 v14, 0x80000000, v13
	v_and_b32_e32 v14, v14, v34
	v_cmp_eq_u32_e32 vcc, v14, v26
	s_and_b64 exec, exec, vcc
	s_cbranch_execz .LBB90_156
; %bb.160:                              ;   in Loop: Header=BB90_158 Depth=2
	ds_write_b64 v7, v[12:13] offset:3072
	s_branch .LBB90_156
.LBB90_161:                             ;   in Loop: Header=BB90_158 Depth=2
	v_add_u32_e32 v6, s59, v6
	v_cmp_le_u32_e32 vcc, s3, v6
	v_add_u32_e32 v4, s82, v4
	s_mov_b64 s[48:49], 0
	s_orn2_b64 s[46:47], vcc, exec
	s_branch .LBB90_157
.LBB90_162:                             ;   in Loop: Header=BB90_11 Depth=1
	s_or_b64 exec, exec, s[38:39]
	s_and_b64 s[38:39], s[44:45], exec
.LBB90_163:                             ;   in Loop: Header=BB90_11 Depth=1
	s_or_b64 exec, exec, s[42:43]
.LBB90_164:                             ;   in Loop: Header=BB90_11 Depth=1
	s_and_b64 vcc, exec, s[40:41]
	s_cbranch_vccz .LBB90_175
; %bb.165:                              ;   in Loop: Header=BB90_11 Depth=1
                                        ; implicit-def: $vgpr14
	s_mov_b64 s[28:29], exec
	v_readlane_b32 s2, v48, 30
	v_readlane_b32 s3, v48, 31
	s_and_b64 s[2:3], s[28:29], s[2:3]
	s_mov_b64 exec, s[2:3]
	s_cbranch_execz .LBB90_174
; %bb.166:                              ;   in Loop: Header=BB90_11 Depth=1
	s_mov_b64 s[30:31], 0
	v_mov_b32_e32 v6, v5
	v_mov_b32_e32 v4, v0
                                        ; implicit-def: $sgpr40_sgpr41
	s_branch .LBB90_169
.LBB90_167:                             ;   in Loop: Header=BB90_169 Depth=2
	s_or_b64 exec, exec, s[42:43]
	s_waitcnt lgkmcnt(0)
	s_barrier
	ds_read_b64 v[13:14], v7 offset:3072
	s_mov_b64 s[42:43], -1
	s_mov_b64 s[44:45], -1
	s_waitcnt lgkmcnt(0)
	s_barrier
	v_cmp_eq_u32_e32 vcc, 0, v13
	s_cbranch_vccnz .LBB90_172
.LBB90_168:                             ;   in Loop: Header=BB90_169 Depth=2
	s_and_b64 s[2:3], exec, s[42:43]
	s_or_b64 s[30:31], s[2:3], s[30:31]
	s_andn2_b64 s[2:3], s[40:41], exec
	s_and_b64 s[12:13], s[44:45], exec
	s_or_b64 s[40:41], s[2:3], s[12:13]
	s_andn2_b64 exec, exec, s[30:31]
	s_cbranch_execz .LBB90_173
.LBB90_169:                             ;   Parent Loop BB90_11 Depth=1
                                        ; =>  This Inner Loop Header: Depth=2
	v_cmp_gt_u32_e32 vcc, s56, v4
	s_and_saveexec_b64 s[42:43], vcc
	s_cbranch_execz .LBB90_167
; %bb.170:                              ;   in Loop: Header=BB90_169 Depth=2
	v_lshlrev_b64 v[13:14], 2, v[6:7]
	v_mov_b32_e32 v36, s57
	v_add_co_u32_e32 v13, vcc, s67, v13
	v_addc_co_u32_e32 v14, vcc, v36, v14, vcc
	global_load_dword v13, v[13:14], off
	s_waitcnt vmcnt(0)
	v_xor_b32_e32 v14, 0x80000000, v13
	v_and_b32_e32 v14, v14, v34
	v_cmp_eq_u32_e32 vcc, v14, v26
	s_and_b64 exec, exec, vcc
	s_cbranch_execz .LBB90_167
; %bb.171:                              ;   in Loop: Header=BB90_169 Depth=2
	ds_write_b64 v7, v[12:13] offset:3072
	s_branch .LBB90_167
.LBB90_172:                             ;   in Loop: Header=BB90_169 Depth=2
	v_add_u32_e32 v4, s59, v4
	v_cmp_le_u32_e32 vcc, s86, v4
	v_add_u32_e32 v6, s66, v6
	s_mov_b64 s[44:45], 0
	s_orn2_b64 s[42:43], vcc, exec
	s_branch .LBB90_168
.LBB90_173:                             ;   in Loop: Header=BB90_11 Depth=1
	s_or_b64 exec, exec, s[30:31]
	s_andn2_b64 s[2:3], s[38:39], exec
	s_and_b64 s[12:13], s[40:41], exec
	s_or_b64 s[38:39], s[2:3], s[12:13]
.LBB90_174:                             ;   in Loop: Header=BB90_11 Depth=1
	s_or_b64 exec, exec, s[28:29]
	s_mov_b64 s[28:29], 0
	s_mov_b64 s[30:31], -1
.LBB90_175:                             ;   in Loop: Header=BB90_11 Depth=1
	s_orn2_b64 s[38:39], s[38:39], exec
.LBB90_176:                             ;   in Loop: Header=BB90_11 Depth=1
	s_or_b64 exec, exec, s[34:35]
	s_mov_b64 s[40:41], 0
	s_and_saveexec_b64 s[34:35], s[38:39]
	s_cbranch_execz .LBB90_226
; %bb.177:                              ;   in Loop: Header=BB90_11 Depth=1
	s_xor_b64 s[2:3], s[36:37], -1
	s_mov_b64 s[44:45], 0
	v_mov_b32_e32 v4, 1
	v_mov_b32_e32 v2, 1
	s_and_saveexec_b64 s[36:37], s[2:3]
	s_cbranch_execz .LBB90_186
; %bb.178:                              ;   in Loop: Header=BB90_11 Depth=1
	v_cmp_ge_u32_e32 vcc, s50, v35
	s_and_saveexec_b64 s[2:3], vcc
	s_xor_b64 s[38:39], exec, s[2:3]
	s_cbranch_execz .LBB90_183
; %bb.179:                              ;   in Loop: Header=BB90_11 Depth=1
	ds_read_b32 v2, v7 offset:4104
	v_and_b32_e32 v3, v26, v3
	v_lshl_or_b32 v26, 2, v32, v3
	v_or_b32_e32 v34, v34, v1
	s_waitcnt lgkmcnt(0)
	v_cmp_ne_u32_e32 vcc, 0, v2
	s_cbranch_vccnz .LBB90_183
; %bb.180:                              ;   in Loop: Header=BB90_11 Depth=1
	s_and_saveexec_b64 s[40:41], s[0:1]
; %bb.181:                              ;   in Loop: Header=BB90_11 Depth=1
	v_mov_b32_e32 v2, s50
	ds_write_b32 v7, v2 offset:4108
; %bb.182:                              ;   in Loop: Header=BB90_11 Depth=1
	s_or_b64 exec, exec, s[40:41]
	s_waitcnt lgkmcnt(0)
	s_barrier
.LBB90_183:                             ;   in Loop: Header=BB90_11 Depth=1
	s_or_saveexec_b64 s[38:39], s[38:39]
	s_mov_b64 s[40:41], 0
	v_mov_b32_e32 v2, 8
	s_xor_b64 exec, exec, s[38:39]
; %bb.184:                              ;   in Loop: Header=BB90_11 Depth=1
	s_mov_b64 s[40:41], exec
	v_subrev_u32_e32 v35, s50, v35
	v_mov_b32_e32 v2, 0
; %bb.185:                              ;   in Loop: Header=BB90_11 Depth=1
	s_or_b64 exec, exec, s[38:39]
	s_and_b64 s[44:45], s[40:41], exec
	v_mov_b32_e32 v4, v35
.LBB90_186:                             ;   in Loop: Header=BB90_11 Depth=1
	s_or_b64 exec, exec, s[36:37]
	s_mov_b64 s[42:43], -1
                                        ; implicit-def: $sgpr40_sgpr41
                                        ; implicit-def: $sgpr38_sgpr39
	s_and_saveexec_b64 s[36:37], s[44:45]
	s_cbranch_execz .LBB90_225
; %bb.187:                              ;   in Loop: Header=BB90_11 Depth=1
	s_cmp_eq_u32 s71, 1
	s_cselect_b64 s[2:3], -1, 0
	v_cmp_eq_u32_e32 vcc, 1, v4
	s_and_b64 s[42:43], s[2:3], vcc
	s_mov_b64 s[46:47], -1
                                        ; implicit-def: $sgpr40_sgpr41
                                        ; implicit-def: $sgpr38_sgpr39
	s_and_saveexec_b64 s[44:45], s[42:43]
	s_cbranch_execz .LBB90_213
; %bb.188:                              ;   in Loop: Header=BB90_11 Depth=1
	ds_read_b32 v3, v7 offset:4104
	s_waitcnt lgkmcnt(0)
	s_barrier
	v_readfirstlane_b32 s2, v3
	s_and_saveexec_b64 s[38:39], s[16:17]
; %bb.189:                              ;   in Loop: Header=BB90_11 Depth=1
	ds_write_b32 v17, v7
; %bb.190:                              ;   in Loop: Header=BB90_11 Depth=1
	s_or_b64 exec, exec, s[38:39]
	v_or_b32_e32 v26, v26, v1
	v_or_b32_e32 v34, v34, v1
	s_mov_b64 s[38:39], -1
	s_mov_b64 s[40:41], 0
	s_cmp_eq_u32 s2, 0
	s_mov_b64 s[46:47], 0
	s_mov_b64 s[48:49], -1
	s_waitcnt lgkmcnt(0)
	s_barrier
                                        ; implicit-def: $vgpr14
	s_cbranch_scc1 .LBB90_201
; %bb.191:                              ;   in Loop: Header=BB90_11 Depth=1
	s_add_i32 s3, s2, s83
	s_mul_hi_u32 s12, s3, s85
	s_mul_i32 s12, s12, s59
	s_sub_i32 s12, s3, s12
	s_sub_i32 s13, s12, s59
	s_cmp_ge_u32 s12, s59
	s_cselect_b32 s12, s13, s12
	s_sub_i32 s13, s12, s59
	s_cmp_ge_u32 s12, s59
	s_cselect_b32 s12, s13, s12
	s_sub_i32 s3, s3, s12
	v_cmp_gt_u32_e32 vcc, s3, v0
	s_mov_b64 s[48:49], 0
                                        ; implicit-def: $vgpr14
	s_and_saveexec_b64 s[50:51], vcc
	s_cbranch_execz .LBB90_200
; %bb.192:                              ;   in Loop: Header=BB90_11 Depth=1
	v_mov_b32_e32 v3, v15
	v_mov_b32_e32 v6, v0
                                        ; implicit-def: $sgpr52_sgpr53
	s_branch .LBB90_195
.LBB90_193:                             ;   in Loop: Header=BB90_195 Depth=2
	s_or_b64 exec, exec, s[54:55]
	s_waitcnt lgkmcnt(0)
	s_barrier
	ds_read_b64 v[13:14], v7 offset:3072
	s_mov_b64 s[54:55], -1
	s_mov_b64 s[64:65], -1
	s_waitcnt lgkmcnt(0)
	s_barrier
	v_cmp_ne_u32_e32 vcc, 0, v13
	s_cbranch_vccz .LBB90_198
.LBB90_194:                             ;   in Loop: Header=BB90_195 Depth=2
	s_and_b64 s[12:13], exec, s[54:55]
	s_or_b64 s[46:47], s[12:13], s[46:47]
	s_andn2_b64 s[12:13], s[52:53], exec
	s_and_b64 s[52:53], s[64:65], exec
	s_or_b64 s[52:53], s[12:13], s[52:53]
	s_andn2_b64 exec, exec, s[46:47]
	s_cbranch_execz .LBB90_199
.LBB90_195:                             ;   Parent Loop BB90_11 Depth=1
                                        ; =>  This Inner Loop Header: Depth=2
	v_cmp_gt_u32_e32 vcc, s2, v6
	s_and_saveexec_b64 s[54:55], vcc
	s_cbranch_execz .LBB90_193
; %bb.196:                              ;   in Loop: Header=BB90_195 Depth=2
	ds_read_b32 v13, v3
	s_waitcnt lgkmcnt(0)
	v_xor_b32_e32 v14, 0x80000000, v13
	v_and_b32_e32 v14, v14, v34
	v_cmp_eq_u32_e32 vcc, v14, v26
	s_and_b64 exec, exec, vcc
	s_cbranch_execz .LBB90_193
; %bb.197:                              ;   in Loop: Header=BB90_195 Depth=2
	ds_write_b64 v7, v[12:13] offset:3072
	s_branch .LBB90_193
.LBB90_198:                             ;   in Loop: Header=BB90_195 Depth=2
	v_add_u32_e32 v6, s59, v6
	v_cmp_le_u32_e32 vcc, s3, v6
	v_add_u32_e32 v3, s82, v3
	s_mov_b64 s[64:65], 0
	s_orn2_b64 s[54:55], vcc, exec
	s_branch .LBB90_194
.LBB90_199:                             ;   in Loop: Header=BB90_11 Depth=1
	s_or_b64 exec, exec, s[46:47]
	s_and_b64 s[46:47], s[52:53], exec
.LBB90_200:                             ;   in Loop: Header=BB90_11 Depth=1
	s_or_b64 exec, exec, s[50:51]
.LBB90_201:                             ;   in Loop: Header=BB90_11 Depth=1
	s_and_b64 vcc, exec, s[48:49]
	s_cbranch_vccz .LBB90_212
; %bb.202:                              ;   in Loop: Header=BB90_11 Depth=1
                                        ; implicit-def: $vgpr14
	s_mov_b64 s[38:39], exec
	v_readlane_b32 s2, v48, 30
	v_readlane_b32 s3, v48, 31
	s_and_b64 s[2:3], s[38:39], s[2:3]
	s_mov_b64 exec, s[2:3]
	s_cbranch_execz .LBB90_211
; %bb.203:                              ;   in Loop: Header=BB90_11 Depth=1
	s_mov_b64 s[40:41], 0
	v_mov_b32_e32 v6, v5
	v_mov_b32_e32 v3, v0
                                        ; implicit-def: $sgpr48_sgpr49
	s_branch .LBB90_206
.LBB90_204:                             ;   in Loop: Header=BB90_206 Depth=2
	s_or_b64 exec, exec, s[50:51]
	s_waitcnt lgkmcnt(0)
	s_barrier
	ds_read_b64 v[13:14], v7 offset:3072
	s_mov_b64 s[50:51], -1
	s_mov_b64 s[52:53], -1
	s_waitcnt lgkmcnt(0)
	s_barrier
	v_cmp_eq_u32_e32 vcc, 0, v13
	s_cbranch_vccnz .LBB90_209
.LBB90_205:                             ;   in Loop: Header=BB90_206 Depth=2
	s_and_b64 s[2:3], exec, s[50:51]
	s_or_b64 s[40:41], s[2:3], s[40:41]
	s_andn2_b64 s[2:3], s[48:49], exec
	s_and_b64 s[12:13], s[52:53], exec
	s_or_b64 s[48:49], s[2:3], s[12:13]
	s_andn2_b64 exec, exec, s[40:41]
	s_cbranch_execz .LBB90_210
.LBB90_206:                             ;   Parent Loop BB90_11 Depth=1
                                        ; =>  This Inner Loop Header: Depth=2
	v_cmp_gt_u32_e32 vcc, s56, v3
	s_and_saveexec_b64 s[50:51], vcc
	s_cbranch_execz .LBB90_204
; %bb.207:                              ;   in Loop: Header=BB90_206 Depth=2
	v_lshlrev_b64 v[13:14], 2, v[6:7]
	v_mov_b32_e32 v35, s57
	v_add_co_u32_e32 v13, vcc, s67, v13
	v_addc_co_u32_e32 v14, vcc, v35, v14, vcc
	global_load_dword v13, v[13:14], off
	s_waitcnt vmcnt(0)
	v_xor_b32_e32 v14, 0x80000000, v13
	v_and_b32_e32 v14, v14, v34
	v_cmp_eq_u32_e32 vcc, v14, v26
	s_and_b64 exec, exec, vcc
	s_cbranch_execz .LBB90_204
; %bb.208:                              ;   in Loop: Header=BB90_206 Depth=2
	ds_write_b64 v7, v[12:13] offset:3072
	s_branch .LBB90_204
.LBB90_209:                             ;   in Loop: Header=BB90_206 Depth=2
	v_add_u32_e32 v3, s59, v3
	v_cmp_le_u32_e32 vcc, s86, v3
	v_add_u32_e32 v6, s66, v6
	s_mov_b64 s[52:53], 0
	s_orn2_b64 s[50:51], vcc, exec
	s_branch .LBB90_205
.LBB90_210:                             ;   in Loop: Header=BB90_11 Depth=1
	s_or_b64 exec, exec, s[40:41]
	s_andn2_b64 s[2:3], s[46:47], exec
	s_and_b64 s[12:13], s[48:49], exec
	s_or_b64 s[46:47], s[2:3], s[12:13]
.LBB90_211:                             ;   in Loop: Header=BB90_11 Depth=1
	s_or_b64 exec, exec, s[38:39]
	s_mov_b64 s[38:39], 0
	s_mov_b64 s[40:41], -1
.LBB90_212:                             ;   in Loop: Header=BB90_11 Depth=1
	s_orn2_b64 s[46:47], s[46:47], exec
.LBB90_213:                             ;   in Loop: Header=BB90_11 Depth=1
	s_or_b64 exec, exec, s[44:45]
	s_mov_b64 s[48:49], 0
	s_and_saveexec_b64 s[44:45], s[46:47]
	s_cbranch_execz .LBB90_224
; %bb.214:                              ;   in Loop: Header=BB90_11 Depth=1
	s_xor_b64 s[2:3], s[42:43], -1
	v_mov_b32_e32 v2, 1
	v_mov_b32_e32 v3, 1
	s_and_saveexec_b64 s[42:43], s[2:3]
	s_cbranch_execz .LBB90_223
; %bb.215:                              ;   in Loop: Header=BB90_11 Depth=1
	v_cmp_ge_u32_e32 vcc, s71, v4
	s_and_saveexec_b64 s[2:3], vcc
	s_xor_b64 s[46:47], exec, s[2:3]
	s_cbranch_execz .LBB90_220
; %bb.216:                              ;   in Loop: Header=BB90_11 Depth=1
	ds_read_b32 v2, v7 offset:4104
	v_or_b32_e32 v26, v26, v1
	v_or_b32_e32 v34, v34, v1
	s_waitcnt lgkmcnt(0)
	v_cmp_ne_u32_e32 vcc, 0, v2
	s_cbranch_vccnz .LBB90_220
; %bb.217:                              ;   in Loop: Header=BB90_11 Depth=1
	s_and_saveexec_b64 s[48:49], s[0:1]
; %bb.218:                              ;   in Loop: Header=BB90_11 Depth=1
	v_mov_b32_e32 v1, s71
	ds_write_b32 v7, v1 offset:4108
; %bb.219:                              ;   in Loop: Header=BB90_11 Depth=1
	s_or_b64 exec, exec, s[48:49]
	s_waitcnt lgkmcnt(0)
	s_barrier
.LBB90_220:                             ;   in Loop: Header=BB90_11 Depth=1
	s_andn2_saveexec_b64 s[46:47], s[46:47]
; %bb.221:                              ;   in Loop: Header=BB90_11 Depth=1
	v_subrev_u32_e32 v4, s71, v4
; %bb.222:                              ;   in Loop: Header=BB90_11 Depth=1
	s_or_b64 exec, exec, s[46:47]
	v_mov_b32_e32 v2, 8
	v_mov_b32_e32 v3, v4
.LBB90_223:                             ;   in Loop: Header=BB90_11 Depth=1
	s_or_b64 exec, exec, s[42:43]
	s_mov_b64 s[48:49], exec
	v_mov_b32_e32 v4, v3
.LBB90_224:                             ;   in Loop: Header=BB90_11 Depth=1
	s_or_b64 exec, exec, s[44:45]
	s_orn2_b64 s[42:43], s[48:49], exec
.LBB90_225:                             ;   in Loop: Header=BB90_11 Depth=1
	s_or_b64 exec, exec, s[36:37]
	s_andn2_b64 s[2:3], s[30:31], exec
	s_and_b64 s[12:13], s[40:41], exec
	s_or_b64 s[30:31], s[2:3], s[12:13]
	s_andn2_b64 s[2:3], s[28:29], exec
	s_and_b64 s[12:13], s[38:39], exec
	s_or_b64 s[28:29], s[2:3], s[12:13]
	s_and_b64 s[40:41], s[42:43], exec
	v_mov_b32_e32 v35, v4
.LBB90_226:                             ;   in Loop: Header=BB90_11 Depth=1
	s_or_b64 exec, exec, s[34:35]
	s_orn2_b64 s[34:35], s[40:41], exec
.LBB90_227:                             ;   in Loop: Header=BB90_11 Depth=1
	s_or_b64 exec, exec, s[26:27]
	s_andn2_b64 s[2:3], s[22:23], exec
	s_and_b64 s[12:13], s[30:31], exec
	s_or_b64 s[22:23], s[2:3], s[12:13]
	s_andn2_b64 s[2:3], s[20:21], exec
	s_and_b64 s[12:13], s[28:29], exec
	s_or_b64 s[20:21], s[2:3], s[12:13]
	s_and_b64 s[30:31], s[34:35], exec
	v_mov_b32_e32 v4, v35
.LBB90_228:                             ;   in Loop: Header=BB90_11 Depth=1
	s_or_b64 exec, exec, s[24:25]
	s_orn2_b64 s[24:25], s[30:31], exec
.LBB90_229:                             ;   in Loop: Header=BB90_11 Depth=1
	s_or_b64 exec, exec, s[18:19]
	s_mov_b64 s[26:27], 0
	s_and_saveexec_b64 s[2:3], s[24:25]
	s_xor_b64 s[18:19], exec, s[2:3]
	s_cbranch_execz .LBB90_9
; %bb.230:                              ;   in Loop: Header=BB90_11 Depth=1
	v_and_b32_e32 v1, 7, v2
	v_cmp_eq_u32_e32 vcc, 0, v1
	s_mov_b64 s[14:15], -1
	s_mov_b64 s[24:25], -1
	s_and_saveexec_b64 s[26:27], vcc
	s_cbranch_execz .LBB90_8
; %bb.231:                              ;   in Loop: Header=BB90_11 Depth=1
	v_add_u32_e32 v1, -2, v32
	v_cmp_eq_u32_e32 vcc, 0, v32
	v_xor_b32_e32 v33, 1, v33
	s_xor_b64 s[24:25], exec, -1
	s_orn2_b64 s[14:15], vcc, exec
	v_mov_b32_e32 v32, v1
	s_branch .LBB90_8
.LBB90_232:
	s_or_b64 exec, exec, s[88:89]
	s_xor_b64 s[8:9], s[94:95], -1
	s_xor_b64 s[0:1], s[90:91], -1
	;; [unrolled: 1-line block ×3, first 2 shown]
	s_mov_b64 s[4:5], 0
	s_and_saveexec_b64 s[2:3], s[0:1]
	s_xor_b64 s[0:1], exec, s[2:3]
	s_cbranch_execnz .LBB90_237
; %bb.233:
	s_andn2_saveexec_b64 s[0:1], s[0:1]
	s_cbranch_execnz .LBB90_250
.LBB90_234:
	s_or_b64 exec, exec, s[0:1]
	s_and_saveexec_b64 s[0:1], s[4:5]
.LBB90_235:
	; divergent unreachable
.LBB90_236:
	s_endpgm
.LBB90_237:
	s_and_saveexec_b64 s[2:3], s[8:9]
	s_xor_b64 s[4:5], exec, s[2:3]
	s_cbranch_execz .LBB90_248
; %bb.238:
	s_and_saveexec_b64 s[2:3], s[6:7]
	s_xor_b64 s[6:7], exec, s[2:3]
; %bb.239:
	v_xor_b32_e32 v14, 0x80000000, v26
; %bb.240:
	s_or_b64 exec, exec, s[6:7]
	v_readlane_b32 s8, v48, 1
	v_readlane_b32 s9, v48, 2
	;; [unrolled: 1-line block ×3, first 2 shown]
	s_mul_i32 s2, s10, s9
	v_readlane_b32 s9, v48, 18
	s_mul_i32 s3, s9, s8
	v_readlane_b32 s18, v48, 20
	s_sub_i32 s3, s10, s3
	s_sub_i32 s2, s18, s2
	s_add_i32 s6, s9, 1
	s_sub_i32 s7, s3, s8
	s_cmp_ge_u32 s3, s8
	s_cselect_b32 s6, s6, s9
	s_cselect_b32 s3, s7, s3
	s_add_i32 s7, s6, 1
	s_cmp_ge_u32 s3, s8
	s_cselect_b32 s3, s7, s6
	v_readlane_b32 s12, v48, 10
	s_mul_i32 s6, s3, s8
	v_readlane_b32 s13, v48, 11
	v_readlane_b32 s14, v48, 12
	s_sub_i32 s6, s10, s6
	s_mul_i32 s2, s2, s14
	s_mul_i32 s6, s6, s13
	s_add_i32 s2, s6, s2
	s_mul_i32 s3, s3, s12
	s_add_i32 s2, s2, s3
	s_mov_b32 s3, 0
	s_lshl_b64 s[2:3], s[2:3], 2
	v_readlane_b32 s6, v48, 16
	v_readlane_b32 s7, v48, 17
	s_add_u32 s2, s6, s2
	s_addc_u32 s3, s7, s3
	v_mov_b32_e32 v6, 0
	v_readlane_b32 s15, v48, 13
	global_store_dword v6, v14, s[2:3]
	s_mov_b64 s[6:7], exec
	v_readlane_b32 s2, v48, 21
	v_readlane_b32 s3, v48, 22
	s_and_b64 s[2:3], s[6:7], s[2:3]
	s_mov_b64 exec, s[2:3]
	s_cbranch_execz .LBB90_247
; %bb.241:
	s_mov_b64 s[2:3], 0
	v_mov_b32_e32 v2, s57
                                        ; implicit-def: $sgpr8_sgpr9
                                        ; implicit-def: $sgpr12_sgpr13
                                        ; implicit-def: $sgpr10_sgpr11
	s_branch .LBB90_243
.LBB90_242:                             ;   in Loop: Header=BB90_243 Depth=1
	s_or_b64 exec, exec, s[14:15]
	s_and_b64 s[14:15], exec, s[12:13]
	s_or_b64 s[2:3], s[14:15], s[2:3]
	s_andn2_b64 s[8:9], s[8:9], exec
	s_and_b64 s[14:15], s[10:11], exec
	s_or_b64 s[8:9], s[8:9], s[14:15]
	s_andn2_b64 exec, exec, s[2:3]
	s_cbranch_execz .LBB90_245
.LBB90_243:                             ; =>This Inner Loop Header: Depth=1
	v_lshlrev_b64 v[3:4], 2, v[5:6]
	v_mov_b32_e32 v1, v0
	v_add_co_u32_e32 v3, vcc, s67, v3
	v_addc_co_u32_e32 v4, vcc, v2, v4, vcc
	global_load_dword v3, v[3:4], off
	s_or_b64 s[10:11], s[10:11], exec
	s_or_b64 s[12:13], s[12:13], exec
                                        ; implicit-def: $vgpr0
	s_waitcnt vmcnt(0)
	v_cmp_ne_u32_e32 vcc, v3, v14
	s_and_saveexec_b64 s[14:15], vcc
	s_cbranch_execz .LBB90_242
; %bb.244:                              ;   in Loop: Header=BB90_243 Depth=1
	v_add_u32_e32 v0, s59, v1
	v_cmp_le_u32_e32 vcc, s56, v0
	s_andn2_b64 s[12:13], s[12:13], exec
	s_and_b64 s[16:17], vcc, exec
	v_add_u32_e32 v5, s66, v5
	s_andn2_b64 s[10:11], s[10:11], exec
	s_or_b64 s[12:13], s[12:13], s[16:17]
	s_branch .LBB90_242
.LBB90_245:
	s_or_b64 exec, exec, s[2:3]
	s_and_saveexec_b64 s[2:3], s[8:9]
	s_xor_b64 s[2:3], exec, s[2:3]
	s_cbranch_execz .LBB90_247
; %bb.246:
	v_readlane_b32 s10, v48, 4
	v_readlane_b32 s11, v48, 5
	;; [unrolled: 1-line block ×3, first 2 shown]
	s_mul_i32 s2, s12, s11
	v_readlane_b32 s11, v48, 19
	s_mul_i32 s3, s11, s10
	s_sub_i32 s3, s12, s3
	s_sub_i32 s2, s18, s2
	s_add_i32 s8, s11, 1
	s_sub_i32 s9, s3, s10
	s_cmp_ge_u32 s3, s10
	s_cselect_b32 s8, s8, s11
	s_cselect_b32 s3, s9, s3
	s_add_i32 s9, s8, 1
	s_cmp_ge_u32 s3, s10
	s_cselect_b32 s3, s9, s8
	v_readlane_b32 s16, v48, 6
	s_mul_i32 s8, s3, s10
	v_readlane_b32 s17, v48, 7
	v_readlane_b32 s18, v48, 8
	s_sub_i32 s8, s12, s8
	s_mul_i32 s2, s2, s18
	s_mul_i32 s8, s8, s17
	s_add_i32 s2, s8, s2
	s_mul_i32 s3, s3, s16
	s_add_i32 s2, s2, s3
	s_mov_b32 s3, 0
	s_lshl_b64 s[2:3], s[2:3], 3
	v_readlane_b32 s8, v48, 14
	v_readlane_b32 s9, v48, 15
	s_add_u32 s2, s8, s2
	s_addc_u32 s3, s9, s3
	v_mov_b32_e32 v2, 0
	v_readlane_b32 s19, v48, 9
	global_store_dwordx2 v2, v[1:2], s[2:3]
.LBB90_247:
	s_or_b64 exec, exec, s[6:7]
.LBB90_248:
	s_or_saveexec_b64 s[2:3], s[4:5]
	s_mov_b64 s[4:5], 0
	s_xor_b64 exec, exec, s[2:3]
	s_cbranch_execnz .LBB90_251
.LBB90_249:
	s_or_b64 exec, exec, s[2:3]
	s_and_b64 s[4:5], s[4:5], exec
	s_andn2_saveexec_b64 s[0:1], s[0:1]
	s_cbranch_execz .LBB90_234
.LBB90_250:
	s_or_b64 s[4:5], s[4:5], exec
	s_trap 2
	s_or_b64 exec, exec, s[0:1]
	s_and_saveexec_b64 s[0:1], s[4:5]
	s_cbranch_execnz .LBB90_235
	s_branch .LBB90_236
.LBB90_251:
	s_mov_b64 s[4:5], exec
	s_trap 2
	s_branch .LBB90_249
	.section	.rodata,"a",@progbits
	.p2align	6, 0x0
	.amdhsa_kernel _ZN2at6native12_GLOBAL__N_112gatherMedianIijLi3EEEvNS_4cuda6detail10TensorInfoIT_T0_EENS5_IlS7_EENS5_IKS6_S7_EES7_S7_S7_b
		.amdhsa_group_segment_fixed_size 4120
		.amdhsa_private_segment_fixed_size 0
		.amdhsa_kernarg_size 920
		.amdhsa_user_sgpr_count 6
		.amdhsa_user_sgpr_private_segment_buffer 1
		.amdhsa_user_sgpr_dispatch_ptr 0
		.amdhsa_user_sgpr_queue_ptr 0
		.amdhsa_user_sgpr_kernarg_segment_ptr 1
		.amdhsa_user_sgpr_dispatch_id 0
		.amdhsa_user_sgpr_flat_scratch_init 0
		.amdhsa_user_sgpr_private_segment_size 0
		.amdhsa_uses_dynamic_stack 0
		.amdhsa_system_sgpr_private_segment_wavefront_offset 0
		.amdhsa_system_sgpr_workgroup_id_x 1
		.amdhsa_system_sgpr_workgroup_id_y 1
		.amdhsa_system_sgpr_workgroup_id_z 1
		.amdhsa_system_sgpr_workgroup_info 0
		.amdhsa_system_vgpr_workitem_id 0
		.amdhsa_next_free_vgpr 49
		.amdhsa_next_free_sgpr 96
		.amdhsa_reserve_vcc 1
		.amdhsa_reserve_flat_scratch 0
		.amdhsa_float_round_mode_32 0
		.amdhsa_float_round_mode_16_64 0
		.amdhsa_float_denorm_mode_32 3
		.amdhsa_float_denorm_mode_16_64 3
		.amdhsa_dx10_clamp 1
		.amdhsa_ieee_mode 1
		.amdhsa_fp16_overflow 0
		.amdhsa_exception_fp_ieee_invalid_op 0
		.amdhsa_exception_fp_denorm_src 0
		.amdhsa_exception_fp_ieee_div_zero 0
		.amdhsa_exception_fp_ieee_overflow 0
		.amdhsa_exception_fp_ieee_underflow 0
		.amdhsa_exception_fp_ieee_inexact 0
		.amdhsa_exception_int_div_zero 0
	.end_amdhsa_kernel
	.section	.text._ZN2at6native12_GLOBAL__N_112gatherMedianIijLi3EEEvNS_4cuda6detail10TensorInfoIT_T0_EENS5_IlS7_EENS5_IKS6_S7_EES7_S7_S7_b,"axG",@progbits,_ZN2at6native12_GLOBAL__N_112gatherMedianIijLi3EEEvNS_4cuda6detail10TensorInfoIT_T0_EENS5_IlS7_EENS5_IKS6_S7_EES7_S7_S7_b,comdat
.Lfunc_end90:
	.size	_ZN2at6native12_GLOBAL__N_112gatherMedianIijLi3EEEvNS_4cuda6detail10TensorInfoIT_T0_EENS5_IlS7_EENS5_IKS6_S7_EES7_S7_S7_b, .Lfunc_end90-_ZN2at6native12_GLOBAL__N_112gatherMedianIijLi3EEEvNS_4cuda6detail10TensorInfoIT_T0_EENS5_IlS7_EENS5_IKS6_S7_EES7_S7_S7_b
                                        ; -- End function
	.set _ZN2at6native12_GLOBAL__N_112gatherMedianIijLi3EEEvNS_4cuda6detail10TensorInfoIT_T0_EENS5_IlS7_EENS5_IKS6_S7_EES7_S7_S7_b.num_vgpr, 49
	.set _ZN2at6native12_GLOBAL__N_112gatherMedianIijLi3EEEvNS_4cuda6detail10TensorInfoIT_T0_EENS5_IlS7_EENS5_IKS6_S7_EES7_S7_S7_b.num_agpr, 0
	.set _ZN2at6native12_GLOBAL__N_112gatherMedianIijLi3EEEvNS_4cuda6detail10TensorInfoIT_T0_EENS5_IlS7_EENS5_IKS6_S7_EES7_S7_S7_b.numbered_sgpr, 96
	.set _ZN2at6native12_GLOBAL__N_112gatherMedianIijLi3EEEvNS_4cuda6detail10TensorInfoIT_T0_EENS5_IlS7_EENS5_IKS6_S7_EES7_S7_S7_b.num_named_barrier, 0
	.set _ZN2at6native12_GLOBAL__N_112gatherMedianIijLi3EEEvNS_4cuda6detail10TensorInfoIT_T0_EENS5_IlS7_EENS5_IKS6_S7_EES7_S7_S7_b.private_seg_size, 0
	.set _ZN2at6native12_GLOBAL__N_112gatherMedianIijLi3EEEvNS_4cuda6detail10TensorInfoIT_T0_EENS5_IlS7_EENS5_IKS6_S7_EES7_S7_S7_b.uses_vcc, 1
	.set _ZN2at6native12_GLOBAL__N_112gatherMedianIijLi3EEEvNS_4cuda6detail10TensorInfoIT_T0_EENS5_IlS7_EENS5_IKS6_S7_EES7_S7_S7_b.uses_flat_scratch, 0
	.set _ZN2at6native12_GLOBAL__N_112gatherMedianIijLi3EEEvNS_4cuda6detail10TensorInfoIT_T0_EENS5_IlS7_EENS5_IKS6_S7_EES7_S7_S7_b.has_dyn_sized_stack, 0
	.set _ZN2at6native12_GLOBAL__N_112gatherMedianIijLi3EEEvNS_4cuda6detail10TensorInfoIT_T0_EENS5_IlS7_EENS5_IKS6_S7_EES7_S7_S7_b.has_recursion, 0
	.set _ZN2at6native12_GLOBAL__N_112gatherMedianIijLi3EEEvNS_4cuda6detail10TensorInfoIT_T0_EENS5_IlS7_EENS5_IKS6_S7_EES7_S7_S7_b.has_indirect_call, 0
	.section	.AMDGPU.csdata,"",@progbits
; Kernel info:
; codeLenInByte = 9396
; TotalNumSgprs: 100
; NumVgprs: 49
; ScratchSize: 0
; MemoryBound: 0
; FloatMode: 240
; IeeeMode: 1
; LDSByteSize: 4120 bytes/workgroup (compile time only)
; SGPRBlocks: 12
; VGPRBlocks: 12
; NumSGPRsForWavesPerEU: 100
; NumVGPRsForWavesPerEU: 49
; Occupancy: 4
; WaveLimiterHint : 1
; COMPUTE_PGM_RSRC2:SCRATCH_EN: 0
; COMPUTE_PGM_RSRC2:USER_SGPR: 6
; COMPUTE_PGM_RSRC2:TRAP_HANDLER: 0
; COMPUTE_PGM_RSRC2:TGID_X_EN: 1
; COMPUTE_PGM_RSRC2:TGID_Y_EN: 1
; COMPUTE_PGM_RSRC2:TGID_Z_EN: 1
; COMPUTE_PGM_RSRC2:TIDIG_COMP_CNT: 0
	.section	.text._ZN2at6native12_GLOBAL__N_112gatherMedianIijLin1EEEvNS_4cuda6detail10TensorInfoIT_T0_EENS5_IlS7_EENS5_IKS6_S7_EES7_S7_S7_b,"axG",@progbits,_ZN2at6native12_GLOBAL__N_112gatherMedianIijLin1EEEvNS_4cuda6detail10TensorInfoIT_T0_EENS5_IlS7_EENS5_IKS6_S7_EES7_S7_S7_b,comdat
	.globl	_ZN2at6native12_GLOBAL__N_112gatherMedianIijLin1EEEvNS_4cuda6detail10TensorInfoIT_T0_EENS5_IlS7_EENS5_IKS6_S7_EES7_S7_S7_b ; -- Begin function _ZN2at6native12_GLOBAL__N_112gatherMedianIijLin1EEEvNS_4cuda6detail10TensorInfoIT_T0_EENS5_IlS7_EENS5_IKS6_S7_EES7_S7_S7_b
	.p2align	8
	.type	_ZN2at6native12_GLOBAL__N_112gatherMedianIijLin1EEEvNS_4cuda6detail10TensorInfoIT_T0_EENS5_IlS7_EENS5_IKS6_S7_EES7_S7_S7_b,@function
_ZN2at6native12_GLOBAL__N_112gatherMedianIijLin1EEEvNS_4cuda6detail10TensorInfoIT_T0_EENS5_IlS7_EENS5_IKS6_S7_EES7_S7_S7_b: ; @_ZN2at6native12_GLOBAL__N_112gatherMedianIijLin1EEEvNS_4cuda6detail10TensorInfoIT_T0_EENS5_IlS7_EENS5_IKS6_S7_EES7_S7_S7_b
; %bb.0:
	s_load_dwordx2 s[12:13], s[4:5], 0x298
	s_load_dwordx4 s[56:59], s[4:5], 0x288
	s_add_u32 s10, s4, 0x298
	s_addc_u32 s11, s5, 0
	s_waitcnt lgkmcnt(0)
	s_mul_i32 s0, s13, s8
	s_add_i32 s0, s0, s7
	s_mul_i32 s0, s0, s12
	s_add_i32 s7, s0, s6
	s_cmp_ge_u32 s7, s57
	s_cbranch_scc1 .LBB91_245
; %bb.1:
	s_load_dword s0, s[4:5], 0xd0
	s_mov_b32 s61, 0
	s_mov_b32 s33, s7
	s_waitcnt lgkmcnt(0)
	s_cmp_lt_i32 s0, 2
	s_cbranch_scc1 .LBB91_4
; %bb.2:
	s_add_i32 s60, s0, -1
	s_add_i32 s2, s0, 1
	s_lshl_b64 s[0:1], s[60:61], 2
	s_add_u32 s0, s4, s0
	s_addc_u32 s1, s5, s1
	s_add_u32 s0, s0, 8
	s_addc_u32 s1, s1, 0
	s_mov_b32 s33, s7
.LBB91_3:                               ; =>This Inner Loop Header: Depth=1
	s_load_dword s3, s[0:1], 0x0
	s_load_dword s9, s[0:1], 0x64
	s_mov_b32 s8, s33
	s_waitcnt lgkmcnt(0)
	v_cvt_f32_u32_e32 v1, s3
	s_sub_i32 s13, 0, s3
	v_rcp_iflag_f32_e32 v1, v1
	v_mul_f32_e32 v1, 0x4f7ffffe, v1
	v_cvt_u32_f32_e32 v1, v1
	v_readfirstlane_b32 s14, v1
	s_mul_i32 s13, s13, s14
	s_mul_hi_u32 s13, s14, s13
	s_add_i32 s14, s14, s13
	s_mul_hi_u32 s13, s33, s14
	s_mul_i32 s14, s13, s3
	s_sub_i32 s14, s33, s14
	s_add_i32 s15, s13, 1
	s_sub_i32 s16, s14, s3
	s_cmp_ge_u32 s14, s3
	s_cselect_b32 s13, s15, s13
	s_cselect_b32 s14, s16, s14
	s_add_i32 s15, s13, 1
	s_cmp_ge_u32 s14, s3
	s_cselect_b32 s33, s15, s13
	s_mul_i32 s3, s33, s3
	s_sub_i32 s3, s8, s3
	s_mul_i32 s3, s9, s3
	s_add_i32 s2, s2, -1
	s_add_i32 s61, s3, s61
	s_add_u32 s0, s0, -4
	s_addc_u32 s1, s1, -1
	s_cmp_gt_u32 s2, 2
	s_cbranch_scc1 .LBB91_3
.LBB91_4:
	s_load_dword s2, s[4:5], 0x1a8
	s_add_u32 s0, s4, 0xd8
	s_addc_u32 s1, s5, 0
	s_mov_b32 s63, 0
	s_mov_b32 s57, s7
	s_waitcnt lgkmcnt(0)
	s_cmp_lt_i32 s2, 2
	s_cbranch_scc1 .LBB91_7
; %bb.5:
	s_add_i32 s62, s2, -1
	s_add_i32 s8, s2, 1
	s_lshl_b64 s[2:3], s[62:63], 2
	s_add_u32 s2, s0, s2
	s_addc_u32 s3, s1, s3
	s_add_u32 s2, s2, 8
	s_addc_u32 s3, s3, 0
	s_mov_b32 s57, s7
.LBB91_6:                               ; =>This Inner Loop Header: Depth=1
	s_load_dword s9, s[2:3], 0x0
	s_load_dword s14, s[2:3], 0x64
	s_mov_b32 s13, s57
	s_waitcnt lgkmcnt(0)
	v_cvt_f32_u32_e32 v1, s9
	s_sub_i32 s15, 0, s9
	v_rcp_iflag_f32_e32 v1, v1
	v_mul_f32_e32 v1, 0x4f7ffffe, v1
	v_cvt_u32_f32_e32 v1, v1
	v_readfirstlane_b32 s16, v1
	s_mul_i32 s15, s15, s16
	s_mul_hi_u32 s15, s16, s15
	s_add_i32 s16, s16, s15
	s_mul_hi_u32 s15, s57, s16
	s_mul_i32 s16, s15, s9
	s_sub_i32 s16, s57, s16
	s_add_i32 s17, s15, 1
	s_sub_i32 s18, s16, s9
	s_cmp_ge_u32 s16, s9
	s_cselect_b32 s15, s17, s15
	s_cselect_b32 s16, s18, s16
	s_add_i32 s17, s15, 1
	s_cmp_ge_u32 s16, s9
	s_cselect_b32 s57, s17, s15
	s_mul_i32 s9, s57, s9
	s_sub_i32 s9, s13, s9
	s_mul_i32 s9, s14, s9
	s_add_i32 s8, s8, -1
	s_add_i32 s63, s9, s63
	s_add_u32 s2, s2, -4
	s_addc_u32 s3, s3, -1
	s_cmp_gt_u32 s8, 2
	s_cbranch_scc1 .LBB91_6
.LBB91_7:
	s_load_dword s2, s[4:5], 0x6c
                                        ; implicit-def: $vgpr48 : SGPR spill to VGPR lane
	s_add_u32 s8, s4, 0x1b0
	s_addc_u32 s9, s5, 0
	s_mov_b32 s3, 0
	s_waitcnt lgkmcnt(0)
	v_writelane_b32 v48, s2, 0
	s_load_dword s2, s[4:5], 0x280
	s_waitcnt lgkmcnt(0)
	s_cmp_lt_i32 s2, 2
	s_cbranch_scc1 .LBB91_10
; %bb.8:
	s_add_i32 s13, s2, 1
	s_add_i32 s2, s2, -1
	s_lshl_b64 s[14:15], s[2:3], 2
	s_add_u32 s2, s8, s14
	s_addc_u32 s9, s9, s15
	s_add_u32 s8, s2, 8
	s_addc_u32 s9, s9, 0
.LBB91_9:                               ; =>This Inner Loop Header: Depth=1
	s_load_dword s2, s[8:9], 0x0
	s_load_dword s15, s[8:9], 0x64
	s_mov_b32 s14, s7
	s_waitcnt lgkmcnt(0)
	v_cvt_f32_u32_e32 v1, s2
	s_sub_i32 s7, 0, s2
	v_rcp_iflag_f32_e32 v1, v1
	v_mul_f32_e32 v1, 0x4f7ffffe, v1
	v_cvt_u32_f32_e32 v1, v1
	v_readfirstlane_b32 s16, v1
	s_mul_i32 s7, s7, s16
	s_mul_hi_u32 s7, s16, s7
	s_add_i32 s16, s16, s7
	s_mul_hi_u32 s7, s14, s16
	s_mul_i32 s16, s7, s2
	s_sub_i32 s16, s14, s16
	s_add_i32 s17, s7, 1
	s_sub_i32 s18, s16, s2
	s_cmp_ge_u32 s16, s2
	s_cselect_b32 s7, s17, s7
	s_cselect_b32 s16, s18, s16
	s_add_i32 s17, s7, 1
	s_cmp_ge_u32 s16, s2
	s_cselect_b32 s7, s17, s7
	s_mul_i32 s2, s7, s2
	s_sub_i32 s2, s14, s2
	s_mul_i32 s2, s15, s2
	s_add_i32 s13, s13, -1
	s_add_i32 s3, s2, s3
	s_add_u32 s8, s8, -4
	s_addc_u32 s9, s9, -1
	s_cmp_gt_u32 s13, 2
	s_cbranch_scc1 .LBB91_9
.LBB91_10:
	s_load_dword s0, s[0:1], 0x6c
	s_waitcnt lgkmcnt(0)
	v_writelane_b32 v48, s0, 1
	v_cmp_eq_u32_e64 s[0:1], 0, v0
	s_mov_b64 s[8:9], exec
	v_writelane_b32 v48, s0, 2
	v_writelane_b32 v48, s1, 3
	s_and_b64 s[0:1], s[8:9], s[0:1]
	s_mov_b64 exec, s[0:1]
; %bb.11:
	v_mov_b32_e32 v1, 0
	v_mov_b32_e32 v2, v1
	ds_write_b64 v1, v[1:2] offset:4096
; %bb.12:
	s_or_b64 exec, exec, s[8:9]
	v_mov_b32_e32 v1, 0
	s_waitcnt lgkmcnt(0)
	s_barrier
	s_barrier
	ds_read_b64 v[1:2], v1 offset:4096
	s_load_dwordx2 s[8:9], s[4:5], 0x1b0
	s_bitcmp1_b32 s59, 0
	s_cselect_b64 s[16:17], -1, 0
	s_waitcnt lgkmcnt(0)
	v_readfirstlane_b32 s14, v1
	v_readfirstlane_b32 s15, v2
	v_cmp_lt_i64_e64 s[0:1], s[14:15], 1
	s_or_b64 s[0:1], s[16:17], s[0:1]
	s_andn2_b64 vcc, exec, s[0:1]
	s_mov_b32 s0, s56
	s_cbranch_vccnz .LBB91_14
; %bb.13:
	s_not_b64 s[0:1], s[14:15]
	s_add_u32 s0, s0, s56
	s_addc_u32 s1, s1, 0
	s_lshr_b32 s2, s1, 31
	s_add_u32 s0, s0, s2
	s_addc_u32 s1, s1, 0
	s_lshr_b64 s[0:1], s[0:1], 1
	s_add_i32 s0, s0, 1
.LBB91_14:
	s_load_dwordx2 s[14:15], s[4:5], 0x0
	s_load_dword s1, s[4:5], 0x21c
                                        ; kill: killed $sgpr4 killed $sgpr5
	s_waitcnt lgkmcnt(0)
	v_writelane_b32 v48, s14, 4
	v_writelane_b32 v48, s15, 5
	s_load_dwordx2 s[14:15], s[4:5], 0xd8
	s_waitcnt lgkmcnt(0)
	v_writelane_b32 v48, s14, 6
	v_writelane_b32 v48, s15, 7
	s_mov_b64 s[4:5], exec
	v_readlane_b32 s14, v48, 2
	v_readlane_b32 s15, v48, 3
	s_and_b64 s[14:15], s[4:5], s[14:15]
	s_mov_b64 exec, s[14:15]
	s_cbranch_execz .LBB91_16
; %bb.15:
	v_mov_b32_e32 v1, 0
	v_mov_b32_e32 v2, s56
	ds_write_b32 v1, v1 offset:4112
	ds_write_b64 v1, v[1:2] offset:4104
.LBB91_16:
	s_or_b64 exec, exec, s[4:5]
	v_mul_lo_u32 v5, s58, v0
	s_mul_i32 s1, s1, s7
	s_add_i32 s2, s1, s3
	s_mov_b32 s3, 0
	v_mov_b32_e32 v7, 0
	s_lshl_b64 s[2:3], s[2:3], 2
	v_mbcnt_lo_u32_b32 v1, -1, 0
	v_mov_b32_e32 v6, v7
	s_waitcnt lgkmcnt(0)
	s_barrier
	s_load_dword s1, s[10:11], 0xc
	s_add_u32 s59, s8, s2
	v_mbcnt_hi_u32_b32 v16, -1, v1
	v_lshlrev_b64 v[1:2], 2, v[5:6]
	s_addc_u32 s60, s9, s3
	v_cmp_gt_u32_e32 vcc, 64, v0
	v_cmp_gt_i32_e64 s[8:9], 4, v16
	s_and_b64 s[68:69], vcc, s[8:9]
	v_mov_b32_e32 v18, s60
	v_add_co_u32_e32 v8, vcc, s59, v1
	v_addc_co_u32_e32 v9, vcc, v18, v2, vcc
	v_lshlrev_b64 v[1:2], v16, -1
	s_waitcnt lgkmcnt(0)
	s_and_b32 s62, s1, 0xffff
	v_not_b32_e32 v21, v1
	v_lshrrev_b32_e32 v1, 2, v0
	v_cmp_gt_u32_e64 s[2:3], s56, v0
	s_lshl_b32 s66, s62, 2
	v_and_b32_e32 v1, 0xf0, v1
	v_writelane_b32 v48, s2, 8
	s_add_i32 s74, s62, -1
	v_or_b32_e32 v22, 0xc00, v1
	v_cvt_f32_u32_e32 v1, s66
	v_writelane_b32 v48, s3, 9
	s_bfe_u32 s1, s1, 0xa0006
	s_add_i32 s2, s74, s56
	s_cmpk_gt_u32 s56, 0x300
	s_cselect_b64 s[8:9], -1, 0
	s_cmp_gt_u32 s62, 63
	s_cselect_b64 s[72:73], -1, 0
	s_cmp_lt_u32 s6, s12
	v_rcp_iflag_f32_e32 v1, v1
	s_cselect_b32 s3, 12, 18
	v_writelane_b32 v48, s8, 10
	s_add_u32 s6, s10, s3
	v_writelane_b32 v48, s9, 11
	s_addc_u32 s7, s11, 0
	v_writelane_b32 v48, s6, 12
	s_add_i32 s3, s1, -1
	v_mul_f32_e32 v1, 0x4f7ffffe, v1
	v_writelane_b32 v48, s7, 13
	s_bfe_u32 s6, s62, 0x30006
	s_and_b32 s3, s3, 0xffff
	v_cvt_u32_f32_e32 v1, v1
	s_cmp_gt_u32 s3, 6
	s_cselect_b64 s[8:9], -1, 0
	v_writelane_b32 v48, s8, 14
	s_and_b32 s75, s1, 0x3f8
	v_writelane_b32 v48, s9, 15
	s_cmp_lg_u32 s6, 0
	v_readfirstlane_b32 s3, v1
	v_cvt_f32_u32_e32 v1, s62
	v_writelane_b32 v48, s6, 16
	s_cselect_b64 s[6:7], -1, 0
	s_sub_i32 s1, 0, s66
	s_mul_i32 s1, s1, s3
	s_mul_hi_u32 s1, s3, s1
	s_add_i32 s76, s3, s1
	v_rcp_iflag_f32_e32 v4, v1
	s_mul_hi_u32 s1, s56, s76
	s_mul_i32 s1, s1, s66
	s_sub_i32 s1, s56, s1
	s_sub_i32 s3, s1, s66
	v_mul_f32_e32 v4, 0x4f7ffffe, v4
	s_cmp_ge_u32 s1, s66
	v_cvt_u32_f32_e32 v4, v4
	s_cselect_b32 s1, s3, s1
	s_sub_i32 s3, s1, s66
	v_writelane_b32 v48, s6, 17
	s_cmp_ge_u32 s1, s66
	v_writelane_b32 v48, s7, 18
	s_cselect_b32 s1, s3, s1
	s_sub_i32 s3, 0, s62
	v_readfirstlane_b32 s6, v4
	s_mul_i32 s3, s3, s6
	s_mul_hi_u32 s3, s6, s3
	s_sub_i32 s77, s56, s1
	s_add_i32 s78, s6, s3
	v_add_u32_e32 v23, s77, v0
	s_mul_hi_u32 s3, s2, s78
	v_mul_lo_u32 v6, v23, s58
	s_mul_i32 s3, s3, s62
	s_sub_i32 s3, s2, s3
	s_sub_i32 s6, s3, s62
	s_cmp_ge_u32 s3, s62
	v_not_b32_e32 v20, v2
	v_lshlrev_b64 v[1:2], 2, v[6:7]
	s_cselect_b32 s3, s6, s3
	v_lshlrev_b32_e32 v15, 2, v0
	s_sub_i32 s6, s3, s62
	v_add_co_u32_e32 v10, vcc, s59, v1
	s_cmp_ge_u32 s3, s62
	v_mul_lo_u32 v1, s58, v15
	s_cselect_b32 s3, s6, s3
	s_sub_i32 s79, s2, s3
	v_cmp_gt_u32_e64 s[2:3], s79, v0
	v_writelane_b32 v48, s2, 19
	v_add_u32_e32 v24, s58, v1
	v_or_b32_e32 v1, 2, v15
	v_writelane_b32 v48, s3, 20
	v_mul_lo_u32 v25, s58, v1
	v_or_b32_e32 v1, 3, v15
	s_add_i32 s3, s62, s56
	v_mul_lo_u32 v27, s58, v1
	v_add_u32_e32 v1, s3, v0
	v_subrev_u32_e32 v1, s1, v1
	v_mul_lo_u32 v29, s58, v1
	v_lshlrev_b32_e32 v3, 2, v16
	v_mov_b32_e32 v6, s60
	s_mul_i32 s67, s58, s62
	v_cmp_eq_u32_e64 s[4:5], 0, v16
	v_cmp_gt_u32_e64 s[16:17], 2, v0
	v_add_u32_e32 v17, 0xc00, v15
	v_and_b32_e32 v19, 0x100, v3
	v_cmp_gt_u32_e64 s[8:9], s77, v15
	v_cmp_gt_u32_e64 s[10:11], s56, v23
	v_addc_co_u32_e32 v11, vcc, v6, v2, vcc
	s_lshl_b32 s2, s67, 2
	v_lshlrev_b32_e32 v28, 2, v5
	v_lshlrev_b32_e32 v30, 4, v0
	s_lshl_b32 s3, s62, 4
	v_or_b32_e32 v31, 0xc00, v3
	s_mov_b64 s[80:81], 0
	v_mov_b32_e32 v32, 30
	v_mov_b32_e32 v35, s0
	;; [unrolled: 1-line block ×7, first 2 shown]
                                        ; implicit-def: $sgpr82_sgpr83
                                        ; implicit-def: $sgpr86_sgpr87
                                        ; implicit-def: $sgpr84_sgpr85
                                        ; implicit-def: $sgpr90_sgpr91
                                        ; implicit-def: $sgpr92_sgpr93
                                        ; implicit-def: $sgpr88_sgpr89
	s_branch .LBB91_20
.LBB91_17:                              ;   in Loop: Header=BB91_20 Depth=1
	s_or_b64 exec, exec, s[26:27]
	s_and_b64 s[26:27], s[24:25], exec
	s_andn2_b64 s[22:23], s[22:23], exec
	s_andn2_b64 s[20:21], s[20:21], exec
	s_orn2_b64 s[14:15], s[14:15], exec
.LBB91_18:                              ;   in Loop: Header=BB91_20 Depth=1
	s_or_b64 exec, exec, s[18:19]
	s_andn2_b64 s[0:1], s[88:89], exec
	s_and_b64 s[12:13], s[26:27], exec
	s_or_b64 s[88:89], s[0:1], s[12:13]
	s_andn2_b64 s[0:1], s[92:93], exec
	s_and_b64 s[12:13], s[22:23], exec
	s_or_b64 s[92:93], s[0:1], s[12:13]
	;; [unrolled: 3-line block ×3, first 2 shown]
	s_orn2_b64 s[14:15], s[14:15], exec
.LBB91_19:                              ;   in Loop: Header=BB91_20 Depth=1
	s_or_b64 exec, exec, s[6:7]
	s_and_b64 s[0:1], exec, s[14:15]
	s_or_b64 s[80:81], s[0:1], s[80:81]
	s_andn2_b64 s[0:1], s[84:85], exec
	s_and_b64 s[6:7], s[88:89], exec
	s_or_b64 s[84:85], s[0:1], s[6:7]
	s_andn2_b64 s[0:1], s[86:87], exec
	s_and_b64 s[6:7], s[92:93], exec
	s_or_b64 s[86:87], s[0:1], s[6:7]
	s_andn2_b64 s[0:1], s[82:83], exec
	s_and_b64 s[6:7], s[90:91], exec
	s_or_b64 s[82:83], s[0:1], s[6:7]
	v_mov_b32_e32 v35, v4
	s_andn2_b64 exec, exec, s[80:81]
	s_cbranch_execz .LBB91_241
.LBB91_20:                              ; =>This Loop Header: Depth=1
                                        ;     Child Loop BB91_26 Depth 2
                                        ;     Child Loop BB91_39 Depth 2
	;; [unrolled: 1-line block ×16, first 2 shown]
	ds_read_b64 v[1:2], v7 offset:4104
	s_waitcnt lgkmcnt(0)
	v_readfirstlane_b32 s12, v1
	s_cmp_lg_u32 s12, 0
	s_cbranch_scc1 .LBB91_47
; %bb.21:                               ;   in Loop: Header=BB91_20 Depth=1
	v_readlane_b32 s0, v48, 10
	v_readlane_b32 s1, v48, 11
	s_and_b64 vcc, exec, s[0:1]
	s_cbranch_vccz .LBB91_34
; %bb.22:                               ;   in Loop: Header=BB91_20 Depth=1
	s_movk_i32 s0, 0x301
	v_cmp_gt_u32_e32 vcc, s0, v2
	s_mov_b64 s[18:19], 0
	s_mov_b64 s[6:7], 0
	s_cbranch_vccz .LBB91_35
; %bb.23:                               ;   in Loop: Header=BB91_20 Depth=1
	s_mov_b64 s[20:21], exec
	v_readlane_b32 s0, v48, 8
	v_readlane_b32 s1, v48, 9
	s_and_b64 s[0:1], s[20:21], s[0:1]
	s_mov_b64 exec, s[0:1]
	s_cbranch_execz .LBB91_131
; %bb.24:                               ;   in Loop: Header=BB91_20 Depth=1
	v_readlane_b32 s0, v48, 12
	v_readlane_b32 s1, v48, 13
	s_nop 4
	global_load_ushort v1, v7, s[0:1]
	global_load_dword v3, v[8:9], off
	s_mov_b64 s[22:23], 0
	v_mov_b32_e32 v4, v0
	s_waitcnt vmcnt(1)
	v_add_u32_e32 v2, v0, v1
	v_mul_lo_u32 v6, s58, v2
	v_mul_lo_u32 v2, s58, v1
	s_branch .LBB91_26
.LBB91_25:                              ;   in Loop: Header=BB91_26 Depth=2
	s_or_b64 exec, exec, s[6:7]
	v_add_u32_e32 v6, v6, v2
	v_mov_b32_e32 v3, v13
	s_andn2_b64 exec, exec, s[22:23]
	s_cbranch_execz .LBB91_131
.LBB91_26:                              ;   Parent Loop BB91_20 Depth=1
                                        ; =>  This Inner Loop Header: Depth=2
	v_add_u32_e32 v4, v4, v1
	v_cmp_gt_u32_e64 s[6:7], s56, v4
	v_cmp_le_u32_e32 vcc, s56, v4
	s_waitcnt lgkmcnt(0)
	v_mov_b32_e32 v36, 0
	v_mov_b32_e32 v13, 0
	s_and_saveexec_b64 s[14:15], s[6:7]
	s_cbranch_execz .LBB91_28
; %bb.27:                               ;   in Loop: Header=BB91_26 Depth=2
	v_lshlrev_b64 v[37:38], 2, v[6:7]
	v_add_co_u32_e64 v37, s[6:7], s59, v37
	v_addc_co_u32_e64 v38, s[6:7], v18, v38, s[6:7]
	global_load_dword v13, v[37:38], off
.LBB91_28:                              ;   in Loop: Header=BB91_26 Depth=2
	s_or_b64 exec, exec, s[14:15]
	s_waitcnt vmcnt(0)
	v_xor_b32_e32 v37, 0x80000000, v3
	v_and_b32_e32 v37, v37, v34
	v_cmp_eq_u32_e64 s[14:15], v37, v26
	s_cmp_lg_u64 s[14:15], 0
	s_cselect_b64 s[0:1], -1, 0
	s_and_b64 s[0:1], s[4:5], s[0:1]
	s_and_saveexec_b64 s[24:25], s[0:1]
	s_cbranch_execz .LBB91_32
; %bb.29:                               ;   in Loop: Header=BB91_26 Depth=2
	s_mov_b64 s[28:29], exec
	v_mbcnt_lo_u32_b32 v36, s28, 0
	v_mbcnt_hi_u32_b32 v36, s29, v36
	s_bcnt1_i32_b64 s0, s[14:15]
	v_cmp_eq_u32_e64 s[6:7], 0, v36
                                        ; implicit-def: $vgpr37
	s_and_saveexec_b64 s[26:27], s[6:7]
; %bb.30:                               ;   in Loop: Header=BB91_26 Depth=2
	s_bcnt1_i32_b64 s1, s[28:29]
	s_mul_i32 s1, s0, s1
	v_mov_b32_e32 v37, s1
	ds_add_rtn_u32 v37, v7, v37 offset:4112
; %bb.31:                               ;   in Loop: Header=BB91_26 Depth=2
	s_or_b64 exec, exec, s[26:27]
	s_waitcnt lgkmcnt(0)
	v_readfirstlane_b32 s1, v37
	v_mov_b32_e32 v37, s1
	v_mad_u32_u24 v36, s0, v36, v37
.LBB91_32:                              ;   in Loop: Header=BB91_26 Depth=2
	s_or_b64 exec, exec, s[24:25]
	ds_bpermute_b32 v36, v19, v36
	s_and_b64 s[0:1], exec, vcc
	s_or_b64 s[22:23], s[0:1], s[22:23]
	s_and_saveexec_b64 s[6:7], s[14:15]
	s_cbranch_execz .LBB91_25
; %bb.33:                               ;   in Loop: Header=BB91_26 Depth=2
	v_and_b32_e32 v38, s14, v21
	v_and_b32_e32 v37, s15, v20
	v_bcnt_u32_b32 v38, v38, 0
	v_bcnt_u32_b32 v37, v37, v38
	v_lshlrev_b32_e32 v37, 2, v37
	s_waitcnt lgkmcnt(0)
	v_lshl_add_u32 v36, v36, 2, v37
	ds_write_b32 v36, v3
	s_branch .LBB91_25
.LBB91_34:                              ;   in Loop: Header=BB91_20 Depth=1
	s_mov_b64 s[18:19], -1
	s_mov_b64 s[6:7], 0
.LBB91_35:                              ;   in Loop: Header=BB91_20 Depth=1
	s_and_b64 vcc, exec, s[18:19]
	s_cbranch_vccz .LBB91_45
.LBB91_36:                              ;   in Loop: Header=BB91_20 Depth=1
	s_mov_b64 s[6:7], exec
	v_readlane_b32 s0, v48, 8
	v_readlane_b32 s1, v48, 9
	s_and_b64 s[0:1], s[6:7], s[0:1]
	s_mov_b64 exec, s[0:1]
	s_cbranch_execz .LBB91_42
; %bb.37:                               ;   in Loop: Header=BB91_20 Depth=1
	v_readlane_b32 s0, v48, 12
	v_readlane_b32 s1, v48, 13
	s_nop 4
	global_load_ushort v1, v7, s[0:1]
	global_load_dword v3, v[8:9], off
	v_mov_b32_e32 v2, v0
	s_waitcnt vmcnt(1)
	v_add_u32_e32 v6, v0, v1
	v_cmp_gt_u32_e32 vcc, s56, v6
	s_and_saveexec_b64 s[14:15], vcc
	s_cbranch_execz .LBB91_41
; %bb.38:                               ;   in Loop: Header=BB91_20 Depth=1
	v_mul_lo_u32 v6, s58, v6
	v_mul_lo_u32 v13, s58, v1
	v_lshlrev_b32_e32 v4, 2, v1
	s_mov_b64 s[18:19], 0
	v_mov_b32_e32 v36, v15
	v_mov_b32_e32 v2, v0
.LBB91_39:                              ;   Parent Loop BB91_20 Depth=1
                                        ; =>  This Inner Loop Header: Depth=2
	v_lshlrev_b64 v[37:38], 2, v[6:7]
	v_mov_b32_e32 v39, s60
	v_add_co_u32_e32 v37, vcc, s59, v37
	v_addc_co_u32_e32 v38, vcc, v39, v38, vcc
	global_load_dword v37, v[37:38], off
	v_add_u32_e32 v2, v2, v1
	s_waitcnt vmcnt(1)
	ds_write_b32 v36, v3
	v_add_u32_e32 v3, v1, v2
	v_cmp_le_u32_e32 vcc, s56, v3
	v_add_u32_e32 v36, v36, v4
	v_add_u32_e32 v6, v6, v13
	s_or_b64 s[18:19], vcc, s[18:19]
	s_waitcnt vmcnt(0)
	v_mov_b32_e32 v3, v37
	s_andn2_b64 exec, exec, s[18:19]
	s_cbranch_execnz .LBB91_39
; %bb.40:                               ;   in Loop: Header=BB91_20 Depth=1
	s_or_b64 exec, exec, s[18:19]
	v_mov_b32_e32 v3, v37
.LBB91_41:                              ;   in Loop: Header=BB91_20 Depth=1
	s_or_b64 exec, exec, s[14:15]
	v_lshlrev_b32_e32 v1, 2, v2
	s_waitcnt vmcnt(0)
	ds_write_b32 v1, v3
.LBB91_42:                              ;   in Loop: Header=BB91_20 Depth=1
	s_or_b64 exec, exec, s[6:7]
	s_waitcnt lgkmcnt(0)
	s_barrier
	s_mov_b64 s[6:7], exec
	v_readlane_b32 s0, v48, 2
	v_readlane_b32 s1, v48, 3
	s_and_b64 s[0:1], s[6:7], s[0:1]
	s_mov_b64 exec, s[0:1]
; %bb.43:                               ;   in Loop: Header=BB91_20 Depth=1
	v_mov_b32_e32 v1, s56
	ds_write_b32 v7, v1 offset:4104
; %bb.44:                               ;   in Loop: Header=BB91_20 Depth=1
	s_or_b64 exec, exec, s[6:7]
	s_mov_b64 s[6:7], -1
	s_waitcnt lgkmcnt(0)
	s_barrier
.LBB91_45:                              ;   in Loop: Header=BB91_20 Depth=1
	s_mov_b32 s12, 0
	s_and_b64 vcc, exec, s[6:7]
	s_cbranch_vccz .LBB91_47
; %bb.46:                               ;   in Loop: Header=BB91_20 Depth=1
	ds_read_b32 v1, v7 offset:4104
	s_waitcnt lgkmcnt(0)
	v_readfirstlane_b32 s12, v1
.LBB91_47:                              ;   in Loop: Header=BB91_20 Depth=1
	s_cmp_lt_i32 s12, 1
	s_mov_b64 s[6:7], -1
                                        ; implicit-def: $vgpr4
	s_cbranch_scc1 .LBB91_57
; %bb.48:                               ;   in Loop: Header=BB91_20 Depth=1
	s_and_b64 vcc, exec, s[6:7]
	s_cbranch_vccnz .LBB91_68
.LBB91_49:                              ;   in Loop: Header=BB91_20 Depth=1
	v_lshlrev_b32_e32 v6, 6, v33
	s_and_saveexec_b64 s[6:7], s[4:5]
.LBB91_50:                              ;   in Loop: Header=BB91_20 Depth=1
	v_lshl_add_u32 v13, v6, 2, v22
	ds_write_b128 v13, v[1:4]
.LBB91_51:                              ;   in Loop: Header=BB91_20 Depth=1
	s_or_b64 exec, exec, s[6:7]
	s_waitcnt lgkmcnt(0)
	s_barrier
	s_and_saveexec_b64 s[6:7], s[68:69]
	s_cbranch_execz .LBB91_82
; %bb.52:                               ;   in Loop: Header=BB91_20 Depth=1
	s_andn2_b64 vcc, exec, s[72:73]
	v_mov_b32_e32 v1, 0
	s_cbranch_vccnz .LBB91_81
; %bb.53:                               ;   in Loop: Header=BB91_20 Depth=1
	v_readlane_b32 s0, v48, 14
	v_readlane_b32 s1, v48, 15
	s_andn2_b64 vcc, exec, s[0:1]
	s_cbranch_vccnz .LBB91_77
; %bb.54:                               ;   in Loop: Header=BB91_20 Depth=1
	v_lshl_add_u32 v2, v33, 8, v31
	s_mov_b32 s0, 0
	v_mov_b32_e32 v1, 0
.LBB91_55:                              ;   Parent Loop BB91_20 Depth=1
                                        ; =>  This Inner Loop Header: Depth=2
	ds_read2_b32 v[3:4], v2 offset1:4
	ds_read2_b32 v[36:37], v2 offset0:8 offset1:12
	ds_read2_b32 v[38:39], v2 offset0:16 offset1:20
	;; [unrolled: 1-line block ×3, first 2 shown]
	s_add_i32 s0, s0, 8
	s_waitcnt lgkmcnt(3)
	v_add3_u32 v1, v3, v1, v4
	s_waitcnt lgkmcnt(2)
	v_add3_u32 v1, v36, v1, v37
	s_waitcnt lgkmcnt(1)
	v_add3_u32 v1, v38, v1, v39
	v_add_u32_e32 v2, 0x80, v2
	s_cmp_eq_u32 s75, s0
	s_waitcnt lgkmcnt(0)
	v_add3_u32 v1, v40, v1, v41
	s_cbranch_scc0 .LBB91_55
; %bb.56:                               ;   in Loop: Header=BB91_20 Depth=1
	s_mov_b32 s0, s75
	s_branch .LBB91_78
.LBB91_57:                              ;   in Loop: Header=BB91_20 Depth=1
	v_mov_b32_e32 v1, 0
	v_mov_b32_e32 v2, 0
	v_mov_b32_e32 v3, 0
	v_mov_b32_e32 v4, 0
	s_and_saveexec_b64 s[44:45], s[8:9]
	s_cbranch_execz .LBB91_61
; %bb.58:                               ;   in Loop: Header=BB91_20 Depth=1
	s_mov_b32 s13, 0
	s_mov_b64 s[46:47], 0
	s_mov_b32 s48, 0
	s_mov_b32 s49, 0
	;; [unrolled: 1-line block ×4, first 2 shown]
	v_mov_b32_e32 v13, v15
.LBB91_59:                              ;   Parent Loop BB91_20 Depth=1
                                        ; =>  This Inner Loop Header: Depth=2
	v_add_u32_e32 v6, s13, v28
	v_lshlrev_b64 v[2:3], 2, v[6:7]
	v_add_u32_e32 v6, s13, v24
	v_mov_b32_e32 v1, s60
	v_lshlrev_b64 v[36:37], 2, v[6:7]
	v_add_co_u32_e64 v2, s[6:7], s59, v2
	v_add_u32_e32 v6, s13, v25
	v_addc_co_u32_e64 v3, s[6:7], v1, v3, s[6:7]
	v_lshlrev_b64 v[38:39], 2, v[6:7]
	v_add_u32_e32 v6, s13, v27
	v_add_co_u32_e64 v36, s[6:7], s59, v36
	v_lshlrev_b64 v[40:41], 2, v[6:7]
	v_addc_co_u32_e64 v37, s[6:7], v1, v37, s[6:7]
	global_load_dword v4, v[2:3], off
	global_load_dword v6, v[36:37], off
	v_add_co_u32_e64 v2, s[6:7], s59, v38
	v_addc_co_u32_e64 v3, s[6:7], v1, v39, s[6:7]
	global_load_dword v36, v[2:3], off
	v_add_co_u32_e64 v2, s[6:7], s59, v40
	v_addc_co_u32_e64 v3, s[6:7], v1, v41, s[6:7]
	global_load_dword v1, v[2:3], off
	v_add_u32_e32 v13, s66, v13
	v_cmp_le_u32_e32 vcc, s77, v13
	s_add_i32 s13, s13, s2
	s_waitcnt vmcnt(3)
	v_xor_b32_e32 v2, 0x80000000, v4
	v_and_b32_e32 v4, v2, v34
	v_bfe_u32 v2, v2, v32, 2
	s_waitcnt vmcnt(2)
	v_xor_b32_e32 v3, 0x80000000, v6
	v_cmp_eq_u32_e64 s[6:7], v4, v26
	v_cmp_eq_u32_e64 s[14:15], 0, v2
	v_and_b32_e32 v4, v3, v34
	v_bfe_u32 v3, v3, v32, 2
	v_cmp_eq_u32_e64 s[18:19], 1, v2
	s_and_b64 s[0:1], s[6:7], s[14:15]
	s_waitcnt vmcnt(1)
	v_xor_b32_e32 v6, 0x80000000, v36
	v_cmp_eq_u32_e64 s[20:21], 2, v2
	v_cmp_eq_u32_e64 s[26:27], 0, v3
	;; [unrolled: 1-line block ×5, first 2 shown]
	v_cndmask_b32_e64 v3, 0, 1, s[0:1]
	s_and_b64 s[0:1], s[6:7], s[18:19]
	v_cmp_eq_u32_e64 s[22:23], 3, v2
	v_cmp_eq_u32_e64 s[24:25], v4, v26
	v_and_b32_e32 v2, v6, v34
	v_bfe_u32 v4, v6, v32, 2
	v_cndmask_b32_e64 v6, 0, 1, s[0:1]
	s_and_b64 s[0:1], s[6:7], s[20:21]
	v_cndmask_b32_e64 v36, 0, 1, s[0:1]
	s_and_b64 s[0:1], s[6:7], s[22:23]
	;; [unrolled: 2-line block ×3, first 2 shown]
	v_cmp_ne_u32_e64 s[36:37], 0, v3
	v_cndmask_b32_e64 v3, 0, 1, s[0:1]
	s_and_b64 s[0:1], s[24:25], s[28:29]
	v_cmp_eq_u32_e64 s[14:15], 0, v4
	v_cmp_eq_u32_e64 s[18:19], 1, v4
	;; [unrolled: 1-line block ×4, first 2 shown]
	v_cndmask_b32_e64 v4, 0, 1, s[0:1]
	s_and_b64 s[0:1], s[24:25], s[30:31]
	s_waitcnt vmcnt(0)
	v_xor_b32_e32 v1, 0x80000000, v1
	v_cmp_eq_u32_e64 s[6:7], v2, v26
	v_cmp_ne_u32_e64 s[26:27], 0, v6
	v_cndmask_b32_e64 v6, 0, 1, s[0:1]
	s_and_b64 s[0:1], s[24:25], s[34:35]
	v_and_b32_e32 v2, v1, v34
	v_bfe_u32 v1, v1, v32, 2
	v_cmp_ne_u32_e64 s[28:29], 0, v36
	v_cndmask_b32_e64 v36, 0, 1, s[0:1]
	s_and_b64 s[0:1], s[6:7], s[14:15]
	v_cmp_eq_u32_e64 s[34:35], 0, v1
	v_cmp_eq_u32_e64 s[38:39], 1, v1
	;; [unrolled: 1-line block ×4, first 2 shown]
	v_cndmask_b32_e64 v1, 0, 1, s[0:1]
	s_and_b64 s[0:1], s[6:7], s[18:19]
	v_cmp_eq_u32_e64 s[24:25], v2, v26
	v_cndmask_b32_e64 v2, 0, 1, s[0:1]
	s_and_b64 s[0:1], s[6:7], s[20:21]
	s_bcnt1_i32_b64 s52, s[36:37]
	v_cmp_ne_u32_e64 s[36:37], 0, v3
	v_cndmask_b32_e64 v3, 0, 1, s[0:1]
	s_and_b64 s[0:1], s[6:7], s[22:23]
	v_cmp_ne_u32_e64 s[14:15], 0, v4
	v_cndmask_b32_e64 v4, 0, 1, s[0:1]
	s_and_b64 s[0:1], s[24:25], s[34:35]
	;; [unrolled: 3-line block ×3, first 2 shown]
	v_cmp_ne_u32_e64 s[30:31], 0, v37
	s_bcnt1_i32_b64 s26, s[26:27]
	s_bcnt1_i32_b64 s27, s[28:29]
	v_cmp_ne_u32_e64 s[18:19], 0, v6
	s_bcnt1_i32_b64 s29, s[14:15]
	v_cmp_ne_u32_e64 s[14:15], 0, v2
	v_cndmask_b32_e64 v2, 0, 1, s[0:1]
	s_and_b64 s[0:1], s[24:25], s[40:41]
	s_bcnt1_i32_b64 s28, s[30:31]
	v_cmp_ne_u32_e64 s[20:21], 0, v36
	s_bcnt1_i32_b64 s30, s[18:19]
	v_cmp_ne_u32_e64 s[18:19], 0, v3
	v_cndmask_b32_e64 v3, 0, 1, s[0:1]
	s_and_b64 s[0:1], s[24:25], s[42:43]
	s_bcnt1_i32_b64 s22, s[36:37]
	s_add_i32 s23, s51, s52
	s_add_i32 s26, s50, s26
	;; [unrolled: 1-line block ×3, first 2 shown]
	s_bcnt1_i32_b64 s31, s[20:21]
	v_cmp_ne_u32_e64 s[20:21], 0, v4
	v_cndmask_b32_e64 v4, 0, 1, s[0:1]
	s_add_i32 s0, s48, s28
	s_bcnt1_i32_b64 s1, s[6:7]
	v_cmp_ne_u32_e64 s[6:7], 0, v1
	s_add_i32 s22, s23, s22
	s_bcnt1_i32_b64 s23, s[14:15]
	v_cmp_ne_u32_e64 s[14:15], 0, v2
	;; [unrolled: 3-line block ×4, first 2 shown]
	s_add_i32 s0, s0, s31
	s_bcnt1_i32_b64 s6, s[6:7]
	s_add_i32 s1, s22, s1
	s_bcnt1_i32_b64 s7, s[14:15]
	;; [unrolled: 2-line block ×4, first 2 shown]
	s_add_i32 s0, s0, s27
	s_add_i32 s51, s1, s6
	s_add_i32 s50, s14, s7
	s_add_i32 s49, s18, s15
	s_add_i32 s48, s0, s19
	s_or_b64 s[46:47], vcc, s[46:47]
	v_mov_b32_e32 v1, s51
	v_mov_b32_e32 v2, s50
	;; [unrolled: 1-line block ×4, first 2 shown]
	s_andn2_b64 exec, exec, s[46:47]
	s_cbranch_execnz .LBB91_59
; %bb.60:                               ;   in Loop: Header=BB91_20 Depth=1
	s_or_b64 exec, exec, s[46:47]
.LBB91_61:                              ;   in Loop: Header=BB91_20 Depth=1
	s_or_b64 exec, exec, s[44:45]
	s_and_saveexec_b64 s[14:15], s[10:11]
	s_cbranch_execz .LBB91_67
; %bb.62:                               ;   in Loop: Header=BB91_20 Depth=1
	global_load_dword v36, v[10:11], off
	s_mov_b64 s[18:19], 0
	v_mov_b32_e32 v6, v29
	v_mov_b32_e32 v13, v23
	s_branch .LBB91_64
.LBB91_63:                              ;   in Loop: Header=BB91_64 Depth=2
	s_or_b64 exec, exec, s[20:21]
	s_waitcnt vmcnt(0)
	v_xor_b32_e32 v36, 0x80000000, v36
	s_and_b64 s[0:1], exec, vcc
	v_and_b32_e32 v38, v36, v34
	v_bfe_u32 v36, v36, v32, 2
	s_or_b64 s[18:19], s[0:1], s[18:19]
	v_cmp_eq_u32_e32 vcc, v38, v26
	v_cmp_eq_u32_e64 s[6:7], 0, v36
	s_and_b64 s[0:1], vcc, s[6:7]
	v_cndmask_b32_e64 v38, 0, 1, s[0:1]
	v_cmp_ne_u32_e64 s[6:7], 0, v38
	s_bcnt1_i32_b64 s0, s[6:7]
	v_cmp_eq_u32_e64 s[6:7], 1, v36
	v_add_u32_e32 v1, s0, v1
	s_and_b64 s[0:1], vcc, s[6:7]
	v_cndmask_b32_e64 v38, 0, 1, s[0:1]
	v_cmp_ne_u32_e64 s[6:7], 0, v38
	s_bcnt1_i32_b64 s0, s[6:7]
	v_cmp_eq_u32_e64 s[6:7], 2, v36
	v_add_u32_e32 v2, s0, v2
	;; [unrolled: 6-line block ×3, first 2 shown]
	s_and_b64 s[0:1], vcc, s[6:7]
	v_cndmask_b32_e64 v36, 0, 1, s[0:1]
	v_cmp_ne_u32_e32 vcc, 0, v36
	s_bcnt1_i32_b64 s0, vcc
	v_add_u32_e32 v4, s0, v4
	v_add_u32_e32 v6, s67, v6
	v_mov_b32_e32 v36, v37
	s_andn2_b64 exec, exec, s[18:19]
	s_cbranch_execz .LBB91_66
.LBB91_64:                              ;   Parent Loop BB91_20 Depth=1
                                        ; =>  This Inner Loop Header: Depth=2
	v_add_u32_e32 v13, s62, v13
	v_cmp_gt_u32_e64 s[6:7], s56, v13
	v_cmp_le_u32_e32 vcc, s56, v13
	v_mov_b32_e32 v37, 0
	s_and_saveexec_b64 s[20:21], s[6:7]
	s_cbranch_execz .LBB91_63
; %bb.65:                               ;   in Loop: Header=BB91_64 Depth=2
	v_lshlrev_b64 v[37:38], 2, v[6:7]
	v_mov_b32_e32 v39, s60
	v_add_co_u32_e64 v37, s[6:7], s59, v37
	v_addc_co_u32_e64 v38, s[6:7], v39, v38, s[6:7]
	global_load_dword v37, v[37:38], off
	s_branch .LBB91_63
.LBB91_66:                              ;   in Loop: Header=BB91_20 Depth=1
	s_or_b64 exec, exec, s[18:19]
.LBB91_67:                              ;   in Loop: Header=BB91_20 Depth=1
	s_or_b64 exec, exec, s[14:15]
	s_branch .LBB91_49
.LBB91_68:                              ;   in Loop: Header=BB91_20 Depth=1
	s_mul_hi_u32 s0, s12, s76
	s_mul_i32 s0, s0, s66
	s_sub_i32 s0, s12, s0
	s_sub_i32 s1, s0, s66
	s_cmp_ge_u32 s0, s66
	s_cselect_b32 s0, s1, s0
	s_sub_i32 s1, s0, s66
	s_cmp_ge_u32 s0, s66
	s_cselect_b32 s0, s1, s0
	s_sub_i32 s13, s12, s0
	v_cmp_gt_u32_e32 vcc, s13, v15
	v_mov_b32_e32 v1, 0
	v_mov_b32_e32 v2, 0
	;; [unrolled: 1-line block ×4, first 2 shown]
	s_and_saveexec_b64 s[94:95], vcc
	s_cbranch_execz .LBB91_72
; %bb.69:                               ;   in Loop: Header=BB91_20 Depth=1
	s_mov_b32 s70, 0
	s_mov_b64 s[64:65], 0
	v_mov_b32_e32 v6, v30
	s_mov_b32 s71, 0
	s_mov_b32 s0, 0
	;; [unrolled: 1-line block ×3, first 2 shown]
	v_mov_b32_e32 v13, v15
.LBB91_70:                              ;   Parent Loop BB91_20 Depth=1
                                        ; =>  This Inner Loop Header: Depth=2
	ds_read_b128 v[1:4], v6
	v_add_u32_e32 v13, s66, v13
	v_cmp_le_u32_e32 vcc, s13, v13
	v_add_u32_e32 v6, s3, v6
	s_waitcnt lgkmcnt(0)
	v_xor_b32_e32 v1, 0x80000000, v1
	v_xor_b32_e32 v2, 0x80000000, v2
	v_and_b32_e32 v36, v1, v34
	v_bfe_u32 v1, v1, v32, 2
	v_xor_b32_e32 v3, 0x80000000, v3
	v_and_b32_e32 v37, v2, v34
	v_bfe_u32 v2, v2, v32, 2
	v_cmp_eq_u32_e64 s[6:7], v36, v26
	v_cmp_eq_u32_e64 s[22:23], 0, v1
	v_xor_b32_e32 v4, 0x80000000, v4
	v_and_b32_e32 v38, v3, v34
	v_bfe_u32 v3, v3, v32, 2
	v_cmp_eq_u32_e64 s[14:15], v37, v26
	v_cmp_eq_u32_e64 s[24:25], 0, v2
	s_and_b64 s[22:23], s[6:7], s[22:23]
	v_and_b32_e32 v39, v4, v34
	v_bfe_u32 v4, v4, v32, 2
	v_cmp_eq_u32_e64 s[18:19], v38, v26
	v_cmp_eq_u32_e64 s[26:27], 0, v3
	;; [unrolled: 1-line block ×5, first 2 shown]
	v_cndmask_b32_e64 v1, 0, 1, s[22:23]
	s_and_b64 s[22:23], s[14:15], s[24:25]
	v_cmp_eq_u32_e64 s[20:21], v39, v26
	v_cmp_eq_u32_e64 s[28:29], 0, v4
	;; [unrolled: 1-line block ×5, first 2 shown]
	v_cndmask_b32_e64 v2, 0, 1, s[22:23]
	s_and_b64 s[22:23], s[18:19], s[26:27]
	v_cmp_eq_u32_e64 s[36:37], 1, v3
	v_cmp_eq_u32_e64 s[44:45], 2, v3
	;; [unrolled: 1-line block ×3, first 2 shown]
	v_cndmask_b32_e64 v3, 0, 1, s[22:23]
	s_and_b64 s[22:23], s[20:21], s[28:29]
	v_cmp_eq_u32_e64 s[38:39], 1, v4
	v_cmp_eq_u32_e64 s[46:47], 2, v4
	;; [unrolled: 1-line block ×3, first 2 shown]
	v_cndmask_b32_e64 v4, 0, 1, s[22:23]
	s_and_b64 s[22:23], s[6:7], s[30:31]
	v_cndmask_b32_e64 v36, 0, 1, s[22:23]
	s_and_b64 s[22:23], s[14:15], s[34:35]
	;; [unrolled: 2-line block ×5, first 2 shown]
	s_and_b64 s[6:7], s[6:7], s[48:49]
	v_cndmask_b32_e64 v40, 0, 1, s[22:23]
	s_and_b64 s[22:23], s[14:15], s[42:43]
	v_cndmask_b32_e64 v44, 0, 1, s[6:7]
	;; [unrolled: 2-line block ×7, first 2 shown]
	v_cndmask_b32_e64 v47, 0, 1, s[6:7]
	v_cmp_ne_u32_e64 s[6:7], 0, v1
	v_cmp_ne_u32_e64 s[14:15], 0, v2
	;; [unrolled: 1-line block ×11, first 2 shown]
	s_bcnt1_i32_b64 s6, s[6:7]
	s_bcnt1_i32_b64 s7, s[14:15]
	;; [unrolled: 1-line block ×8, first 2 shown]
	v_cmp_ne_u32_e64 s[28:29], 0, v39
	v_cmp_ne_u32_e64 s[36:37], 0, v42
	;; [unrolled: 1-line block ×3, first 2 shown]
	s_bcnt1_i32_b64 s19, s[24:25]
	s_bcnt1_i32_b64 s23, s[34:35]
	;; [unrolled: 1-line block ×3, first 2 shown]
	s_add_i32 s1, s1, s6
	s_add_i32 s0, s0, s18
	;; [unrolled: 1-line block ×4, first 2 shown]
	v_cmp_ne_u32_e64 s[38:39], 0, v43
	v_cmp_ne_u32_e64 s[46:47], 0, v47
	s_bcnt1_i32_b64 s21, s[28:29]
	s_bcnt1_i32_b64 s24, s[36:37]
	s_bcnt1_i32_b64 s28, s[44:45]
	s_add_i32 s1, s1, s7
	s_add_i32 s0, s0, s19
	;; [unrolled: 1-line block ×4, first 2 shown]
	s_bcnt1_i32_b64 s25, s[38:39]
	s_bcnt1_i32_b64 s29, s[46:47]
	s_add_i32 s1, s1, s14
	s_add_i32 s0, s0, s20
	;; [unrolled: 1-line block ×8, first 2 shown]
	s_or_b64 s[64:65], vcc, s[64:65]
	v_mov_b32_e32 v1, s1
	v_mov_b32_e32 v2, s0
	;; [unrolled: 1-line block ×4, first 2 shown]
	s_andn2_b64 exec, exec, s[64:65]
	s_cbranch_execnz .LBB91_70
; %bb.71:                               ;   in Loop: Header=BB91_20 Depth=1
	s_or_b64 exec, exec, s[64:65]
.LBB91_72:                              ;   in Loop: Header=BB91_20 Depth=1
	s_or_b64 exec, exec, s[94:95]
	v_add_u32_e32 v6, s13, v0
	v_cmp_gt_u32_e32 vcc, s12, v6
	s_and_saveexec_b64 s[24:25], vcc
	s_cbranch_execz .LBB91_76
; %bb.73:                               ;   in Loop: Header=BB91_20 Depth=1
	v_lshlrev_b32_e32 v13, 2, v6
	s_mov_b64 s[26:27], 0
.LBB91_74:                              ;   Parent Loop BB91_20 Depth=1
                                        ; =>  This Inner Loop Header: Depth=2
	ds_read_b32 v36, v13
	v_add_u32_e32 v6, s62, v6
	v_cmp_le_u32_e32 vcc, s12, v6
	v_add_u32_e32 v13, s66, v13
	s_waitcnt lgkmcnt(0)
	v_xor_b32_e32 v36, 0x80000000, v36
	v_and_b32_e32 v37, v36, v34
	v_bfe_u32 v36, v36, v32, 2
	v_cmp_eq_u32_e64 s[6:7], v37, v26
	v_cmp_eq_u32_e64 s[14:15], 0, v36
	;; [unrolled: 1-line block ×3, first 2 shown]
	s_and_b64 s[0:1], s[6:7], s[14:15]
	v_cmp_eq_u32_e64 s[20:21], 2, v36
	v_cmp_eq_u32_e64 s[22:23], 3, v36
	v_cndmask_b32_e64 v36, 0, 1, s[0:1]
	s_and_b64 s[0:1], s[6:7], s[18:19]
	v_cndmask_b32_e64 v37, 0, 1, s[0:1]
	s_and_b64 s[0:1], s[6:7], s[20:21]
	;; [unrolled: 2-line block ×3, first 2 shown]
	v_cndmask_b32_e64 v39, 0, 1, s[0:1]
	v_cmp_ne_u32_e64 s[6:7], 0, v36
	v_cmp_ne_u32_e64 s[14:15], 0, v37
	;; [unrolled: 1-line block ×4, first 2 shown]
	s_bcnt1_i32_b64 s0, s[6:7]
	s_bcnt1_i32_b64 s1, s[14:15]
	;; [unrolled: 1-line block ×4, first 2 shown]
	v_add_u32_e32 v1, s0, v1
	v_add_u32_e32 v2, s1, v2
	;; [unrolled: 1-line block ×3, first 2 shown]
	s_or_b64 s[26:27], vcc, s[26:27]
	v_add_u32_e32 v4, s7, v4
	s_andn2_b64 exec, exec, s[26:27]
	s_cbranch_execnz .LBB91_74
; %bb.75:                               ;   in Loop: Header=BB91_20 Depth=1
	s_or_b64 exec, exec, s[26:27]
.LBB91_76:                              ;   in Loop: Header=BB91_20 Depth=1
	s_or_b64 exec, exec, s[24:25]
	v_lshlrev_b32_e32 v6, 6, v33
	s_and_saveexec_b64 s[6:7], s[4:5]
	s_cbranch_execnz .LBB91_50
	s_branch .LBB91_51
.LBB91_77:                              ;   in Loop: Header=BB91_20 Depth=1
	v_mov_b32_e32 v1, 0
	s_mov_b32 s0, 0
.LBB91_78:                              ;   in Loop: Header=BB91_20 Depth=1
	v_readlane_b32 s12, v48, 17
	v_readlane_b32 s13, v48, 18
	s_andn2_b64 vcc, exec, s[12:13]
	s_cbranch_vccnz .LBB91_81
; %bb.79:                               ;   in Loop: Header=BB91_20 Depth=1
	v_lshlrev_b32_e32 v2, 8, v33
	s_lshl_b32 s0, s0, 4
	v_add_u32_e32 v2, s0, v2
	v_add_u32_e32 v2, v31, v2
	v_readlane_b32 s0, v48, 16
.LBB91_80:                              ;   Parent Loop BB91_20 Depth=1
                                        ; =>  This Inner Loop Header: Depth=2
	ds_read_b32 v3, v2
	s_add_i32 s0, s0, -1
	v_add_u32_e32 v2, 16, v2
	s_cmp_lg_u32 s0, 0
	s_waitcnt lgkmcnt(0)
	v_add_u32_e32 v1, v3, v1
	s_cbranch_scc1 .LBB91_80
.LBB91_81:                              ;   in Loop: Header=BB91_20 Depth=1
	v_add_lshl_u32 v2, v6, v16, 2
	ds_write_b32 v2, v1 offset:3072
.LBB91_82:                              ;   in Loop: Header=BB91_20 Depth=1
	s_or_b64 exec, exec, s[6:7]
	v_lshlrev_b32_e32 v1, 2, v6
	s_waitcnt lgkmcnt(0)
	s_barrier
	ds_read_b128 v[1:4], v1 offset:3072
	v_cmp_eq_u32_e32 vcc, 1, v35
	s_mov_b64 s[14:15], -1
	s_mov_b64 s[24:25], -1
                                        ; implicit-def: $sgpr22_sgpr23
                                        ; implicit-def: $sgpr20_sgpr21
	s_waitcnt lgkmcnt(0)
	v_readfirstlane_b32 s13, v1
	s_cmp_eq_u32 s13, 1
	v_lshlrev_b32_e64 v1, v32, 3
	s_cselect_b64 s[0:1], -1, 0
	v_readfirstlane_b32 s12, v2
	v_readfirstlane_b32 s50, v3
	;; [unrolled: 1-line block ×3, first 2 shown]
	v_not_b32_e32 v3, v1
	s_and_b64 s[18:19], s[0:1], vcc
	s_and_saveexec_b64 s[6:7], s[18:19]
	s_cbranch_execz .LBB91_108
; %bb.83:                               ;   in Loop: Header=BB91_20 Depth=1
	ds_read_b32 v2, v7 offset:4104
	s_waitcnt lgkmcnt(0)
	s_barrier
	v_readfirstlane_b32 s0, v2
	s_and_saveexec_b64 s[20:21], s[16:17]
; %bb.84:                               ;   in Loop: Header=BB91_20 Depth=1
	ds_write_b32 v17, v7
; %bb.85:                               ;   in Loop: Header=BB91_20 Depth=1
	s_or_b64 exec, exec, s[20:21]
	v_and_b32_e32 v26, v26, v3
	v_or_b32_e32 v34, v34, v1
	s_mov_b64 s[20:21], -1
	s_mov_b64 s[22:23], 0
	s_cmp_eq_u32 s0, 0
	s_mov_b64 s[24:25], 0
	s_mov_b64 s[26:27], -1
	s_waitcnt lgkmcnt(0)
	s_barrier
                                        ; implicit-def: $vgpr14
	s_cbranch_scc1 .LBB91_96
; %bb.86:                               ;   in Loop: Header=BB91_20 Depth=1
	s_add_i32 s1, s0, s74
	s_mul_hi_u32 s24, s1, s78
	s_mul_i32 s24, s24, s62
	s_sub_i32 s24, s1, s24
	s_sub_i32 s25, s24, s62
	s_cmp_ge_u32 s24, s62
	s_cselect_b32 s24, s25, s24
	s_sub_i32 s25, s24, s62
	s_cmp_ge_u32 s24, s62
	s_cselect_b32 s24, s25, s24
	s_sub_i32 s1, s1, s24
	v_cmp_gt_u32_e32 vcc, s1, v0
	s_mov_b64 s[26:27], 0
	s_mov_b64 s[24:25], 0
                                        ; implicit-def: $vgpr14
	s_and_saveexec_b64 s[28:29], vcc
	s_cbranch_execz .LBB91_95
; %bb.87:                               ;   in Loop: Header=BB91_20 Depth=1
	v_mov_b32_e32 v2, v15
	v_mov_b32_e32 v4, v0
                                        ; implicit-def: $sgpr30_sgpr31
	s_branch .LBB91_90
.LBB91_88:                              ;   in Loop: Header=BB91_90 Depth=2
	s_or_b64 exec, exec, s[34:35]
	s_waitcnt lgkmcnt(0)
	s_barrier
	ds_read_b64 v[13:14], v7 offset:3072
	s_mov_b64 s[34:35], -1
	s_mov_b64 s[36:37], -1
	s_waitcnt lgkmcnt(0)
	s_barrier
	v_cmp_ne_u32_e32 vcc, 0, v13
	s_cbranch_vccz .LBB91_93
.LBB91_89:                              ;   in Loop: Header=BB91_90 Depth=2
	s_and_b64 s[34:35], exec, s[34:35]
	s_or_b64 s[24:25], s[34:35], s[24:25]
	s_andn2_b64 s[30:31], s[30:31], exec
	s_and_b64 s[34:35], s[36:37], exec
	s_or_b64 s[30:31], s[30:31], s[34:35]
	s_andn2_b64 exec, exec, s[24:25]
	s_cbranch_execz .LBB91_94
.LBB91_90:                              ;   Parent Loop BB91_20 Depth=1
                                        ; =>  This Inner Loop Header: Depth=2
	v_cmp_gt_u32_e32 vcc, s0, v4
	s_and_saveexec_b64 s[34:35], vcc
	s_cbranch_execz .LBB91_88
; %bb.91:                               ;   in Loop: Header=BB91_90 Depth=2
	ds_read_b32 v13, v2
	s_waitcnt lgkmcnt(0)
	v_xor_b32_e32 v6, 0x80000000, v13
	v_and_b32_e32 v6, v6, v34
	v_cmp_eq_u32_e32 vcc, v6, v26
	s_and_b64 exec, exec, vcc
	s_cbranch_execz .LBB91_88
; %bb.92:                               ;   in Loop: Header=BB91_90 Depth=2
	ds_write_b64 v7, v[12:13] offset:3072
	s_branch .LBB91_88
.LBB91_93:                              ;   in Loop: Header=BB91_90 Depth=2
	v_add_u32_e32 v4, s62, v4
	v_cmp_le_u32_e32 vcc, s1, v4
	v_add_u32_e32 v2, s66, v2
	s_mov_b64 s[36:37], 0
	s_orn2_b64 s[34:35], vcc, exec
	s_branch .LBB91_89
.LBB91_94:                              ;   in Loop: Header=BB91_20 Depth=1
	s_or_b64 exec, exec, s[24:25]
	s_and_b64 s[24:25], s[30:31], exec
.LBB91_95:                              ;   in Loop: Header=BB91_20 Depth=1
	s_or_b64 exec, exec, s[28:29]
.LBB91_96:                              ;   in Loop: Header=BB91_20 Depth=1
	s_and_b64 vcc, exec, s[26:27]
	s_cbranch_vccz .LBB91_107
; %bb.97:                               ;   in Loop: Header=BB91_20 Depth=1
                                        ; implicit-def: $vgpr14
	s_mov_b64 s[20:21], exec
	v_readlane_b32 s0, v48, 19
	v_readlane_b32 s1, v48, 20
	s_and_b64 s[0:1], s[20:21], s[0:1]
	s_mov_b64 exec, s[0:1]
	s_cbranch_execz .LBB91_106
; %bb.98:                               ;   in Loop: Header=BB91_20 Depth=1
	s_mov_b64 s[22:23], 0
	v_mov_b32_e32 v6, v5
	v_mov_b32_e32 v2, v0
                                        ; implicit-def: $sgpr26_sgpr27
	s_branch .LBB91_101
.LBB91_99:                              ;   in Loop: Header=BB91_101 Depth=2
	s_or_b64 exec, exec, s[28:29]
	s_waitcnt lgkmcnt(0)
	s_barrier
	ds_read_b64 v[13:14], v7 offset:3072
	s_mov_b64 s[28:29], -1
	s_mov_b64 s[30:31], -1
	s_waitcnt lgkmcnt(0)
	s_barrier
	v_cmp_ne_u32_e32 vcc, 0, v13
	s_cbranch_vccz .LBB91_104
.LBB91_100:                             ;   in Loop: Header=BB91_101 Depth=2
	s_and_b64 s[0:1], exec, s[28:29]
	s_or_b64 s[22:23], s[0:1], s[22:23]
	s_andn2_b64 s[0:1], s[26:27], exec
	s_and_b64 s[26:27], s[30:31], exec
	s_or_b64 s[26:27], s[0:1], s[26:27]
	s_andn2_b64 exec, exec, s[22:23]
	s_cbranch_execz .LBB91_105
.LBB91_101:                             ;   Parent Loop BB91_20 Depth=1
                                        ; =>  This Inner Loop Header: Depth=2
	v_cmp_gt_u32_e32 vcc, s56, v2
	s_and_saveexec_b64 s[28:29], vcc
	s_cbranch_execz .LBB91_99
; %bb.102:                              ;   in Loop: Header=BB91_101 Depth=2
	v_lshlrev_b64 v[13:14], 2, v[6:7]
	v_mov_b32_e32 v4, s60
	v_add_co_u32_e32 v13, vcc, s59, v13
	v_addc_co_u32_e32 v14, vcc, v4, v14, vcc
	global_load_dword v13, v[13:14], off
	s_waitcnt vmcnt(0)
	v_xor_b32_e32 v4, 0x80000000, v13
	v_and_b32_e32 v4, v4, v34
	v_cmp_eq_u32_e32 vcc, v4, v26
	s_and_b64 exec, exec, vcc
	s_cbranch_execz .LBB91_99
; %bb.103:                              ;   in Loop: Header=BB91_101 Depth=2
	ds_write_b64 v7, v[12:13] offset:3072
	s_branch .LBB91_99
.LBB91_104:                             ;   in Loop: Header=BB91_101 Depth=2
	v_add_u32_e32 v2, s62, v2
	v_cmp_le_u32_e32 vcc, s79, v2
	v_add_u32_e32 v6, s67, v6
	s_mov_b64 s[30:31], 0
	s_orn2_b64 s[28:29], vcc, exec
	s_branch .LBB91_100
.LBB91_105:                             ;   in Loop: Header=BB91_20 Depth=1
	s_or_b64 exec, exec, s[22:23]
	s_andn2_b64 s[0:1], s[24:25], exec
	s_and_b64 s[22:23], s[26:27], exec
	s_or_b64 s[24:25], s[0:1], s[22:23]
.LBB91_106:                             ;   in Loop: Header=BB91_20 Depth=1
	s_or_b64 exec, exec, s[20:21]
	s_mov_b64 s[20:21], 0
	s_mov_b64 s[22:23], -1
.LBB91_107:                             ;   in Loop: Header=BB91_20 Depth=1
	s_orn2_b64 s[24:25], s[24:25], exec
.LBB91_108:                             ;   in Loop: Header=BB91_20 Depth=1
	s_or_b64 exec, exec, s[6:7]
	s_andn2_b64 s[0:1], s[92:93], exec
	s_and_b64 s[6:7], s[22:23], exec
	s_or_b64 s[92:93], s[0:1], s[6:7]
	s_andn2_b64 s[0:1], s[90:91], exec
	s_and_b64 s[6:7], s[20:21], exec
	s_andn2_b64 s[88:89], s[88:89], exec
	s_or_b64 s[90:91], s[0:1], s[6:7]
                                        ; implicit-def: $vgpr4
	s_and_saveexec_b64 s[6:7], s[24:25]
	s_cbranch_execz .LBB91_19
; %bb.109:                              ;   in Loop: Header=BB91_20 Depth=1
	s_xor_b64 s[0:1], s[18:19], -1
	s_mov_b64 s[18:19], 0
	v_mov_b32_e32 v4, 1
	v_mov_b32_e32 v2, 1
	s_and_saveexec_b64 s[14:15], s[0:1]
	s_cbranch_execz .LBB91_118
; %bb.110:                              ;   in Loop: Header=BB91_20 Depth=1
	v_cmp_ge_u32_e32 vcc, s13, v35
	s_and_saveexec_b64 s[0:1], vcc
	s_xor_b64 s[18:19], exec, s[0:1]
	s_cbranch_execz .LBB91_115
; %bb.111:                              ;   in Loop: Header=BB91_20 Depth=1
	ds_read_b32 v2, v7 offset:4104
	v_and_b32_e32 v26, v26, v3
	v_or_b32_e32 v34, v34, v1
	s_waitcnt lgkmcnt(0)
	v_cmp_ne_u32_e32 vcc, 0, v2
	s_cbranch_vccnz .LBB91_115
; %bb.112:                              ;   in Loop: Header=BB91_20 Depth=1
	s_mov_b64 s[20:21], exec
	v_readlane_b32 s0, v48, 2
	v_readlane_b32 s1, v48, 3
	s_and_b64 s[0:1], s[20:21], s[0:1]
	s_mov_b64 exec, s[0:1]
; %bb.113:                              ;   in Loop: Header=BB91_20 Depth=1
	v_mov_b32_e32 v2, s13
	ds_write_b32 v7, v2 offset:4108
; %bb.114:                              ;   in Loop: Header=BB91_20 Depth=1
	s_or_b64 exec, exec, s[20:21]
	s_waitcnt lgkmcnt(0)
	s_barrier
.LBB91_115:                             ;   in Loop: Header=BB91_20 Depth=1
	s_or_saveexec_b64 s[18:19], s[18:19]
	s_mov_b64 s[20:21], 0
	v_mov_b32_e32 v2, 8
	s_xor_b64 exec, exec, s[18:19]
; %bb.116:                              ;   in Loop: Header=BB91_20 Depth=1
	s_mov_b64 s[20:21], exec
	v_subrev_u32_e32 v35, s13, v35
	v_mov_b32_e32 v2, 0
; %bb.117:                              ;   in Loop: Header=BB91_20 Depth=1
	s_or_b64 exec, exec, s[18:19]
	s_and_b64 s[18:19], s[20:21], exec
	v_mov_b32_e32 v4, v35
.LBB91_118:                             ;   in Loop: Header=BB91_20 Depth=1
	s_or_b64 exec, exec, s[14:15]
	s_mov_b64 s[14:15], -1
	s_mov_b64 s[24:25], -1
                                        ; implicit-def: $sgpr20_sgpr21
                                        ; implicit-def: $sgpr22_sgpr23
	s_and_saveexec_b64 s[0:1], s[18:19]
	s_xor_b64 s[18:19], exec, s[0:1]
	s_cbranch_execz .LBB91_238
; %bb.119:                              ;   in Loop: Header=BB91_20 Depth=1
	s_cmp_eq_u32 s12, 1
	s_cselect_b64 s[0:1], -1, 0
	v_cmp_eq_u32_e32 vcc, 1, v4
	s_and_b64 s[26:27], s[0:1], vcc
	s_mov_b64 s[28:29], -1
                                        ; implicit-def: $sgpr22_sgpr23
                                        ; implicit-def: $sgpr20_sgpr21
	s_and_saveexec_b64 s[24:25], s[26:27]
	s_cbranch_execz .LBB91_148
; %bb.120:                              ;   in Loop: Header=BB91_20 Depth=1
	ds_read_b32 v6, v7 offset:4104
	s_waitcnt lgkmcnt(0)
	s_barrier
	v_readfirstlane_b32 s0, v6
	s_and_saveexec_b64 s[20:21], s[16:17]
; %bb.121:                              ;   in Loop: Header=BB91_20 Depth=1
	ds_write_b32 v17, v7
; %bb.122:                              ;   in Loop: Header=BB91_20 Depth=1
	s_or_b64 exec, exec, s[20:21]
	v_and_b32_e32 v6, v26, v3
	v_lshl_or_b32 v26, 1, v32, v6
	v_or_b32_e32 v34, v34, v1
	s_mov_b64 s[20:21], -1
	s_mov_b64 s[22:23], 0
	s_cmp_eq_u32 s0, 0
	s_mov_b64 s[28:29], 0
	s_mov_b64 s[30:31], -1
	s_waitcnt lgkmcnt(0)
	s_barrier
                                        ; implicit-def: $vgpr14
	s_cbranch_scc1 .LBB91_136
; %bb.123:                              ;   in Loop: Header=BB91_20 Depth=1
	s_add_i32 s1, s0, s74
	s_mul_hi_u32 s13, s1, s78
	s_mul_i32 s13, s13, s62
	s_sub_i32 s13, s1, s13
	s_sub_i32 s28, s13, s62
	s_cmp_ge_u32 s13, s62
	s_cselect_b32 s13, s28, s13
	s_sub_i32 s28, s13, s62
	s_cmp_ge_u32 s13, s62
	s_cselect_b32 s13, s28, s13
	s_sub_i32 s1, s1, s13
	v_cmp_gt_u32_e32 vcc, s1, v0
	s_mov_b64 s[30:31], 0
	s_mov_b64 s[28:29], 0
                                        ; implicit-def: $vgpr14
	s_and_saveexec_b64 s[34:35], vcc
	s_cbranch_execz .LBB91_135
; %bb.124:                              ;   in Loop: Header=BB91_20 Depth=1
	v_mov_b32_e32 v6, v15
	v_mov_b32_e32 v35, v0
                                        ; implicit-def: $sgpr36_sgpr37
	s_branch .LBB91_127
.LBB91_125:                             ;   in Loop: Header=BB91_127 Depth=2
	s_or_b64 exec, exec, s[38:39]
	s_waitcnt lgkmcnt(0)
	s_barrier
	ds_read_b64 v[13:14], v7 offset:3072
	s_mov_b64 s[38:39], -1
	s_mov_b64 s[40:41], -1
	s_waitcnt lgkmcnt(0)
	s_barrier
	v_cmp_ne_u32_e32 vcc, 0, v13
	s_cbranch_vccz .LBB91_130
.LBB91_126:                             ;   in Loop: Header=BB91_127 Depth=2
	s_and_b64 s[38:39], exec, s[38:39]
	s_or_b64 s[28:29], s[38:39], s[28:29]
	s_andn2_b64 s[36:37], s[36:37], exec
	s_and_b64 s[38:39], s[40:41], exec
	s_or_b64 s[36:37], s[36:37], s[38:39]
	s_andn2_b64 exec, exec, s[28:29]
	s_cbranch_execz .LBB91_134
.LBB91_127:                             ;   Parent Loop BB91_20 Depth=1
                                        ; =>  This Inner Loop Header: Depth=2
	v_cmp_gt_u32_e32 vcc, s0, v35
	s_and_saveexec_b64 s[38:39], vcc
	s_cbranch_execz .LBB91_125
; %bb.128:                              ;   in Loop: Header=BB91_127 Depth=2
	ds_read_b32 v13, v6
	s_waitcnt lgkmcnt(0)
	v_xor_b32_e32 v14, 0x80000000, v13
	v_and_b32_e32 v14, v14, v34
	v_cmp_eq_u32_e32 vcc, v14, v26
	s_and_b64 exec, exec, vcc
	s_cbranch_execz .LBB91_125
; %bb.129:                              ;   in Loop: Header=BB91_127 Depth=2
	ds_write_b64 v7, v[12:13] offset:3072
	s_branch .LBB91_125
.LBB91_130:                             ;   in Loop: Header=BB91_127 Depth=2
	v_add_u32_e32 v35, s62, v35
	v_cmp_le_u32_e32 vcc, s1, v35
	v_add_u32_e32 v6, s66, v6
	s_mov_b64 s[40:41], 0
	s_orn2_b64 s[38:39], vcc, exec
	s_branch .LBB91_126
.LBB91_131:                             ;   in Loop: Header=BB91_20 Depth=1
	s_or_b64 exec, exec, s[20:21]
	s_waitcnt lgkmcnt(0)
	s_barrier
	s_mov_b64 s[6:7], exec
	v_readlane_b32 s0, v48, 2
	v_readlane_b32 s1, v48, 3
	s_and_b64 s[0:1], s[6:7], s[0:1]
	s_mov_b64 exec, s[0:1]
	s_cbranch_execz .LBB91_133
; %bb.132:                              ;   in Loop: Header=BB91_20 Depth=1
	ds_read_b32 v1, v7 offset:4112
	s_waitcnt lgkmcnt(0)
	ds_write_b32 v7, v1 offset:4104
.LBB91_133:                             ;   in Loop: Header=BB91_20 Depth=1
	s_or_b64 exec, exec, s[6:7]
	s_waitcnt lgkmcnt(0)
	s_barrier
	s_mov_b64 s[6:7], -1
	s_and_b64 vcc, exec, s[18:19]
	s_cbranch_vccnz .LBB91_36
	s_branch .LBB91_45
.LBB91_134:                             ;   in Loop: Header=BB91_20 Depth=1
	s_or_b64 exec, exec, s[28:29]
	s_and_b64 s[28:29], s[36:37], exec
.LBB91_135:                             ;   in Loop: Header=BB91_20 Depth=1
	s_or_b64 exec, exec, s[34:35]
.LBB91_136:                             ;   in Loop: Header=BB91_20 Depth=1
	s_and_b64 vcc, exec, s[30:31]
	s_cbranch_vccz .LBB91_147
; %bb.137:                              ;   in Loop: Header=BB91_20 Depth=1
                                        ; implicit-def: $vgpr14
	s_mov_b64 s[20:21], exec
	v_readlane_b32 s0, v48, 19
	v_readlane_b32 s1, v48, 20
	s_and_b64 s[0:1], s[20:21], s[0:1]
	s_mov_b64 exec, s[0:1]
	s_cbranch_execz .LBB91_146
; %bb.138:                              ;   in Loop: Header=BB91_20 Depth=1
	s_mov_b64 s[22:23], 0
	v_mov_b32_e32 v6, v5
	v_mov_b32_e32 v35, v0
                                        ; implicit-def: $sgpr30_sgpr31
	s_branch .LBB91_141
.LBB91_139:                             ;   in Loop: Header=BB91_141 Depth=2
	s_or_b64 exec, exec, s[34:35]
	s_waitcnt lgkmcnt(0)
	s_barrier
	ds_read_b64 v[13:14], v7 offset:3072
	s_mov_b64 s[34:35], -1
	s_mov_b64 s[36:37], -1
	s_waitcnt lgkmcnt(0)
	s_barrier
	v_cmp_eq_u32_e32 vcc, 0, v13
	s_cbranch_vccnz .LBB91_144
.LBB91_140:                             ;   in Loop: Header=BB91_141 Depth=2
	s_and_b64 s[0:1], exec, s[34:35]
	s_or_b64 s[22:23], s[0:1], s[22:23]
	s_andn2_b64 s[0:1], s[30:31], exec
	s_and_b64 s[30:31], s[36:37], exec
	s_or_b64 s[30:31], s[0:1], s[30:31]
	s_andn2_b64 exec, exec, s[22:23]
	s_cbranch_execz .LBB91_145
.LBB91_141:                             ;   Parent Loop BB91_20 Depth=1
                                        ; =>  This Inner Loop Header: Depth=2
	v_cmp_gt_u32_e32 vcc, s56, v35
	s_and_saveexec_b64 s[34:35], vcc
	s_cbranch_execz .LBB91_139
; %bb.142:                              ;   in Loop: Header=BB91_141 Depth=2
	v_lshlrev_b64 v[13:14], 2, v[6:7]
	v_mov_b32_e32 v36, s60
	v_add_co_u32_e32 v13, vcc, s59, v13
	v_addc_co_u32_e32 v14, vcc, v36, v14, vcc
	global_load_dword v13, v[13:14], off
	s_waitcnt vmcnt(0)
	v_xor_b32_e32 v14, 0x80000000, v13
	v_and_b32_e32 v14, v14, v34
	v_cmp_eq_u32_e32 vcc, v14, v26
	s_and_b64 exec, exec, vcc
	s_cbranch_execz .LBB91_139
; %bb.143:                              ;   in Loop: Header=BB91_141 Depth=2
	ds_write_b64 v7, v[12:13] offset:3072
	s_branch .LBB91_139
.LBB91_144:                             ;   in Loop: Header=BB91_141 Depth=2
	v_add_u32_e32 v35, s62, v35
	v_cmp_le_u32_e32 vcc, s79, v35
	v_add_u32_e32 v6, s67, v6
	s_mov_b64 s[36:37], 0
	s_orn2_b64 s[34:35], vcc, exec
	s_branch .LBB91_140
.LBB91_145:                             ;   in Loop: Header=BB91_20 Depth=1
	s_or_b64 exec, exec, s[22:23]
	s_andn2_b64 s[0:1], s[28:29], exec
	s_and_b64 s[22:23], s[30:31], exec
	s_or_b64 s[28:29], s[0:1], s[22:23]
.LBB91_146:                             ;   in Loop: Header=BB91_20 Depth=1
	s_or_b64 exec, exec, s[20:21]
	s_mov_b64 s[20:21], 0
	s_mov_b64 s[22:23], -1
.LBB91_147:                             ;   in Loop: Header=BB91_20 Depth=1
	s_orn2_b64 s[28:29], s[28:29], exec
.LBB91_148:                             ;   in Loop: Header=BB91_20 Depth=1
	s_or_b64 exec, exec, s[24:25]
	s_mov_b64 s[30:31], 0
	s_and_saveexec_b64 s[24:25], s[28:29]
	s_cbranch_execz .LBB91_237
; %bb.149:                              ;   in Loop: Header=BB91_20 Depth=1
	s_xor_b64 s[0:1], s[26:27], -1
	s_mov_b64 s[36:37], 0
	v_mov_b32_e32 v35, 1
	v_mov_b32_e32 v2, 1
	s_and_saveexec_b64 s[26:27], s[0:1]
	s_cbranch_execz .LBB91_158
; %bb.150:                              ;   in Loop: Header=BB91_20 Depth=1
	v_cmp_ge_u32_e32 vcc, s12, v4
	s_and_saveexec_b64 s[0:1], vcc
	s_xor_b64 s[28:29], exec, s[0:1]
	s_cbranch_execz .LBB91_155
; %bb.151:                              ;   in Loop: Header=BB91_20 Depth=1
	ds_read_b32 v2, v7 offset:4104
	v_and_b32_e32 v6, v26, v3
	v_lshl_or_b32 v26, 1, v32, v6
	v_or_b32_e32 v34, v34, v1
	s_waitcnt lgkmcnt(0)
	v_cmp_ne_u32_e32 vcc, 0, v2
	s_cbranch_vccnz .LBB91_155
; %bb.152:                              ;   in Loop: Header=BB91_20 Depth=1
	s_mov_b64 s[30:31], exec
	v_readlane_b32 s0, v48, 2
	v_readlane_b32 s1, v48, 3
	s_and_b64 s[0:1], s[30:31], s[0:1]
	s_mov_b64 exec, s[0:1]
; %bb.153:                              ;   in Loop: Header=BB91_20 Depth=1
	v_mov_b32_e32 v2, s12
	ds_write_b32 v7, v2 offset:4108
; %bb.154:                              ;   in Loop: Header=BB91_20 Depth=1
	s_or_b64 exec, exec, s[30:31]
	s_waitcnt lgkmcnt(0)
	s_barrier
.LBB91_155:                             ;   in Loop: Header=BB91_20 Depth=1
	s_or_saveexec_b64 s[28:29], s[28:29]
	s_mov_b64 s[30:31], 0
	v_mov_b32_e32 v2, 8
	s_xor_b64 exec, exec, s[28:29]
; %bb.156:                              ;   in Loop: Header=BB91_20 Depth=1
	s_mov_b64 s[30:31], exec
	v_subrev_u32_e32 v4, s12, v4
	v_mov_b32_e32 v2, 0
; %bb.157:                              ;   in Loop: Header=BB91_20 Depth=1
	s_or_b64 exec, exec, s[28:29]
	s_and_b64 s[36:37], s[30:31], exec
	v_mov_b32_e32 v35, v4
.LBB91_158:                             ;   in Loop: Header=BB91_20 Depth=1
	s_or_b64 exec, exec, s[26:27]
	s_mov_b64 s[34:35], -1
                                        ; implicit-def: $sgpr28_sgpr29
                                        ; implicit-def: $sgpr30_sgpr31
	s_and_saveexec_b64 s[26:27], s[36:37]
	s_cbranch_execz .LBB91_236
; %bb.159:                              ;   in Loop: Header=BB91_20 Depth=1
	s_cmp_eq_u32 s50, 1
	s_cselect_b64 s[0:1], -1, 0
	v_cmp_eq_u32_e32 vcc, 1, v35
	s_and_b64 s[36:37], s[0:1], vcc
	s_mov_b64 s[38:39], -1
                                        ; implicit-def: $sgpr30_sgpr31
                                        ; implicit-def: $sgpr28_sgpr29
	s_and_saveexec_b64 s[34:35], s[36:37]
	s_cbranch_execz .LBB91_185
; %bb.160:                              ;   in Loop: Header=BB91_20 Depth=1
	ds_read_b32 v4, v7 offset:4104
	s_waitcnt lgkmcnt(0)
	s_barrier
	v_readfirstlane_b32 s0, v4
	s_and_saveexec_b64 s[28:29], s[16:17]
; %bb.161:                              ;   in Loop: Header=BB91_20 Depth=1
	ds_write_b32 v17, v7
; %bb.162:                              ;   in Loop: Header=BB91_20 Depth=1
	s_or_b64 exec, exec, s[28:29]
	v_and_b32_e32 v4, v26, v3
	v_lshl_or_b32 v26, 2, v32, v4
	v_or_b32_e32 v34, v34, v1
	s_mov_b64 s[28:29], -1
	s_mov_b64 s[30:31], 0
	s_cmp_eq_u32 s0, 0
	s_mov_b64 s[38:39], 0
	s_mov_b64 s[40:41], -1
	s_waitcnt lgkmcnt(0)
	s_barrier
                                        ; implicit-def: $vgpr14
	s_cbranch_scc1 .LBB91_173
; %bb.163:                              ;   in Loop: Header=BB91_20 Depth=1
	s_add_i32 s1, s0, s74
	s_mul_hi_u32 s12, s1, s78
	s_mul_i32 s12, s12, s62
	s_sub_i32 s12, s1, s12
	s_sub_i32 s13, s12, s62
	s_cmp_ge_u32 s12, s62
	s_cselect_b32 s12, s13, s12
	s_sub_i32 s13, s12, s62
	s_cmp_ge_u32 s12, s62
	s_cselect_b32 s12, s13, s12
	s_sub_i32 s1, s1, s12
	v_cmp_gt_u32_e32 vcc, s1, v0
	s_mov_b64 s[40:41], 0
                                        ; implicit-def: $vgpr14
	s_and_saveexec_b64 s[42:43], vcc
	s_cbranch_execz .LBB91_172
; %bb.164:                              ;   in Loop: Header=BB91_20 Depth=1
	v_mov_b32_e32 v4, v15
	v_mov_b32_e32 v6, v0
                                        ; implicit-def: $sgpr44_sgpr45
	s_branch .LBB91_167
.LBB91_165:                             ;   in Loop: Header=BB91_167 Depth=2
	s_or_b64 exec, exec, s[46:47]
	s_waitcnt lgkmcnt(0)
	s_barrier
	ds_read_b64 v[13:14], v7 offset:3072
	s_mov_b64 s[46:47], -1
	s_mov_b64 s[48:49], -1
	s_waitcnt lgkmcnt(0)
	s_barrier
	v_cmp_ne_u32_e32 vcc, 0, v13
	s_cbranch_vccz .LBB91_170
.LBB91_166:                             ;   in Loop: Header=BB91_167 Depth=2
	s_and_b64 s[12:13], exec, s[46:47]
	s_or_b64 s[38:39], s[12:13], s[38:39]
	s_andn2_b64 s[12:13], s[44:45], exec
	s_and_b64 s[44:45], s[48:49], exec
	s_or_b64 s[44:45], s[12:13], s[44:45]
	s_andn2_b64 exec, exec, s[38:39]
	s_cbranch_execz .LBB91_171
.LBB91_167:                             ;   Parent Loop BB91_20 Depth=1
                                        ; =>  This Inner Loop Header: Depth=2
	v_cmp_gt_u32_e32 vcc, s0, v6
	s_and_saveexec_b64 s[46:47], vcc
	s_cbranch_execz .LBB91_165
; %bb.168:                              ;   in Loop: Header=BB91_167 Depth=2
	ds_read_b32 v13, v4
	s_waitcnt lgkmcnt(0)
	v_xor_b32_e32 v14, 0x80000000, v13
	v_and_b32_e32 v14, v14, v34
	v_cmp_eq_u32_e32 vcc, v14, v26
	s_and_b64 exec, exec, vcc
	s_cbranch_execz .LBB91_165
; %bb.169:                              ;   in Loop: Header=BB91_167 Depth=2
	ds_write_b64 v7, v[12:13] offset:3072
	s_branch .LBB91_165
.LBB91_170:                             ;   in Loop: Header=BB91_167 Depth=2
	v_add_u32_e32 v6, s62, v6
	v_cmp_le_u32_e32 vcc, s1, v6
	v_add_u32_e32 v4, s66, v4
	s_mov_b64 s[48:49], 0
	s_orn2_b64 s[46:47], vcc, exec
	s_branch .LBB91_166
.LBB91_171:                             ;   in Loop: Header=BB91_20 Depth=1
	s_or_b64 exec, exec, s[38:39]
	s_and_b64 s[38:39], s[44:45], exec
.LBB91_172:                             ;   in Loop: Header=BB91_20 Depth=1
	s_or_b64 exec, exec, s[42:43]
.LBB91_173:                             ;   in Loop: Header=BB91_20 Depth=1
	s_and_b64 vcc, exec, s[40:41]
	s_cbranch_vccz .LBB91_184
; %bb.174:                              ;   in Loop: Header=BB91_20 Depth=1
                                        ; implicit-def: $vgpr14
	s_mov_b64 s[28:29], exec
	v_readlane_b32 s0, v48, 19
	v_readlane_b32 s1, v48, 20
	s_and_b64 s[0:1], s[28:29], s[0:1]
	s_mov_b64 exec, s[0:1]
	s_cbranch_execz .LBB91_183
; %bb.175:                              ;   in Loop: Header=BB91_20 Depth=1
	s_mov_b64 s[30:31], 0
	v_mov_b32_e32 v6, v5
	v_mov_b32_e32 v4, v0
                                        ; implicit-def: $sgpr40_sgpr41
	s_branch .LBB91_178
.LBB91_176:                             ;   in Loop: Header=BB91_178 Depth=2
	s_or_b64 exec, exec, s[42:43]
	s_waitcnt lgkmcnt(0)
	s_barrier
	ds_read_b64 v[13:14], v7 offset:3072
	s_mov_b64 s[42:43], -1
	s_mov_b64 s[44:45], -1
	s_waitcnt lgkmcnt(0)
	s_barrier
	v_cmp_eq_u32_e32 vcc, 0, v13
	s_cbranch_vccnz .LBB91_181
.LBB91_177:                             ;   in Loop: Header=BB91_178 Depth=2
	s_and_b64 s[0:1], exec, s[42:43]
	s_or_b64 s[30:31], s[0:1], s[30:31]
	s_andn2_b64 s[0:1], s[40:41], exec
	s_and_b64 s[12:13], s[44:45], exec
	s_or_b64 s[40:41], s[0:1], s[12:13]
	s_andn2_b64 exec, exec, s[30:31]
	s_cbranch_execz .LBB91_182
.LBB91_178:                             ;   Parent Loop BB91_20 Depth=1
                                        ; =>  This Inner Loop Header: Depth=2
	v_cmp_gt_u32_e32 vcc, s56, v4
	s_and_saveexec_b64 s[42:43], vcc
	s_cbranch_execz .LBB91_176
; %bb.179:                              ;   in Loop: Header=BB91_178 Depth=2
	v_lshlrev_b64 v[13:14], 2, v[6:7]
	v_mov_b32_e32 v36, s60
	v_add_co_u32_e32 v13, vcc, s59, v13
	v_addc_co_u32_e32 v14, vcc, v36, v14, vcc
	global_load_dword v13, v[13:14], off
	s_waitcnt vmcnt(0)
	v_xor_b32_e32 v14, 0x80000000, v13
	v_and_b32_e32 v14, v14, v34
	v_cmp_eq_u32_e32 vcc, v14, v26
	s_and_b64 exec, exec, vcc
	s_cbranch_execz .LBB91_176
; %bb.180:                              ;   in Loop: Header=BB91_178 Depth=2
	ds_write_b64 v7, v[12:13] offset:3072
	s_branch .LBB91_176
.LBB91_181:                             ;   in Loop: Header=BB91_178 Depth=2
	v_add_u32_e32 v4, s62, v4
	v_cmp_le_u32_e32 vcc, s79, v4
	v_add_u32_e32 v6, s67, v6
	s_mov_b64 s[44:45], 0
	s_orn2_b64 s[42:43], vcc, exec
	s_branch .LBB91_177
.LBB91_182:                             ;   in Loop: Header=BB91_20 Depth=1
	s_or_b64 exec, exec, s[30:31]
	s_andn2_b64 s[0:1], s[38:39], exec
	s_and_b64 s[12:13], s[40:41], exec
	s_or_b64 s[38:39], s[0:1], s[12:13]
.LBB91_183:                             ;   in Loop: Header=BB91_20 Depth=1
	s_or_b64 exec, exec, s[28:29]
	s_mov_b64 s[28:29], 0
	s_mov_b64 s[30:31], -1
.LBB91_184:                             ;   in Loop: Header=BB91_20 Depth=1
	s_orn2_b64 s[38:39], s[38:39], exec
.LBB91_185:                             ;   in Loop: Header=BB91_20 Depth=1
	s_or_b64 exec, exec, s[34:35]
	s_mov_b64 s[40:41], 0
	s_and_saveexec_b64 s[34:35], s[38:39]
	s_cbranch_execz .LBB91_235
; %bb.186:                              ;   in Loop: Header=BB91_20 Depth=1
	s_xor_b64 s[0:1], s[36:37], -1
	s_mov_b64 s[44:45], 0
	v_mov_b32_e32 v4, 1
	v_mov_b32_e32 v2, 1
	s_and_saveexec_b64 s[36:37], s[0:1]
	s_cbranch_execz .LBB91_195
; %bb.187:                              ;   in Loop: Header=BB91_20 Depth=1
	v_cmp_ge_u32_e32 vcc, s50, v35
	s_and_saveexec_b64 s[0:1], vcc
	s_xor_b64 s[38:39], exec, s[0:1]
	s_cbranch_execz .LBB91_192
; %bb.188:                              ;   in Loop: Header=BB91_20 Depth=1
	ds_read_b32 v2, v7 offset:4104
	v_and_b32_e32 v3, v26, v3
	v_lshl_or_b32 v26, 2, v32, v3
	v_or_b32_e32 v34, v34, v1
	s_waitcnt lgkmcnt(0)
	v_cmp_ne_u32_e32 vcc, 0, v2
	s_cbranch_vccnz .LBB91_192
; %bb.189:                              ;   in Loop: Header=BB91_20 Depth=1
	s_mov_b64 s[40:41], exec
	v_readlane_b32 s0, v48, 2
	v_readlane_b32 s1, v48, 3
	s_and_b64 s[0:1], s[40:41], s[0:1]
	s_mov_b64 exec, s[0:1]
; %bb.190:                              ;   in Loop: Header=BB91_20 Depth=1
	v_mov_b32_e32 v2, s50
	ds_write_b32 v7, v2 offset:4108
; %bb.191:                              ;   in Loop: Header=BB91_20 Depth=1
	s_or_b64 exec, exec, s[40:41]
	s_waitcnt lgkmcnt(0)
	s_barrier
.LBB91_192:                             ;   in Loop: Header=BB91_20 Depth=1
	s_or_saveexec_b64 s[38:39], s[38:39]
	s_mov_b64 s[40:41], 0
	v_mov_b32_e32 v2, 8
	s_xor_b64 exec, exec, s[38:39]
; %bb.193:                              ;   in Loop: Header=BB91_20 Depth=1
	s_mov_b64 s[40:41], exec
	v_subrev_u32_e32 v35, s50, v35
	v_mov_b32_e32 v2, 0
; %bb.194:                              ;   in Loop: Header=BB91_20 Depth=1
	s_or_b64 exec, exec, s[38:39]
	s_and_b64 s[44:45], s[40:41], exec
	v_mov_b32_e32 v4, v35
.LBB91_195:                             ;   in Loop: Header=BB91_20 Depth=1
	s_or_b64 exec, exec, s[36:37]
	s_mov_b64 s[42:43], -1
                                        ; implicit-def: $sgpr40_sgpr41
                                        ; implicit-def: $sgpr38_sgpr39
	s_and_saveexec_b64 s[36:37], s[44:45]
	s_cbranch_execz .LBB91_234
; %bb.196:                              ;   in Loop: Header=BB91_20 Depth=1
	s_cmp_eq_u32 s94, 1
	s_cselect_b64 s[0:1], -1, 0
	v_cmp_eq_u32_e32 vcc, 1, v4
	s_and_b64 s[42:43], s[0:1], vcc
	s_mov_b64 s[46:47], -1
                                        ; implicit-def: $sgpr40_sgpr41
                                        ; implicit-def: $sgpr38_sgpr39
	s_and_saveexec_b64 s[44:45], s[42:43]
	s_cbranch_execz .LBB91_222
; %bb.197:                              ;   in Loop: Header=BB91_20 Depth=1
	ds_read_b32 v3, v7 offset:4104
	s_waitcnt lgkmcnt(0)
	s_barrier
	v_readfirstlane_b32 s0, v3
	s_and_saveexec_b64 s[38:39], s[16:17]
; %bb.198:                              ;   in Loop: Header=BB91_20 Depth=1
	ds_write_b32 v17, v7
; %bb.199:                              ;   in Loop: Header=BB91_20 Depth=1
	s_or_b64 exec, exec, s[38:39]
	v_or_b32_e32 v26, v26, v1
	v_or_b32_e32 v34, v34, v1
	s_mov_b64 s[38:39], -1
	s_mov_b64 s[40:41], 0
	s_cmp_eq_u32 s0, 0
	s_mov_b64 s[46:47], 0
	s_mov_b64 s[48:49], -1
	s_waitcnt lgkmcnt(0)
	s_barrier
                                        ; implicit-def: $vgpr14
	s_cbranch_scc1 .LBB91_210
; %bb.200:                              ;   in Loop: Header=BB91_20 Depth=1
	s_add_i32 s1, s0, s74
	s_mul_hi_u32 s12, s1, s78
	s_mul_i32 s12, s12, s62
	s_sub_i32 s12, s1, s12
	s_sub_i32 s13, s12, s62
	s_cmp_ge_u32 s12, s62
	s_cselect_b32 s12, s13, s12
	s_sub_i32 s13, s12, s62
	s_cmp_ge_u32 s12, s62
	s_cselect_b32 s12, s13, s12
	s_sub_i32 s1, s1, s12
	v_cmp_gt_u32_e32 vcc, s1, v0
	s_mov_b64 s[48:49], 0
                                        ; implicit-def: $vgpr14
	s_and_saveexec_b64 s[50:51], vcc
	s_cbranch_execz .LBB91_209
; %bb.201:                              ;   in Loop: Header=BB91_20 Depth=1
	v_mov_b32_e32 v3, v15
	v_mov_b32_e32 v6, v0
                                        ; implicit-def: $sgpr52_sgpr53
	s_branch .LBB91_204
.LBB91_202:                             ;   in Loop: Header=BB91_204 Depth=2
	s_or_b64 exec, exec, s[54:55]
	s_waitcnt lgkmcnt(0)
	s_barrier
	ds_read_b64 v[13:14], v7 offset:3072
	s_mov_b64 s[54:55], -1
	s_mov_b64 s[64:65], -1
	s_waitcnt lgkmcnt(0)
	s_barrier
	v_cmp_ne_u32_e32 vcc, 0, v13
	s_cbranch_vccz .LBB91_207
.LBB91_203:                             ;   in Loop: Header=BB91_204 Depth=2
	s_and_b64 s[12:13], exec, s[54:55]
	s_or_b64 s[46:47], s[12:13], s[46:47]
	s_andn2_b64 s[12:13], s[52:53], exec
	s_and_b64 s[52:53], s[64:65], exec
	s_or_b64 s[52:53], s[12:13], s[52:53]
	s_andn2_b64 exec, exec, s[46:47]
	s_cbranch_execz .LBB91_208
.LBB91_204:                             ;   Parent Loop BB91_20 Depth=1
                                        ; =>  This Inner Loop Header: Depth=2
	v_cmp_gt_u32_e32 vcc, s0, v6
	s_and_saveexec_b64 s[54:55], vcc
	s_cbranch_execz .LBB91_202
; %bb.205:                              ;   in Loop: Header=BB91_204 Depth=2
	ds_read_b32 v13, v3
	s_waitcnt lgkmcnt(0)
	v_xor_b32_e32 v14, 0x80000000, v13
	v_and_b32_e32 v14, v14, v34
	v_cmp_eq_u32_e32 vcc, v14, v26
	s_and_b64 exec, exec, vcc
	s_cbranch_execz .LBB91_202
; %bb.206:                              ;   in Loop: Header=BB91_204 Depth=2
	ds_write_b64 v7, v[12:13] offset:3072
	s_branch .LBB91_202
.LBB91_207:                             ;   in Loop: Header=BB91_204 Depth=2
	v_add_u32_e32 v6, s62, v6
	v_cmp_le_u32_e32 vcc, s1, v6
	v_add_u32_e32 v3, s66, v3
	s_mov_b64 s[64:65], 0
	s_orn2_b64 s[54:55], vcc, exec
	s_branch .LBB91_203
.LBB91_208:                             ;   in Loop: Header=BB91_20 Depth=1
	s_or_b64 exec, exec, s[46:47]
	s_and_b64 s[46:47], s[52:53], exec
.LBB91_209:                             ;   in Loop: Header=BB91_20 Depth=1
	s_or_b64 exec, exec, s[50:51]
.LBB91_210:                             ;   in Loop: Header=BB91_20 Depth=1
	s_and_b64 vcc, exec, s[48:49]
	s_cbranch_vccz .LBB91_221
; %bb.211:                              ;   in Loop: Header=BB91_20 Depth=1
                                        ; implicit-def: $vgpr14
	s_mov_b64 s[38:39], exec
	v_readlane_b32 s0, v48, 19
	v_readlane_b32 s1, v48, 20
	s_and_b64 s[0:1], s[38:39], s[0:1]
	s_mov_b64 exec, s[0:1]
	s_cbranch_execz .LBB91_220
; %bb.212:                              ;   in Loop: Header=BB91_20 Depth=1
	s_mov_b64 s[40:41], 0
	v_mov_b32_e32 v6, v5
	v_mov_b32_e32 v3, v0
                                        ; implicit-def: $sgpr48_sgpr49
	s_branch .LBB91_215
.LBB91_213:                             ;   in Loop: Header=BB91_215 Depth=2
	s_or_b64 exec, exec, s[50:51]
	s_waitcnt lgkmcnt(0)
	s_barrier
	ds_read_b64 v[13:14], v7 offset:3072
	s_mov_b64 s[50:51], -1
	s_mov_b64 s[52:53], -1
	s_waitcnt lgkmcnt(0)
	s_barrier
	v_cmp_eq_u32_e32 vcc, 0, v13
	s_cbranch_vccnz .LBB91_218
.LBB91_214:                             ;   in Loop: Header=BB91_215 Depth=2
	s_and_b64 s[0:1], exec, s[50:51]
	s_or_b64 s[40:41], s[0:1], s[40:41]
	s_andn2_b64 s[0:1], s[48:49], exec
	s_and_b64 s[12:13], s[52:53], exec
	s_or_b64 s[48:49], s[0:1], s[12:13]
	s_andn2_b64 exec, exec, s[40:41]
	s_cbranch_execz .LBB91_219
.LBB91_215:                             ;   Parent Loop BB91_20 Depth=1
                                        ; =>  This Inner Loop Header: Depth=2
	v_cmp_gt_u32_e32 vcc, s56, v3
	s_and_saveexec_b64 s[50:51], vcc
	s_cbranch_execz .LBB91_213
; %bb.216:                              ;   in Loop: Header=BB91_215 Depth=2
	v_lshlrev_b64 v[13:14], 2, v[6:7]
	v_mov_b32_e32 v35, s60
	v_add_co_u32_e32 v13, vcc, s59, v13
	v_addc_co_u32_e32 v14, vcc, v35, v14, vcc
	global_load_dword v13, v[13:14], off
	s_waitcnt vmcnt(0)
	v_xor_b32_e32 v14, 0x80000000, v13
	v_and_b32_e32 v14, v14, v34
	v_cmp_eq_u32_e32 vcc, v14, v26
	s_and_b64 exec, exec, vcc
	s_cbranch_execz .LBB91_213
; %bb.217:                              ;   in Loop: Header=BB91_215 Depth=2
	ds_write_b64 v7, v[12:13] offset:3072
	s_branch .LBB91_213
.LBB91_218:                             ;   in Loop: Header=BB91_215 Depth=2
	v_add_u32_e32 v3, s62, v3
	v_cmp_le_u32_e32 vcc, s79, v3
	v_add_u32_e32 v6, s67, v6
	s_mov_b64 s[52:53], 0
	s_orn2_b64 s[50:51], vcc, exec
	s_branch .LBB91_214
.LBB91_219:                             ;   in Loop: Header=BB91_20 Depth=1
	s_or_b64 exec, exec, s[40:41]
	s_andn2_b64 s[0:1], s[46:47], exec
	s_and_b64 s[12:13], s[48:49], exec
	s_or_b64 s[46:47], s[0:1], s[12:13]
.LBB91_220:                             ;   in Loop: Header=BB91_20 Depth=1
	s_or_b64 exec, exec, s[38:39]
	s_mov_b64 s[38:39], 0
	s_mov_b64 s[40:41], -1
.LBB91_221:                             ;   in Loop: Header=BB91_20 Depth=1
	s_orn2_b64 s[46:47], s[46:47], exec
.LBB91_222:                             ;   in Loop: Header=BB91_20 Depth=1
	s_or_b64 exec, exec, s[44:45]
	s_mov_b64 s[48:49], 0
	s_and_saveexec_b64 s[44:45], s[46:47]
	s_cbranch_execz .LBB91_233
; %bb.223:                              ;   in Loop: Header=BB91_20 Depth=1
	s_xor_b64 s[0:1], s[42:43], -1
	v_mov_b32_e32 v2, 1
	v_mov_b32_e32 v3, 1
	s_and_saveexec_b64 s[42:43], s[0:1]
	s_cbranch_execz .LBB91_232
; %bb.224:                              ;   in Loop: Header=BB91_20 Depth=1
	v_cmp_ge_u32_e32 vcc, s94, v4
	s_and_saveexec_b64 s[0:1], vcc
	s_xor_b64 s[46:47], exec, s[0:1]
	s_cbranch_execz .LBB91_229
; %bb.225:                              ;   in Loop: Header=BB91_20 Depth=1
	ds_read_b32 v2, v7 offset:4104
	v_or_b32_e32 v26, v26, v1
	v_or_b32_e32 v34, v34, v1
	s_waitcnt lgkmcnt(0)
	v_cmp_ne_u32_e32 vcc, 0, v2
	s_cbranch_vccnz .LBB91_229
; %bb.226:                              ;   in Loop: Header=BB91_20 Depth=1
	s_mov_b64 s[48:49], exec
	v_readlane_b32 s0, v48, 2
	v_readlane_b32 s1, v48, 3
	s_and_b64 s[0:1], s[48:49], s[0:1]
	s_mov_b64 exec, s[0:1]
; %bb.227:                              ;   in Loop: Header=BB91_20 Depth=1
	v_mov_b32_e32 v1, s94
	ds_write_b32 v7, v1 offset:4108
; %bb.228:                              ;   in Loop: Header=BB91_20 Depth=1
	s_or_b64 exec, exec, s[48:49]
	s_waitcnt lgkmcnt(0)
	s_barrier
.LBB91_229:                             ;   in Loop: Header=BB91_20 Depth=1
	s_andn2_saveexec_b64 s[46:47], s[46:47]
; %bb.230:                              ;   in Loop: Header=BB91_20 Depth=1
	v_subrev_u32_e32 v4, s94, v4
; %bb.231:                              ;   in Loop: Header=BB91_20 Depth=1
	s_or_b64 exec, exec, s[46:47]
	v_mov_b32_e32 v2, 8
	v_mov_b32_e32 v3, v4
.LBB91_232:                             ;   in Loop: Header=BB91_20 Depth=1
	s_or_b64 exec, exec, s[42:43]
	s_mov_b64 s[48:49], exec
	v_mov_b32_e32 v4, v3
.LBB91_233:                             ;   in Loop: Header=BB91_20 Depth=1
	s_or_b64 exec, exec, s[44:45]
	s_orn2_b64 s[42:43], s[48:49], exec
.LBB91_234:                             ;   in Loop: Header=BB91_20 Depth=1
	s_or_b64 exec, exec, s[36:37]
	s_andn2_b64 s[0:1], s[30:31], exec
	s_and_b64 s[12:13], s[40:41], exec
	s_or_b64 s[30:31], s[0:1], s[12:13]
	s_andn2_b64 s[0:1], s[28:29], exec
	s_and_b64 s[12:13], s[38:39], exec
	s_or_b64 s[28:29], s[0:1], s[12:13]
	s_and_b64 s[40:41], s[42:43], exec
	v_mov_b32_e32 v35, v4
.LBB91_235:                             ;   in Loop: Header=BB91_20 Depth=1
	s_or_b64 exec, exec, s[34:35]
	s_orn2_b64 s[34:35], s[40:41], exec
.LBB91_236:                             ;   in Loop: Header=BB91_20 Depth=1
	s_or_b64 exec, exec, s[26:27]
	s_andn2_b64 s[0:1], s[22:23], exec
	s_and_b64 s[12:13], s[30:31], exec
	s_or_b64 s[22:23], s[0:1], s[12:13]
	s_andn2_b64 s[0:1], s[20:21], exec
	s_and_b64 s[12:13], s[28:29], exec
	s_or_b64 s[20:21], s[0:1], s[12:13]
	s_and_b64 s[30:31], s[34:35], exec
	v_mov_b32_e32 v4, v35
.LBB91_237:                             ;   in Loop: Header=BB91_20 Depth=1
	s_or_b64 exec, exec, s[24:25]
	s_orn2_b64 s[24:25], s[30:31], exec
.LBB91_238:                             ;   in Loop: Header=BB91_20 Depth=1
	s_or_b64 exec, exec, s[18:19]
	s_mov_b64 s[26:27], 0
	s_and_saveexec_b64 s[0:1], s[24:25]
	s_xor_b64 s[18:19], exec, s[0:1]
	s_cbranch_execz .LBB91_18
; %bb.239:                              ;   in Loop: Header=BB91_20 Depth=1
	v_and_b32_e32 v1, 7, v2
	v_cmp_eq_u32_e32 vcc, 0, v1
	s_mov_b64 s[14:15], -1
	s_mov_b64 s[24:25], -1
	s_and_saveexec_b64 s[26:27], vcc
	s_cbranch_execz .LBB91_17
; %bb.240:                              ;   in Loop: Header=BB91_20 Depth=1
	v_add_u32_e32 v1, -2, v32
	v_cmp_eq_u32_e32 vcc, 0, v32
	v_xor_b32_e32 v33, 1, v33
	s_xor_b64 s[24:25], exec, -1
	s_orn2_b64 s[14:15], vcc, exec
	v_mov_b32_e32 v32, v1
	s_branch .LBB91_17
.LBB91_241:
	s_or_b64 exec, exec, s[80:81]
	s_xor_b64 s[8:9], s[86:87], -1
	s_xor_b64 s[0:1], s[82:83], -1
	;; [unrolled: 1-line block ×3, first 2 shown]
	s_mov_b64 s[4:5], 0
	s_and_saveexec_b64 s[2:3], s[0:1]
	s_xor_b64 s[0:1], exec, s[2:3]
	s_cbranch_execnz .LBB91_246
; %bb.242:
	s_andn2_saveexec_b64 s[0:1], s[0:1]
	s_cbranch_execnz .LBB91_259
.LBB91_243:
	s_or_b64 exec, exec, s[0:1]
	s_and_saveexec_b64 s[0:1], s[4:5]
.LBB91_244:
	; divergent unreachable
.LBB91_245:
	s_endpgm
.LBB91_246:
	s_and_saveexec_b64 s[2:3], s[8:9]
	s_xor_b64 s[4:5], exec, s[2:3]
	s_cbranch_execz .LBB91_257
; %bb.247:
	s_and_saveexec_b64 s[2:3], s[6:7]
	s_xor_b64 s[6:7], exec, s[2:3]
; %bb.248:
	v_xor_b32_e32 v14, 0x80000000, v26
; %bb.249:
	s_or_b64 exec, exec, s[6:7]
	v_readlane_b32 s2, v48, 0
	s_mul_i32 s2, s2, s33
	s_add_i32 s2, s2, s61
	s_mov_b32 s3, 0
	s_lshl_b64 s[2:3], s[2:3], 2
	v_readlane_b32 s6, v48, 4
	v_readlane_b32 s7, v48, 5
	s_add_u32 s2, s6, s2
	s_addc_u32 s3, s7, s3
	v_mov_b32_e32 v6, 0
	global_store_dword v6, v14, s[2:3]
	s_mov_b64 s[6:7], exec
	v_readlane_b32 s2, v48, 8
	v_readlane_b32 s3, v48, 9
	s_and_b64 s[2:3], s[6:7], s[2:3]
	s_mov_b64 exec, s[2:3]
	s_cbranch_execz .LBB91_256
; %bb.250:
	s_mov_b64 s[2:3], 0
	v_mov_b32_e32 v2, s60
                                        ; implicit-def: $sgpr8_sgpr9
                                        ; implicit-def: $sgpr12_sgpr13
                                        ; implicit-def: $sgpr10_sgpr11
	s_branch .LBB91_252
.LBB91_251:                             ;   in Loop: Header=BB91_252 Depth=1
	s_or_b64 exec, exec, s[14:15]
	s_and_b64 s[14:15], exec, s[12:13]
	s_or_b64 s[2:3], s[14:15], s[2:3]
	s_andn2_b64 s[8:9], s[8:9], exec
	s_and_b64 s[14:15], s[10:11], exec
	s_or_b64 s[8:9], s[8:9], s[14:15]
	s_andn2_b64 exec, exec, s[2:3]
	s_cbranch_execz .LBB91_254
.LBB91_252:                             ; =>This Inner Loop Header: Depth=1
	v_lshlrev_b64 v[3:4], 2, v[5:6]
	v_mov_b32_e32 v1, v0
	v_add_co_u32_e32 v3, vcc, s59, v3
	v_addc_co_u32_e32 v4, vcc, v2, v4, vcc
	global_load_dword v3, v[3:4], off
	s_or_b64 s[10:11], s[10:11], exec
	s_or_b64 s[12:13], s[12:13], exec
                                        ; implicit-def: $vgpr0
	s_waitcnt vmcnt(0)
	v_cmp_ne_u32_e32 vcc, v3, v14
	s_and_saveexec_b64 s[14:15], vcc
	s_cbranch_execz .LBB91_251
; %bb.253:                              ;   in Loop: Header=BB91_252 Depth=1
	v_add_u32_e32 v0, s62, v1
	v_cmp_le_u32_e32 vcc, s56, v0
	s_andn2_b64 s[12:13], s[12:13], exec
	s_and_b64 s[16:17], vcc, exec
	v_add_u32_e32 v5, s67, v5
	s_andn2_b64 s[10:11], s[10:11], exec
	s_or_b64 s[12:13], s[12:13], s[16:17]
	s_branch .LBB91_251
.LBB91_254:
	s_or_b64 exec, exec, s[2:3]
	s_and_saveexec_b64 s[2:3], s[8:9]
	s_xor_b64 s[2:3], exec, s[2:3]
	s_cbranch_execz .LBB91_256
; %bb.255:
	v_readlane_b32 s2, v48, 1
	s_mul_i32 s2, s2, s57
	s_add_i32 s2, s2, s63
	s_mov_b32 s3, 0
	s_lshl_b64 s[2:3], s[2:3], 3
	v_readlane_b32 s8, v48, 6
	v_readlane_b32 s9, v48, 7
	s_add_u32 s2, s8, s2
	s_addc_u32 s3, s9, s3
	v_mov_b32_e32 v2, 0
	global_store_dwordx2 v2, v[1:2], s[2:3]
.LBB91_256:
	s_or_b64 exec, exec, s[6:7]
.LBB91_257:
	s_or_saveexec_b64 s[2:3], s[4:5]
	s_mov_b64 s[4:5], 0
	s_xor_b64 exec, exec, s[2:3]
	s_cbranch_execnz .LBB91_260
.LBB91_258:
	s_or_b64 exec, exec, s[2:3]
	s_and_b64 s[4:5], s[4:5], exec
	s_andn2_saveexec_b64 s[0:1], s[0:1]
	s_cbranch_execz .LBB91_243
.LBB91_259:
	s_or_b64 s[4:5], s[4:5], exec
	s_trap 2
	s_or_b64 exec, exec, s[0:1]
	s_and_saveexec_b64 s[0:1], s[4:5]
	s_cbranch_execnz .LBB91_244
	s_branch .LBB91_245
.LBB91_260:
	s_mov_b64 s[4:5], exec
	s_trap 2
	s_branch .LBB91_258
	.section	.rodata,"a",@progbits
	.p2align	6, 0x0
	.amdhsa_kernel _ZN2at6native12_GLOBAL__N_112gatherMedianIijLin1EEEvNS_4cuda6detail10TensorInfoIT_T0_EENS5_IlS7_EENS5_IKS6_S7_EES7_S7_S7_b
		.amdhsa_group_segment_fixed_size 4120
		.amdhsa_private_segment_fixed_size 0
		.amdhsa_kernarg_size 920
		.amdhsa_user_sgpr_count 6
		.amdhsa_user_sgpr_private_segment_buffer 1
		.amdhsa_user_sgpr_dispatch_ptr 0
		.amdhsa_user_sgpr_queue_ptr 0
		.amdhsa_user_sgpr_kernarg_segment_ptr 1
		.amdhsa_user_sgpr_dispatch_id 0
		.amdhsa_user_sgpr_flat_scratch_init 0
		.amdhsa_user_sgpr_private_segment_size 0
		.amdhsa_uses_dynamic_stack 0
		.amdhsa_system_sgpr_private_segment_wavefront_offset 0
		.amdhsa_system_sgpr_workgroup_id_x 1
		.amdhsa_system_sgpr_workgroup_id_y 1
		.amdhsa_system_sgpr_workgroup_id_z 1
		.amdhsa_system_sgpr_workgroup_info 0
		.amdhsa_system_vgpr_workitem_id 0
		.amdhsa_next_free_vgpr 49
		.amdhsa_next_free_sgpr 96
		.amdhsa_reserve_vcc 1
		.amdhsa_reserve_flat_scratch 0
		.amdhsa_float_round_mode_32 0
		.amdhsa_float_round_mode_16_64 0
		.amdhsa_float_denorm_mode_32 3
		.amdhsa_float_denorm_mode_16_64 3
		.amdhsa_dx10_clamp 1
		.amdhsa_ieee_mode 1
		.amdhsa_fp16_overflow 0
		.amdhsa_exception_fp_ieee_invalid_op 0
		.amdhsa_exception_fp_denorm_src 0
		.amdhsa_exception_fp_ieee_div_zero 0
		.amdhsa_exception_fp_ieee_overflow 0
		.amdhsa_exception_fp_ieee_underflow 0
		.amdhsa_exception_fp_ieee_inexact 0
		.amdhsa_exception_int_div_zero 0
	.end_amdhsa_kernel
	.section	.text._ZN2at6native12_GLOBAL__N_112gatherMedianIijLin1EEEvNS_4cuda6detail10TensorInfoIT_T0_EENS5_IlS7_EENS5_IKS6_S7_EES7_S7_S7_b,"axG",@progbits,_ZN2at6native12_GLOBAL__N_112gatherMedianIijLin1EEEvNS_4cuda6detail10TensorInfoIT_T0_EENS5_IlS7_EENS5_IKS6_S7_EES7_S7_S7_b,comdat
.Lfunc_end91:
	.size	_ZN2at6native12_GLOBAL__N_112gatherMedianIijLin1EEEvNS_4cuda6detail10TensorInfoIT_T0_EENS5_IlS7_EENS5_IKS6_S7_EES7_S7_S7_b, .Lfunc_end91-_ZN2at6native12_GLOBAL__N_112gatherMedianIijLin1EEEvNS_4cuda6detail10TensorInfoIT_T0_EENS5_IlS7_EENS5_IKS6_S7_EES7_S7_S7_b
                                        ; -- End function
	.set _ZN2at6native12_GLOBAL__N_112gatherMedianIijLin1EEEvNS_4cuda6detail10TensorInfoIT_T0_EENS5_IlS7_EENS5_IKS6_S7_EES7_S7_S7_b.num_vgpr, 49
	.set _ZN2at6native12_GLOBAL__N_112gatherMedianIijLin1EEEvNS_4cuda6detail10TensorInfoIT_T0_EENS5_IlS7_EENS5_IKS6_S7_EES7_S7_S7_b.num_agpr, 0
	.set _ZN2at6native12_GLOBAL__N_112gatherMedianIijLin1EEEvNS_4cuda6detail10TensorInfoIT_T0_EENS5_IlS7_EENS5_IKS6_S7_EES7_S7_S7_b.numbered_sgpr, 96
	.set _ZN2at6native12_GLOBAL__N_112gatherMedianIijLin1EEEvNS_4cuda6detail10TensorInfoIT_T0_EENS5_IlS7_EENS5_IKS6_S7_EES7_S7_S7_b.num_named_barrier, 0
	.set _ZN2at6native12_GLOBAL__N_112gatherMedianIijLin1EEEvNS_4cuda6detail10TensorInfoIT_T0_EENS5_IlS7_EENS5_IKS6_S7_EES7_S7_S7_b.private_seg_size, 0
	.set _ZN2at6native12_GLOBAL__N_112gatherMedianIijLin1EEEvNS_4cuda6detail10TensorInfoIT_T0_EENS5_IlS7_EENS5_IKS6_S7_EES7_S7_S7_b.uses_vcc, 1
	.set _ZN2at6native12_GLOBAL__N_112gatherMedianIijLin1EEEvNS_4cuda6detail10TensorInfoIT_T0_EENS5_IlS7_EENS5_IKS6_S7_EES7_S7_S7_b.uses_flat_scratch, 0
	.set _ZN2at6native12_GLOBAL__N_112gatherMedianIijLin1EEEvNS_4cuda6detail10TensorInfoIT_T0_EENS5_IlS7_EENS5_IKS6_S7_EES7_S7_S7_b.has_dyn_sized_stack, 0
	.set _ZN2at6native12_GLOBAL__N_112gatherMedianIijLin1EEEvNS_4cuda6detail10TensorInfoIT_T0_EENS5_IlS7_EENS5_IKS6_S7_EES7_S7_S7_b.has_recursion, 0
	.set _ZN2at6native12_GLOBAL__N_112gatherMedianIijLin1EEEvNS_4cuda6detail10TensorInfoIT_T0_EENS5_IlS7_EENS5_IKS6_S7_EES7_S7_S7_b.has_indirect_call, 0
	.section	.AMDGPU.csdata,"",@progbits
; Kernel info:
; codeLenInByte = 9392
; TotalNumSgprs: 100
; NumVgprs: 49
; ScratchSize: 0
; MemoryBound: 0
; FloatMode: 240
; IeeeMode: 1
; LDSByteSize: 4120 bytes/workgroup (compile time only)
; SGPRBlocks: 12
; VGPRBlocks: 12
; NumSGPRsForWavesPerEU: 100
; NumVGPRsForWavesPerEU: 49
; Occupancy: 4
; WaveLimiterHint : 1
; COMPUTE_PGM_RSRC2:SCRATCH_EN: 0
; COMPUTE_PGM_RSRC2:USER_SGPR: 6
; COMPUTE_PGM_RSRC2:TRAP_HANDLER: 0
; COMPUTE_PGM_RSRC2:TGID_X_EN: 1
; COMPUTE_PGM_RSRC2:TGID_Y_EN: 1
; COMPUTE_PGM_RSRC2:TGID_Z_EN: 1
; COMPUTE_PGM_RSRC2:TIDIG_COMP_CNT: 0
	.section	.text._ZN2at6native12_GLOBAL__N_112gatherMedianIimLi1EEEvNS_4cuda6detail10TensorInfoIT_T0_EENS5_IlS7_EENS5_IKS6_S7_EES7_S7_S7_b,"axG",@progbits,_ZN2at6native12_GLOBAL__N_112gatherMedianIimLi1EEEvNS_4cuda6detail10TensorInfoIT_T0_EENS5_IlS7_EENS5_IKS6_S7_EES7_S7_S7_b,comdat
	.globl	_ZN2at6native12_GLOBAL__N_112gatherMedianIimLi1EEEvNS_4cuda6detail10TensorInfoIT_T0_EENS5_IlS7_EENS5_IKS6_S7_EES7_S7_S7_b ; -- Begin function _ZN2at6native12_GLOBAL__N_112gatherMedianIimLi1EEEvNS_4cuda6detail10TensorInfoIT_T0_EENS5_IlS7_EENS5_IKS6_S7_EES7_S7_S7_b
	.p2align	8
	.type	_ZN2at6native12_GLOBAL__N_112gatherMedianIimLi1EEEvNS_4cuda6detail10TensorInfoIT_T0_EENS5_IlS7_EENS5_IKS6_S7_EES7_S7_S7_b,@function
_ZN2at6native12_GLOBAL__N_112gatherMedianIimLi1EEEvNS_4cuda6detail10TensorInfoIT_T0_EENS5_IlS7_EENS5_IKS6_S7_EES7_S7_S7_b: ; @_ZN2at6native12_GLOBAL__N_112gatherMedianIimLi1EEEvNS_4cuda6detail10TensorInfoIT_T0_EENS5_IlS7_EENS5_IKS6_S7_EES7_S7_S7_b
; %bb.0:
	s_load_dwordx2 s[0:1], s[4:5], 0x500
	s_load_dwordx4 s[52:55], s[4:5], 0x4e0
	s_add_u32 s2, s4, 0x500
	s_addc_u32 s3, s5, 0
	s_mov_b32 s15, 0
	s_waitcnt lgkmcnt(0)
	s_mul_i32 s1, s1, s8
	s_add_i32 s1, s1, s7
	s_mul_i32 s1, s1, s0
	s_add_i32 s14, s1, s6
	v_mov_b32_e32 v1, s14
	v_mov_b32_e32 v2, s15
	v_cmp_le_u64_e32 vcc, s[54:55], v[1:2]
	s_cbranch_vccnz .LBB92_273
; %bb.1:
	s_load_dwordx2 s[60:61], s[4:5], 0x4f0
	v_cmp_eq_u32_e64 s[10:11], 0, v0
	s_mov_b64 s[8:9], exec
                                        ; implicit-def: $vgpr55 : SGPR spill to VGPR lane
	v_writelane_b32 v55, s10, 0
	v_writelane_b32 v55, s11, 1
	s_and_b64 s[10:11], s[8:9], s[10:11]
	s_mov_b64 exec, s[10:11]
; %bb.2:
	v_mov_b32_e32 v1, 0
	v_mov_b32_e32 v2, v1
	ds_write_b64 v1, v[1:2] offset:5136
; %bb.3:
	s_or_b64 exec, exec, s[8:9]
	v_mov_b32_e32 v1, 0
	s_load_dword s1, s[4:5], 0x4f8
	s_waitcnt lgkmcnt(0)
	s_barrier
	s_barrier
	ds_read_b64 v[1:2], v1 offset:5136
	s_load_dwordx2 s[10:11], s[4:5], 0x410
	s_load_dwordx2 s[8:9], s[4:5], 0x340
	s_bitcmp1_b32 s1, 0
	s_cselect_b64 s[12:13], -1, 0
	v_mov_b32_e32 v25, s52
	s_waitcnt lgkmcnt(0)
	v_cmp_gt_i64_e32 vcc, 1, v[1:2]
	v_mov_b32_e32 v26, s53
	s_or_b64 s[12:13], s[12:13], vcc
	s_andn2_b64 vcc, exec, s[12:13]
	s_cbranch_vccnz .LBB92_5
; %bb.4:
	v_not_b32_e32 v1, v1
	v_not_b32_e32 v2, v2
	v_mov_b32_e32 v3, s53
	v_add_co_u32_e32 v1, vcc, s52, v1
	v_addc_co_u32_e32 v2, vcc, v3, v2, vcc
	v_lshrrev_b64 v[1:2], 1, v[1:2]
	v_add_co_u32_e32 v25, vcc, 1, v1
	v_addc_co_u32_e32 v26, vcc, 0, v2, vcc
.LBB92_5:
	s_load_dwordx2 s[12:13], s[4:5], 0x270
                                        ; kill: killed $sgpr4 killed $sgpr5
	s_waitcnt lgkmcnt(0)
	v_writelane_b32 v55, s12, 2
	v_writelane_b32 v55, s13, 3
	s_load_dwordx2 s[12:13], s[4:5], 0x1a0
	s_waitcnt lgkmcnt(0)
	v_writelane_b32 v55, s12, 4
	v_writelane_b32 v55, s13, 5
	s_load_dwordx2 s[12:13], s[4:5], 0xd0
	;; [unrolled: 4-line block ×3, first 2 shown]
	s_waitcnt lgkmcnt(0)
	v_writelane_b32 v55, s12, 8
	v_writelane_b32 v55, s13, 9
	s_mov_b64 s[4:5], exec
	v_readlane_b32 s12, v55, 0
	v_readlane_b32 s13, v55, 1
	s_and_b64 s[12:13], s[4:5], s[12:13]
	s_mov_b64 exec, s[12:13]
	s_cbranch_execz .LBB92_7
; %bb.6:
	v_mov_b32_e32 v1, 0
	v_mov_b32_e32 v3, s52
	;; [unrolled: 1-line block ×4, first 2 shown]
	ds_write_b32 v1, v1 offset:5144
	ds_write_b128 v1, v[1:4] offset:5120
.LBB92_7:
	s_or_b64 exec, exec, s[4:5]
	s_mul_i32 s1, s11, s14
	s_mul_hi_u32 s4, s10, s14
	s_add_i32 s5, s4, s1
	s_mov_b32 s4, s14
	v_writelane_b32 v55, s4, 10
	v_writelane_b32 v55, s5, 11
	s_mul_i32 s4, s10, s14
	s_lshl_b64 s[4:5], s[4:5], 2
	v_mov_b32_e32 v13, 0
	s_add_u32 s56, s8, s4
	v_mov_b32_e32 v1, v13
	s_addc_u32 s57, s9, s5
	v_cmp_gt_u64_e64 s[4:5], s[52:53], v[0:1]
	v_mbcnt_lo_u32_b32 v2, -1, 0
	v_mbcnt_hi_u32_b32 v29, -1, v2
	v_mad_u64_u32 v[2:3], s[10:11], s60, v0, 0
	v_writelane_b32 v55, s4, 12
	v_cmp_gt_u32_e32 vcc, 64, v0
	v_cmp_gt_i32_e64 s[8:9], 4, v29
	v_writelane_b32 v55, s5, 13
	s_and_b64 s[78:79], vcc, s[8:9]
	v_cmp_gt_u32_e64 s[8:9], 2, v0
	v_writelane_b32 v55, s8, 14
	v_writelane_b32 v55, s9, 15
	v_mad_u64_u32 v[3:4], s[8:9], s61, v0, v[3:4]
	v_mov_b32_e32 v4, 0x300
	v_mov_b32_e32 v5, 0
	v_cmp_gt_u64_e64 s[8:9], s[52:53], v[4:5]
	v_lshlrev_b64 v[4:5], 2, v[2:3]
	s_waitcnt lgkmcnt(0)
	s_barrier
	v_mov_b32_e32 v6, s57
	v_add_co_u32_e32 v10, vcc, s56, v4
	s_load_dword s1, s[2:3], 0xc
	v_addc_co_u32_e32 v11, vcc, v6, v5, vcc
	v_lshlrev_b64 v[4:5], v29, -1
	v_lshlrev_b32_e32 v34, 4, v0
	v_writelane_b32 v55, s8, 16
	v_not_b32_e32 v32, v5
	v_or_b32_e32 v5, 12, v34
	v_writelane_b32 v55, s9, 17
	v_mad_u64_u32 v[16:17], s[8:9], s60, v5, 0
	s_waitcnt lgkmcnt(0)
	s_and_b32 s33, s1, 0xffff
	s_bfe_u32 s1, s1, 0xa0006
	s_cmp_gt_u32 s33, 63
	s_cselect_b64 s[8:9], -1, 0
	v_not_b32_e32 v33, v4
	v_writelane_b32 v55, s8, 18
	v_mov_b32_e32 v4, v17
	v_writelane_b32 v55, s9, 19
	s_add_u32 s7, s33, -1
	v_mad_u64_u32 v[4:5], s[8:9], s61, v5, v[4:5]
	s_addc_u32 s8, 0, -1
	s_add_u32 s26, s7, s52
	s_addc_u32 s77, s8, s53
	s_cmp_lt_u32 s6, s0
	s_cselect_b32 s0, 12, 18
	s_add_u32 s74, s2, s0
	s_addc_u32 s75, s3, 0
	s_add_i32 s0, s1, -1
	v_writelane_b32 v55, s7, 20
	v_or_b32_e32 v5, 8, v34
	s_bfe_u32 s2, s33, 0x30006
	s_and_b32 s0, s0, 0xffff
	v_lshlrev_b32_e32 v6, 2, v29
	v_writelane_b32 v55, s8, 21
	v_mad_u64_u32 v[17:18], s[8:9], s60, v5, 0
	s_cmp_gt_u32 s0, 6
	v_and_b32_e32 v31, 0x100, v6
	v_or_b32_e32 v6, 4, v34
	s_cselect_b64 s[6:7], -1, 0
	v_mad_u64_u32 v[19:20], s[8:9], s60, v6, 0
	v_writelane_b32 v55, s6, 22
	s_and_b32 s27, s1, 0x3f8
	v_writelane_b32 v55, s7, 23
	s_cmp_lg_u32 s2, 0
	v_mov_b32_e32 v35, v4
	v_mov_b32_e32 v4, v18
	v_writelane_b32 v55, s2, 24
	s_cselect_b64 s[0:1], -1, 0
	v_mad_u64_u32 v[4:5], s[8:9], s61, v5, v[4:5]
	v_writelane_b32 v55, s0, 25
	v_mov_b32_e32 v5, v20
	v_writelane_b32 v55, s1, 26
	s_lshl_b64 s[0:1], s[60:61], 2
	v_mad_u64_u32 v[5:6], s[8:9], s61, v6, v[5:6]
	v_writelane_b32 v55, s0, 27
	v_cmp_eq_u32_e64 s[4:5], 0, v29
	v_writelane_b32 v55, s1, 28
	v_lshrrev_b32_e32 v6, 1, v0
	s_mul_i32 s0, s61, s33
	s_mul_hi_u32 s1, s60, s33
	v_writelane_b32 v55, s4, 29
	v_lshlrev_b32_e32 v14, 2, v0
	v_and_b32_e32 v6, 0x1e0, v6
	v_lshlrev_b64 v[20:21], 4, v[2:3]
	v_mov_b32_e32 v2, 0xc00
	s_add_i32 s1, s1, s0
	s_mul_i32 s0, s60, s33
	v_writelane_b32 v55, s5, 30
	s_mov_b32 s69, 0
	v_add_u32_e32 v30, 0xc00, v14
	v_mov_b32_e32 v15, v13
	v_or_b32_e32 v18, 0xc00, v6
	s_lshl_b64 s[86:87], s[60:61], 4
	v_mov_b32_e32 v36, v4
	v_mov_b32_e32 v37, v5
	v_lshl_or_b32 v38, v29, 3, v2
	s_lshl_b32 s72, s33, 2
	s_lshl_b64 s[70:71], s[0:1], 2
	s_mov_b32 s73, 30
	s_mov_b64 s[88:89], 0
	v_mov_b32_e32 v40, 0x4f800000
	v_mov_b32_e32 v41, 0
	;; [unrolled: 1-line block ×6, first 2 shown]
	v_writelane_b32 v55, s74, 31
                                        ; implicit-def: $sgpr90_sgpr91
                                        ; implicit-def: $sgpr94_sgpr95
                                        ; implicit-def: $sgpr92_sgpr93
                                        ; implicit-def: $sgpr58_sgpr59
                                        ; implicit-def: $sgpr62_sgpr63
                                        ; implicit-def: $sgpr54_sgpr55
	v_writelane_b32 v55, s75, 32
	s_branch .LBB92_11
.LBB92_8:                               ;   in Loop: Header=BB92_11 Depth=1
	s_or_b64 exec, exec, s[10:11]
	s_and_b64 s[2:3], s[2:3], exec
	s_andn2_b64 s[20:21], s[20:21], exec
	s_andn2_b64 s[6:7], s[6:7], exec
	s_orn2_b64 s[14:15], s[8:9], exec
.LBB92_9:                               ;   in Loop: Header=BB92_11 Depth=1
	s_or_b64 exec, exec, s[0:1]
	s_andn2_b64 s[0:1], s[54:55], exec
	s_and_b64 s[2:3], s[2:3], exec
	s_or_b64 s[54:55], s[0:1], s[2:3]
	s_andn2_b64 s[0:1], s[62:63], exec
	s_and_b64 s[2:3], s[20:21], exec
	s_or_b64 s[62:63], s[0:1], s[2:3]
	;; [unrolled: 3-line block ×3, first 2 shown]
	s_orn2_b64 s[6:7], s[14:15], exec
.LBB92_10:                              ;   in Loop: Header=BB92_11 Depth=1
	s_or_b64 exec, exec, s[12:13]
	s_and_b64 s[0:1], exec, s[6:7]
	s_or_b64 s[88:89], s[0:1], s[88:89]
	s_andn2_b64 s[0:1], s[92:93], exec
	s_and_b64 s[2:3], s[54:55], exec
	s_or_b64 s[92:93], s[0:1], s[2:3]
	s_andn2_b64 s[0:1], s[94:95], exec
	s_and_b64 s[2:3], s[62:63], exec
	s_or_b64 s[94:95], s[0:1], s[2:3]
	s_andn2_b64 s[0:1], s[90:91], exec
	s_and_b64 s[2:3], s[58:59], exec
	v_mov_b32_e32 v26, v7
	s_or_b64 s[90:91], s[0:1], s[2:3]
	v_mov_b32_e32 v25, v6
	s_andn2_b64 exec, exec, s[88:89]
	s_cbranch_execz .LBB92_269
.LBB92_11:                              ; =>This Loop Header: Depth=1
                                        ;     Child Loop BB92_17 Depth 2
                                        ;     Child Loop BB92_30 Depth 2
	;; [unrolled: 1-line block ×16, first 2 shown]
	ds_read_b128 v[2:5], v13 offset:5120
	s_waitcnt lgkmcnt(0)
	v_readfirstlane_b32 s65, v3
	v_readfirstlane_b32 s64, v2
	s_cmp_lg_u64 s[64:65], 0
	s_cbranch_scc1 .LBB92_38
; %bb.12:                               ;   in Loop: Header=BB92_11 Depth=1
	v_readlane_b32 s0, v55, 16
	v_readlane_b32 s1, v55, 17
	s_and_b64 vcc, exec, s[0:1]
	s_cbranch_vccz .LBB92_25
; %bb.13:                               ;   in Loop: Header=BB92_11 Depth=1
	s_mov_b64 s[0:1], 0x301
	v_cmp_gt_u64_e32 vcc, s[0:1], v[4:5]
	s_mov_b64 s[0:1], 0
	s_mov_b64 s[2:3], 0
	s_cbranch_vccz .LBB92_26
; %bb.14:                               ;   in Loop: Header=BB92_11 Depth=1
	s_mov_b64 s[2:3], exec
	v_readlane_b32 s6, v55, 12
	v_readlane_b32 s7, v55, 13
	s_and_b64 s[6:7], s[2:3], s[6:7]
	s_mov_b64 exec, s[6:7]
	s_cbranch_execz .LBB92_136
; %bb.15:                               ;   in Loop: Header=BB92_11 Depth=1
	global_load_ushort v6, v13, s[74:75]
	global_load_dword v7, v[10:11], off
	v_mov_b32_e32 v2, s56
	v_mov_b32_e32 v3, s57
	v_readlane_b32 s12, v55, 27
	v_readlane_b32 s13, v55, 28
	s_mov_b64 s[8:9], 0
	s_waitcnt vmcnt(1)
	v_readfirstlane_b32 s6, v6
	s_and_b32 s10, 0xffff, s6
	v_add_u32_e32 v4, s10, v0
	v_mad_u64_u32 v[2:3], s[6:7], s12, v4, v[2:3]
	s_mul_i32 s11, s13, s10
	s_mul_i32 s18, s12, s10
	v_mad_u64_u32 v[3:4], s[6:7], s13, v4, v[3:4]
	s_mul_hi_u32 s6, s12, s10
	v_mov_b32_e32 v5, v1
	s_add_i32 s19, s6, s11
	v_mov_b32_e32 v4, v0
	s_branch .LBB92_17
.LBB92_16:                              ;   in Loop: Header=BB92_17 Depth=2
	s_or_b64 exec, exec, s[6:7]
	v_mov_b32_e32 v7, s19
	v_add_co_u32_e32 v2, vcc, s18, v2
	v_addc_co_u32_e32 v3, vcc, v3, v7, vcc
	v_mov_b32_e32 v7, v8
	s_andn2_b64 exec, exec, s[8:9]
	s_cbranch_execz .LBB92_136
.LBB92_17:                              ;   Parent Loop BB92_11 Depth=1
                                        ; =>  This Inner Loop Header: Depth=2
	v_add_co_u32_sdwa v4, vcc, v4, v6 dst_sel:DWORD dst_unused:UNUSED_PAD src0_sel:DWORD src1_sel:WORD_0
	v_addc_co_u32_e32 v5, vcc, 0, v5, vcc
	v_cmp_gt_u64_e64 s[6:7], s[52:53], v[4:5]
	v_cmp_le_u64_e32 vcc, s[52:53], v[4:5]
	s_waitcnt lgkmcnt(0)
	v_mov_b32_e32 v9, 0
	v_mov_b32_e32 v8, 0
	s_and_saveexec_b64 s[10:11], s[6:7]
	s_cbranch_execz .LBB92_19
; %bb.18:                               ;   in Loop: Header=BB92_17 Depth=2
	global_load_dword v8, v[2:3], off
.LBB92_19:                              ;   in Loop: Header=BB92_17 Depth=2
	s_or_b64 exec, exec, s[10:11]
	s_waitcnt vmcnt(0)
	v_xor_b32_e32 v12, 0x80000000, v7
	v_and_b32_e32 v12, v12, v42
	v_cmp_eq_u32_e64 s[10:11], v12, v39
	s_cmp_lg_u64 s[10:11], 0
	s_cselect_b64 s[6:7], -1, 0
	s_and_b64 s[6:7], s[4:5], s[6:7]
	s_and_saveexec_b64 s[12:13], s[6:7]
	s_cbranch_execz .LBB92_23
; %bb.20:                               ;   in Loop: Header=BB92_17 Depth=2
	s_mov_b64 s[16:17], exec
	v_mbcnt_lo_u32_b32 v9, s16, 0
	v_mbcnt_hi_u32_b32 v9, s17, v9
	s_bcnt1_i32_b64 s20, s[10:11]
	v_cmp_eq_u32_e64 s[6:7], 0, v9
                                        ; implicit-def: $vgpr12
	s_and_saveexec_b64 s[14:15], s[6:7]
; %bb.21:                               ;   in Loop: Header=BB92_17 Depth=2
	s_bcnt1_i32_b64 s6, s[16:17]
	s_mul_i32 s6, s20, s6
	v_mov_b32_e32 v12, s6
	ds_add_rtn_u32 v12, v13, v12 offset:5144
; %bb.22:                               ;   in Loop: Header=BB92_17 Depth=2
	s_or_b64 exec, exec, s[14:15]
	s_waitcnt lgkmcnt(0)
	v_readfirstlane_b32 s6, v12
	v_mov_b32_e32 v12, s6
	v_mad_u32_u24 v9, s20, v9, v12
.LBB92_23:                              ;   in Loop: Header=BB92_17 Depth=2
	s_or_b64 exec, exec, s[12:13]
	ds_bpermute_b32 v9, v31, v9
	s_and_b64 s[6:7], exec, vcc
	s_or_b64 s[8:9], s[6:7], s[8:9]
	s_and_saveexec_b64 s[6:7], s[10:11]
	s_cbranch_execz .LBB92_16
; %bb.24:                               ;   in Loop: Header=BB92_17 Depth=2
	v_and_b32_e32 v23, s10, v33
	v_and_b32_e32 v12, s11, v32
	v_bcnt_u32_b32 v23, v23, 0
	v_bcnt_u32_b32 v12, v12, v23
	v_lshlrev_b32_e32 v12, 2, v12
	s_waitcnt lgkmcnt(0)
	v_lshl_add_u32 v9, v9, 2, v12
	ds_write_b32 v9, v7
	s_branch .LBB92_16
.LBB92_25:                              ;   in Loop: Header=BB92_11 Depth=1
	s_mov_b64 s[0:1], -1
	s_mov_b64 s[2:3], 0
.LBB92_26:                              ;   in Loop: Header=BB92_11 Depth=1
	s_and_b64 vcc, exec, s[0:1]
	s_cbranch_vccz .LBB92_36
.LBB92_27:                              ;   in Loop: Header=BB92_11 Depth=1
	s_mov_b64 s[0:1], exec
	v_readlane_b32 s2, v55, 12
	v_readlane_b32 s3, v55, 13
	s_and_b64 s[2:3], s[0:1], s[2:3]
	s_mov_b64 exec, s[2:3]
	s_cbranch_execz .LBB92_33
; %bb.28:                               ;   in Loop: Header=BB92_11 Depth=1
	global_load_ushort v2, v13, s[74:75]
	global_load_dword v8, v[10:11], off
	s_waitcnt vmcnt(1)
	v_add_u32_sdwa v12, v2, v0 dst_sel:DWORD dst_unused:UNUSED_PAD src0_sel:WORD_0 src1_sel:DWORD
	v_cmp_gt_u64_e32 vcc, s[52:53], v[12:13]
	v_readfirstlane_b32 s6, v2
	v_mov_b32_e32 v2, v0
	s_and_saveexec_b64 s[2:3], vcc
	s_cbranch_execz .LBB92_32
; %bb.29:                               ;   in Loop: Header=BB92_11 Depth=1
	v_mov_b32_e32 v2, s56
	v_mov_b32_e32 v3, s57
	v_readlane_b32 s12, v55, 27
	v_mad_u64_u32 v[2:3], s[8:9], s12, v12, v[2:3]
	v_readlane_b32 s13, v55, 28
	s_and_b32 s10, s6, 0xffff
	v_mad_u64_u32 v[3:4], s[6:7], s13, v12, v[3:4]
	s_mul_i32 s6, s13, s10
	s_mul_hi_u32 s7, s12, s10
	v_mov_b32_e32 v4, v12
	v_mov_b32_e32 v7, v1
	s_add_i32 s11, s7, s6
	s_mul_i32 s12, s12, s10
	s_mov_b64 s[8:9], 0
	v_mov_b32_e32 v5, v13
	v_mov_b32_e32 v6, v0
.LBB92_30:                              ;   Parent Loop BB92_11 Depth=1
                                        ; =>  This Inner Loop Header: Depth=2
	global_load_dword v9, v[2:3], off
	v_mov_b32_e32 v28, v5
	v_mov_b32_e32 v27, v4
	v_lshlrev_b32_e32 v4, 2, v6
	v_mov_b32_e32 v6, s11
	v_add_co_u32_e32 v2, vcc, s12, v2
	s_waitcnt vmcnt(1)
	ds_write_b32 v4, v8
	v_add_co_u32_e64 v4, s[6:7], s10, v27
	v_addc_co_u32_e64 v5, s[6:7], 0, v28, s[6:7]
	v_addc_co_u32_e32 v3, vcc, v3, v6, vcc
	v_cmp_le_u64_e32 vcc, s[52:53], v[4:5]
	v_mov_b32_e32 v6, v27
	s_or_b64 s[8:9], vcc, s[8:9]
	v_mov_b32_e32 v7, v28
	s_waitcnt vmcnt(0)
	v_mov_b32_e32 v8, v9
	s_andn2_b64 exec, exec, s[8:9]
	s_cbranch_execnz .LBB92_30
; %bb.31:                               ;   in Loop: Header=BB92_11 Depth=1
	s_or_b64 exec, exec, s[8:9]
	v_subrev_u32_e32 v2, s10, v4
	v_mov_b32_e32 v8, v9
.LBB92_32:                              ;   in Loop: Header=BB92_11 Depth=1
	s_or_b64 exec, exec, s[2:3]
	v_lshlrev_b32_e32 v2, 2, v2
	s_waitcnt vmcnt(0)
	ds_write_b32 v2, v8
.LBB92_33:                              ;   in Loop: Header=BB92_11 Depth=1
	s_or_b64 exec, exec, s[0:1]
	s_waitcnt lgkmcnt(0)
	s_barrier
	s_mov_b64 s[0:1], exec
	v_readlane_b32 s2, v55, 0
	v_readlane_b32 s3, v55, 1
	s_and_b64 s[2:3], s[0:1], s[2:3]
	s_mov_b64 exec, s[2:3]
; %bb.34:                               ;   in Loop: Header=BB92_11 Depth=1
	v_mov_b32_e32 v2, s52
	v_mov_b32_e32 v3, s53
	ds_write_b64 v13, v[2:3] offset:5120
; %bb.35:                               ;   in Loop: Header=BB92_11 Depth=1
	s_or_b64 exec, exec, s[0:1]
	s_mov_b64 s[2:3], -1
	s_waitcnt lgkmcnt(0)
	s_barrier
.LBB92_36:                              ;   in Loop: Header=BB92_11 Depth=1
	s_mov_b64 s[64:65], 0
	s_and_b64 vcc, exec, s[2:3]
	s_cbranch_vccz .LBB92_38
; %bb.37:                               ;   in Loop: Header=BB92_11 Depth=1
	ds_read_b64 v[2:3], v13 offset:5120
	s_waitcnt lgkmcnt(0)
	v_readfirstlane_b32 s64, v2
.LBB92_38:                              ;   in Loop: Header=BB92_11 Depth=1
	s_cmp_lt_i32 s64, 1
	s_mov_b64 s[0:1], -1
                                        ; implicit-def: $vgpr2_vgpr3
                                        ; implicit-def: $vgpr6_vgpr7
	s_cbranch_scc1 .LBB92_48
; %bb.39:                               ;   in Loop: Header=BB92_11 Depth=1
	s_and_b64 vcc, exec, s[0:1]
	s_cbranch_vccnz .LBB92_62
.LBB92_40:                              ;   in Loop: Header=BB92_11 Depth=1
	v_lshlrev_b32_e32 v12, 6, v41
	s_and_saveexec_b64 s[0:1], s[4:5]
	s_cbranch_execz .LBB92_42
.LBB92_41:                              ;   in Loop: Header=BB92_11 Depth=1
	v_lshl_add_u32 v23, v12, 3, v18
	ds_write_b128 v23, v[2:5]
	ds_write_b128 v23, v[6:9] offset:16
.LBB92_42:                              ;   in Loop: Header=BB92_11 Depth=1
	s_or_b64 exec, exec, s[0:1]
	s_waitcnt lgkmcnt(0)
	s_barrier
	s_and_saveexec_b64 s[0:1], s[78:79]
	s_cbranch_execz .LBB92_77
; %bb.43:                               ;   in Loop: Header=BB92_11 Depth=1
	v_readlane_b32 s2, v55, 18
	v_mov_b32_e32 v2, 0
	v_readlane_b32 s3, v55, 19
	v_mov_b32_e32 v3, 0
	s_andn2_b64 vcc, exec, s[2:3]
	s_cbranch_vccnz .LBB92_76
; %bb.44:                               ;   in Loop: Header=BB92_11 Depth=1
	v_readlane_b32 s2, v55, 22
	v_readlane_b32 s3, v55, 23
	s_andn2_b64 vcc, exec, s[2:3]
	s_cbranch_vccnz .LBB92_72
; %bb.45:                               ;   in Loop: Header=BB92_11 Depth=1
	v_mov_b32_e32 v2, 0
	v_lshl_add_u32 v4, v41, 9, v38
	v_mov_b32_e32 v3, 0
	s_mov_b32 s2, 0
.LBB92_46:                              ;   Parent Loop BB92_11 Depth=1
                                        ; =>  This Inner Loop Header: Depth=2
	ds_read2_b64 v[5:8], v4 offset1:4
	ds_read2_b64 v[43:46], v4 offset0:8 offset1:12
	ds_read2_b64 v[47:50], v4 offset0:16 offset1:20
	;; [unrolled: 1-line block ×3, first 2 shown]
	s_add_i32 s2, s2, 8
	s_waitcnt lgkmcnt(3)
	v_add_co_u32_e32 v2, vcc, v5, v2
	v_addc_co_u32_e32 v3, vcc, v6, v3, vcc
	v_add_co_u32_e32 v2, vcc, v7, v2
	v_addc_co_u32_e32 v3, vcc, v8, v3, vcc
	s_waitcnt lgkmcnt(2)
	v_add_co_u32_e32 v2, vcc, v43, v2
	v_addc_co_u32_e32 v3, vcc, v44, v3, vcc
	v_add_co_u32_e32 v2, vcc, v45, v2
	v_addc_co_u32_e32 v3, vcc, v46, v3, vcc
	s_waitcnt lgkmcnt(1)
	v_add_co_u32_e32 v2, vcc, v47, v2
	v_addc_co_u32_e32 v3, vcc, v48, v3, vcc
	v_add_co_u32_e32 v2, vcc, v49, v2
	v_addc_co_u32_e32 v3, vcc, v50, v3, vcc
	s_waitcnt lgkmcnt(0)
	v_add_co_u32_e32 v2, vcc, v51, v2
	v_addc_co_u32_e32 v3, vcc, v52, v3, vcc
	v_add_co_u32_e32 v2, vcc, v53, v2
	v_add_u32_e32 v4, 0x100, v4
	s_cmp_eq_u32 s27, s2
	v_addc_co_u32_e32 v3, vcc, v54, v3, vcc
	s_cbranch_scc0 .LBB92_46
; %bb.47:                               ;   in Loop: Header=BB92_11 Depth=1
	s_mov_b32 s2, s27
	s_branch .LBB92_73
.LBB92_48:                              ;   in Loop: Header=BB92_11 Depth=1
	global_load_ushort v2, v13, s[74:75]
	s_mov_b32 s0, s69
	s_waitcnt vmcnt(0)
	v_readfirstlane_b32 s1, v2
	s_and_b32 s65, s1, 0xffff
	s_lshl_b32 s76, s65, 2
	s_mov_b32 s1, s53
	s_cmp_lg_u64 s[0:1], 0
	s_cbranch_scc0 .LBB92_71
; %bb.49:                               ;   in Loop: Header=BB92_11 Depth=1
	v_cvt_f32_u32_e32 v2, s76
	s_sub_u32 s2, 0, s76
	s_subb_u32 s3, 0, 0
	v_mac_f32_e32 v2, 0, v40
	v_rcp_f32_e32 v2, v2
	v_mul_f32_e32 v2, 0x5f7ffffc, v2
	v_mul_f32_e32 v3, 0x2f800000, v2
	v_trunc_f32_e32 v3, v3
	v_mac_f32_e32 v2, 0xcf800000, v3
	v_cvt_u32_f32_e32 v3, v3
	v_cvt_u32_f32_e32 v2, v2
	v_readfirstlane_b32 s6, v3
	v_readfirstlane_b32 s0, v2
	s_mul_i32 s1, s2, s6
	s_mul_hi_u32 s8, s2, s0
	s_mul_i32 s7, s3, s0
	s_add_i32 s1, s8, s1
	s_mul_i32 s9, s2, s0
	s_add_i32 s1, s1, s7
	s_mul_hi_u32 s8, s0, s9
	s_mul_i32 s10, s0, s1
	s_mul_hi_u32 s7, s0, s1
	s_add_u32 s8, s8, s10
	s_addc_u32 s7, 0, s7
	s_mul_hi_u32 s11, s6, s9
	s_mul_i32 s9, s6, s9
	s_add_u32 s8, s8, s9
	s_mul_hi_u32 s10, s6, s1
	s_addc_u32 s7, s7, s11
	s_addc_u32 s8, s10, 0
	s_mul_i32 s1, s6, s1
	s_add_u32 s1, s7, s1
	s_addc_u32 s7, 0, s8
	s_add_u32 s8, s0, s1
	s_cselect_b64 s[0:1], -1, 0
	s_cmp_lg_u64 s[0:1], 0
	s_addc_u32 s6, s6, s7
	s_mul_i32 s0, s2, s6
	s_mul_hi_u32 s1, s2, s8
	s_add_i32 s0, s1, s0
	s_mul_i32 s3, s3, s8
	s_add_i32 s0, s0, s3
	s_mul_i32 s2, s2, s8
	s_mul_hi_u32 s3, s6, s2
	s_mul_i32 s7, s6, s2
	s_mul_i32 s10, s8, s0
	s_mul_hi_u32 s2, s8, s2
	s_mul_hi_u32 s9, s8, s0
	s_add_u32 s2, s2, s10
	s_addc_u32 s9, 0, s9
	s_add_u32 s2, s2, s7
	s_mul_hi_u32 s1, s6, s0
	s_addc_u32 s2, s9, s3
	s_addc_u32 s1, s1, 0
	s_mul_i32 s0, s6, s0
	s_add_u32 s0, s2, s0
	s_addc_u32 s2, 0, s1
	s_add_u32 s3, s8, s0
	s_cselect_b64 s[0:1], -1, 0
	s_cmp_lg_u64 s[0:1], 0
	s_addc_u32 s0, s6, s2
	s_mul_i32 s2, s52, s0
	s_mul_hi_u32 s6, s52, s3
	s_mul_hi_u32 s1, s52, s0
	s_add_u32 s2, s6, s2
	s_addc_u32 s1, 0, s1
	s_mul_hi_u32 s7, s53, s3
	s_mul_i32 s3, s53, s3
	s_add_u32 s2, s2, s3
	s_mul_hi_u32 s6, s53, s0
	s_addc_u32 s1, s1, s7
	s_addc_u32 s2, s6, 0
	s_mul_i32 s0, s53, s0
	s_add_u32 s0, s1, s0
	s_addc_u32 s1, 0, s2
	s_mul_i32 s1, s76, s1
	s_mul_hi_u32 s2, s76, s0
	s_add_i32 s2, s2, s1
	s_mul_i32 s0, s76, s0
	s_sub_u32 s3, s52, s0
	s_cselect_b64 s[0:1], -1, 0
	s_cmp_lg_u64 s[0:1], 0
	s_subb_u32 s2, s53, s2
	s_sub_u32 s6, s3, s76
	s_cselect_b64 s[0:1], -1, 0
	s_cmp_lg_u64 s[0:1], 0
	s_subb_u32 s7, s2, 0
	;; [unrolled: 4-line block ×3, first 2 shown]
	s_cmp_ge_u32 s6, s76
	s_cselect_b32 s1, -1, 0
	s_cmp_eq_u32 s7, 0
	s_cselect_b32 s1, s1, -1
	s_cmp_lg_u32 s1, 0
	s_cselect_b32 s0, s0, s7
	s_cselect_b32 s6, s8, s6
	s_cmp_ge_u32 s3, s76
	s_cselect_b32 s1, -1, 0
	s_cmp_eq_u32 s2, 0
	s_cselect_b32 s1, s1, -1
	s_cmp_lg_u32 s1, 0
	s_cselect_b32 s1, s0, s2
	s_cselect_b32 s0, s6, s3
	s_cbranch_execnz .LBB92_51
.LBB92_50:                              ;   in Loop: Header=BB92_11 Depth=1
	v_cvt_f32_u32_e32 v2, s76
	s_sub_i32 s0, 0, s76
	v_rcp_iflag_f32_e32 v2, v2
	v_mul_f32_e32 v2, 0x4f7ffffe, v2
	v_cvt_u32_f32_e32 v2, v2
	v_readfirstlane_b32 s1, v2
	s_mul_i32 s0, s0, s1
	s_mul_hi_u32 s0, s1, s0
	s_add_i32 s1, s1, s0
	s_mul_hi_u32 s0, s52, s1
	s_mul_i32 s0, s0, s76
	s_sub_i32 s0, s52, s0
	s_sub_i32 s1, s0, s76
	s_cmp_ge_u32 s0, s76
	s_cselect_b32 s0, s1, s0
	s_sub_i32 s1, s0, s76
	s_cmp_ge_u32 s0, s76
	s_cselect_b32 s68, s1, s0
	s_mov_b64 s[0:1], s[68:69]
.LBB92_51:                              ;   in Loop: Header=BB92_11 Depth=1
	s_sub_u32 s80, s52, s0
	s_subb_u32 s81, s53, s1
	v_cmp_gt_u64_e32 vcc, s[80:81], v[14:15]
	v_mov_b32_e32 v2, 0
	v_mov_b32_e32 v4, 0
	;; [unrolled: 1-line block ×8, first 2 shown]
	s_and_saveexec_b64 s[82:83], vcc
	s_cbranch_execz .LBB92_55
; %bb.52:                               ;   in Loop: Header=BB92_11 Depth=1
	s_mul_i32 s0, s87, s65
	s_mul_hi_u32 s1, s86, s65
	v_mov_b32_e32 v28, v15
	s_mov_b64 s[4:5], s[78:79]
	s_add_i32 s68, s1, s0
	s_mov_b64 s[2:3], 0
	s_mov_b64 s[66:67], s[56:57]
	;; [unrolled: 1-line block ×6, first 2 shown]
	v_mov_b32_e32 v27, v14
.LBB92_53:                              ;   Parent Loop BB92_11 Depth=1
                                        ; =>  This Inner Loop Header: Depth=2
	v_add_co_u32_e64 v27, s[6:7], s76, v27
	v_addc_co_u32_e64 v28, s[6:7], 0, v28, s[6:7]
	v_mov_b32_e32 v7, s67
	v_add_co_u32_e32 v2, vcc, s66, v19
	v_add_co_u32_e64 v8, s[6:7], s66, v20
	v_add_co_u32_e64 v4, s[10:11], s66, v17
	;; [unrolled: 1-line block ×3, first 2 shown]
	v_addc_co_u32_e64 v9, s[6:7], v7, v21, s[6:7]
	v_addc_co_u32_e32 v3, vcc, v7, v37, vcc
	v_addc_co_u32_e64 v5, vcc, v7, v36, s[10:11]
	v_addc_co_u32_e64 v7, vcc, v7, v35, s[12:13]
	global_load_dword v8, v[8:9], off
	s_nop 0
	global_load_dword v2, v[2:3], off
	s_nop 0
	;; [unrolled: 2-line block ×3, first 2 shown]
	global_load_dword v4, v[6:7], off
	s_mul_i32 s78, s86, s65
	v_cmp_le_u64_e32 vcc, s[80:81], v[27:28]
	s_waitcnt vmcnt(3)
	v_xor_b32_e32 v5, 0x80000000, v8
	s_waitcnt vmcnt(2)
	v_xor_b32_e32 v2, 0x80000000, v2
	v_and_b32_e32 v6, v5, v42
	v_bfe_u32 v5, v5, s73, 2
	s_waitcnt vmcnt(1)
	v_xor_b32_e32 v3, 0x80000000, v3
	v_and_b32_e32 v7, v2, v42
	v_bfe_u32 v2, v2, s73, 2
	v_cmp_eq_u32_e64 s[6:7], v6, v39
	v_cmp_eq_u32_e64 s[16:17], 0, v5
	s_waitcnt vmcnt(0)
	v_xor_b32_e32 v4, 0x80000000, v4
	v_and_b32_e32 v8, v3, v42
	v_bfe_u32 v3, v3, s73, 2
	v_cmp_eq_u32_e64 s[12:13], v7, v39
	v_cmp_eq_u32_e64 s[18:19], 0, v2
	s_and_b64 s[16:17], s[6:7], s[16:17]
	v_and_b32_e32 v9, v4, v42
	v_bfe_u32 v4, v4, s73, 2
	v_cmp_eq_u32_e64 s[14:15], v8, v39
	v_cmp_eq_u32_e64 s[20:21], 0, v3
	;; [unrolled: 1-line block ×5, first 2 shown]
	v_cndmask_b32_e64 v2, 0, 1, s[16:17]
	s_and_b64 s[16:17], s[12:13], s[18:19]
	v_cmp_eq_u32_e64 s[10:11], v9, v39
	v_cmp_eq_u32_e64 s[22:23], 0, v4
	;; [unrolled: 1-line block ×5, first 2 shown]
	v_cndmask_b32_e64 v3, 0, 1, s[16:17]
	s_and_b64 s[16:17], s[14:15], s[20:21]
	v_cmp_eq_u32_e64 s[34:35], 1, v4
	v_cmp_eq_u32_e64 s[42:43], 2, v4
	;; [unrolled: 1-line block ×3, first 2 shown]
	v_cndmask_b32_e64 v4, 0, 1, s[16:17]
	s_and_b64 s[16:17], s[10:11], s[22:23]
	v_cmp_eq_u32_e64 s[24:25], 1, v5
	v_cmp_eq_u32_e64 s[36:37], 2, v5
	v_cmp_eq_u32_e64 s[44:45], 3, v5
	v_cndmask_b32_e64 v5, 0, 1, s[16:17]
	v_cmp_ne_u32_e64 s[16:17], 0, v2
	v_cmp_ne_u32_e64 s[18:19], 0, v3
	v_cmp_ne_u32_e64 s[20:21], 0, v4
	v_cmp_ne_u32_e64 s[22:23], 0, v5
	s_bcnt1_i32_b64 s16, s[16:17]
	s_bcnt1_i32_b64 s17, s[18:19]
	s_bcnt1_i32_b64 s18, s[20:21]
	s_bcnt1_i32_b64 s19, s[22:23]
	s_add_u32 s16, s16, s74
	s_addc_u32 s20, 0, s75
	s_add_u32 s16, s16, s17
	s_addc_u32 s17, s20, 0
	s_add_u32 s16, s16, s18
	s_addc_u32 s17, s17, 0
	s_add_u32 s74, s16, s19
	s_addc_u32 s75, s17, 0
	s_and_b64 s[16:17], s[6:7], s[24:25]
	v_cndmask_b32_e64 v4, 0, 1, s[16:17]
	s_and_b64 s[16:17], s[12:13], s[28:29]
	v_cndmask_b32_e64 v5, 0, 1, s[16:17]
	s_and_b64 s[16:17], s[14:15], s[30:31]
	v_cndmask_b32_e64 v6, 0, 1, s[16:17]
	s_and_b64 s[16:17], s[10:11], s[34:35]
	v_cndmask_b32_e64 v7, 0, 1, s[16:17]
	v_cmp_ne_u32_e64 s[16:17], 0, v4
	v_cmp_ne_u32_e64 s[18:19], 0, v5
	v_cmp_ne_u32_e64 s[20:21], 0, v6
	v_cmp_ne_u32_e64 s[22:23], 0, v7
	s_bcnt1_i32_b64 s16, s[16:17]
	s_bcnt1_i32_b64 s17, s[18:19]
	s_bcnt1_i32_b64 s18, s[20:21]
	s_bcnt1_i32_b64 s19, s[22:23]
	s_add_u32 s16, s16, s84
	s_addc_u32 s20, 0, s85
	s_add_u32 s16, s16, s17
	s_addc_u32 s17, s20, 0
	s_add_u32 s16, s16, s18
	s_addc_u32 s17, s17, 0
	s_add_u32 s84, s16, s19
	s_addc_u32 s85, s17, 0
	s_and_b64 s[16:17], s[6:7], s[36:37]
	v_cndmask_b32_e64 v6, 0, 1, s[16:17]
	s_and_b64 s[16:17], s[12:13], s[38:39]
	v_cndmask_b32_e64 v7, 0, 1, s[16:17]
	s_and_b64 s[16:17], s[14:15], s[40:41]
	v_cndmask_b32_e64 v8, 0, 1, s[16:17]
	s_and_b64 s[16:17], s[10:11], s[42:43]
	;; [unrolled: 24-line block ×3, first 2 shown]
	v_cndmask_b32_e64 v23, 0, 1, s[6:7]
	v_cmp_ne_u32_e64 s[6:7], 0, v8
	v_cmp_ne_u32_e64 s[10:11], 0, v9
	;; [unrolled: 1-line block ×4, first 2 shown]
	s_bcnt1_i32_b64 s6, s[6:7]
	s_bcnt1_i32_b64 s7, s[10:11]
	;; [unrolled: 1-line block ×4, first 2 shown]
	s_add_u32 s6, s6, s8
	s_addc_u32 s8, 0, s9
	s_add_u32 s6, s6, s7
	s_addc_u32 s7, s8, 0
	;; [unrolled: 2-line block ×4, first 2 shown]
	s_add_u32 s66, s66, s78
	v_mov_b32_e32 v2, s74
	v_mov_b32_e32 v4, s84
	;; [unrolled: 1-line block ×3, first 2 shown]
	s_addc_u32 s67, s67, s68
	v_mov_b32_e32 v8, s8
	v_mov_b32_e32 v3, s75
	;; [unrolled: 1-line block ×4, first 2 shown]
	s_or_b64 s[2:3], vcc, s[2:3]
	v_mov_b32_e32 v9, s9
	s_andn2_b64 exec, exec, s[2:3]
	s_cbranch_execnz .LBB92_53
; %bb.54:                               ;   in Loop: Header=BB92_11 Depth=1
	s_or_b64 exec, exec, s[2:3]
	s_mov_b64 s[78:79], s[4:5]
	v_readlane_b32 s4, v55, 29
	v_readlane_b32 s74, v55, 31
	;; [unrolled: 1-line block ×4, first 2 shown]
.LBB92_55:                              ;   in Loop: Header=BB92_11 Depth=1
	s_or_b64 exec, exec, s[82:83]
	v_mov_b32_e32 v12, s81
	v_add_co_u32_e32 v27, vcc, s80, v0
	v_addc_co_u32_e32 v28, vcc, 0, v12, vcc
	v_cmp_gt_u64_e32 vcc, s[52:53], v[27:28]
	s_and_saveexec_b64 s[0:1], vcc
	s_cbranch_execz .LBB92_61
; %bb.56:                               ;   in Loop: Header=BB92_11 Depth=1
	v_mul_lo_u32 v12, v28, s60
	v_mul_lo_u32 v23, v27, s61
	v_mad_u64_u32 v[43:44], s[2:3], v27, s60, 0
	s_mov_b64 s[2:3], 0
	v_add3_u32 v44, v44, v23, v12
	v_lshlrev_b64 v[43:44], 2, v[43:44]
	v_mov_b32_e32 v12, s57
	v_add_co_u32_e32 v43, vcc, s56, v43
	v_addc_co_u32_e32 v44, vcc, v12, v44, vcc
	global_load_dword v23, v[43:44], off
	s_branch .LBB92_58
.LBB92_57:                              ;   in Loop: Header=BB92_58 Depth=2
	s_or_b64 exec, exec, s[8:9]
	s_waitcnt vmcnt(0)
	v_xor_b32_e32 v23, 0x80000000, v23
	s_and_b64 s[6:7], exec, vcc
	v_and_b32_e32 v43, v23, v42
	v_bfe_u32 v23, v23, s73, 2
	s_or_b64 s[2:3], s[6:7], s[2:3]
	v_cmp_eq_u32_e32 vcc, v43, v39
	v_cmp_eq_u32_e64 s[6:7], 0, v23
	s_and_b64 s[6:7], vcc, s[6:7]
	v_cndmask_b32_e64 v43, 0, 1, s[6:7]
	v_cmp_ne_u32_e64 s[6:7], 0, v43
	s_bcnt1_i32_b64 s6, s[6:7]
	v_add_co_u32_e64 v2, s[6:7], s6, v2
	v_addc_co_u32_e64 v3, s[6:7], 0, v3, s[6:7]
	v_cmp_eq_u32_e64 s[6:7], 1, v23
	s_and_b64 s[6:7], vcc, s[6:7]
	v_cndmask_b32_e64 v43, 0, 1, s[6:7]
	v_cmp_ne_u32_e64 s[6:7], 0, v43
	s_bcnt1_i32_b64 s6, s[6:7]
	v_add_co_u32_e64 v4, s[6:7], s6, v4
	v_addc_co_u32_e64 v5, s[6:7], 0, v5, s[6:7]
	;; [unrolled: 7-line block ×3, first 2 shown]
	v_cmp_eq_u32_e64 s[6:7], 3, v23
	s_and_b64 s[6:7], vcc, s[6:7]
	v_cndmask_b32_e64 v23, 0, 1, s[6:7]
	v_cmp_ne_u32_e32 vcc, 0, v23
	s_bcnt1_i32_b64 s6, vcc
	v_add_co_u32_e32 v8, vcc, s6, v8
	v_addc_co_u32_e32 v9, vcc, 0, v9, vcc
	v_mov_b32_e32 v23, v12
	s_andn2_b64 exec, exec, s[2:3]
	s_cbranch_execz .LBB92_60
.LBB92_58:                              ;   Parent Loop BB92_11 Depth=1
                                        ; =>  This Inner Loop Header: Depth=2
	v_add_co_u32_e32 v27, vcc, s65, v27
	v_addc_co_u32_e32 v28, vcc, 0, v28, vcc
	v_cmp_gt_u64_e64 s[6:7], s[52:53], v[27:28]
	v_cmp_le_u64_e32 vcc, s[52:53], v[27:28]
	v_mov_b32_e32 v12, 0
	s_and_saveexec_b64 s[8:9], s[6:7]
	s_cbranch_execz .LBB92_57
; %bb.59:                               ;   in Loop: Header=BB92_58 Depth=2
	v_mul_lo_u32 v12, v28, s60
	v_mul_lo_u32 v45, v27, s61
	v_mad_u64_u32 v[43:44], s[6:7], v27, s60, 0
	v_add3_u32 v44, v44, v45, v12
	v_lshlrev_b64 v[43:44], 2, v[43:44]
	v_mov_b32_e32 v12, s57
	v_add_co_u32_e64 v43, s[6:7], s56, v43
	v_addc_co_u32_e64 v44, s[6:7], v12, v44, s[6:7]
	global_load_dword v12, v[43:44], off
	s_branch .LBB92_57
.LBB92_60:                              ;   in Loop: Header=BB92_11 Depth=1
	s_or_b64 exec, exec, s[2:3]
.LBB92_61:                              ;   in Loop: Header=BB92_11 Depth=1
	s_or_b64 exec, exec, s[0:1]
	s_branch .LBB92_40
.LBB92_62:                              ;   in Loop: Header=BB92_11 Depth=1
	global_load_ushort v12, v13, s[74:75]
	v_mov_b32_e32 v6, 0
	v_mov_b32_e32 v7, 0
	s_waitcnt vmcnt(0)
	v_readfirstlane_b32 s0, v12
	s_and_b32 s6, 0xffff, s0
	s_lshl_b32 s65, s6, 2
	v_cvt_f32_u32_e32 v2, s65
	s_sub_i32 s0, 0, s65
	v_rcp_iflag_f32_e32 v4, v2
	v_mov_b32_e32 v2, 0
	v_mov_b32_e32 v3, 0
	v_mul_f32_e32 v4, 0x4f7ffffe, v4
	v_cvt_u32_f32_e32 v8, v4
	v_mov_b32_e32 v4, 0
	v_mov_b32_e32 v5, 0
	v_readfirstlane_b32 s1, v8
	s_mul_i32 s0, s0, s1
	s_mul_hi_u32 s0, s1, s0
	s_add_i32 s1, s1, s0
	s_mul_hi_u32 s0, s64, s1
	s_mul_i32 s1, s0, s65
	s_sub_i32 s1, s64, s1
	s_add_i32 s2, s0, 1
	s_sub_i32 s3, s1, s65
	s_cmp_ge_u32 s1, s65
	s_cselect_b32 s0, s2, s0
	s_cselect_b32 s1, s3, s1
	s_add_i32 s2, s0, 1
	s_cmp_ge_u32 s1, s65
	s_cselect_b32 s0, s2, s0
	s_mul_hi_u32 s1, s6, s0
	s_mul_i32 s0, s6, s0
	s_lshl_b64 s[2:3], s[0:1], 2
	v_cmp_gt_u64_e32 vcc, s[2:3], v[14:15]
	v_mov_b32_e32 v8, 0
	v_mov_b32_e32 v9, 0
	s_and_saveexec_b64 s[8:9], vcc
	s_cbranch_execz .LBB92_66
; %bb.63:                               ;   in Loop: Header=BB92_11 Depth=1
	v_mov_b32_e32 v28, v15
	s_lshl_b32 s1, s6, 4
	s_mov_b64 s[66:67], 0
	v_mov_b32_e32 v23, v34
	s_mov_b64 s[74:75], 0
	s_mov_b64 s[80:81], 0
	;; [unrolled: 1-line block ×4, first 2 shown]
	v_mov_b32_e32 v27, v14
.LBB92_64:                              ;   Parent Loop BB92_11 Depth=1
                                        ; =>  This Inner Loop Header: Depth=2
	ds_read_b128 v[2:5], v23
	v_add_co_u32_e32 v27, vcc, s65, v27
	v_addc_co_u32_e32 v28, vcc, 0, v28, vcc
	s_waitcnt lgkmcnt(0)
	v_xor_b32_e32 v2, 0x80000000, v2
	v_xor_b32_e32 v3, 0x80000000, v3
	v_and_b32_e32 v6, v2, v42
	v_bfe_u32 v2, v2, s73, 2
	v_xor_b32_e32 v4, 0x80000000, v4
	v_and_b32_e32 v7, v3, v42
	v_bfe_u32 v3, v3, s73, 2
	v_cmp_eq_u32_e64 s[16:17], v6, v39
	v_cmp_eq_u32_e64 s[6:7], 0, v2
	v_xor_b32_e32 v5, 0x80000000, v5
	v_and_b32_e32 v8, v4, v42
	v_bfe_u32 v4, v4, s73, 2
	v_cmp_eq_u32_e64 s[14:15], v7, v39
	v_cmp_eq_u32_e64 s[28:29], 0, v3
	s_and_b64 s[6:7], s[16:17], s[6:7]
	v_and_b32_e32 v9, v5, v42
	v_bfe_u32 v5, v5, s73, 2
	v_cmp_eq_u32_e64 s[12:13], v8, v39
	v_cmp_eq_u32_e64 s[30:31], 0, v4
	;; [unrolled: 1-line block ×5, first 2 shown]
	v_cndmask_b32_e64 v2, 0, 1, s[6:7]
	s_and_b64 s[6:7], s[14:15], s[28:29]
	v_cmp_eq_u32_e64 s[10:11], v9, v39
	v_cmp_eq_u32_e64 s[34:35], 0, v5
	;; [unrolled: 1-line block ×5, first 2 shown]
	v_cndmask_b32_e64 v3, 0, 1, s[6:7]
	s_and_b64 s[6:7], s[12:13], s[30:31]
	v_cmp_eq_u32_e64 s[40:41], 1, v4
	v_cmp_eq_u32_e64 s[48:49], 2, v4
	v_cmp_eq_u32_e64 s[20:21], 3, v4
	v_cndmask_b32_e64 v4, 0, 1, s[6:7]
	s_and_b64 s[6:7], s[10:11], s[34:35]
	v_cmp_eq_u32_e64 s[42:43], 1, v5
	v_cmp_eq_u32_e64 s[50:51], 2, v5
	;; [unrolled: 1-line block ×3, first 2 shown]
	v_cndmask_b32_e64 v5, 0, 1, s[6:7]
	v_cmp_ne_u32_e64 s[6:7], 0, v2
	v_cmp_ne_u32_e64 s[28:29], 0, v3
	v_cmp_ne_u32_e64 s[30:31], 0, v4
	v_cmp_ne_u32_e64 s[34:35], 0, v5
	s_bcnt1_i32_b64 s6, s[6:7]
	s_bcnt1_i32_b64 s7, s[28:29]
	s_bcnt1_i32_b64 s28, s[30:31]
	s_bcnt1_i32_b64 s29, s[34:35]
	s_add_u32 s6, s6, s84
	s_addc_u32 s30, 0, s85
	s_add_u32 s6, s6, s7
	s_addc_u32 s7, s30, 0
	s_add_u32 s6, s6, s28
	s_addc_u32 s7, s7, 0
	s_add_u32 s84, s6, s29
	s_addc_u32 s85, s7, 0
	s_and_b64 s[6:7], s[16:17], s[36:37]
	v_cndmask_b32_e64 v4, 0, 1, s[6:7]
	s_and_b64 s[6:7], s[14:15], s[38:39]
	v_cndmask_b32_e64 v5, 0, 1, s[6:7]
	s_and_b64 s[6:7], s[12:13], s[40:41]
	v_cndmask_b32_e64 v6, 0, 1, s[6:7]
	s_and_b64 s[6:7], s[10:11], s[42:43]
	v_cndmask_b32_e64 v7, 0, 1, s[6:7]
	v_cmp_ne_u32_e64 s[6:7], 0, v4
	v_cmp_ne_u32_e64 s[28:29], 0, v5
	v_cmp_ne_u32_e64 s[30:31], 0, v6
	v_cmp_ne_u32_e64 s[34:35], 0, v7
	s_bcnt1_i32_b64 s6, s[6:7]
	s_bcnt1_i32_b64 s7, s[28:29]
	s_bcnt1_i32_b64 s28, s[30:31]
	s_bcnt1_i32_b64 s29, s[34:35]
	s_add_u32 s6, s6, s82
	s_addc_u32 s30, 0, s83
	s_add_u32 s6, s6, s7
	s_addc_u32 s7, s30, 0
	s_add_u32 s6, s6, s28
	s_addc_u32 s7, s7, 0
	s_add_u32 s82, s6, s29
	s_addc_u32 s83, s7, 0
	s_and_b64 s[6:7], s[16:17], s[44:45]
	v_cndmask_b32_e64 v6, 0, 1, s[6:7]
	s_and_b64 s[6:7], s[14:15], s[46:47]
	v_cndmask_b32_e64 v7, 0, 1, s[6:7]
	s_and_b64 s[6:7], s[12:13], s[48:49]
	v_cndmask_b32_e64 v8, 0, 1, s[6:7]
	s_and_b64 s[6:7], s[10:11], s[50:51]
	;; [unrolled: 24-line block ×3, first 2 shown]
	v_cndmask_b32_e64 v44, 0, 1, s[6:7]
	v_cmp_ne_u32_e64 s[6:7], 0, v8
	v_cmp_ne_u32_e64 s[10:11], 0, v9
	;; [unrolled: 1-line block ×4, first 2 shown]
	s_bcnt1_i32_b64 s6, s[6:7]
	s_bcnt1_i32_b64 s7, s[10:11]
	;; [unrolled: 1-line block ×4, first 2 shown]
	s_add_u32 s6, s6, s74
	s_addc_u32 s12, 0, s75
	s_add_u32 s6, s6, s7
	s_addc_u32 s7, s12, 0
	;; [unrolled: 2-line block ×3, first 2 shown]
	v_cmp_le_u64_e32 vcc, s[2:3], v[27:28]
	s_add_u32 s74, s6, s11
	v_mov_b32_e32 v2, s84
	v_mov_b32_e32 v4, s82
	;; [unrolled: 1-line block ×3, first 2 shown]
	s_addc_u32 s75, s7, 0
	v_mov_b32_e32 v8, s74
	v_add_u32_e32 v23, s1, v23
	v_mov_b32_e32 v3, s85
	v_mov_b32_e32 v5, s83
	;; [unrolled: 1-line block ×3, first 2 shown]
	s_or_b64 s[66:67], vcc, s[66:67]
	v_mov_b32_e32 v9, s75
	s_andn2_b64 exec, exec, s[66:67]
	s_cbranch_execnz .LBB92_64
; %bb.65:                               ;   in Loop: Header=BB92_11 Depth=1
	s_or_b64 exec, exec, s[66:67]
	v_readlane_b32 s4, v55, 29
	v_readlane_b32 s74, v55, 31
	;; [unrolled: 1-line block ×4, first 2 shown]
.LBB92_66:                              ;   in Loop: Header=BB92_11 Depth=1
	s_or_b64 exec, exec, s[8:9]
	v_mov_b32_e32 v23, s3
	v_add_co_u32_e32 v27, vcc, s2, v0
	s_and_b32 s68, s64, 0x7fffffff
	v_addc_co_u32_e32 v28, vcc, 0, v23, vcc
	v_cmp_gt_u64_e32 vcc, s[68:69], v[27:28]
	s_and_saveexec_b64 s[2:3], vcc
	s_cbranch_execz .LBB92_70
; %bb.67:                               ;   in Loop: Header=BB92_11 Depth=1
	v_lshl_add_u32 v23, s0, 4, v14
	s_mov_b64 s[0:1], 0
.LBB92_68:                              ;   Parent Loop BB92_11 Depth=1
                                        ; =>  This Inner Loop Header: Depth=2
	ds_read_b32 v43, v23
	v_add_co_u32_sdwa v27, vcc, v27, v12 dst_sel:DWORD dst_unused:UNUSED_PAD src0_sel:DWORD src1_sel:WORD_0
	v_addc_co_u32_e32 v28, vcc, 0, v28, vcc
	s_waitcnt lgkmcnt(0)
	v_xor_b32_e32 v43, 0x80000000, v43
	v_and_b32_e32 v44, v43, v42
	v_bfe_u32 v43, v43, s73, 2
	v_cmp_eq_u32_e64 s[6:7], v44, v39
	v_cmp_eq_u32_e64 s[10:11], 0, v43
	;; [unrolled: 1-line block ×3, first 2 shown]
	s_and_b64 s[8:9], s[6:7], s[10:11]
	v_cmp_eq_u32_e64 s[14:15], 2, v43
	v_cmp_eq_u32_e64 s[16:17], 3, v43
	v_cndmask_b32_e64 v43, 0, 1, s[8:9]
	s_and_b64 s[8:9], s[6:7], s[12:13]
	v_cndmask_b32_e64 v44, 0, 1, s[8:9]
	s_and_b64 s[8:9], s[6:7], s[14:15]
	s_and_b64 s[6:7], s[6:7], s[16:17]
	v_cndmask_b32_e64 v46, 0, 1, s[6:7]
	v_cmp_ne_u32_e64 s[6:7], 0, v43
	s_bcnt1_i32_b64 s6, s[6:7]
	v_cmp_ne_u32_e64 s[10:11], 0, v44
	v_add_co_u32_e64 v2, s[6:7], s6, v2
	v_cndmask_b32_e64 v45, 0, 1, s[8:9]
	s_bcnt1_i32_b64 s8, s[10:11]
	v_addc_co_u32_e64 v3, s[6:7], 0, v3, s[6:7]
	v_cmp_le_u64_e32 vcc, s[68:69], v[27:28]
	v_cmp_ne_u32_e64 s[12:13], 0, v45
	v_cmp_ne_u32_e64 s[14:15], 0, v46
	v_add_co_u32_e64 v4, s[6:7], s8, v4
	s_bcnt1_i32_b64 s9, s[12:13]
	s_bcnt1_i32_b64 s10, s[14:15]
	v_addc_co_u32_e64 v5, s[6:7], 0, v5, s[6:7]
	v_add_co_u32_e64 v6, s[6:7], s9, v6
	s_or_b64 s[0:1], vcc, s[0:1]
	v_add_co_u32_e32 v8, vcc, s10, v8
	v_add_u32_e32 v23, s65, v23
	v_addc_co_u32_e64 v7, s[6:7], 0, v7, s[6:7]
	v_addc_co_u32_e32 v9, vcc, 0, v9, vcc
	s_andn2_b64 exec, exec, s[0:1]
	s_cbranch_execnz .LBB92_68
; %bb.69:                               ;   in Loop: Header=BB92_11 Depth=1
	s_or_b64 exec, exec, s[0:1]
.LBB92_70:                              ;   in Loop: Header=BB92_11 Depth=1
	s_or_b64 exec, exec, s[2:3]
	v_lshlrev_b32_e32 v12, 6, v41
	s_and_saveexec_b64 s[0:1], s[4:5]
	s_cbranch_execnz .LBB92_41
	s_branch .LBB92_42
.LBB92_71:                              ;   in Loop: Header=BB92_11 Depth=1
                                        ; implicit-def: $sgpr0_sgpr1
	s_branch .LBB92_50
.LBB92_72:                              ;   in Loop: Header=BB92_11 Depth=1
	v_mov_b32_e32 v2, 0
	v_mov_b32_e32 v3, 0
	s_mov_b32 s2, 0
.LBB92_73:                              ;   in Loop: Header=BB92_11 Depth=1
	v_readlane_b32 s6, v55, 25
	v_readlane_b32 s7, v55, 26
	s_andn2_b64 vcc, exec, s[6:7]
	s_cbranch_vccnz .LBB92_76
; %bb.74:                               ;   in Loop: Header=BB92_11 Depth=1
	v_lshlrev_b32_e32 v4, 9, v41
	s_lshl_b32 s2, s2, 5
	v_add_u32_e32 v4, s2, v4
	v_add_u32_e32 v4, v38, v4
	v_readlane_b32 s2, v55, 24
.LBB92_75:                              ;   Parent Loop BB92_11 Depth=1
                                        ; =>  This Inner Loop Header: Depth=2
	ds_read_b64 v[5:6], v4
	s_add_i32 s2, s2, -1
	v_add_u32_e32 v4, 32, v4
	s_cmp_lg_u32 s2, 0
	s_waitcnt lgkmcnt(0)
	v_add_co_u32_e32 v2, vcc, v5, v2
	v_addc_co_u32_e32 v3, vcc, v6, v3, vcc
	s_cbranch_scc1 .LBB92_75
.LBB92_76:                              ;   in Loop: Header=BB92_11 Depth=1
	v_add_lshl_u32 v4, v12, v29, 3
	ds_write_b64 v4, v[2:3] offset:3072
.LBB92_77:                              ;   in Loop: Header=BB92_11 Depth=1
	s_or_b64 exec, exec, s[0:1]
	v_lshlrev_b32_e32 v2, 3, v12
	s_waitcnt lgkmcnt(0)
	s_barrier
	ds_read_b128 v[6:9], v2 offset:3088
	ds_read_b128 v[2:5], v2 offset:3072
	v_cmp_eq_u64_e64 s[6:7], 1, v[25:26]
	s_lshl_b32 s66, 3, s73
	s_not_b32 s48, s66
	s_waitcnt lgkmcnt(1)
	v_readfirstlane_b32 s18, v6
	s_waitcnt lgkmcnt(0)
	v_cmp_eq_u64_e32 vcc, 1, v[2:3]
	v_readfirstlane_b32 s19, v7
	v_readfirstlane_b32 s10, v8
	;; [unrolled: 1-line block ×3, first 2 shown]
	s_and_b64 s[14:15], vcc, s[6:7]
	s_mov_b64 s[6:7], -1
	s_mov_b64 s[8:9], -1
                                        ; implicit-def: $sgpr2_sgpr3
                                        ; implicit-def: $sgpr0_sgpr1
	s_and_saveexec_b64 s[12:13], s[14:15]
	s_cbranch_execz .LBB92_109
; %bb.78:                               ;   in Loop: Header=BB92_11 Depth=1
	ds_read_b64 v[6:7], v13 offset:5120
	s_waitcnt lgkmcnt(0)
	s_barrier
	v_readfirstlane_b32 s16, v6
	v_readfirstlane_b32 s17, v7
	s_mov_b64 s[0:1], exec
	v_readlane_b32 s2, v55, 14
	v_readlane_b32 s3, v55, 15
	s_and_b64 s[2:3], s[0:1], s[2:3]
	s_mov_b64 exec, s[2:3]
; %bb.79:                               ;   in Loop: Header=BB92_11 Depth=1
	ds_write_b32 v30, v13
; %bb.80:                               ;   in Loop: Header=BB92_11 Depth=1
	s_or_b64 exec, exec, s[0:1]
	v_and_b32_e32 v39, s48, v39
	v_or_b32_e32 v42, s66, v42
	s_mov_b64 s[0:1], -1
	s_mov_b64 s[2:3], 0
	s_cmp_eq_u64 s[16:17], 0
	s_mov_b64 s[8:9], 0
	s_mov_b64 s[20:21], -1
	s_waitcnt lgkmcnt(0)
	s_barrier
                                        ; implicit-def: $vgpr24
	s_cbranch_scc1 .LBB92_94
; %bb.81:                               ;   in Loop: Header=BB92_11 Depth=1
	v_readlane_b32 s8, v55, 20
	s_add_u32 s24, s16, s8
	v_readlane_b32 s8, v55, 21
	s_addc_u32 s9, s17, s8
	s_mov_b32 s8, s69
	s_cmp_lg_u64 s[8:9], 0
	s_cbranch_scc0 .LBB92_135
; %bb.82:                               ;   in Loop: Header=BB92_11 Depth=1
	v_cvt_f32_u32_e32 v6, s33
	s_sub_u32 s8, 0, s33
	s_subb_u32 s22, 0, 0
	v_mac_f32_e32 v6, 0, v40
	v_rcp_f32_e32 v6, v6
	v_mul_f32_e32 v6, 0x5f7ffffc, v6
	v_mul_f32_e32 v7, 0x2f800000, v6
	v_trunc_f32_e32 v7, v7
	v_mac_f32_e32 v6, 0xcf800000, v7
	v_cvt_u32_f32_e32 v7, v7
	v_cvt_u32_f32_e32 v6, v6
	v_readfirstlane_b32 s23, v7
	v_readfirstlane_b32 s20, v6
	s_mul_i32 s21, s8, s23
	s_mul_hi_u32 s28, s8, s20
	s_mul_i32 s25, s22, s20
	s_add_i32 s21, s28, s21
	s_mul_i32 s29, s8, s20
	s_add_i32 s21, s21, s25
	s_mul_hi_u32 s28, s20, s29
	s_mul_i32 s30, s20, s21
	s_mul_hi_u32 s25, s20, s21
	s_add_u32 s28, s28, s30
	s_addc_u32 s25, 0, s25
	s_mul_hi_u32 s31, s23, s29
	s_mul_i32 s29, s23, s29
	s_add_u32 s28, s28, s29
	s_mul_hi_u32 s30, s23, s21
	s_addc_u32 s25, s25, s31
	s_addc_u32 s28, s30, 0
	s_mul_i32 s21, s23, s21
	s_add_u32 s21, s25, s21
	s_addc_u32 s25, 0, s28
	s_add_u32 s28, s20, s21
	s_cselect_b64 s[20:21], -1, 0
	s_cmp_lg_u64 s[20:21], 0
	s_addc_u32 s23, s23, s25
	s_mul_i32 s20, s8, s23
	s_mul_hi_u32 s21, s8, s28
	s_add_i32 s20, s21, s20
	s_mul_i32 s22, s22, s28
	s_add_i32 s20, s20, s22
	s_mul_i32 s8, s8, s28
	s_mul_hi_u32 s22, s23, s8
	s_mul_i32 s25, s23, s8
	s_mul_i32 s30, s28, s20
	s_mul_hi_u32 s8, s28, s8
	s_mul_hi_u32 s29, s28, s20
	s_add_u32 s8, s8, s30
	s_addc_u32 s29, 0, s29
	s_add_u32 s8, s8, s25
	s_mul_hi_u32 s21, s23, s20
	s_addc_u32 s8, s29, s22
	s_addc_u32 s21, s21, 0
	s_mul_i32 s20, s23, s20
	s_add_u32 s8, s8, s20
	s_addc_u32 s22, 0, s21
	s_add_u32 s8, s28, s8
	s_cselect_b64 s[20:21], -1, 0
	s_cmp_lg_u64 s[20:21], 0
	s_addc_u32 s20, s23, s22
	s_mul_i32 s22, s24, s20
	s_mul_hi_u32 s23, s24, s8
	s_mul_hi_u32 s21, s24, s20
	s_add_u32 s22, s23, s22
	s_addc_u32 s21, 0, s21
	s_mul_hi_u32 s25, s9, s8
	s_mul_i32 s8, s9, s8
	s_add_u32 s8, s22, s8
	s_mul_hi_u32 s23, s9, s20
	s_addc_u32 s8, s21, s25
	s_addc_u32 s21, s23, 0
	s_mul_i32 s20, s9, s20
	s_add_u32 s8, s8, s20
	s_addc_u32 s20, 0, s21
	s_mul_i32 s20, s33, s20
	s_mul_hi_u32 s21, s33, s8
	s_add_i32 s22, s21, s20
	s_mul_i32 s8, s33, s8
	s_sub_u32 s8, s24, s8
	s_cselect_b64 s[20:21], -1, 0
	s_cmp_lg_u64 s[20:21], 0
	s_subb_u32 s22, s9, s22
	s_sub_u32 s23, s8, s33
	s_cselect_b64 s[20:21], -1, 0
	s_cmp_lg_u64 s[20:21], 0
	s_subb_u32 s25, s22, 0
	;; [unrolled: 4-line block ×3, first 2 shown]
	s_cmp_ge_u32 s23, s33
	s_cselect_b32 s21, -1, 0
	s_cmp_eq_u32 s25, 0
	s_cselect_b32 s21, s21, -1
	s_cmp_lg_u32 s21, 0
	s_cselect_b32 s20, s20, s25
	s_cselect_b32 s23, s28, s23
	s_cmp_ge_u32 s8, s33
	s_cselect_b32 s21, -1, 0
	s_cmp_eq_u32 s22, 0
	s_cselect_b32 s21, s21, -1
	s_cmp_lg_u32 s21, 0
	s_cselect_b32 s21, s20, s22
	s_cselect_b32 s20, s23, s8
	s_cbranch_execnz .LBB92_84
.LBB92_83:                              ;   in Loop: Header=BB92_11 Depth=1
	v_cvt_f32_u32_e32 v6, s33
	s_sub_i32 s8, 0, s33
	v_rcp_iflag_f32_e32 v6, v6
	v_mul_f32_e32 v6, 0x4f7ffffe, v6
	v_cvt_u32_f32_e32 v6, v6
	v_readfirstlane_b32 s20, v6
	s_mul_i32 s8, s8, s20
	s_mul_hi_u32 s8, s20, s8
	s_add_i32 s20, s20, s8
	s_mul_hi_u32 s8, s24, s20
	s_mul_i32 s8, s8, s33
	s_sub_i32 s8, s24, s8
	s_sub_i32 s20, s8, s33
	s_cmp_ge_u32 s8, s33
	s_cselect_b32 s8, s20, s8
	s_sub_i32 s20, s8, s33
	s_cmp_ge_u32 s8, s33
	s_cselect_b32 s68, s20, s8
	s_mov_b64 s[20:21], s[68:69]
.LBB92_84:                              ;   in Loop: Header=BB92_11 Depth=1
	s_sub_u32 s24, s24, s20
	s_subb_u32 s25, s9, s21
	v_cmp_gt_u64_e32 vcc, s[24:25], v[0:1]
	s_mov_b64 s[20:21], 0
	s_mov_b64 s[8:9], 0
                                        ; implicit-def: $vgpr24
	s_and_saveexec_b64 s[22:23], vcc
	s_cbranch_execz .LBB92_93
; %bb.85:                               ;   in Loop: Header=BB92_11 Depth=1
	v_mov_b32_e32 v7, v1
	v_mov_b32_e32 v8, v14
	;; [unrolled: 1-line block ×3, first 2 shown]
                                        ; implicit-def: $sgpr28_sgpr29
	s_branch .LBB92_88
.LBB92_86:                              ;   in Loop: Header=BB92_88 Depth=2
	s_or_b64 exec, exec, s[30:31]
	s_waitcnt lgkmcnt(0)
	s_barrier
	ds_read_b64 v[23:24], v13 offset:3072
	s_mov_b64 s[30:31], -1
	s_mov_b64 s[34:35], -1
	s_waitcnt lgkmcnt(0)
	s_barrier
	v_cmp_ne_u32_e32 vcc, 0, v23
	s_cbranch_vccz .LBB92_91
.LBB92_87:                              ;   in Loop: Header=BB92_88 Depth=2
	s_and_b64 s[30:31], exec, s[30:31]
	s_or_b64 s[8:9], s[30:31], s[8:9]
	s_andn2_b64 s[28:29], s[28:29], exec
	s_and_b64 s[30:31], s[34:35], exec
	s_or_b64 s[28:29], s[28:29], s[30:31]
	s_andn2_b64 exec, exec, s[8:9]
	s_cbranch_execz .LBB92_92
.LBB92_88:                              ;   Parent Loop BB92_11 Depth=1
                                        ; =>  This Inner Loop Header: Depth=2
	v_cmp_gt_u64_e32 vcc, s[16:17], v[6:7]
	s_and_saveexec_b64 s[30:31], vcc
	s_cbranch_execz .LBB92_86
; %bb.89:                               ;   in Loop: Header=BB92_88 Depth=2
	ds_read_b32 v23, v8
	s_waitcnt lgkmcnt(0)
	v_xor_b32_e32 v9, 0x80000000, v23
	v_and_b32_e32 v9, v9, v42
	v_cmp_eq_u32_e32 vcc, v9, v39
	s_and_b64 exec, exec, vcc
	s_cbranch_execz .LBB92_86
; %bb.90:                               ;   in Loop: Header=BB92_88 Depth=2
	ds_write_b64 v13, v[22:23] offset:3072
	s_branch .LBB92_86
.LBB92_91:                              ;   in Loop: Header=BB92_88 Depth=2
	v_add_co_u32_e32 v6, vcc, s33, v6
	v_addc_co_u32_e32 v7, vcc, 0, v7, vcc
	v_cmp_le_u64_e32 vcc, s[24:25], v[6:7]
	v_add_u32_e32 v8, s72, v8
	s_mov_b64 s[34:35], 0
	s_orn2_b64 s[30:31], vcc, exec
	s_branch .LBB92_87
.LBB92_92:                              ;   in Loop: Header=BB92_11 Depth=1
	s_or_b64 exec, exec, s[8:9]
	s_and_b64 s[8:9], s[28:29], exec
.LBB92_93:                              ;   in Loop: Header=BB92_11 Depth=1
	s_or_b64 exec, exec, s[22:23]
.LBB92_94:                              ;   in Loop: Header=BB92_11 Depth=1
	s_and_b64 vcc, exec, s[20:21]
	s_cbranch_vccz .LBB92_108
; %bb.95:                               ;   in Loop: Header=BB92_11 Depth=1
	s_mov_b32 s76, s69
	s_cmp_lg_u64 s[76:77], 0
	s_cbranch_scc0 .LBB92_139
; %bb.96:                               ;   in Loop: Header=BB92_11 Depth=1
	v_cvt_f32_u32_e32 v6, s33
	s_sub_u32 s2, 0, s33
	s_subb_u32 s3, 0, 0
	v_mac_f32_e32 v6, 0, v40
	v_rcp_f32_e32 v6, v6
	v_mul_f32_e32 v6, 0x5f7ffffc, v6
	v_mul_f32_e32 v7, 0x2f800000, v6
	v_trunc_f32_e32 v7, v7
	v_mac_f32_e32 v6, 0xcf800000, v7
	v_cvt_u32_f32_e32 v7, v7
	v_cvt_u32_f32_e32 v6, v6
	v_readfirstlane_b32 s16, v7
	v_readfirstlane_b32 s0, v6
	s_mul_i32 s1, s2, s16
	s_mul_hi_u32 s20, s2, s0
	s_mul_i32 s17, s3, s0
	s_add_i32 s1, s20, s1
	s_mul_i32 s21, s2, s0
	s_add_i32 s1, s1, s17
	s_mul_hi_u32 s20, s0, s21
	s_mul_i32 s22, s0, s1
	s_mul_hi_u32 s17, s0, s1
	s_add_u32 s20, s20, s22
	s_addc_u32 s17, 0, s17
	s_mul_hi_u32 s23, s16, s21
	s_mul_i32 s21, s16, s21
	s_add_u32 s20, s20, s21
	s_mul_hi_u32 s22, s16, s1
	s_addc_u32 s17, s17, s23
	s_addc_u32 s20, s22, 0
	s_mul_i32 s1, s16, s1
	s_add_u32 s1, s17, s1
	s_addc_u32 s17, 0, s20
	s_add_u32 s20, s0, s1
	s_cselect_b64 s[0:1], -1, 0
	s_cmp_lg_u64 s[0:1], 0
	s_addc_u32 s16, s16, s17
	s_mul_i32 s0, s2, s16
	s_mul_hi_u32 s1, s2, s20
	s_add_i32 s0, s1, s0
	s_mul_i32 s3, s3, s20
	s_add_i32 s0, s0, s3
	s_mul_i32 s2, s2, s20
	s_mul_hi_u32 s3, s16, s2
	s_mul_i32 s17, s16, s2
	s_mul_i32 s22, s20, s0
	s_mul_hi_u32 s2, s20, s2
	s_mul_hi_u32 s21, s20, s0
	s_add_u32 s2, s2, s22
	s_addc_u32 s21, 0, s21
	s_add_u32 s2, s2, s17
	s_mul_hi_u32 s1, s16, s0
	s_addc_u32 s2, s21, s3
	s_addc_u32 s1, s1, 0
	s_mul_i32 s0, s16, s0
	s_add_u32 s0, s2, s0
	s_addc_u32 s2, 0, s1
	s_add_u32 s3, s20, s0
	s_cselect_b64 s[0:1], -1, 0
	s_cmp_lg_u64 s[0:1], 0
	s_addc_u32 s0, s16, s2
	s_mul_i32 s2, s26, s0
	s_mul_hi_u32 s16, s26, s3
	s_mul_hi_u32 s1, s26, s0
	s_add_u32 s2, s16, s2
	s_addc_u32 s1, 0, s1
	s_mul_hi_u32 s17, s77, s3
	s_mul_i32 s3, s77, s3
	s_add_u32 s2, s2, s3
	s_mul_hi_u32 s16, s77, s0
	s_addc_u32 s1, s1, s17
	s_addc_u32 s2, s16, 0
	s_mul_i32 s0, s77, s0
	s_add_u32 s0, s1, s0
	s_addc_u32 s1, 0, s2
	s_mul_i32 s1, s33, s1
	s_mul_hi_u32 s2, s33, s0
	s_add_i32 s2, s2, s1
	s_mul_i32 s0, s33, s0
	s_sub_u32 s3, s26, s0
	s_cselect_b64 s[0:1], -1, 0
	s_cmp_lg_u64 s[0:1], 0
	s_subb_u32 s2, s77, s2
	s_sub_u32 s16, s3, s33
	s_cselect_b64 s[0:1], -1, 0
	s_cmp_lg_u64 s[0:1], 0
	s_subb_u32 s17, s2, 0
	;; [unrolled: 4-line block ×3, first 2 shown]
	s_cmp_ge_u32 s16, s33
	s_cselect_b32 s1, -1, 0
	s_cmp_eq_u32 s17, 0
	s_cselect_b32 s1, s1, -1
	s_cmp_lg_u32 s1, 0
	s_cselect_b32 s0, s0, s17
	s_cselect_b32 s16, s20, s16
	s_cmp_ge_u32 s3, s33
	s_cselect_b32 s1, -1, 0
	s_cmp_eq_u32 s2, 0
	s_cselect_b32 s1, s1, -1
	s_cmp_lg_u32 s1, 0
	s_cselect_b32 s1, s0, s2
	s_cselect_b32 s0, s16, s3
	s_cbranch_execnz .LBB92_98
.LBB92_97:                              ;   in Loop: Header=BB92_11 Depth=1
	v_cvt_f32_u32_e32 v6, s33
	s_sub_i32 s0, 0, s33
	v_rcp_iflag_f32_e32 v6, v6
	v_mul_f32_e32 v6, 0x4f7ffffe, v6
	v_cvt_u32_f32_e32 v6, v6
	v_readfirstlane_b32 s1, v6
	s_mul_i32 s0, s0, s1
	s_mul_hi_u32 s0, s1, s0
	s_add_i32 s1, s1, s0
	s_mul_hi_u32 s0, s26, s1
	s_mul_i32 s0, s0, s33
	s_sub_i32 s0, s26, s0
	s_sub_i32 s1, s0, s33
	s_cmp_ge_u32 s0, s33
	s_cselect_b32 s0, s1, s0
	s_sub_i32 s1, s0, s33
	s_cmp_ge_u32 s0, s33
	s_cselect_b32 s68, s1, s0
	s_mov_b64 s[0:1], s[68:69]
.LBB92_98:                              ;   in Loop: Header=BB92_11 Depth=1
	s_sub_u32 s2, s26, s0
	s_subb_u32 s3, s77, s1
	v_cmp_gt_u64_e32 vcc, s[2:3], v[0:1]
                                        ; implicit-def: $vgpr24
	s_and_saveexec_b64 s[0:1], vcc
	s_cbranch_execz .LBB92_107
; %bb.99:                               ;   in Loop: Header=BB92_11 Depth=1
	v_mov_b32_e32 v6, v10
	v_mov_b32_e32 v9, v1
	s_mov_b64 s[16:17], 0
	v_mov_b32_e32 v7, v11
	v_mov_b32_e32 v8, v0
                                        ; implicit-def: $sgpr20_sgpr21
	s_branch .LBB92_102
.LBB92_100:                             ;   in Loop: Header=BB92_102 Depth=2
	s_or_b64 exec, exec, s[22:23]
	s_waitcnt lgkmcnt(0)
	s_barrier
	ds_read_b64 v[23:24], v13 offset:3072
	s_mov_b64 s[22:23], -1
	s_mov_b64 s[24:25], -1
	s_waitcnt lgkmcnt(0)
	s_barrier
	v_cmp_ne_u32_e32 vcc, 0, v23
	s_cbranch_vccz .LBB92_105
.LBB92_101:                             ;   in Loop: Header=BB92_102 Depth=2
	s_and_b64 s[22:23], exec, s[22:23]
	s_or_b64 s[16:17], s[22:23], s[16:17]
	s_andn2_b64 s[20:21], s[20:21], exec
	s_and_b64 s[22:23], s[24:25], exec
	s_or_b64 s[20:21], s[20:21], s[22:23]
	s_andn2_b64 exec, exec, s[16:17]
	s_cbranch_execz .LBB92_106
.LBB92_102:                             ;   Parent Loop BB92_11 Depth=1
                                        ; =>  This Inner Loop Header: Depth=2
	v_cmp_gt_u64_e32 vcc, s[52:53], v[8:9]
	s_and_saveexec_b64 s[22:23], vcc
	s_cbranch_execz .LBB92_100
; %bb.103:                              ;   in Loop: Header=BB92_102 Depth=2
	global_load_dword v23, v[6:7], off
	s_waitcnt vmcnt(0)
	v_xor_b32_e32 v12, 0x80000000, v23
	v_and_b32_e32 v12, v12, v42
	v_cmp_eq_u32_e32 vcc, v12, v39
	s_and_b64 exec, exec, vcc
	s_cbranch_execz .LBB92_100
; %bb.104:                              ;   in Loop: Header=BB92_102 Depth=2
	ds_write_b64 v13, v[22:23] offset:3072
	s_branch .LBB92_100
.LBB92_105:                             ;   in Loop: Header=BB92_102 Depth=2
	v_add_co_u32_e32 v8, vcc, s33, v8
	v_addc_co_u32_e32 v9, vcc, 0, v9, vcc
	v_mov_b32_e32 v12, s71
	v_add_co_u32_e32 v6, vcc, s70, v6
	v_addc_co_u32_e32 v7, vcc, v7, v12, vcc
	v_cmp_le_u64_e32 vcc, s[2:3], v[8:9]
	s_mov_b64 s[24:25], 0
	s_orn2_b64 s[22:23], vcc, exec
	s_branch .LBB92_101
.LBB92_106:                             ;   in Loop: Header=BB92_11 Depth=1
	s_or_b64 exec, exec, s[16:17]
	s_andn2_b64 s[2:3], s[8:9], exec
	s_and_b64 s[8:9], s[20:21], exec
	s_or_b64 s[8:9], s[2:3], s[8:9]
.LBB92_107:                             ;   in Loop: Header=BB92_11 Depth=1
	s_or_b64 exec, exec, s[0:1]
	s_mov_b64 s[0:1], 0
	s_mov_b64 s[2:3], -1
.LBB92_108:                             ;   in Loop: Header=BB92_11 Depth=1
	s_orn2_b64 s[8:9], s[8:9], exec
.LBB92_109:                             ;   in Loop: Header=BB92_11 Depth=1
	s_or_b64 exec, exec, s[12:13]
	s_andn2_b64 s[12:13], s[62:63], exec
	s_and_b64 s[2:3], s[2:3], exec
	s_or_b64 s[62:63], s[12:13], s[2:3]
	s_andn2_b64 s[2:3], s[58:59], exec
	s_and_b64 s[0:1], s[0:1], exec
	s_andn2_b64 s[54:55], s[54:55], exec
	s_or_b64 s[58:59], s[2:3], s[0:1]
                                        ; implicit-def: $vgpr6_vgpr7
	s_and_saveexec_b64 s[12:13], s[8:9]
	s_cbranch_execz .LBB92_10
; %bb.110:                              ;   in Loop: Header=BB92_11 Depth=1
	v_mov_b32_e32 v6, 1
	s_xor_b64 s[6:7], s[14:15], -1
	v_mov_b32_e32 v12, 1
	v_mov_b32_e32 v7, 0
	s_mov_b64 s[2:3], 0
	s_and_saveexec_b64 s[0:1], s[6:7]
	s_cbranch_execz .LBB92_119
; %bb.111:                              ;   in Loop: Header=BB92_11 Depth=1
	v_cmp_le_u64_e32 vcc, v[25:26], v[2:3]
	s_and_saveexec_b64 s[2:3], vcc
	s_xor_b64 s[2:3], exec, s[2:3]
	s_cbranch_execz .LBB92_116
; %bb.112:                              ;   in Loop: Header=BB92_11 Depth=1
	ds_read_b64 v[6:7], v13 offset:5120
	v_and_b32_e32 v39, s48, v39
	v_or_b32_e32 v42, s66, v42
	s_waitcnt lgkmcnt(0)
	v_cmp_ne_u64_e32 vcc, 0, v[6:7]
	s_cbranch_vccnz .LBB92_116
; %bb.113:                              ;   in Loop: Header=BB92_11 Depth=1
	s_mov_b64 s[6:7], exec
	v_readlane_b32 s8, v55, 0
	v_readlane_b32 s9, v55, 1
	s_and_b64 s[8:9], s[6:7], s[8:9]
	s_mov_b64 exec, s[8:9]
; %bb.114:                              ;   in Loop: Header=BB92_11 Depth=1
	ds_write_b64 v13, v[2:3] offset:5128
; %bb.115:                              ;   in Loop: Header=BB92_11 Depth=1
	s_or_b64 exec, exec, s[6:7]
	s_waitcnt lgkmcnt(0)
	s_barrier
.LBB92_116:                             ;   in Loop: Header=BB92_11 Depth=1
	s_or_saveexec_b64 s[2:3], s[2:3]
	s_mov_b64 s[6:7], 0
	v_mov_b32_e32 v12, 8
	s_xor_b64 exec, exec, s[2:3]
; %bb.117:                              ;   in Loop: Header=BB92_11 Depth=1
	v_sub_co_u32_e32 v25, vcc, v25, v2
	s_mov_b64 s[6:7], exec
	v_subb_co_u32_e32 v26, vcc, v26, v3, vcc
	v_mov_b32_e32 v12, 0
; %bb.118:                              ;   in Loop: Header=BB92_11 Depth=1
	s_or_b64 exec, exec, s[2:3]
	v_mov_b32_e32 v6, v25
	s_and_b64 s[2:3], s[6:7], exec
	v_mov_b32_e32 v7, v26
.LBB92_119:                             ;   in Loop: Header=BB92_11 Depth=1
	s_or_b64 exec, exec, s[0:1]
	s_mov_b64 s[14:15], -1
	s_mov_b64 s[0:1], -1
                                        ; implicit-def: $sgpr6_sgpr7
                                        ; implicit-def: $sgpr20_sgpr21
	s_and_saveexec_b64 s[8:9], s[2:3]
	s_xor_b64 s[16:17], exec, s[8:9]
	s_cbranch_execz .LBB92_264
; %bb.120:                              ;   in Loop: Header=BB92_11 Depth=1
	v_cmp_eq_u64_e32 vcc, 1, v[4:5]
	v_cmp_eq_u64_e64 s[6:7], 1, v[6:7]
                                        ; implicit-def: $sgpr20_sgpr21
	s_and_b64 s[24:25], vcc, s[6:7]
                                        ; implicit-def: $sgpr6_sgpr7
	s_and_saveexec_b64 s[22:23], s[24:25]
	s_cbranch_execz .LBB92_157
; %bb.121:                              ;   in Loop: Header=BB92_11 Depth=1
	ds_read_b64 v[2:3], v13 offset:5120
	s_waitcnt lgkmcnt(0)
	s_barrier
	v_readfirstlane_b32 s2, v2
	v_readfirstlane_b32 s3, v3
	s_mov_b64 s[0:1], exec
	v_readlane_b32 s6, v55, 14
	v_readlane_b32 s7, v55, 15
	s_and_b64 s[6:7], s[0:1], s[6:7]
	s_mov_b64 exec, s[6:7]
; %bb.122:                              ;   in Loop: Header=BB92_11 Depth=1
	ds_write_b32 v30, v13
; %bb.123:                              ;   in Loop: Header=BB92_11 Depth=1
	s_or_b64 exec, exec, s[0:1]
	v_and_b32_e32 v2, s48, v39
	v_lshl_or_b32 v39, 1, s73, v2
	v_or_b32_e32 v42, s66, v42
	s_mov_b64 s[6:7], -1
	s_mov_b64 s[20:21], 0
	s_cmp_eq_u64 s[2:3], 0
	s_mov_b64 s[0:1], 0
	s_mov_b64 s[8:9], -1
	s_waitcnt lgkmcnt(0)
	s_barrier
                                        ; implicit-def: $vgpr24
	s_cbranch_scc1 .LBB92_142
; %bb.124:                              ;   in Loop: Header=BB92_11 Depth=1
	v_readlane_b32 s0, v55, 20
	s_add_u32 s30, s2, s0
	v_readlane_b32 s0, v55, 21
	s_addc_u32 s1, s3, s0
	s_mov_b32 s0, s69
	s_cmp_lg_u64 s[0:1], 0
	s_cbranch_scc0 .LBB92_184
; %bb.125:                              ;   in Loop: Header=BB92_11 Depth=1
	v_cvt_f32_u32_e32 v2, s33
	s_sub_u32 s0, 0, s33
	s_subb_u32 s28, 0, 0
	v_mac_f32_e32 v2, 0, v40
	v_rcp_f32_e32 v2, v2
	v_mul_f32_e32 v2, 0x5f7ffffc, v2
	v_mul_f32_e32 v3, 0x2f800000, v2
	v_trunc_f32_e32 v3, v3
	v_mac_f32_e32 v2, 0xcf800000, v3
	v_cvt_u32_f32_e32 v3, v3
	v_cvt_u32_f32_e32 v2, v2
	v_readfirstlane_b32 s29, v3
	v_readfirstlane_b32 s8, v2
	s_mul_i32 s9, s0, s29
	s_mul_hi_u32 s34, s0, s8
	s_mul_i32 s31, s28, s8
	s_add_i32 s9, s34, s9
	s_mul_i32 s35, s0, s8
	s_add_i32 s9, s9, s31
	s_mul_hi_u32 s34, s8, s35
	s_mul_i32 s36, s8, s9
	s_mul_hi_u32 s31, s8, s9
	s_add_u32 s34, s34, s36
	s_addc_u32 s31, 0, s31
	s_mul_hi_u32 s37, s29, s35
	s_mul_i32 s35, s29, s35
	s_add_u32 s34, s34, s35
	s_mul_hi_u32 s36, s29, s9
	s_addc_u32 s31, s31, s37
	s_addc_u32 s34, s36, 0
	s_mul_i32 s9, s29, s9
	s_add_u32 s9, s31, s9
	s_addc_u32 s31, 0, s34
	s_add_u32 s34, s8, s9
	s_cselect_b64 s[8:9], -1, 0
	s_cmp_lg_u64 s[8:9], 0
	s_addc_u32 s29, s29, s31
	s_mul_i32 s8, s0, s29
	s_mul_hi_u32 s9, s0, s34
	s_add_i32 s8, s9, s8
	s_mul_i32 s28, s28, s34
	s_add_i32 s8, s8, s28
	s_mul_i32 s0, s0, s34
	s_mul_hi_u32 s28, s29, s0
	s_mul_i32 s31, s29, s0
	s_mul_i32 s36, s34, s8
	s_mul_hi_u32 s0, s34, s0
	s_mul_hi_u32 s35, s34, s8
	s_add_u32 s0, s0, s36
	s_addc_u32 s35, 0, s35
	s_add_u32 s0, s0, s31
	s_mul_hi_u32 s9, s29, s8
	s_addc_u32 s0, s35, s28
	s_addc_u32 s9, s9, 0
	s_mul_i32 s8, s29, s8
	s_add_u32 s0, s0, s8
	s_addc_u32 s28, 0, s9
	s_add_u32 s0, s34, s0
	s_cselect_b64 s[8:9], -1, 0
	s_cmp_lg_u64 s[8:9], 0
	s_addc_u32 s8, s29, s28
	s_mul_i32 s28, s30, s8
	s_mul_hi_u32 s29, s30, s0
	s_mul_hi_u32 s9, s30, s8
	s_add_u32 s28, s29, s28
	s_addc_u32 s9, 0, s9
	s_mul_hi_u32 s31, s1, s0
	s_mul_i32 s0, s1, s0
	s_add_u32 s0, s28, s0
	s_mul_hi_u32 s29, s1, s8
	s_addc_u32 s0, s9, s31
	s_addc_u32 s9, s29, 0
	s_mul_i32 s8, s1, s8
	s_add_u32 s0, s0, s8
	s_addc_u32 s8, 0, s9
	s_mul_i32 s8, s33, s8
	s_mul_hi_u32 s9, s33, s0
	s_add_i32 s28, s9, s8
	s_mul_i32 s0, s33, s0
	s_sub_u32 s0, s30, s0
	s_cselect_b64 s[8:9], -1, 0
	s_cmp_lg_u64 s[8:9], 0
	s_subb_u32 s28, s1, s28
	s_sub_u32 s29, s0, s33
	s_cselect_b64 s[8:9], -1, 0
	s_cmp_lg_u64 s[8:9], 0
	s_subb_u32 s31, s28, 0
	;; [unrolled: 4-line block ×3, first 2 shown]
	s_cmp_ge_u32 s29, s33
	s_cselect_b32 s9, -1, 0
	s_cmp_eq_u32 s31, 0
	s_cselect_b32 s9, s9, -1
	s_cmp_lg_u32 s9, 0
	s_cselect_b32 s8, s8, s31
	s_cselect_b32 s29, s34, s29
	s_cmp_ge_u32 s0, s33
	s_cselect_b32 s9, -1, 0
	s_cmp_eq_u32 s28, 0
	s_cselect_b32 s9, s9, -1
	s_cmp_lg_u32 s9, 0
	s_cselect_b32 s9, s8, s28
	s_cselect_b32 s8, s29, s0
	s_cbranch_execnz .LBB92_127
.LBB92_126:                             ;   in Loop: Header=BB92_11 Depth=1
	v_cvt_f32_u32_e32 v2, s33
	s_sub_i32 s0, 0, s33
	v_rcp_iflag_f32_e32 v2, v2
	v_mul_f32_e32 v2, 0x4f7ffffe, v2
	v_cvt_u32_f32_e32 v2, v2
	v_readfirstlane_b32 s8, v2
	s_mul_i32 s0, s0, s8
	s_mul_hi_u32 s0, s8, s0
	s_add_i32 s8, s8, s0
	s_mul_hi_u32 s0, s30, s8
	s_mul_i32 s0, s0, s33
	s_sub_i32 s0, s30, s0
	s_sub_i32 s8, s0, s33
	s_cmp_ge_u32 s0, s33
	s_cselect_b32 s0, s8, s0
	s_sub_i32 s8, s0, s33
	s_cmp_ge_u32 s0, s33
	s_cselect_b32 s68, s8, s0
	s_mov_b64 s[8:9], s[68:69]
.LBB92_127:                             ;   in Loop: Header=BB92_11 Depth=1
	s_sub_u32 s30, s30, s8
	s_subb_u32 s31, s1, s9
	v_cmp_gt_u64_e32 vcc, s[30:31], v[0:1]
	s_mov_b64 s[8:9], 0
	s_mov_b64 s[0:1], 0
                                        ; implicit-def: $vgpr24
	s_and_saveexec_b64 s[28:29], vcc
	s_cbranch_execz .LBB92_141
; %bb.128:                              ;   in Loop: Header=BB92_11 Depth=1
	v_mov_b32_e32 v3, v1
	v_mov_b32_e32 v8, v14
	;; [unrolled: 1-line block ×3, first 2 shown]
                                        ; implicit-def: $sgpr34_sgpr35
	s_branch .LBB92_131
.LBB92_129:                             ;   in Loop: Header=BB92_131 Depth=2
	s_or_b64 exec, exec, s[36:37]
	s_waitcnt lgkmcnt(0)
	s_barrier
	ds_read_b64 v[23:24], v13 offset:3072
	s_mov_b64 s[36:37], -1
	s_mov_b64 s[38:39], -1
	s_waitcnt lgkmcnt(0)
	s_barrier
	v_cmp_ne_u32_e32 vcc, 0, v23
	s_cbranch_vccz .LBB92_134
.LBB92_130:                             ;   in Loop: Header=BB92_131 Depth=2
	s_and_b64 s[36:37], exec, s[36:37]
	s_or_b64 s[0:1], s[36:37], s[0:1]
	s_andn2_b64 s[34:35], s[34:35], exec
	s_and_b64 s[36:37], s[38:39], exec
	s_or_b64 s[34:35], s[34:35], s[36:37]
	s_andn2_b64 exec, exec, s[0:1]
	s_cbranch_execz .LBB92_140
.LBB92_131:                             ;   Parent Loop BB92_11 Depth=1
                                        ; =>  This Inner Loop Header: Depth=2
	v_cmp_gt_u64_e32 vcc, s[2:3], v[2:3]
	s_and_saveexec_b64 s[36:37], vcc
	s_cbranch_execz .LBB92_129
; %bb.132:                              ;   in Loop: Header=BB92_131 Depth=2
	ds_read_b32 v23, v8
	s_waitcnt lgkmcnt(0)
	v_xor_b32_e32 v9, 0x80000000, v23
	v_and_b32_e32 v9, v9, v42
	v_cmp_eq_u32_e32 vcc, v9, v39
	s_and_b64 exec, exec, vcc
	s_cbranch_execz .LBB92_129
; %bb.133:                              ;   in Loop: Header=BB92_131 Depth=2
	ds_write_b64 v13, v[22:23] offset:3072
	s_branch .LBB92_129
.LBB92_134:                             ;   in Loop: Header=BB92_131 Depth=2
	v_add_co_u32_e32 v2, vcc, s33, v2
	v_addc_co_u32_e32 v3, vcc, 0, v3, vcc
	v_cmp_le_u64_e32 vcc, s[30:31], v[2:3]
	v_add_u32_e32 v8, s72, v8
	s_mov_b64 s[38:39], 0
	s_orn2_b64 s[36:37], vcc, exec
	s_branch .LBB92_130
.LBB92_135:                             ;   in Loop: Header=BB92_11 Depth=1
                                        ; implicit-def: $sgpr20_sgpr21
	s_branch .LBB92_83
.LBB92_136:                             ;   in Loop: Header=BB92_11 Depth=1
	s_or_b64 exec, exec, s[2:3]
	s_waitcnt lgkmcnt(0)
	s_barrier
	s_mov_b64 s[2:3], exec
	v_readlane_b32 s6, v55, 0
	v_readlane_b32 s7, v55, 1
	s_and_b64 s[6:7], s[2:3], s[6:7]
	s_mov_b64 exec, s[6:7]
	s_cbranch_execz .LBB92_138
; %bb.137:                              ;   in Loop: Header=BB92_11 Depth=1
	ds_read_b32 v2, v13 offset:5144
	s_waitcnt lgkmcnt(0)
	v_ashrrev_i32_e32 v3, 31, v2
	ds_write_b64 v13, v[2:3] offset:5120
.LBB92_138:                             ;   in Loop: Header=BB92_11 Depth=1
	s_or_b64 exec, exec, s[2:3]
	s_waitcnt lgkmcnt(0)
	s_barrier
	s_mov_b64 s[2:3], -1
	s_and_b64 vcc, exec, s[0:1]
	s_cbranch_vccnz .LBB92_27
	s_branch .LBB92_36
.LBB92_139:                             ;   in Loop: Header=BB92_11 Depth=1
                                        ; implicit-def: $sgpr0_sgpr1
	s_branch .LBB92_97
.LBB92_140:                             ;   in Loop: Header=BB92_11 Depth=1
	s_or_b64 exec, exec, s[0:1]
	s_and_b64 s[0:1], s[34:35], exec
.LBB92_141:                             ;   in Loop: Header=BB92_11 Depth=1
	s_or_b64 exec, exec, s[28:29]
.LBB92_142:                             ;   in Loop: Header=BB92_11 Depth=1
	s_and_b64 vcc, exec, s[8:9]
	s_cbranch_vccz .LBB92_156
; %bb.143:                              ;   in Loop: Header=BB92_11 Depth=1
	s_mov_b32 s76, s69
	s_cmp_lg_u64 s[76:77], 0
	s_cbranch_scc0 .LBB92_185
; %bb.144:                              ;   in Loop: Header=BB92_11 Depth=1
	v_cvt_f32_u32_e32 v2, s33
	s_sub_u32 s6, 0, s33
	s_subb_u32 s7, 0, 0
	v_mac_f32_e32 v2, 0, v40
	v_rcp_f32_e32 v2, v2
	v_mul_f32_e32 v2, 0x5f7ffffc, v2
	v_mul_f32_e32 v3, 0x2f800000, v2
	v_trunc_f32_e32 v3, v3
	v_mac_f32_e32 v2, 0xcf800000, v3
	v_cvt_u32_f32_e32 v3, v3
	v_cvt_u32_f32_e32 v2, v2
	v_readfirstlane_b32 s8, v3
	v_readfirstlane_b32 s2, v2
	s_mul_i32 s3, s6, s8
	s_mul_hi_u32 s20, s6, s2
	s_mul_i32 s9, s7, s2
	s_add_i32 s3, s20, s3
	s_mul_i32 s21, s6, s2
	s_add_i32 s3, s3, s9
	s_mul_hi_u32 s20, s2, s21
	s_mul_i32 s28, s2, s3
	s_mul_hi_u32 s9, s2, s3
	s_add_u32 s20, s20, s28
	s_addc_u32 s9, 0, s9
	s_mul_hi_u32 s29, s8, s21
	s_mul_i32 s21, s8, s21
	s_add_u32 s20, s20, s21
	s_mul_hi_u32 s28, s8, s3
	s_addc_u32 s9, s9, s29
	s_addc_u32 s20, s28, 0
	s_mul_i32 s3, s8, s3
	s_add_u32 s3, s9, s3
	s_addc_u32 s9, 0, s20
	s_add_u32 s20, s2, s3
	s_cselect_b64 s[2:3], -1, 0
	s_cmp_lg_u64 s[2:3], 0
	s_addc_u32 s8, s8, s9
	s_mul_i32 s2, s6, s8
	s_mul_hi_u32 s3, s6, s20
	s_add_i32 s2, s3, s2
	s_mul_i32 s7, s7, s20
	s_add_i32 s2, s2, s7
	s_mul_i32 s6, s6, s20
	s_mul_hi_u32 s7, s8, s6
	s_mul_i32 s9, s8, s6
	s_mul_i32 s28, s20, s2
	s_mul_hi_u32 s6, s20, s6
	s_mul_hi_u32 s21, s20, s2
	s_add_u32 s6, s6, s28
	s_addc_u32 s21, 0, s21
	s_add_u32 s6, s6, s9
	s_mul_hi_u32 s3, s8, s2
	s_addc_u32 s6, s21, s7
	s_addc_u32 s3, s3, 0
	s_mul_i32 s2, s8, s2
	s_add_u32 s2, s6, s2
	s_addc_u32 s6, 0, s3
	s_add_u32 s7, s20, s2
	s_cselect_b64 s[2:3], -1, 0
	s_cmp_lg_u64 s[2:3], 0
	s_addc_u32 s2, s8, s6
	s_mul_i32 s6, s26, s2
	s_mul_hi_u32 s8, s26, s7
	s_mul_hi_u32 s3, s26, s2
	s_add_u32 s6, s8, s6
	s_addc_u32 s3, 0, s3
	s_mul_hi_u32 s9, s77, s7
	s_mul_i32 s7, s77, s7
	s_add_u32 s6, s6, s7
	s_mul_hi_u32 s8, s77, s2
	s_addc_u32 s3, s3, s9
	s_addc_u32 s6, s8, 0
	s_mul_i32 s2, s77, s2
	s_add_u32 s2, s3, s2
	s_addc_u32 s3, 0, s6
	s_mul_i32 s3, s33, s3
	s_mul_hi_u32 s6, s33, s2
	s_add_i32 s6, s6, s3
	s_mul_i32 s2, s33, s2
	s_sub_u32 s7, s26, s2
	s_cselect_b64 s[2:3], -1, 0
	s_cmp_lg_u64 s[2:3], 0
	s_subb_u32 s6, s77, s6
	s_sub_u32 s8, s7, s33
	s_cselect_b64 s[2:3], -1, 0
	s_cmp_lg_u64 s[2:3], 0
	s_subb_u32 s9, s6, 0
	;; [unrolled: 4-line block ×3, first 2 shown]
	s_cmp_ge_u32 s8, s33
	s_cselect_b32 s3, -1, 0
	s_cmp_eq_u32 s9, 0
	s_cselect_b32 s3, s3, -1
	s_cmp_lg_u32 s3, 0
	s_cselect_b32 s2, s2, s9
	s_cselect_b32 s8, s20, s8
	s_cmp_ge_u32 s7, s33
	s_cselect_b32 s3, -1, 0
	s_cmp_eq_u32 s6, 0
	s_cselect_b32 s3, s3, -1
	s_cmp_lg_u32 s3, 0
	s_cselect_b32 s3, s2, s6
	s_cselect_b32 s2, s8, s7
	s_cbranch_execnz .LBB92_146
.LBB92_145:                             ;   in Loop: Header=BB92_11 Depth=1
	v_cvt_f32_u32_e32 v2, s33
	s_sub_i32 s2, 0, s33
	v_rcp_iflag_f32_e32 v2, v2
	v_mul_f32_e32 v2, 0x4f7ffffe, v2
	v_cvt_u32_f32_e32 v2, v2
	v_readfirstlane_b32 s3, v2
	s_mul_i32 s2, s2, s3
	s_mul_hi_u32 s2, s3, s2
	s_add_i32 s3, s3, s2
	s_mul_hi_u32 s2, s26, s3
	s_mul_i32 s2, s2, s33
	s_sub_i32 s2, s26, s2
	s_sub_i32 s3, s2, s33
	s_cmp_ge_u32 s2, s33
	s_cselect_b32 s2, s3, s2
	s_sub_i32 s3, s2, s33
	s_cmp_ge_u32 s2, s33
	s_cselect_b32 s68, s3, s2
	s_mov_b64 s[2:3], s[68:69]
.LBB92_146:                             ;   in Loop: Header=BB92_11 Depth=1
	s_sub_u32 s6, s26, s2
	s_subb_u32 s7, s77, s3
	v_cmp_gt_u64_e32 vcc, s[6:7], v[0:1]
                                        ; implicit-def: $vgpr24
	s_and_saveexec_b64 s[2:3], vcc
	s_cbranch_execz .LBB92_155
; %bb.147:                              ;   in Loop: Header=BB92_11 Depth=1
	v_mov_b32_e32 v2, v10
	v_mov_b32_e32 v9, v1
	s_mov_b64 s[8:9], 0
	v_mov_b32_e32 v3, v11
	v_mov_b32_e32 v8, v0
                                        ; implicit-def: $sgpr20_sgpr21
	s_branch .LBB92_150
.LBB92_148:                             ;   in Loop: Header=BB92_150 Depth=2
	s_or_b64 exec, exec, s[28:29]
	s_waitcnt lgkmcnt(0)
	s_barrier
	ds_read_b64 v[23:24], v13 offset:3072
	s_mov_b64 s[28:29], -1
	s_mov_b64 s[30:31], -1
	s_waitcnt lgkmcnt(0)
	s_barrier
	v_cmp_eq_u32_e32 vcc, 0, v23
	s_cbranch_vccnz .LBB92_153
.LBB92_149:                             ;   in Loop: Header=BB92_150 Depth=2
	s_and_b64 s[28:29], exec, s[28:29]
	s_or_b64 s[8:9], s[28:29], s[8:9]
	s_andn2_b64 s[20:21], s[20:21], exec
	s_and_b64 s[28:29], s[30:31], exec
	s_or_b64 s[20:21], s[20:21], s[28:29]
	s_andn2_b64 exec, exec, s[8:9]
	s_cbranch_execz .LBB92_154
.LBB92_150:                             ;   Parent Loop BB92_11 Depth=1
                                        ; =>  This Inner Loop Header: Depth=2
	v_cmp_gt_u64_e32 vcc, s[52:53], v[8:9]
	s_and_saveexec_b64 s[28:29], vcc
	s_cbranch_execz .LBB92_148
; %bb.151:                              ;   in Loop: Header=BB92_150 Depth=2
	global_load_dword v23, v[2:3], off
	s_waitcnt vmcnt(0)
	v_xor_b32_e32 v24, 0x80000000, v23
	v_and_b32_e32 v24, v24, v42
	v_cmp_eq_u32_e32 vcc, v24, v39
	s_and_b64 exec, exec, vcc
	s_cbranch_execz .LBB92_148
; %bb.152:                              ;   in Loop: Header=BB92_150 Depth=2
	ds_write_b64 v13, v[22:23] offset:3072
	s_branch .LBB92_148
.LBB92_153:                             ;   in Loop: Header=BB92_150 Depth=2
	v_add_co_u32_e32 v8, vcc, s33, v8
	v_addc_co_u32_e32 v9, vcc, 0, v9, vcc
	v_mov_b32_e32 v23, s71
	v_add_co_u32_e32 v2, vcc, s70, v2
	v_addc_co_u32_e32 v3, vcc, v3, v23, vcc
	v_cmp_le_u64_e32 vcc, s[6:7], v[8:9]
	s_mov_b64 s[30:31], 0
	s_orn2_b64 s[28:29], vcc, exec
	s_branch .LBB92_149
.LBB92_154:                             ;   in Loop: Header=BB92_11 Depth=1
	s_or_b64 exec, exec, s[8:9]
	s_andn2_b64 s[0:1], s[0:1], exec
	s_and_b64 s[6:7], s[20:21], exec
	s_or_b64 s[0:1], s[0:1], s[6:7]
.LBB92_155:                             ;   in Loop: Header=BB92_11 Depth=1
	s_or_b64 exec, exec, s[2:3]
	s_mov_b64 s[6:7], 0
	s_mov_b64 s[20:21], -1
.LBB92_156:                             ;   in Loop: Header=BB92_11 Depth=1
	s_orn2_b64 s[0:1], s[0:1], exec
.LBB92_157:                             ;   in Loop: Header=BB92_11 Depth=1
	s_or_b64 exec, exec, s[22:23]
	s_mov_b64 s[2:3], 0
	s_and_saveexec_b64 s[22:23], s[0:1]
	s_cbranch_execz .LBB92_263
; %bb.158:                              ;   in Loop: Header=BB92_11 Depth=1
	v_mov_b32_e32 v2, 1
	s_xor_b64 s[8:9], s[24:25], -1
	v_mov_b32_e32 v12, 1
	v_mov_b32_e32 v3, 0
	s_and_saveexec_b64 s[0:1], s[8:9]
	s_cbranch_execz .LBB92_168
; %bb.159:                              ;   in Loop: Header=BB92_11 Depth=1
	v_cmp_le_u64_e32 vcc, v[6:7], v[4:5]
	s_and_saveexec_b64 s[2:3], vcc
	s_xor_b64 s[2:3], exec, s[2:3]
	s_cbranch_execz .LBB92_165
; %bb.160:                              ;   in Loop: Header=BB92_11 Depth=1
	ds_read_b64 v[2:3], v13 offset:5120
	v_and_b32_e32 v8, s48, v39
	v_lshl_or_b32 v39, 1, s73, v8
	v_or_b32_e32 v42, s66, v42
	s_waitcnt lgkmcnt(0)
	v_cmp_ne_u64_e32 vcc, 0, v[2:3]
	s_cbranch_vccnz .LBB92_164
; %bb.161:                              ;   in Loop: Header=BB92_11 Depth=1
	s_mov_b64 s[8:9], exec
	v_readlane_b32 s24, v55, 0
	v_readlane_b32 s25, v55, 1
	s_and_b64 s[24:25], s[8:9], s[24:25]
	s_mov_b64 exec, s[24:25]
; %bb.162:                              ;   in Loop: Header=BB92_11 Depth=1
	ds_write_b64 v13, v[4:5] offset:5128
; %bb.163:                              ;   in Loop: Header=BB92_11 Depth=1
	s_or_b64 exec, exec, s[8:9]
	s_waitcnt lgkmcnt(0)
	s_barrier
.LBB92_164:                             ;   in Loop: Header=BB92_11 Depth=1
                                        ; implicit-def: $vgpr2_vgpr3_vgpr4_vgpr5
.LBB92_165:                             ;   in Loop: Header=BB92_11 Depth=1
	s_or_saveexec_b64 s[2:3], s[2:3]
	s_mov_b64 s[8:9], 0
	v_mov_b32_e32 v12, 8
	s_xor_b64 exec, exec, s[2:3]
; %bb.166:                              ;   in Loop: Header=BB92_11 Depth=1
	v_sub_co_u32_e32 v6, vcc, v6, v4
	s_mov_b64 s[8:9], exec
	v_subb_co_u32_e32 v7, vcc, v7, v5, vcc
	v_mov_b32_e32 v12, 0
; %bb.167:                              ;   in Loop: Header=BB92_11 Depth=1
	s_or_b64 exec, exec, s[2:3]
	v_mov_b32_e32 v2, v6
	s_and_b64 s[2:3], s[8:9], exec
	v_mov_b32_e32 v3, v7
.LBB92_168:                             ;   in Loop: Header=BB92_11 Depth=1
	s_or_b64 exec, exec, s[0:1]
	s_mov_b64 s[0:1], -1
                                        ; implicit-def: $sgpr28_sgpr29
                                        ; implicit-def: $sgpr30_sgpr31
	s_and_saveexec_b64 s[24:25], s[2:3]
	s_cbranch_execz .LBB92_262
; %bb.169:                              ;   in Loop: Header=BB92_11 Depth=1
	s_cmp_eq_u64 s[18:19], 1
	v_cmp_eq_u64_e32 vcc, 1, v[2:3]
	s_cselect_b64 s[0:1], -1, 0
	s_and_b64 s[36:37], s[0:1], vcc
	s_mov_b64 s[0:1], -1
                                        ; implicit-def: $sgpr30_sgpr31
                                        ; implicit-def: $sgpr28_sgpr29
	s_and_saveexec_b64 s[34:35], s[36:37]
	s_cbranch_execz .LBB92_203
; %bb.170:                              ;   in Loop: Header=BB92_11 Depth=1
	ds_read_b64 v[4:5], v13 offset:5120
	s_waitcnt lgkmcnt(0)
	s_barrier
	v_readfirstlane_b32 s2, v4
	v_readfirstlane_b32 s3, v5
	s_mov_b64 s[0:1], exec
	v_readlane_b32 s8, v55, 14
	v_readlane_b32 s9, v55, 15
	s_and_b64 s[8:9], s[0:1], s[8:9]
	s_mov_b64 exec, s[8:9]
; %bb.171:                              ;   in Loop: Header=BB92_11 Depth=1
	ds_write_b32 v30, v13
; %bb.172:                              ;   in Loop: Header=BB92_11 Depth=1
	s_or_b64 exec, exec, s[0:1]
	v_and_b32_e32 v4, s48, v39
	v_lshl_or_b32 v39, 2, s73, v4
	v_or_b32_e32 v42, s66, v42
	s_mov_b64 s[28:29], -1
	s_mov_b64 s[30:31], 0
	s_cmp_eq_u64 s[2:3], 0
	s_mov_b64 s[0:1], 0
	s_mov_b64 s[8:9], -1
	s_waitcnt lgkmcnt(0)
	s_barrier
                                        ; implicit-def: $vgpr24
	s_cbranch_scc1 .LBB92_188
; %bb.173:                              ;   in Loop: Header=BB92_11 Depth=1
	v_readlane_b32 s0, v55, 20
	s_add_u32 s40, s2, s0
	v_readlane_b32 s0, v55, 21
	s_addc_u32 s1, s3, s0
	s_mov_b32 s0, s69
	s_cmp_lg_u64 s[0:1], 0
	s_cbranch_scc0 .LBB92_229
; %bb.174:                              ;   in Loop: Header=BB92_11 Depth=1
	v_cvt_f32_u32_e32 v4, s33
	s_sub_u32 s0, 0, s33
	s_subb_u32 s38, 0, 0
	v_mac_f32_e32 v4, 0, v40
	v_rcp_f32_e32 v4, v4
	v_mul_f32_e32 v4, 0x5f7ffffc, v4
	v_mul_f32_e32 v5, 0x2f800000, v4
	v_trunc_f32_e32 v5, v5
	v_mac_f32_e32 v4, 0xcf800000, v5
	v_cvt_u32_f32_e32 v5, v5
	v_cvt_u32_f32_e32 v4, v4
	v_readfirstlane_b32 s39, v5
	v_readfirstlane_b32 s8, v4
	s_mul_i32 s9, s0, s39
	s_mul_hi_u32 s42, s0, s8
	s_mul_i32 s41, s38, s8
	s_add_i32 s9, s42, s9
	s_mul_i32 s43, s0, s8
	s_add_i32 s9, s9, s41
	s_mul_hi_u32 s42, s8, s43
	s_mul_i32 s44, s8, s9
	s_mul_hi_u32 s41, s8, s9
	s_add_u32 s42, s42, s44
	s_addc_u32 s41, 0, s41
	s_mul_hi_u32 s45, s39, s43
	s_mul_i32 s43, s39, s43
	s_add_u32 s42, s42, s43
	s_mul_hi_u32 s44, s39, s9
	s_addc_u32 s41, s41, s45
	s_addc_u32 s42, s44, 0
	s_mul_i32 s9, s39, s9
	s_add_u32 s9, s41, s9
	s_addc_u32 s41, 0, s42
	s_add_u32 s42, s8, s9
	s_cselect_b64 s[8:9], -1, 0
	s_cmp_lg_u64 s[8:9], 0
	s_addc_u32 s39, s39, s41
	s_mul_i32 s8, s0, s39
	s_mul_hi_u32 s9, s0, s42
	s_add_i32 s8, s9, s8
	s_mul_i32 s38, s38, s42
	s_add_i32 s8, s8, s38
	s_mul_i32 s0, s0, s42
	s_mul_hi_u32 s38, s39, s0
	s_mul_i32 s41, s39, s0
	s_mul_i32 s44, s42, s8
	s_mul_hi_u32 s0, s42, s0
	s_mul_hi_u32 s43, s42, s8
	s_add_u32 s0, s0, s44
	s_addc_u32 s43, 0, s43
	s_add_u32 s0, s0, s41
	s_mul_hi_u32 s9, s39, s8
	s_addc_u32 s0, s43, s38
	s_addc_u32 s9, s9, 0
	s_mul_i32 s8, s39, s8
	s_add_u32 s0, s0, s8
	s_addc_u32 s38, 0, s9
	s_add_u32 s0, s42, s0
	s_cselect_b64 s[8:9], -1, 0
	s_cmp_lg_u64 s[8:9], 0
	s_addc_u32 s8, s39, s38
	s_mul_i32 s38, s40, s8
	s_mul_hi_u32 s39, s40, s0
	s_mul_hi_u32 s9, s40, s8
	s_add_u32 s38, s39, s38
	s_addc_u32 s9, 0, s9
	s_mul_hi_u32 s41, s1, s0
	s_mul_i32 s0, s1, s0
	s_add_u32 s0, s38, s0
	s_mul_hi_u32 s39, s1, s8
	s_addc_u32 s0, s9, s41
	s_addc_u32 s9, s39, 0
	s_mul_i32 s8, s1, s8
	s_add_u32 s0, s0, s8
	s_addc_u32 s8, 0, s9
	s_mul_i32 s8, s33, s8
	s_mul_hi_u32 s9, s33, s0
	s_add_i32 s38, s9, s8
	s_mul_i32 s0, s33, s0
	s_sub_u32 s0, s40, s0
	s_cselect_b64 s[8:9], -1, 0
	s_cmp_lg_u64 s[8:9], 0
	s_subb_u32 s38, s1, s38
	s_sub_u32 s39, s0, s33
	s_cselect_b64 s[8:9], -1, 0
	s_cmp_lg_u64 s[8:9], 0
	s_subb_u32 s41, s38, 0
	;; [unrolled: 4-line block ×3, first 2 shown]
	s_cmp_ge_u32 s39, s33
	s_cselect_b32 s9, -1, 0
	s_cmp_eq_u32 s41, 0
	s_cselect_b32 s9, s9, -1
	s_cmp_lg_u32 s9, 0
	s_cselect_b32 s8, s8, s41
	s_cselect_b32 s39, s42, s39
	s_cmp_ge_u32 s0, s33
	s_cselect_b32 s9, -1, 0
	s_cmp_eq_u32 s38, 0
	s_cselect_b32 s9, s9, -1
	s_cmp_lg_u32 s9, 0
	s_cselect_b32 s9, s8, s38
	s_cselect_b32 s8, s39, s0
	s_cbranch_execnz .LBB92_176
.LBB92_175:                             ;   in Loop: Header=BB92_11 Depth=1
	v_cvt_f32_u32_e32 v4, s33
	s_sub_i32 s0, 0, s33
	v_rcp_iflag_f32_e32 v4, v4
	v_mul_f32_e32 v4, 0x4f7ffffe, v4
	v_cvt_u32_f32_e32 v4, v4
	v_readfirstlane_b32 s8, v4
	s_mul_i32 s0, s0, s8
	s_mul_hi_u32 s0, s8, s0
	s_add_i32 s8, s8, s0
	s_mul_hi_u32 s0, s40, s8
	s_mul_i32 s0, s0, s33
	s_sub_i32 s0, s40, s0
	s_sub_i32 s8, s0, s33
	s_cmp_ge_u32 s0, s33
	s_cselect_b32 s0, s8, s0
	s_sub_i32 s8, s0, s33
	s_cmp_ge_u32 s0, s33
	s_cselect_b32 s68, s8, s0
	s_mov_b64 s[8:9], s[68:69]
.LBB92_176:                             ;   in Loop: Header=BB92_11 Depth=1
	s_sub_u32 s40, s40, s8
	s_subb_u32 s41, s1, s9
	v_cmp_gt_u64_e32 vcc, s[40:41], v[0:1]
	s_mov_b64 s[8:9], 0
	s_mov_b64 s[0:1], 0
                                        ; implicit-def: $vgpr24
	s_and_saveexec_b64 s[38:39], vcc
	s_cbranch_execz .LBB92_187
; %bb.177:                              ;   in Loop: Header=BB92_11 Depth=1
	v_mov_b32_e32 v5, v1
	v_mov_b32_e32 v6, v14
	;; [unrolled: 1-line block ×3, first 2 shown]
                                        ; implicit-def: $sgpr42_sgpr43
	s_branch .LBB92_180
.LBB92_178:                             ;   in Loop: Header=BB92_180 Depth=2
	s_or_b64 exec, exec, s[44:45]
	s_waitcnt lgkmcnt(0)
	s_barrier
	ds_read_b64 v[23:24], v13 offset:3072
	s_mov_b64 s[44:45], -1
	s_mov_b64 s[46:47], -1
	s_waitcnt lgkmcnt(0)
	s_barrier
	v_cmp_ne_u32_e32 vcc, 0, v23
	s_cbranch_vccz .LBB92_183
.LBB92_179:                             ;   in Loop: Header=BB92_180 Depth=2
	s_and_b64 s[44:45], exec, s[44:45]
	s_or_b64 s[0:1], s[44:45], s[0:1]
	s_andn2_b64 s[42:43], s[42:43], exec
	s_and_b64 s[44:45], s[46:47], exec
	s_or_b64 s[42:43], s[42:43], s[44:45]
	s_andn2_b64 exec, exec, s[0:1]
	s_cbranch_execz .LBB92_186
.LBB92_180:                             ;   Parent Loop BB92_11 Depth=1
                                        ; =>  This Inner Loop Header: Depth=2
	v_cmp_gt_u64_e32 vcc, s[2:3], v[4:5]
	s_and_saveexec_b64 s[44:45], vcc
	s_cbranch_execz .LBB92_178
; %bb.181:                              ;   in Loop: Header=BB92_180 Depth=2
	ds_read_b32 v23, v6
	s_waitcnt lgkmcnt(0)
	v_xor_b32_e32 v7, 0x80000000, v23
	v_and_b32_e32 v7, v7, v42
	v_cmp_eq_u32_e32 vcc, v7, v39
	s_and_b64 exec, exec, vcc
	s_cbranch_execz .LBB92_178
; %bb.182:                              ;   in Loop: Header=BB92_180 Depth=2
	ds_write_b64 v13, v[22:23] offset:3072
	s_branch .LBB92_178
.LBB92_183:                             ;   in Loop: Header=BB92_180 Depth=2
	v_add_co_u32_e32 v4, vcc, s33, v4
	v_addc_co_u32_e32 v5, vcc, 0, v5, vcc
	v_cmp_le_u64_e32 vcc, s[40:41], v[4:5]
	v_add_u32_e32 v6, s72, v6
	s_mov_b64 s[46:47], 0
	s_orn2_b64 s[44:45], vcc, exec
	s_branch .LBB92_179
.LBB92_184:                             ;   in Loop: Header=BB92_11 Depth=1
                                        ; implicit-def: $sgpr8_sgpr9
	s_branch .LBB92_126
.LBB92_185:                             ;   in Loop: Header=BB92_11 Depth=1
                                        ; implicit-def: $sgpr2_sgpr3
	s_branch .LBB92_145
.LBB92_186:                             ;   in Loop: Header=BB92_11 Depth=1
	s_or_b64 exec, exec, s[0:1]
	s_and_b64 s[0:1], s[42:43], exec
.LBB92_187:                             ;   in Loop: Header=BB92_11 Depth=1
	s_or_b64 exec, exec, s[38:39]
.LBB92_188:                             ;   in Loop: Header=BB92_11 Depth=1
	s_and_b64 vcc, exec, s[8:9]
	s_cbranch_vccz .LBB92_202
; %bb.189:                              ;   in Loop: Header=BB92_11 Depth=1
	s_mov_b32 s76, s69
	s_cmp_lg_u64 s[76:77], 0
	s_cbranch_scc0 .LBB92_230
; %bb.190:                              ;   in Loop: Header=BB92_11 Depth=1
	v_cvt_f32_u32_e32 v4, s33
	s_sub_u32 s8, 0, s33
	s_subb_u32 s9, 0, 0
	v_mac_f32_e32 v4, 0, v40
	v_rcp_f32_e32 v4, v4
	v_mul_f32_e32 v4, 0x5f7ffffc, v4
	v_mul_f32_e32 v5, 0x2f800000, v4
	v_trunc_f32_e32 v5, v5
	v_mac_f32_e32 v4, 0xcf800000, v5
	v_cvt_u32_f32_e32 v5, v5
	v_cvt_u32_f32_e32 v4, v4
	v_readfirstlane_b32 s28, v5
	v_readfirstlane_b32 s2, v4
	s_mul_i32 s3, s8, s28
	s_mul_hi_u32 s30, s8, s2
	s_mul_i32 s29, s9, s2
	s_add_i32 s3, s30, s3
	s_mul_i32 s31, s8, s2
	s_add_i32 s3, s3, s29
	s_mul_hi_u32 s30, s2, s31
	s_mul_i32 s38, s2, s3
	s_mul_hi_u32 s29, s2, s3
	s_add_u32 s30, s30, s38
	s_addc_u32 s29, 0, s29
	s_mul_hi_u32 s39, s28, s31
	s_mul_i32 s31, s28, s31
	s_add_u32 s30, s30, s31
	s_mul_hi_u32 s38, s28, s3
	s_addc_u32 s29, s29, s39
	s_addc_u32 s30, s38, 0
	s_mul_i32 s3, s28, s3
	s_add_u32 s3, s29, s3
	s_addc_u32 s29, 0, s30
	s_add_u32 s30, s2, s3
	s_cselect_b64 s[2:3], -1, 0
	s_cmp_lg_u64 s[2:3], 0
	s_addc_u32 s28, s28, s29
	s_mul_i32 s2, s8, s28
	s_mul_hi_u32 s3, s8, s30
	s_add_i32 s2, s3, s2
	s_mul_i32 s9, s9, s30
	s_add_i32 s2, s2, s9
	s_mul_i32 s8, s8, s30
	s_mul_hi_u32 s9, s28, s8
	s_mul_i32 s29, s28, s8
	s_mul_i32 s38, s30, s2
	s_mul_hi_u32 s8, s30, s8
	s_mul_hi_u32 s31, s30, s2
	s_add_u32 s8, s8, s38
	s_addc_u32 s31, 0, s31
	s_add_u32 s8, s8, s29
	s_mul_hi_u32 s3, s28, s2
	s_addc_u32 s8, s31, s9
	s_addc_u32 s3, s3, 0
	s_mul_i32 s2, s28, s2
	s_add_u32 s2, s8, s2
	s_addc_u32 s8, 0, s3
	s_add_u32 s9, s30, s2
	s_cselect_b64 s[2:3], -1, 0
	s_cmp_lg_u64 s[2:3], 0
	s_addc_u32 s2, s28, s8
	s_mul_i32 s8, s26, s2
	s_mul_hi_u32 s28, s26, s9
	s_mul_hi_u32 s3, s26, s2
	s_add_u32 s8, s28, s8
	s_addc_u32 s3, 0, s3
	s_mul_hi_u32 s29, s77, s9
	s_mul_i32 s9, s77, s9
	s_add_u32 s8, s8, s9
	s_mul_hi_u32 s28, s77, s2
	s_addc_u32 s3, s3, s29
	s_addc_u32 s8, s28, 0
	s_mul_i32 s2, s77, s2
	s_add_u32 s2, s3, s2
	s_addc_u32 s3, 0, s8
	s_mul_i32 s3, s33, s3
	s_mul_hi_u32 s8, s33, s2
	s_add_i32 s8, s8, s3
	s_mul_i32 s2, s33, s2
	s_sub_u32 s9, s26, s2
	s_cselect_b64 s[2:3], -1, 0
	s_cmp_lg_u64 s[2:3], 0
	s_subb_u32 s8, s77, s8
	s_sub_u32 s28, s9, s33
	s_cselect_b64 s[2:3], -1, 0
	s_cmp_lg_u64 s[2:3], 0
	s_subb_u32 s29, s8, 0
	;; [unrolled: 4-line block ×3, first 2 shown]
	s_cmp_ge_u32 s28, s33
	s_cselect_b32 s3, -1, 0
	s_cmp_eq_u32 s29, 0
	s_cselect_b32 s3, s3, -1
	s_cmp_lg_u32 s3, 0
	s_cselect_b32 s2, s2, s29
	s_cselect_b32 s28, s30, s28
	s_cmp_ge_u32 s9, s33
	s_cselect_b32 s3, -1, 0
	s_cmp_eq_u32 s8, 0
	s_cselect_b32 s3, s3, -1
	s_cmp_lg_u32 s3, 0
	s_cselect_b32 s3, s2, s8
	s_cselect_b32 s2, s28, s9
	s_cbranch_execnz .LBB92_192
.LBB92_191:                             ;   in Loop: Header=BB92_11 Depth=1
	v_cvt_f32_u32_e32 v4, s33
	s_sub_i32 s2, 0, s33
	v_rcp_iflag_f32_e32 v4, v4
	v_mul_f32_e32 v4, 0x4f7ffffe, v4
	v_cvt_u32_f32_e32 v4, v4
	v_readfirstlane_b32 s3, v4
	s_mul_i32 s2, s2, s3
	s_mul_hi_u32 s2, s3, s2
	s_add_i32 s3, s3, s2
	s_mul_hi_u32 s2, s26, s3
	s_mul_i32 s2, s2, s33
	s_sub_i32 s2, s26, s2
	s_sub_i32 s3, s2, s33
	s_cmp_ge_u32 s2, s33
	s_cselect_b32 s2, s3, s2
	s_sub_i32 s3, s2, s33
	s_cmp_ge_u32 s2, s33
	s_cselect_b32 s68, s3, s2
	s_mov_b64 s[2:3], s[68:69]
.LBB92_192:                             ;   in Loop: Header=BB92_11 Depth=1
	s_sub_u32 s8, s26, s2
	s_subb_u32 s9, s77, s3
	v_cmp_gt_u64_e32 vcc, s[8:9], v[0:1]
                                        ; implicit-def: $vgpr24
	s_and_saveexec_b64 s[2:3], vcc
	s_cbranch_execz .LBB92_201
; %bb.193:                              ;   in Loop: Header=BB92_11 Depth=1
	v_mov_b32_e32 v4, v10
	v_mov_b32_e32 v7, v1
	s_mov_b64 s[28:29], 0
	v_mov_b32_e32 v5, v11
	v_mov_b32_e32 v6, v0
                                        ; implicit-def: $sgpr30_sgpr31
	s_branch .LBB92_196
.LBB92_194:                             ;   in Loop: Header=BB92_196 Depth=2
	s_or_b64 exec, exec, s[38:39]
	s_waitcnt lgkmcnt(0)
	s_barrier
	ds_read_b64 v[23:24], v13 offset:3072
	s_mov_b64 s[38:39], -1
	s_mov_b64 s[40:41], -1
	s_waitcnt lgkmcnt(0)
	s_barrier
	v_cmp_eq_u32_e32 vcc, 0, v23
	s_cbranch_vccnz .LBB92_199
.LBB92_195:                             ;   in Loop: Header=BB92_196 Depth=2
	s_and_b64 s[38:39], exec, s[38:39]
	s_or_b64 s[28:29], s[38:39], s[28:29]
	s_andn2_b64 s[30:31], s[30:31], exec
	s_and_b64 s[38:39], s[40:41], exec
	s_or_b64 s[30:31], s[30:31], s[38:39]
	s_andn2_b64 exec, exec, s[28:29]
	s_cbranch_execz .LBB92_200
.LBB92_196:                             ;   Parent Loop BB92_11 Depth=1
                                        ; =>  This Inner Loop Header: Depth=2
	v_cmp_gt_u64_e32 vcc, s[52:53], v[6:7]
	s_and_saveexec_b64 s[38:39], vcc
	s_cbranch_execz .LBB92_194
; %bb.197:                              ;   in Loop: Header=BB92_196 Depth=2
	global_load_dword v23, v[4:5], off
	s_waitcnt vmcnt(0)
	v_xor_b32_e32 v8, 0x80000000, v23
	v_and_b32_e32 v8, v8, v42
	v_cmp_eq_u32_e32 vcc, v8, v39
	s_and_b64 exec, exec, vcc
	s_cbranch_execz .LBB92_194
; %bb.198:                              ;   in Loop: Header=BB92_196 Depth=2
	ds_write_b64 v13, v[22:23] offset:3072
	s_branch .LBB92_194
.LBB92_199:                             ;   in Loop: Header=BB92_196 Depth=2
	v_add_co_u32_e32 v6, vcc, s33, v6
	v_addc_co_u32_e32 v7, vcc, 0, v7, vcc
	v_mov_b32_e32 v8, s71
	v_add_co_u32_e32 v4, vcc, s70, v4
	v_addc_co_u32_e32 v5, vcc, v5, v8, vcc
	v_cmp_le_u64_e32 vcc, s[8:9], v[6:7]
	s_mov_b64 s[40:41], 0
	s_orn2_b64 s[38:39], vcc, exec
	s_branch .LBB92_195
.LBB92_200:                             ;   in Loop: Header=BB92_11 Depth=1
	s_or_b64 exec, exec, s[28:29]
	s_andn2_b64 s[0:1], s[0:1], exec
	s_and_b64 s[8:9], s[30:31], exec
	s_or_b64 s[0:1], s[0:1], s[8:9]
.LBB92_201:                             ;   in Loop: Header=BB92_11 Depth=1
	s_or_b64 exec, exec, s[2:3]
	s_mov_b64 s[28:29], 0
	s_mov_b64 s[30:31], -1
.LBB92_202:                             ;   in Loop: Header=BB92_11 Depth=1
	s_orn2_b64 s[0:1], s[0:1], exec
.LBB92_203:                             ;   in Loop: Header=BB92_11 Depth=1
	s_or_b64 exec, exec, s[34:35]
	s_mov_b64 s[2:3], 0
	s_and_saveexec_b64 s[34:35], s[0:1]
	s_cbranch_execz .LBB92_261
; %bb.204:                              ;   in Loop: Header=BB92_11 Depth=1
	v_mov_b32_e32 v4, 1
	s_xor_b64 s[2:3], s[36:37], -1
	v_mov_b32_e32 v12, 1
	v_mov_b32_e32 v5, 0
	s_mov_b64 s[36:37], 0
	s_and_saveexec_b64 s[0:1], s[2:3]
	s_cbranch_execz .LBB92_213
; %bb.205:                              ;   in Loop: Header=BB92_11 Depth=1
	v_cmp_ge_u64_e32 vcc, s[18:19], v[2:3]
	s_and_saveexec_b64 s[2:3], vcc
	s_xor_b64 s[2:3], exec, s[2:3]
	s_cbranch_execz .LBB92_210
; %bb.206:                              ;   in Loop: Header=BB92_11 Depth=1
	ds_read_b64 v[4:5], v13 offset:5120
	v_and_b32_e32 v6, s48, v39
	v_lshl_or_b32 v39, 2, s73, v6
	v_or_b32_e32 v42, s66, v42
	s_waitcnt lgkmcnt(0)
	v_cmp_ne_u64_e32 vcc, 0, v[4:5]
	s_cbranch_vccnz .LBB92_210
; %bb.207:                              ;   in Loop: Header=BB92_11 Depth=1
	s_mov_b64 s[8:9], exec
	v_readlane_b32 s36, v55, 0
	v_readlane_b32 s37, v55, 1
	s_and_b64 s[36:37], s[8:9], s[36:37]
	s_mov_b64 exec, s[36:37]
; %bb.208:                              ;   in Loop: Header=BB92_11 Depth=1
	v_mov_b32_e32 v4, s18
	v_mov_b32_e32 v5, s19
	ds_write_b64 v13, v[4:5] offset:5128
; %bb.209:                              ;   in Loop: Header=BB92_11 Depth=1
	s_or_b64 exec, exec, s[8:9]
	s_waitcnt lgkmcnt(0)
	s_barrier
.LBB92_210:                             ;   in Loop: Header=BB92_11 Depth=1
	s_or_saveexec_b64 s[2:3], s[2:3]
	s_mov_b64 s[8:9], 0
	v_mov_b32_e32 v12, 8
	s_xor_b64 exec, exec, s[2:3]
; %bb.211:                              ;   in Loop: Header=BB92_11 Depth=1
	v_mov_b32_e32 v4, s19
	v_subrev_co_u32_e32 v2, vcc, s18, v2
	s_mov_b64 s[8:9], exec
	v_subb_co_u32_e32 v3, vcc, v3, v4, vcc
	v_mov_b32_e32 v12, 0
; %bb.212:                              ;   in Loop: Header=BB92_11 Depth=1
	s_or_b64 exec, exec, s[2:3]
	v_mov_b32_e32 v5, v3
	s_and_b64 s[36:37], s[8:9], exec
	v_mov_b32_e32 v4, v2
.LBB92_213:                             ;   in Loop: Header=BB92_11 Depth=1
	s_or_b64 exec, exec, s[0:1]
	s_mov_b64 s[8:9], -1
                                        ; implicit-def: $sgpr2_sgpr3
                                        ; implicit-def: $sgpr0_sgpr1
	s_and_saveexec_b64 s[18:19], s[36:37]
	s_cbranch_execz .LBB92_260
; %bb.214:                              ;   in Loop: Header=BB92_11 Depth=1
	s_cmp_eq_u64 s[10:11], 1
	v_cmp_eq_u64_e32 vcc, 1, v[4:5]
	s_cselect_b64 s[0:1], -1, 0
	s_and_b64 s[36:37], s[0:1], vcc
	s_mov_b64 s[40:41], -1
                                        ; implicit-def: $sgpr2_sgpr3
                                        ; implicit-def: $sgpr0_sgpr1
	s_and_saveexec_b64 s[38:39], s[36:37]
	s_cbranch_execz .LBB92_248
; %bb.215:                              ;   in Loop: Header=BB92_11 Depth=1
	ds_read_b64 v[2:3], v13 offset:5120
	s_waitcnt lgkmcnt(0)
	s_barrier
	v_readfirstlane_b32 s40, v2
	v_readfirstlane_b32 s41, v3
	s_mov_b64 s[0:1], exec
	v_readlane_b32 s2, v55, 14
	v_readlane_b32 s3, v55, 15
	s_and_b64 s[2:3], s[0:1], s[2:3]
	s_mov_b64 exec, s[2:3]
; %bb.216:                              ;   in Loop: Header=BB92_11 Depth=1
	ds_write_b32 v30, v13
; %bb.217:                              ;   in Loop: Header=BB92_11 Depth=1
	s_or_b64 exec, exec, s[0:1]
	v_or_b32_e32 v39, s66, v39
	v_or_b32_e32 v42, s66, v42
	s_mov_b64 s[0:1], -1
	s_mov_b64 s[2:3], 0
	s_cmp_eq_u64 s[40:41], 0
	s_mov_b64 s[8:9], 0
	s_mov_b64 s[42:43], -1
	s_waitcnt lgkmcnt(0)
	s_barrier
                                        ; implicit-def: $vgpr24
	s_cbranch_scc1 .LBB92_233
; %bb.218:                              ;   in Loop: Header=BB92_11 Depth=1
	v_readlane_b32 s8, v55, 20
	s_add_u32 s46, s40, s8
	v_readlane_b32 s8, v55, 21
	s_addc_u32 s9, s41, s8
	s_mov_b32 s8, s69
	s_cmp_lg_u64 s[8:9], 0
	s_cbranch_scc0 .LBB92_267
; %bb.219:                              ;   in Loop: Header=BB92_11 Depth=1
	v_cvt_f32_u32_e32 v2, s33
	s_sub_u32 s8, 0, s33
	s_subb_u32 s44, 0, 0
	v_mac_f32_e32 v2, 0, v40
	v_rcp_f32_e32 v2, v2
	v_mul_f32_e32 v2, 0x5f7ffffc, v2
	v_mul_f32_e32 v3, 0x2f800000, v2
	v_trunc_f32_e32 v3, v3
	v_mac_f32_e32 v2, 0xcf800000, v3
	v_cvt_u32_f32_e32 v3, v3
	v_cvt_u32_f32_e32 v2, v2
	v_readfirstlane_b32 s45, v3
	v_readfirstlane_b32 s42, v2
	s_mul_i32 s43, s8, s45
	s_mul_hi_u32 s48, s8, s42
	s_mul_i32 s47, s44, s42
	s_add_i32 s43, s48, s43
	s_mul_i32 s49, s8, s42
	s_add_i32 s43, s43, s47
	s_mul_hi_u32 s48, s42, s49
	s_mul_i32 s50, s42, s43
	s_mul_hi_u32 s47, s42, s43
	s_add_u32 s48, s48, s50
	s_addc_u32 s47, 0, s47
	s_mul_hi_u32 s51, s45, s49
	s_mul_i32 s49, s45, s49
	s_add_u32 s48, s48, s49
	s_mul_hi_u32 s50, s45, s43
	s_addc_u32 s47, s47, s51
	s_addc_u32 s48, s50, 0
	s_mul_i32 s43, s45, s43
	s_add_u32 s43, s47, s43
	s_addc_u32 s47, 0, s48
	s_add_u32 s48, s42, s43
	s_cselect_b64 s[42:43], -1, 0
	s_cmp_lg_u64 s[42:43], 0
	s_addc_u32 s45, s45, s47
	s_mul_i32 s42, s8, s45
	s_mul_hi_u32 s43, s8, s48
	s_add_i32 s42, s43, s42
	s_mul_i32 s44, s44, s48
	s_add_i32 s42, s42, s44
	s_mul_i32 s8, s8, s48
	s_mul_hi_u32 s44, s45, s8
	s_mul_i32 s47, s45, s8
	s_mul_i32 s50, s48, s42
	s_mul_hi_u32 s8, s48, s8
	s_mul_hi_u32 s49, s48, s42
	s_add_u32 s8, s8, s50
	s_addc_u32 s49, 0, s49
	s_add_u32 s8, s8, s47
	s_mul_hi_u32 s43, s45, s42
	s_addc_u32 s8, s49, s44
	s_addc_u32 s43, s43, 0
	s_mul_i32 s42, s45, s42
	s_add_u32 s8, s8, s42
	s_addc_u32 s44, 0, s43
	s_add_u32 s8, s48, s8
	s_cselect_b64 s[42:43], -1, 0
	s_cmp_lg_u64 s[42:43], 0
	s_addc_u32 s42, s45, s44
	s_mul_i32 s44, s46, s42
	s_mul_hi_u32 s45, s46, s8
	s_mul_hi_u32 s43, s46, s42
	s_add_u32 s44, s45, s44
	s_addc_u32 s43, 0, s43
	s_mul_hi_u32 s47, s9, s8
	s_mul_i32 s8, s9, s8
	s_add_u32 s8, s44, s8
	s_mul_hi_u32 s45, s9, s42
	s_addc_u32 s8, s43, s47
	s_addc_u32 s43, s45, 0
	s_mul_i32 s42, s9, s42
	s_add_u32 s8, s8, s42
	s_addc_u32 s42, 0, s43
	s_mul_i32 s42, s33, s42
	s_mul_hi_u32 s43, s33, s8
	s_add_i32 s44, s43, s42
	s_mul_i32 s8, s33, s8
	s_sub_u32 s8, s46, s8
	s_cselect_b64 s[42:43], -1, 0
	s_cmp_lg_u64 s[42:43], 0
	s_subb_u32 s44, s9, s44
	s_sub_u32 s45, s8, s33
	s_cselect_b64 s[42:43], -1, 0
	s_cmp_lg_u64 s[42:43], 0
	s_subb_u32 s47, s44, 0
	;; [unrolled: 4-line block ×3, first 2 shown]
	s_cmp_ge_u32 s45, s33
	s_cselect_b32 s43, -1, 0
	s_cmp_eq_u32 s47, 0
	s_cselect_b32 s43, s43, -1
	s_cmp_lg_u32 s43, 0
	s_cselect_b32 s42, s42, s47
	s_cselect_b32 s45, s48, s45
	s_cmp_ge_u32 s8, s33
	s_cselect_b32 s43, -1, 0
	s_cmp_eq_u32 s44, 0
	s_cselect_b32 s43, s43, -1
	s_cmp_lg_u32 s43, 0
	s_cselect_b32 s43, s42, s44
	s_cselect_b32 s42, s45, s8
	s_cbranch_execnz .LBB92_221
.LBB92_220:                             ;   in Loop: Header=BB92_11 Depth=1
	v_cvt_f32_u32_e32 v2, s33
	s_sub_i32 s8, 0, s33
	v_rcp_iflag_f32_e32 v2, v2
	v_mul_f32_e32 v2, 0x4f7ffffe, v2
	v_cvt_u32_f32_e32 v2, v2
	v_readfirstlane_b32 s42, v2
	s_mul_i32 s8, s8, s42
	s_mul_hi_u32 s8, s42, s8
	s_add_i32 s42, s42, s8
	s_mul_hi_u32 s8, s46, s42
	s_mul_i32 s8, s8, s33
	s_sub_i32 s8, s46, s8
	s_sub_i32 s42, s8, s33
	s_cmp_ge_u32 s8, s33
	s_cselect_b32 s8, s42, s8
	s_sub_i32 s42, s8, s33
	s_cmp_ge_u32 s8, s33
	s_cselect_b32 s68, s42, s8
	s_mov_b64 s[42:43], s[68:69]
.LBB92_221:                             ;   in Loop: Header=BB92_11 Depth=1
	s_sub_u32 s46, s46, s42
	s_subb_u32 s47, s9, s43
	v_cmp_gt_u64_e32 vcc, s[46:47], v[0:1]
	s_mov_b64 s[42:43], 0
	s_mov_b64 s[8:9], 0
                                        ; implicit-def: $vgpr24
	s_and_saveexec_b64 s[44:45], vcc
	s_cbranch_execz .LBB92_232
; %bb.222:                              ;   in Loop: Header=BB92_11 Depth=1
	v_mov_b32_e32 v3, v1
	v_mov_b32_e32 v6, v14
	;; [unrolled: 1-line block ×3, first 2 shown]
                                        ; implicit-def: $sgpr48_sgpr49
	s_branch .LBB92_225
.LBB92_223:                             ;   in Loop: Header=BB92_225 Depth=2
	s_or_b64 exec, exec, s[50:51]
	s_waitcnt lgkmcnt(0)
	s_barrier
	ds_read_b64 v[23:24], v13 offset:3072
	s_mov_b64 s[50:51], -1
	s_mov_b64 s[64:65], -1
	s_waitcnt lgkmcnt(0)
	s_barrier
	v_cmp_ne_u32_e32 vcc, 0, v23
	s_cbranch_vccz .LBB92_228
.LBB92_224:                             ;   in Loop: Header=BB92_225 Depth=2
	s_and_b64 s[50:51], exec, s[50:51]
	s_or_b64 s[8:9], s[50:51], s[8:9]
	s_andn2_b64 s[48:49], s[48:49], exec
	s_and_b64 s[50:51], s[64:65], exec
	s_or_b64 s[48:49], s[48:49], s[50:51]
	s_andn2_b64 exec, exec, s[8:9]
	s_cbranch_execz .LBB92_231
.LBB92_225:                             ;   Parent Loop BB92_11 Depth=1
                                        ; =>  This Inner Loop Header: Depth=2
	v_cmp_gt_u64_e32 vcc, s[40:41], v[2:3]
	s_and_saveexec_b64 s[50:51], vcc
	s_cbranch_execz .LBB92_223
; %bb.226:                              ;   in Loop: Header=BB92_225 Depth=2
	ds_read_b32 v23, v6
	s_waitcnt lgkmcnt(0)
	v_xor_b32_e32 v7, 0x80000000, v23
	v_and_b32_e32 v7, v7, v42
	v_cmp_eq_u32_e32 vcc, v7, v39
	s_and_b64 exec, exec, vcc
	s_cbranch_execz .LBB92_223
; %bb.227:                              ;   in Loop: Header=BB92_225 Depth=2
	ds_write_b64 v13, v[22:23] offset:3072
	s_branch .LBB92_223
.LBB92_228:                             ;   in Loop: Header=BB92_225 Depth=2
	v_add_co_u32_e32 v2, vcc, s33, v2
	v_addc_co_u32_e32 v3, vcc, 0, v3, vcc
	v_cmp_le_u64_e32 vcc, s[46:47], v[2:3]
	v_add_u32_e32 v6, s72, v6
	s_mov_b64 s[64:65], 0
	s_orn2_b64 s[50:51], vcc, exec
	s_branch .LBB92_224
.LBB92_229:                             ;   in Loop: Header=BB92_11 Depth=1
                                        ; implicit-def: $sgpr8_sgpr9
	s_branch .LBB92_175
.LBB92_230:                             ;   in Loop: Header=BB92_11 Depth=1
                                        ; implicit-def: $sgpr2_sgpr3
	s_branch .LBB92_191
.LBB92_231:                             ;   in Loop: Header=BB92_11 Depth=1
	s_or_b64 exec, exec, s[8:9]
	s_and_b64 s[8:9], s[48:49], exec
.LBB92_232:                             ;   in Loop: Header=BB92_11 Depth=1
	s_or_b64 exec, exec, s[44:45]
.LBB92_233:                             ;   in Loop: Header=BB92_11 Depth=1
	s_and_b64 vcc, exec, s[42:43]
	s_cbranch_vccz .LBB92_247
; %bb.234:                              ;   in Loop: Header=BB92_11 Depth=1
	s_mov_b32 s76, s69
	s_cmp_lg_u64 s[76:77], 0
	s_cbranch_scc0 .LBB92_268
; %bb.235:                              ;   in Loop: Header=BB92_11 Depth=1
	v_cvt_f32_u32_e32 v2, s33
	s_sub_u32 s2, 0, s33
	s_subb_u32 s3, 0, 0
	v_mac_f32_e32 v2, 0, v40
	v_rcp_f32_e32 v2, v2
	v_mul_f32_e32 v2, 0x5f7ffffc, v2
	v_mul_f32_e32 v3, 0x2f800000, v2
	v_trunc_f32_e32 v3, v3
	v_mac_f32_e32 v2, 0xcf800000, v3
	v_cvt_u32_f32_e32 v3, v3
	v_cvt_u32_f32_e32 v2, v2
	v_readfirstlane_b32 s40, v3
	v_readfirstlane_b32 s0, v2
	s_mul_i32 s1, s2, s40
	s_mul_hi_u32 s42, s2, s0
	s_mul_i32 s41, s3, s0
	s_add_i32 s1, s42, s1
	s_mul_i32 s43, s2, s0
	s_add_i32 s1, s1, s41
	s_mul_hi_u32 s42, s0, s43
	s_mul_i32 s44, s0, s1
	s_mul_hi_u32 s41, s0, s1
	s_add_u32 s42, s42, s44
	s_addc_u32 s41, 0, s41
	s_mul_hi_u32 s45, s40, s43
	s_mul_i32 s43, s40, s43
	s_add_u32 s42, s42, s43
	s_mul_hi_u32 s44, s40, s1
	s_addc_u32 s41, s41, s45
	s_addc_u32 s42, s44, 0
	s_mul_i32 s1, s40, s1
	s_add_u32 s1, s41, s1
	s_addc_u32 s41, 0, s42
	s_add_u32 s42, s0, s1
	s_cselect_b64 s[0:1], -1, 0
	s_cmp_lg_u64 s[0:1], 0
	s_addc_u32 s40, s40, s41
	s_mul_i32 s0, s2, s40
	s_mul_hi_u32 s1, s2, s42
	s_add_i32 s0, s1, s0
	s_mul_i32 s3, s3, s42
	s_add_i32 s0, s0, s3
	s_mul_i32 s2, s2, s42
	s_mul_hi_u32 s3, s40, s2
	s_mul_i32 s41, s40, s2
	s_mul_i32 s44, s42, s0
	s_mul_hi_u32 s2, s42, s2
	s_mul_hi_u32 s43, s42, s0
	s_add_u32 s2, s2, s44
	s_addc_u32 s43, 0, s43
	s_add_u32 s2, s2, s41
	s_mul_hi_u32 s1, s40, s0
	s_addc_u32 s2, s43, s3
	s_addc_u32 s1, s1, 0
	s_mul_i32 s0, s40, s0
	s_add_u32 s0, s2, s0
	s_addc_u32 s2, 0, s1
	s_add_u32 s3, s42, s0
	s_cselect_b64 s[0:1], -1, 0
	s_cmp_lg_u64 s[0:1], 0
	s_addc_u32 s0, s40, s2
	s_mul_i32 s2, s26, s0
	s_mul_hi_u32 s40, s26, s3
	s_mul_hi_u32 s1, s26, s0
	s_add_u32 s2, s40, s2
	s_addc_u32 s1, 0, s1
	s_mul_hi_u32 s41, s77, s3
	s_mul_i32 s3, s77, s3
	s_add_u32 s2, s2, s3
	s_mul_hi_u32 s40, s77, s0
	s_addc_u32 s1, s1, s41
	s_addc_u32 s2, s40, 0
	s_mul_i32 s0, s77, s0
	s_add_u32 s0, s1, s0
	s_addc_u32 s1, 0, s2
	s_mul_i32 s1, s33, s1
	s_mul_hi_u32 s2, s33, s0
	s_add_i32 s2, s2, s1
	s_mul_i32 s0, s33, s0
	s_sub_u32 s3, s26, s0
	s_cselect_b64 s[0:1], -1, 0
	s_cmp_lg_u64 s[0:1], 0
	s_subb_u32 s2, s77, s2
	s_sub_u32 s40, s3, s33
	s_cselect_b64 s[0:1], -1, 0
	s_cmp_lg_u64 s[0:1], 0
	s_subb_u32 s41, s2, 0
	;; [unrolled: 4-line block ×3, first 2 shown]
	s_cmp_ge_u32 s40, s33
	s_cselect_b32 s1, -1, 0
	s_cmp_eq_u32 s41, 0
	s_cselect_b32 s1, s1, -1
	s_cmp_lg_u32 s1, 0
	s_cselect_b32 s0, s0, s41
	s_cselect_b32 s40, s42, s40
	s_cmp_ge_u32 s3, s33
	s_cselect_b32 s1, -1, 0
	s_cmp_eq_u32 s2, 0
	s_cselect_b32 s1, s1, -1
	s_cmp_lg_u32 s1, 0
	s_cselect_b32 s1, s0, s2
	s_cselect_b32 s0, s40, s3
	s_cbranch_execnz .LBB92_237
.LBB92_236:                             ;   in Loop: Header=BB92_11 Depth=1
	v_cvt_f32_u32_e32 v2, s33
	s_sub_i32 s0, 0, s33
	v_rcp_iflag_f32_e32 v2, v2
	v_mul_f32_e32 v2, 0x4f7ffffe, v2
	v_cvt_u32_f32_e32 v2, v2
	v_readfirstlane_b32 s1, v2
	s_mul_i32 s0, s0, s1
	s_mul_hi_u32 s0, s1, s0
	s_add_i32 s1, s1, s0
	s_mul_hi_u32 s0, s26, s1
	s_mul_i32 s0, s0, s33
	s_sub_i32 s0, s26, s0
	s_sub_i32 s1, s0, s33
	s_cmp_ge_u32 s0, s33
	s_cselect_b32 s0, s1, s0
	s_sub_i32 s1, s0, s33
	s_cmp_ge_u32 s0, s33
	s_cselect_b32 s68, s1, s0
	s_mov_b64 s[0:1], s[68:69]
.LBB92_237:                             ;   in Loop: Header=BB92_11 Depth=1
	s_sub_u32 s2, s26, s0
	s_subb_u32 s3, s77, s1
	v_cmp_gt_u64_e32 vcc, s[2:3], v[0:1]
                                        ; implicit-def: $vgpr24
	s_and_saveexec_b64 s[0:1], vcc
	s_cbranch_execz .LBB92_246
; %bb.238:                              ;   in Loop: Header=BB92_11 Depth=1
	v_mov_b32_e32 v2, v10
	v_mov_b32_e32 v7, v1
	s_mov_b64 s[40:41], 0
	v_mov_b32_e32 v3, v11
	v_mov_b32_e32 v6, v0
                                        ; implicit-def: $sgpr42_sgpr43
	s_branch .LBB92_241
.LBB92_239:                             ;   in Loop: Header=BB92_241 Depth=2
	s_or_b64 exec, exec, s[44:45]
	s_waitcnt lgkmcnt(0)
	s_barrier
	ds_read_b64 v[23:24], v13 offset:3072
	s_mov_b64 s[44:45], -1
	s_mov_b64 s[46:47], -1
	s_waitcnt lgkmcnt(0)
	s_barrier
	v_cmp_eq_u32_e32 vcc, 0, v23
	s_cbranch_vccnz .LBB92_244
.LBB92_240:                             ;   in Loop: Header=BB92_241 Depth=2
	s_and_b64 s[44:45], exec, s[44:45]
	s_or_b64 s[40:41], s[44:45], s[40:41]
	s_andn2_b64 s[42:43], s[42:43], exec
	s_and_b64 s[44:45], s[46:47], exec
	s_or_b64 s[42:43], s[42:43], s[44:45]
	s_andn2_b64 exec, exec, s[40:41]
	s_cbranch_execz .LBB92_245
.LBB92_241:                             ;   Parent Loop BB92_11 Depth=1
                                        ; =>  This Inner Loop Header: Depth=2
	v_cmp_gt_u64_e32 vcc, s[52:53], v[6:7]
	s_and_saveexec_b64 s[44:45], vcc
	s_cbranch_execz .LBB92_239
; %bb.242:                              ;   in Loop: Header=BB92_241 Depth=2
	global_load_dword v23, v[2:3], off
	s_waitcnt vmcnt(0)
	v_xor_b32_e32 v8, 0x80000000, v23
	v_and_b32_e32 v8, v8, v42
	v_cmp_eq_u32_e32 vcc, v8, v39
	s_and_b64 exec, exec, vcc
	s_cbranch_execz .LBB92_239
; %bb.243:                              ;   in Loop: Header=BB92_241 Depth=2
	ds_write_b64 v13, v[22:23] offset:3072
	s_branch .LBB92_239
.LBB92_244:                             ;   in Loop: Header=BB92_241 Depth=2
	v_add_co_u32_e32 v6, vcc, s33, v6
	v_addc_co_u32_e32 v7, vcc, 0, v7, vcc
	v_mov_b32_e32 v8, s71
	v_add_co_u32_e32 v2, vcc, s70, v2
	v_addc_co_u32_e32 v3, vcc, v3, v8, vcc
	v_cmp_le_u64_e32 vcc, s[2:3], v[6:7]
	s_mov_b64 s[46:47], 0
	s_orn2_b64 s[44:45], vcc, exec
	s_branch .LBB92_240
.LBB92_245:                             ;   in Loop: Header=BB92_11 Depth=1
	s_or_b64 exec, exec, s[40:41]
	s_andn2_b64 s[2:3], s[8:9], exec
	s_and_b64 s[8:9], s[42:43], exec
	s_or_b64 s[8:9], s[2:3], s[8:9]
.LBB92_246:                             ;   in Loop: Header=BB92_11 Depth=1
	s_or_b64 exec, exec, s[0:1]
	s_mov_b64 s[0:1], 0
	s_mov_b64 s[2:3], -1
.LBB92_247:                             ;   in Loop: Header=BB92_11 Depth=1
	s_orn2_b64 s[40:41], s[8:9], exec
.LBB92_248:                             ;   in Loop: Header=BB92_11 Depth=1
	s_or_b64 exec, exec, s[38:39]
	s_mov_b64 s[38:39], 0
	s_and_saveexec_b64 s[8:9], s[40:41]
	s_cbranch_execz .LBB92_259
; %bb.249:                              ;   in Loop: Header=BB92_11 Depth=1
	v_mov_b32_e32 v2, 1
	s_xor_b64 s[38:39], s[36:37], -1
	v_mov_b32_e32 v3, 0
	v_mov_b32_e32 v12, 1
	s_and_saveexec_b64 s[36:37], s[38:39]
	s_cbranch_execz .LBB92_258
; %bb.250:                              ;   in Loop: Header=BB92_11 Depth=1
	v_cmp_ge_u64_e32 vcc, s[10:11], v[4:5]
	s_and_saveexec_b64 s[38:39], vcc
	s_xor_b64 s[38:39], exec, s[38:39]
	s_cbranch_execz .LBB92_255
; %bb.251:                              ;   in Loop: Header=BB92_11 Depth=1
	ds_read_b64 v[2:3], v13 offset:5120
	v_or_b32_e32 v39, s66, v39
	v_or_b32_e32 v42, s66, v42
	s_waitcnt lgkmcnt(0)
	v_cmp_ne_u64_e32 vcc, 0, v[2:3]
	s_cbranch_vccnz .LBB92_255
; %bb.252:                              ;   in Loop: Header=BB92_11 Depth=1
	s_mov_b64 s[40:41], exec
	v_readlane_b32 s42, v55, 0
	v_readlane_b32 s43, v55, 1
	s_and_b64 s[42:43], s[40:41], s[42:43]
	s_mov_b64 exec, s[42:43]
; %bb.253:                              ;   in Loop: Header=BB92_11 Depth=1
	v_mov_b32_e32 v2, s10
	v_mov_b32_e32 v3, s11
	ds_write_b64 v13, v[2:3] offset:5128
; %bb.254:                              ;   in Loop: Header=BB92_11 Depth=1
	s_or_b64 exec, exec, s[40:41]
	s_waitcnt lgkmcnt(0)
	s_barrier
.LBB92_255:                             ;   in Loop: Header=BB92_11 Depth=1
	s_andn2_saveexec_b64 s[38:39], s[38:39]
; %bb.256:                              ;   in Loop: Header=BB92_11 Depth=1
	v_mov_b32_e32 v2, s11
	v_subrev_co_u32_e32 v4, vcc, s10, v4
	v_subb_co_u32_e32 v5, vcc, v5, v2, vcc
; %bb.257:                              ;   in Loop: Header=BB92_11 Depth=1
	s_or_b64 exec, exec, s[38:39]
	v_mov_b32_e32 v2, v4
	v_mov_b32_e32 v12, 8
	;; [unrolled: 1-line block ×3, first 2 shown]
.LBB92_258:                             ;   in Loop: Header=BB92_11 Depth=1
	s_or_b64 exec, exec, s[36:37]
	v_mov_b32_e32 v5, v3
	s_mov_b64 s[38:39], exec
	v_mov_b32_e32 v4, v2
.LBB92_259:                             ;   in Loop: Header=BB92_11 Depth=1
	s_or_b64 exec, exec, s[8:9]
	s_orn2_b64 s[8:9], s[38:39], exec
.LBB92_260:                             ;   in Loop: Header=BB92_11 Depth=1
	s_or_b64 exec, exec, s[18:19]
	s_andn2_b64 s[10:11], s[30:31], exec
	s_and_b64 s[2:3], s[2:3], exec
	s_or_b64 s[30:31], s[10:11], s[2:3]
	s_andn2_b64 s[2:3], s[28:29], exec
	s_and_b64 s[0:1], s[0:1], exec
	v_mov_b32_e32 v2, v4
	s_or_b64 s[28:29], s[2:3], s[0:1]
	s_and_b64 s[2:3], s[8:9], exec
	v_mov_b32_e32 v3, v5
.LBB92_261:                             ;   in Loop: Header=BB92_11 Depth=1
	s_or_b64 exec, exec, s[34:35]
	s_orn2_b64 s[0:1], s[2:3], exec
.LBB92_262:                             ;   in Loop: Header=BB92_11 Depth=1
	s_or_b64 exec, exec, s[24:25]
	s_andn2_b64 s[2:3], s[20:21], exec
	s_and_b64 s[8:9], s[30:31], exec
	s_or_b64 s[20:21], s[2:3], s[8:9]
	s_andn2_b64 s[2:3], s[6:7], exec
	s_and_b64 s[6:7], s[28:29], exec
	v_mov_b32_e32 v7, v3
	s_or_b64 s[6:7], s[2:3], s[6:7]
	s_and_b64 s[2:3], s[0:1], exec
	v_mov_b32_e32 v6, v2
.LBB92_263:                             ;   in Loop: Header=BB92_11 Depth=1
	s_or_b64 exec, exec, s[22:23]
	s_orn2_b64 s[0:1], s[2:3], exec
.LBB92_264:                             ;   in Loop: Header=BB92_11 Depth=1
	s_or_b64 exec, exec, s[16:17]
	s_mov_b64 s[2:3], 0
	s_and_saveexec_b64 s[8:9], s[0:1]
	s_xor_b64 s[0:1], exec, s[8:9]
	s_cbranch_execz .LBB92_9
; %bb.265:                              ;   in Loop: Header=BB92_11 Depth=1
	v_and_b32_e32 v2, 7, v12
	v_cmp_eq_u32_e32 vcc, 0, v2
	s_mov_b64 s[8:9], -1
	s_mov_b64 s[2:3], -1
	s_and_saveexec_b64 s[10:11], vcc
	s_cbranch_execz .LBB92_8
; %bb.266:                              ;   in Loop: Header=BB92_11 Depth=1
	s_add_i32 s14, s73, -2
	s_cmp_eq_u32 s73, 0
	s_cselect_b64 s[8:9], -1, 0
	v_xor_b32_e32 v41, 1, v41
	s_xor_b64 s[2:3], exec, -1
	s_orn2_b64 s[8:9], s[8:9], exec
	s_mov_b32 s73, s14
	s_branch .LBB92_8
.LBB92_267:                             ;   in Loop: Header=BB92_11 Depth=1
                                        ; implicit-def: $sgpr42_sgpr43
	s_branch .LBB92_220
.LBB92_268:                             ;   in Loop: Header=BB92_11 Depth=1
                                        ; implicit-def: $sgpr0_sgpr1
	s_branch .LBB92_236
.LBB92_269:
	s_or_b64 exec, exec, s[88:89]
	s_xor_b64 s[6:7], s[94:95], -1
	s_xor_b64 s[0:1], s[90:91], -1
	;; [unrolled: 1-line block ×3, first 2 shown]
	s_mov_b64 s[2:3], 0
	s_and_saveexec_b64 s[8:9], s[0:1]
	s_xor_b64 s[0:1], exec, s[8:9]
	s_cbranch_execnz .LBB92_274
; %bb.270:
	s_andn2_saveexec_b64 s[0:1], s[0:1]
	s_cbranch_execnz .LBB92_287
.LBB92_271:
	s_or_b64 exec, exec, s[0:1]
	s_and_saveexec_b64 s[0:1], s[2:3]
.LBB92_272:
	; divergent unreachable
.LBB92_273:
	s_endpgm
.LBB92_274:
	s_and_saveexec_b64 s[2:3], s[6:7]
	s_xor_b64 s[2:3], exec, s[2:3]
	s_cbranch_execz .LBB92_285
; %bb.275:
	s_and_saveexec_b64 s[6:7], s[4:5]
	s_xor_b64 s[4:5], exec, s[6:7]
; %bb.276:
	v_xor_b32_e32 v24, 0x80000000, v39
; %bb.277:
	s_or_b64 exec, exec, s[4:5]
	v_readlane_b32 s6, v55, 6
	v_readlane_b32 s18, v55, 10
	;; [unrolled: 1-line block ×3, first 2 shown]
	s_mul_i32 s4, s7, s18
	s_mul_hi_u32 s5, s6, s18
	s_add_i32 s5, s5, s4
	s_mul_i32 s4, s6, s18
	s_lshl_b64 s[4:5], s[4:5], 2
	v_readlane_b32 s6, v55, 8
	v_readlane_b32 s7, v55, 9
	s_add_u32 s4, s6, s4
	s_addc_u32 s5, s7, s5
	v_mov_b32_e32 v2, 0
	v_readlane_b32 s19, v55, 11
	global_store_dword v2, v24, s[4:5]
	s_mov_b64 s[4:5], exec
	v_readlane_b32 s6, v55, 12
	v_readlane_b32 s7, v55, 13
	s_and_b64 s[6:7], s[4:5], s[6:7]
	s_mov_b64 exec, s[6:7]
	s_cbranch_execz .LBB92_284
; %bb.278:
	s_mov_b64 s[6:7], 0
                                        ; implicit-def: $sgpr8_sgpr9
                                        ; implicit-def: $sgpr12_sgpr13
                                        ; implicit-def: $sgpr10_sgpr11
	s_branch .LBB92_280
.LBB92_279:                             ;   in Loop: Header=BB92_280 Depth=1
	s_or_b64 exec, exec, s[14:15]
	s_and_b64 s[14:15], exec, s[12:13]
	s_or_b64 s[6:7], s[14:15], s[6:7]
	s_andn2_b64 s[8:9], s[8:9], exec
	s_and_b64 s[14:15], s[10:11], exec
	s_or_b64 s[8:9], s[8:9], s[14:15]
	s_andn2_b64 exec, exec, s[6:7]
	s_cbranch_execz .LBB92_282
.LBB92_280:                             ; =>This Inner Loop Header: Depth=1
	global_load_dword v4, v[10:11], off
	v_mov_b32_e32 v3, v1
	v_mov_b32_e32 v2, v0
	s_or_b64 s[10:11], s[10:11], exec
	s_or_b64 s[12:13], s[12:13], exec
                                        ; implicit-def: $vgpr0_vgpr1
	s_waitcnt vmcnt(0)
	v_cmp_ne_u32_e32 vcc, v4, v24
	s_and_saveexec_b64 s[14:15], vcc
	s_cbranch_execz .LBB92_279
; %bb.281:                              ;   in Loop: Header=BB92_280 Depth=1
	v_add_co_u32_e32 v0, vcc, s33, v2
	v_addc_co_u32_e32 v1, vcc, 0, v3, vcc
	v_mov_b32_e32 v4, s71
	v_add_co_u32_e32 v10, vcc, s70, v10
	v_addc_co_u32_e32 v11, vcc, v11, v4, vcc
	v_cmp_le_u64_e32 vcc, s[52:53], v[0:1]
	s_andn2_b64 s[12:13], s[12:13], exec
	s_and_b64 s[16:17], vcc, exec
	s_andn2_b64 s[10:11], s[10:11], exec
	s_or_b64 s[12:13], s[12:13], s[16:17]
	s_branch .LBB92_279
.LBB92_282:
	s_or_b64 exec, exec, s[6:7]
	s_and_saveexec_b64 s[6:7], s[8:9]
	s_xor_b64 s[6:7], exec, s[6:7]
	s_cbranch_execz .LBB92_284
; %bb.283:
	v_readlane_b32 s8, v55, 2
	v_readlane_b32 s9, v55, 3
	s_mul_i32 s6, s9, s18
	s_mul_hi_u32 s7, s8, s18
	s_add_i32 s7, s7, s6
	s_mul_i32 s6, s8, s18
	s_lshl_b64 s[6:7], s[6:7], 3
	v_readlane_b32 s8, v55, 4
	v_readlane_b32 s9, v55, 5
	s_add_u32 s6, s8, s6
	s_addc_u32 s7, s9, s7
	v_mov_b32_e32 v0, 0
	global_store_dwordx2 v0, v[2:3], s[6:7]
.LBB92_284:
	s_or_b64 exec, exec, s[4:5]
.LBB92_285:
	s_or_saveexec_b64 s[2:3], s[2:3]
	s_mov_b64 s[4:5], 0
	s_xor_b64 exec, exec, s[2:3]
	s_cbranch_execnz .LBB92_288
.LBB92_286:
	s_or_b64 exec, exec, s[2:3]
	s_and_b64 s[2:3], s[4:5], exec
	s_andn2_saveexec_b64 s[0:1], s[0:1]
	s_cbranch_execz .LBB92_271
.LBB92_287:
	s_or_b64 s[2:3], s[2:3], exec
	s_trap 2
	s_or_b64 exec, exec, s[0:1]
	s_and_saveexec_b64 s[0:1], s[2:3]
	s_cbranch_execnz .LBB92_272
	s_branch .LBB92_273
.LBB92_288:
	s_mov_b64 s[4:5], exec
	s_trap 2
	s_branch .LBB92_286
	.section	.rodata,"a",@progbits
	.p2align	6, 0x0
	.amdhsa_kernel _ZN2at6native12_GLOBAL__N_112gatherMedianIimLi1EEEvNS_4cuda6detail10TensorInfoIT_T0_EENS5_IlS7_EENS5_IKS6_S7_EES7_S7_S7_b
		.amdhsa_group_segment_fixed_size 5152
		.amdhsa_private_segment_fixed_size 0
		.amdhsa_kernarg_size 1536
		.amdhsa_user_sgpr_count 6
		.amdhsa_user_sgpr_private_segment_buffer 1
		.amdhsa_user_sgpr_dispatch_ptr 0
		.amdhsa_user_sgpr_queue_ptr 0
		.amdhsa_user_sgpr_kernarg_segment_ptr 1
		.amdhsa_user_sgpr_dispatch_id 0
		.amdhsa_user_sgpr_flat_scratch_init 0
		.amdhsa_user_sgpr_private_segment_size 0
		.amdhsa_uses_dynamic_stack 0
		.amdhsa_system_sgpr_private_segment_wavefront_offset 0
		.amdhsa_system_sgpr_workgroup_id_x 1
		.amdhsa_system_sgpr_workgroup_id_y 1
		.amdhsa_system_sgpr_workgroup_id_z 1
		.amdhsa_system_sgpr_workgroup_info 0
		.amdhsa_system_vgpr_workitem_id 0
		.amdhsa_next_free_vgpr 56
		.amdhsa_next_free_sgpr 96
		.amdhsa_reserve_vcc 1
		.amdhsa_reserve_flat_scratch 0
		.amdhsa_float_round_mode_32 0
		.amdhsa_float_round_mode_16_64 0
		.amdhsa_float_denorm_mode_32 3
		.amdhsa_float_denorm_mode_16_64 3
		.amdhsa_dx10_clamp 1
		.amdhsa_ieee_mode 1
		.amdhsa_fp16_overflow 0
		.amdhsa_exception_fp_ieee_invalid_op 0
		.amdhsa_exception_fp_denorm_src 0
		.amdhsa_exception_fp_ieee_div_zero 0
		.amdhsa_exception_fp_ieee_overflow 0
		.amdhsa_exception_fp_ieee_underflow 0
		.amdhsa_exception_fp_ieee_inexact 0
		.amdhsa_exception_int_div_zero 0
	.end_amdhsa_kernel
	.section	.text._ZN2at6native12_GLOBAL__N_112gatherMedianIimLi1EEEvNS_4cuda6detail10TensorInfoIT_T0_EENS5_IlS7_EENS5_IKS6_S7_EES7_S7_S7_b,"axG",@progbits,_ZN2at6native12_GLOBAL__N_112gatherMedianIimLi1EEEvNS_4cuda6detail10TensorInfoIT_T0_EENS5_IlS7_EENS5_IKS6_S7_EES7_S7_S7_b,comdat
.Lfunc_end92:
	.size	_ZN2at6native12_GLOBAL__N_112gatherMedianIimLi1EEEvNS_4cuda6detail10TensorInfoIT_T0_EENS5_IlS7_EENS5_IKS6_S7_EES7_S7_S7_b, .Lfunc_end92-_ZN2at6native12_GLOBAL__N_112gatherMedianIimLi1EEEvNS_4cuda6detail10TensorInfoIT_T0_EENS5_IlS7_EENS5_IKS6_S7_EES7_S7_S7_b
                                        ; -- End function
	.set _ZN2at6native12_GLOBAL__N_112gatherMedianIimLi1EEEvNS_4cuda6detail10TensorInfoIT_T0_EENS5_IlS7_EENS5_IKS6_S7_EES7_S7_S7_b.num_vgpr, 56
	.set _ZN2at6native12_GLOBAL__N_112gatherMedianIimLi1EEEvNS_4cuda6detail10TensorInfoIT_T0_EENS5_IlS7_EENS5_IKS6_S7_EES7_S7_S7_b.num_agpr, 0
	.set _ZN2at6native12_GLOBAL__N_112gatherMedianIimLi1EEEvNS_4cuda6detail10TensorInfoIT_T0_EENS5_IlS7_EENS5_IKS6_S7_EES7_S7_S7_b.numbered_sgpr, 96
	.set _ZN2at6native12_GLOBAL__N_112gatherMedianIimLi1EEEvNS_4cuda6detail10TensorInfoIT_T0_EENS5_IlS7_EENS5_IKS6_S7_EES7_S7_S7_b.num_named_barrier, 0
	.set _ZN2at6native12_GLOBAL__N_112gatherMedianIimLi1EEEvNS_4cuda6detail10TensorInfoIT_T0_EENS5_IlS7_EENS5_IKS6_S7_EES7_S7_S7_b.private_seg_size, 0
	.set _ZN2at6native12_GLOBAL__N_112gatherMedianIimLi1EEEvNS_4cuda6detail10TensorInfoIT_T0_EENS5_IlS7_EENS5_IKS6_S7_EES7_S7_S7_b.uses_vcc, 1
	.set _ZN2at6native12_GLOBAL__N_112gatherMedianIimLi1EEEvNS_4cuda6detail10TensorInfoIT_T0_EENS5_IlS7_EENS5_IKS6_S7_EES7_S7_S7_b.uses_flat_scratch, 0
	.set _ZN2at6native12_GLOBAL__N_112gatherMedianIimLi1EEEvNS_4cuda6detail10TensorInfoIT_T0_EENS5_IlS7_EENS5_IKS6_S7_EES7_S7_S7_b.has_dyn_sized_stack, 0
	.set _ZN2at6native12_GLOBAL__N_112gatherMedianIimLi1EEEvNS_4cuda6detail10TensorInfoIT_T0_EENS5_IlS7_EENS5_IKS6_S7_EES7_S7_S7_b.has_recursion, 0
	.set _ZN2at6native12_GLOBAL__N_112gatherMedianIimLi1EEEvNS_4cuda6detail10TensorInfoIT_T0_EENS5_IlS7_EENS5_IKS6_S7_EES7_S7_S7_b.has_indirect_call, 0
	.section	.AMDGPU.csdata,"",@progbits
; Kernel info:
; codeLenInByte = 14508
; TotalNumSgprs: 100
; NumVgprs: 56
; ScratchSize: 0
; MemoryBound: 0
; FloatMode: 240
; IeeeMode: 1
; LDSByteSize: 5152 bytes/workgroup (compile time only)
; SGPRBlocks: 12
; VGPRBlocks: 13
; NumSGPRsForWavesPerEU: 100
; NumVGPRsForWavesPerEU: 56
; Occupancy: 4
; WaveLimiterHint : 1
; COMPUTE_PGM_RSRC2:SCRATCH_EN: 0
; COMPUTE_PGM_RSRC2:USER_SGPR: 6
; COMPUTE_PGM_RSRC2:TRAP_HANDLER: 0
; COMPUTE_PGM_RSRC2:TGID_X_EN: 1
; COMPUTE_PGM_RSRC2:TGID_Y_EN: 1
; COMPUTE_PGM_RSRC2:TGID_Z_EN: 1
; COMPUTE_PGM_RSRC2:TIDIG_COMP_CNT: 0
	.section	.text._ZN2at6native12_GLOBAL__N_112gatherMedianIimLi2EEEvNS_4cuda6detail10TensorInfoIT_T0_EENS5_IlS7_EENS5_IKS6_S7_EES7_S7_S7_b,"axG",@progbits,_ZN2at6native12_GLOBAL__N_112gatherMedianIimLi2EEEvNS_4cuda6detail10TensorInfoIT_T0_EENS5_IlS7_EENS5_IKS6_S7_EES7_S7_S7_b,comdat
	.globl	_ZN2at6native12_GLOBAL__N_112gatherMedianIimLi2EEEvNS_4cuda6detail10TensorInfoIT_T0_EENS5_IlS7_EENS5_IKS6_S7_EES7_S7_S7_b ; -- Begin function _ZN2at6native12_GLOBAL__N_112gatherMedianIimLi2EEEvNS_4cuda6detail10TensorInfoIT_T0_EENS5_IlS7_EENS5_IKS6_S7_EES7_S7_S7_b
	.p2align	8
	.type	_ZN2at6native12_GLOBAL__N_112gatherMedianIimLi2EEEvNS_4cuda6detail10TensorInfoIT_T0_EENS5_IlS7_EENS5_IKS6_S7_EES7_S7_S7_b,@function
_ZN2at6native12_GLOBAL__N_112gatherMedianIimLi2EEEvNS_4cuda6detail10TensorInfoIT_T0_EENS5_IlS7_EENS5_IKS6_S7_EES7_S7_S7_b: ; @_ZN2at6native12_GLOBAL__N_112gatherMedianIimLi2EEEvNS_4cuda6detail10TensorInfoIT_T0_EENS5_IlS7_EENS5_IKS6_S7_EES7_S7_S7_b
; %bb.0:
	s_load_dwordx2 s[2:3], s[4:5], 0x500
	s_load_dwordx4 s[52:55], s[4:5], 0x4e0
	s_add_u32 s12, s4, 0x500
	s_addc_u32 s13, s5, 0
	s_mov_b32 s23, 0
	s_waitcnt lgkmcnt(0)
	s_mul_i32 s0, s3, s8
	s_add_i32 s0, s0, s7
	s_mul_i32 s0, s0, s2
	s_add_i32 s22, s0, s6
	v_mov_b32_e32 v1, s22
	v_mov_b32_e32 v2, s23
	v_cmp_le_u64_e32 vcc, s[54:55], v[1:2]
	s_cbranch_vccnz .LBB93_279
; %bb.1:
	s_load_dwordx2 s[10:11], s[4:5], 0x10
	s_load_dwordx2 s[14:15], s[4:5], 0x350
	;; [unrolled: 1-line block ×3, first 2 shown]
                                        ; implicit-def: $vgpr47 : SGPR spill to VGPR lane
	s_mov_b64 s[8:9], 0
	s_waitcnt lgkmcnt(0)
	v_mov_b32_e32 v1, s10
	v_mov_b32_e32 v2, s11
	v_writelane_b32 v47, s0, 0
	v_cmp_lt_u64_e32 vcc, s[22:23], v[1:2]
	v_writelane_b32 v47, s1, 1
	s_mov_b64 s[0:1], 0
	v_writelane_b32 v47, s0, 2
	v_writelane_b32 v47, s1, 3
	s_cbranch_vccnz .LBB93_3
; %bb.2:
	v_cvt_f32_u32_e32 v1, s10
	s_sub_i32 s0, 0, s10
	v_rcp_iflag_f32_e32 v1, v1
	v_mul_f32_e32 v1, 0x4f7ffffe, v1
	v_cvt_u32_f32_e32 v1, v1
	v_readfirstlane_b32 s1, v1
	s_mul_i32 s0, s0, s1
	s_mul_hi_u32 s0, s1, s0
	s_add_i32 s1, s1, s0
	s_mul_hi_u32 s0, s22, s1
	s_mul_i32 s3, s0, s10
	s_sub_i32 s3, s22, s3
	s_add_i32 s1, s0, 1
	s_sub_i32 s7, s3, s10
	s_cmp_ge_u32 s3, s10
	s_cselect_b32 s0, s1, s0
	s_cselect_b32 s3, s7, s3
	s_add_i32 s1, s0, 1
	s_cmp_ge_u32 s3, s10
	s_cselect_b32 s0, s1, s0
	v_writelane_b32 v47, s0, 2
	v_writelane_b32 v47, s1, 3
.LBB93_3:
	s_load_dwordx2 s[68:69], s[4:5], 0x4f0
	s_load_dwordx2 s[0:1], s[4:5], 0x1b0
	v_writelane_b32 v47, s10, 4
	v_writelane_b32 v47, s11, 5
	s_waitcnt lgkmcnt(0)
	v_mov_b32_e32 v2, s1
	v_mov_b32_e32 v1, s0
	v_cmp_lt_u64_e32 vcc, s[22:23], v[1:2]
	s_cbranch_vccnz .LBB93_5
; %bb.4:
	s_load_dwordx2 s[8:9], s[4:5], 0x1b0
	s_waitcnt lgkmcnt(0)
	v_cvt_f32_u32_e32 v1, s8
	s_sub_i32 s0, 0, s8
	v_rcp_iflag_f32_e32 v1, v1
	v_mul_f32_e32 v1, 0x4f7ffffe, v1
	v_cvt_u32_f32_e32 v1, v1
	v_readfirstlane_b32 s1, v1
	s_mul_i32 s0, s0, s1
	s_mul_hi_u32 s0, s1, s0
	s_add_i32 s1, s1, s0
	s_mul_hi_u32 s0, s22, s1
	s_mul_i32 s3, s0, s8
	s_sub_i32 s3, s22, s3
	s_add_i32 s1, s0, 1
	s_sub_i32 s7, s3, s8
	s_cmp_ge_u32 s3, s8
	s_cselect_b32 s0, s1, s0
	s_cselect_b32 s3, s7, s3
	s_add_i32 s1, s0, 1
	s_cmp_ge_u32 s3, s8
	s_cselect_b32 s8, s1, s0
.LBB93_5:
	v_mov_b32_e32 v1, s14
	v_mov_b32_e32 v2, s15
	v_cmp_lt_u64_e32 vcc, s[22:23], v[1:2]
	v_writelane_b32 v47, s8, 6
	s_mov_b64 s[16:17], 0
	v_writelane_b32 v47, s9, 7
	s_cbranch_vccnz .LBB93_7
; %bb.6:
	v_cvt_f32_u32_e32 v1, s14
	s_sub_i32 s0, 0, s14
	v_rcp_iflag_f32_e32 v1, v1
	v_mul_f32_e32 v1, 0x4f7ffffe, v1
	v_cvt_u32_f32_e32 v1, v1
	v_readfirstlane_b32 s1, v1
	s_mul_i32 s0, s0, s1
	s_mul_hi_u32 s0, s1, s0
	s_add_i32 s1, s1, s0
	s_mul_hi_u32 s0, s22, s1
	s_mul_i32 s3, s0, s14
	s_sub_i32 s3, s22, s3
	s_add_i32 s1, s0, 1
	s_sub_i32 s7, s3, s14
	s_cmp_ge_u32 s3, s14
	s_cselect_b32 s0, s1, s0
	s_cselect_b32 s3, s7, s3
	s_add_i32 s1, s0, 1
	s_cmp_ge_u32 s3, s14
	s_cselect_b32 s16, s1, s0
.LBB93_7:
	v_cmp_eq_u32_e64 s[0:1], 0, v0
	s_mov_b64 s[8:9], exec
	v_writelane_b32 v47, s0, 8
	v_writelane_b32 v47, s1, 9
	s_and_b64 s[0:1], s[8:9], s[0:1]
	s_mov_b64 exec, s[0:1]
; %bb.8:
	v_mov_b32_e32 v1, 0
	v_mov_b32_e32 v2, v1
	ds_write_b64 v1, v[1:2] offset:5136
; %bb.9:
	s_or_b64 exec, exec, s[8:9]
	v_mov_b32_e32 v1, 0
	s_load_dword s0, s[4:5], 0x4f8
	s_load_dwordx2 s[18:19], s[4:5], 0x340
	s_waitcnt lgkmcnt(0)
	s_barrier
	s_barrier
	ds_read_b64 v[1:2], v1 offset:5136
	s_bitcmp1_b32 s0, 0
	s_cselect_b64 s[0:1], -1, 0
	v_mov_b32_e32 v18, s52
	v_mov_b32_e32 v19, s53
	s_waitcnt lgkmcnt(0)
	v_cmp_gt_i64_e32 vcc, 1, v[1:2]
	s_or_b64 s[0:1], s[0:1], vcc
	s_andn2_b64 vcc, exec, s[0:1]
	s_cbranch_vccnz .LBB93_11
; %bb.10:
	v_not_b32_e32 v1, v1
	v_not_b32_e32 v2, v2
	v_mov_b32_e32 v3, s53
	v_add_co_u32_e32 v1, vcc, s52, v1
	v_addc_co_u32_e32 v2, vcc, v3, v2, vcc
	v_lshrrev_b64 v[1:2], 1, v[1:2]
	v_add_co_u32_e32 v18, vcc, 1, v1
	v_addc_co_u32_e32 v19, vcc, 0, v2, vcc
.LBB93_11:
	s_load_dwordx2 s[0:1], s[4:5], 0x1a0
	s_load_dwordx4 s[8:11], s[4:5], 0x410
	s_waitcnt lgkmcnt(0)
	v_writelane_b32 v47, s0, 10
	v_writelane_b32 v47, s1, 11
	s_load_dwordx2 s[0:1], s[4:5], 0x0
	s_waitcnt lgkmcnt(0)
	v_writelane_b32 v47, s0, 12
	v_writelane_b32 v47, s1, 13
	s_mov_b64 s[20:21], exec
	v_readlane_b32 s0, v47, 8
	v_readlane_b32 s1, v47, 9
	s_and_b64 s[0:1], s[20:21], s[0:1]
	s_mov_b64 exec, s[0:1]
	s_cbranch_execz .LBB93_13
; %bb.12:
	v_mov_b32_e32 v1, 0
	v_mov_b32_e32 v3, s52
	;; [unrolled: 1-line block ×4, first 2 shown]
	ds_write_b32 v1, v1 offset:5144
	ds_write_b128 v1, v[1:4] offset:5120
.LBB93_13:
	s_or_b64 exec, exec, s[20:21]
	s_load_dwordx4 s[24:27], s[4:5], 0x270
	s_mul_i32 s0, s16, s15
	s_mul_hi_u32 s1, s16, s14
                                        ; kill: killed $sgpr4 killed $sgpr5
	s_add_i32 s1, s1, s0
	s_mul_i32 s0, s16, s14
	s_waitcnt lgkmcnt(0)
	v_writelane_b32 v47, s24, 14
	v_writelane_b32 v47, s25, 15
	;; [unrolled: 1-line block ×4, first 2 shown]
	s_load_dwordx4 s[24:27], s[4:5], 0xd0
	s_mov_b32 s4, s22
	s_sub_u32 s0, s22, s0
	s_subb_u32 s1, 0, s1
	s_mul_i32 s3, s0, s11
	s_waitcnt lgkmcnt(0)
	v_writelane_b32 v47, s24, 18
	v_writelane_b32 v47, s25, 19
	;; [unrolled: 1-line block ×6, first 2 shown]
	s_mul_hi_u32 s4, s0, s10
	s_add_i32 s3, s4, s3
	s_mul_i32 s1, s1, s10
	s_add_i32 s1, s3, s1
	s_mul_i32 s3, s16, s9
	s_mul_hi_u32 s4, s16, s8
	s_add_i32 s5, s4, s3
	s_mul_i32 s4, s16, s8
	s_lshl_b64 s[4:5], s[4:5], 2
	s_mul_i32 s0, s0, s10
	s_add_u32 s3, s18, s4
	s_addc_u32 s4, s19, s5
	s_lshl_b64 s[0:1], s[0:1], 2
	v_mov_b32_e32 v10, 0
	s_add_u32 s33, s3, s0
	v_mov_b32_e32 v1, v10
	s_addc_u32 s64, s4, s1
	v_cmp_gt_u64_e64 s[0:1], s[52:53], v[0:1]
	v_mbcnt_lo_u32_b32 v2, -1, 0
	v_writelane_b32 v47, s0, 24
	v_writelane_b32 v47, s1, 25
	v_mbcnt_hi_u32_b32 v22, -1, v2
	v_mad_u64_u32 v[2:3], s[0:1], s68, v0, 0
	s_barrier
	v_mad_u64_u32 v[3:4], s[0:1], s69, v0, v[3:4]
	v_mov_b32_e32 v4, 0x300
	v_mov_b32_e32 v5, 0
	v_cmp_gt_u64_e64 s[0:1], s[52:53], v[4:5]
	v_writelane_b32 v47, s0, 26
	v_writelane_b32 v47, s1, 27
	s_load_dword s0, s[12:13], 0xc
	v_cmp_gt_u32_e32 vcc, 64, v0
	v_cmp_gt_i32_e64 s[8:9], 4, v22
	s_and_b64 s[80:81], vcc, s[8:9]
	v_lshlrev_b64 v[2:3], 2, v[2:3]
	s_waitcnt lgkmcnt(0)
	s_and_b32 s65, s0, 0xffff
	s_bfe_u32 s1, s0, 0xa0006
	s_cmp_gt_u32 s65, 63
	s_cselect_b64 s[8:9], -1, 0
	v_writelane_b32 v47, s8, 28
	s_add_u32 s0, s65, -1
	v_writelane_b32 v47, s9, 29
	s_addc_u32 s3, 0, -1
	v_writelane_b32 v47, s0, 30
	s_add_u32 s0, s0, s52
	s_addc_u32 s85, s3, s53
	s_cmp_lt_u32 s6, s2
	s_cselect_b32 s2, 12, 18
	s_add_u32 s86, s12, s2
	s_addc_u32 s87, s13, 0
	s_add_i32 s2, s1, -1
	v_mov_b32_e32 v24, s64
	v_add_co_u32_e32 v13, vcc, s33, v2
	v_writelane_b32 v47, s3, 31
	s_bfe_u32 s3, s65, 0x30006
	s_and_b32 s2, s2, 0xffff
	v_addc_co_u32_e32 v14, vcc, v24, v3, vcc
	v_lshlrev_b64 v[2:3], v22, -1
	s_cmp_gt_u32 s2, 6
	s_cselect_b64 s[6:7], -1, 0
	v_not_b32_e32 v27, v2
	v_lshrrev_b32_e32 v2, 1, v0
	v_writelane_b32 v47, s6, 32
	s_and_b32 s1, s1, 0x3f8
	v_and_b32_e32 v2, 0x1e0, v2
	v_writelane_b32 v47, s7, 33
	s_cmp_lg_u32 s3, 0
	v_lshlrev_b32_e32 v11, 2, v0
	v_lshlrev_b32_e32 v4, 2, v22
	v_or_b32_e32 v28, 0xc00, v2
	v_writelane_b32 v47, s3, 34
	s_cselect_b64 s[2:3], -1, 0
	v_mov_b32_e32 v2, 0xc00
	s_mov_b32 s79, 0
	v_cmp_eq_u32_e64 s[4:5], 0, v22
	v_cmp_gt_u32_e64 s[26:27], 2, v0
	v_add_u32_e32 v23, 0xc00, v11
	v_mov_b32_e32 v12, v10
	v_and_b32_e32 v25, 0x100, v4
	v_not_b32_e32 v26, v3
	v_writelane_b32 v47, s2, 35
	v_lshlrev_b32_e32 v30, 4, v0
	v_lshl_or_b32 v31, v22, 3, v2
	s_lshl_b32 s82, s65, 2
	s_mov_b32 s83, 30
	s_mov_b64 s[92:93], 0
	v_mov_b32_e32 v15, 1
	v_mov_b32_e32 v32, 0x4f800000
	;; [unrolled: 1-line block ×6, first 2 shown]
	v_writelane_b32 v47, s3, 36
                                        ; implicit-def: $sgpr94_sgpr95
                                        ; implicit-def: $sgpr56_sgpr57
                                        ; implicit-def: $sgpr74_sgpr75
                                        ; implicit-def: $sgpr76_sgpr77
                                        ; implicit-def: $sgpr66_sgpr67
                                        ; implicit-def: $sgpr58_sgpr59
	s_branch .LBB93_17
.LBB93_14:                              ;   in Loop: Header=BB93_17 Depth=1
	s_or_b64 exec, exec, s[14:15]
	s_and_b64 s[8:9], s[8:9], exec
	s_andn2_b64 s[20:21], s[20:21], exec
	s_andn2_b64 s[6:7], s[6:7], exec
	s_orn2_b64 s[14:15], s[10:11], exec
.LBB93_15:                              ;   in Loop: Header=BB93_17 Depth=1
	s_or_b64 exec, exec, s[2:3]
	s_andn2_b64 s[2:3], s[58:59], exec
	s_and_b64 s[8:9], s[8:9], exec
	s_or_b64 s[58:59], s[2:3], s[8:9]
	s_andn2_b64 s[2:3], s[66:67], exec
	s_and_b64 s[8:9], s[20:21], exec
	s_or_b64 s[66:67], s[2:3], s[8:9]
	;; [unrolled: 3-line block ×3, first 2 shown]
	s_orn2_b64 s[6:7], s[14:15], exec
.LBB93_16:                              ;   in Loop: Header=BB93_17 Depth=1
	s_or_b64 exec, exec, s[12:13]
	s_and_b64 s[2:3], exec, s[6:7]
	s_or_b64 s[92:93], s[2:3], s[92:93]
	s_andn2_b64 s[2:3], s[74:75], exec
	s_and_b64 s[6:7], s[58:59], exec
	s_or_b64 s[74:75], s[2:3], s[6:7]
	s_andn2_b64 s[2:3], s[56:57], exec
	s_and_b64 s[6:7], s[66:67], exec
	;; [unrolled: 3-line block ×3, first 2 shown]
	v_mov_b32_e32 v19, v7
	s_or_b64 s[94:95], s[2:3], s[6:7]
	v_mov_b32_e32 v18, v6
	s_andn2_b64 exec, exec, s[92:93]
	s_cbranch_execz .LBB93_275
.LBB93_17:                              ; =>This Loop Header: Depth=1
                                        ;     Child Loop BB93_23 Depth 2
                                        ;     Child Loop BB93_36 Depth 2
                                        ;     Child Loop BB93_70 Depth 2
                                        ;     Child Loop BB93_74 Depth 2
                                        ;     Child Loop BB93_59 Depth 2
                                        ;     Child Loop BB93_64 Depth 2
                                        ;     Child Loop BB93_52 Depth 2
                                        ;     Child Loop BB93_81 Depth 2
                                        ;     Child Loop BB93_94 Depth 2
                                        ;     Child Loop BB93_108 Depth 2
                                        ;     Child Loop BB93_137 Depth 2
                                        ;     Child Loop BB93_156 Depth 2
                                        ;     Child Loop BB93_186 Depth 2
                                        ;     Child Loop BB93_202 Depth 2
                                        ;     Child Loop BB93_231 Depth 2
                                        ;     Child Loop BB93_247 Depth 2
	ds_read_b128 v[2:5], v10 offset:5120
	s_waitcnt lgkmcnt(0)
	v_readfirstlane_b32 s61, v3
	v_readfirstlane_b32 s60, v2
	s_cmp_lg_u64 s[60:61], 0
	s_cbranch_scc1 .LBB93_44
; %bb.18:                               ;   in Loop: Header=BB93_17 Depth=1
	v_readlane_b32 s2, v47, 26
	v_readlane_b32 s3, v47, 27
	s_and_b64 vcc, exec, s[2:3]
	s_cbranch_vccz .LBB93_31
; %bb.19:                               ;   in Loop: Header=BB93_17 Depth=1
	s_mov_b64 s[2:3], 0x301
	v_cmp_gt_u64_e32 vcc, s[2:3], v[4:5]
	s_mov_b64 s[2:3], 0
	s_mov_b64 s[6:7], 0
	s_cbranch_vccz .LBB93_32
; %bb.20:                               ;   in Loop: Header=BB93_17 Depth=1
	s_mov_b64 s[8:9], exec
	v_readlane_b32 s6, v47, 24
	v_readlane_b32 s7, v47, 25
	s_and_b64 s[6:7], s[8:9], s[6:7]
	s_mov_b64 exec, s[6:7]
	s_cbranch_execz .LBB93_142
; %bb.21:                               ;   in Loop: Header=BB93_17 Depth=1
	global_load_dword v5, v[13:14], off
	global_load_ushort v4, v10, s[86:87]
	v_mov_b32_e32 v3, v1
	s_mov_b64 s[12:13], 0
	v_mov_b32_e32 v2, v0
	s_branch .LBB93_23
.LBB93_22:                              ;   in Loop: Header=BB93_23 Depth=2
	s_or_b64 exec, exec, s[6:7]
	s_waitcnt vmcnt(0)
	v_mov_b32_e32 v5, v6
	s_andn2_b64 exec, exec, s[12:13]
	s_cbranch_execz .LBB93_142
.LBB93_23:                              ;   Parent Loop BB93_17 Depth=1
                                        ; =>  This Inner Loop Header: Depth=2
	s_waitcnt vmcnt(0)
	v_add_co_u32_sdwa v2, vcc, v2, v4 dst_sel:DWORD dst_unused:UNUSED_PAD src0_sel:DWORD src1_sel:WORD_0
	v_addc_co_u32_e32 v3, vcc, 0, v3, vcc
	v_cmp_gt_u64_e64 s[6:7], s[52:53], v[2:3]
	v_cmp_le_u64_e32 vcc, s[52:53], v[2:3]
	s_waitcnt lgkmcnt(0)
	v_mov_b32_e32 v7, 0
	v_mov_b32_e32 v6, 0
	s_and_saveexec_b64 s[10:11], s[6:7]
	s_cbranch_execz .LBB93_25
; %bb.24:                               ;   in Loop: Header=BB93_23 Depth=2
	v_mul_lo_u32 v6, v3, s68
	v_mul_lo_u32 v16, v2, s69
	v_mad_u64_u32 v[8:9], s[6:7], v2, s68, 0
	v_add3_u32 v9, v9, v16, v6
	v_lshlrev_b64 v[8:9], 2, v[8:9]
	v_add_co_u32_e64 v8, s[6:7], s33, v8
	v_addc_co_u32_e64 v9, s[6:7], v24, v9, s[6:7]
	global_load_dword v6, v[8:9], off
.LBB93_25:                              ;   in Loop: Header=BB93_23 Depth=2
	s_or_b64 exec, exec, s[10:11]
	v_xor_b32_e32 v8, 0x80000000, v5
	v_and_b32_e32 v8, v8, v34
	v_cmp_eq_u32_e64 s[10:11], v8, v29
	s_cmp_lg_u64 s[10:11], 0
	s_cselect_b64 s[6:7], -1, 0
	s_and_b64 s[6:7], s[4:5], s[6:7]
	s_and_saveexec_b64 s[14:15], s[6:7]
	s_cbranch_execz .LBB93_29
; %bb.26:                               ;   in Loop: Header=BB93_23 Depth=2
	s_mov_b64 s[18:19], exec
	v_mbcnt_lo_u32_b32 v7, s18, 0
	v_mbcnt_hi_u32_b32 v7, s19, v7
	s_bcnt1_i32_b64 s20, s[10:11]
	v_cmp_eq_u32_e64 s[6:7], 0, v7
                                        ; implicit-def: $vgpr8
	s_and_saveexec_b64 s[16:17], s[6:7]
; %bb.27:                               ;   in Loop: Header=BB93_23 Depth=2
	s_bcnt1_i32_b64 s6, s[18:19]
	s_mul_i32 s6, s20, s6
	v_mov_b32_e32 v8, s6
	ds_add_rtn_u32 v8, v10, v8 offset:5144
; %bb.28:                               ;   in Loop: Header=BB93_23 Depth=2
	s_or_b64 exec, exec, s[16:17]
	s_waitcnt lgkmcnt(0)
	v_readfirstlane_b32 s6, v8
	v_mov_b32_e32 v8, s6
	v_mad_u32_u24 v7, s20, v7, v8
.LBB93_29:                              ;   in Loop: Header=BB93_23 Depth=2
	s_or_b64 exec, exec, s[14:15]
	ds_bpermute_b32 v7, v25, v7
	s_and_b64 s[6:7], exec, vcc
	s_or_b64 s[12:13], s[6:7], s[12:13]
	s_and_saveexec_b64 s[6:7], s[10:11]
	s_cbranch_execz .LBB93_22
; %bb.30:                               ;   in Loop: Header=BB93_23 Depth=2
	v_and_b32_e32 v9, s10, v27
	v_and_b32_e32 v8, s11, v26
	v_bcnt_u32_b32 v9, v9, 0
	v_bcnt_u32_b32 v8, v8, v9
	v_lshlrev_b32_e32 v8, 2, v8
	s_waitcnt lgkmcnt(0)
	v_lshl_add_u32 v7, v7, 2, v8
	ds_write_b32 v7, v5
	s_branch .LBB93_22
.LBB93_31:                              ;   in Loop: Header=BB93_17 Depth=1
	s_mov_b64 s[2:3], -1
	s_mov_b64 s[6:7], 0
.LBB93_32:                              ;   in Loop: Header=BB93_17 Depth=1
	s_and_b64 vcc, exec, s[2:3]
	s_cbranch_vccz .LBB93_42
.LBB93_33:                              ;   in Loop: Header=BB93_17 Depth=1
	s_mov_b64 s[2:3], exec
	v_readlane_b32 s6, v47, 24
	v_readlane_b32 s7, v47, 25
	s_and_b64 s[6:7], s[2:3], s[6:7]
	s_mov_b64 exec, s[6:7]
	s_cbranch_execz .LBB93_39
; %bb.34:                               ;   in Loop: Header=BB93_17 Depth=1
	global_load_ushort v2, v10, s[86:87]
	global_load_dword v7, v[13:14], off
	s_waitcnt vmcnt(1)
	v_and_b32_e32 v6, 0xffff, v2
	v_add_u32_e32 v9, v6, v0
	v_cmp_gt_u64_e32 vcc, s[52:53], v[9:10]
	v_mov_b32_e32 v2, v0
	s_and_saveexec_b64 s[6:7], vcc
	s_cbranch_execz .LBB93_38
; %bb.35:                               ;   in Loop: Header=BB93_17 Depth=1
	v_mov_b32_e32 v4, v9
	v_mov_b32_e32 v3, v1
	s_mov_b64 s[8:9], 0
	v_mov_b32_e32 v5, v10
	v_mov_b32_e32 v2, v0
.LBB93_36:                              ;   Parent Loop BB93_17 Depth=1
                                        ; =>  This Inner Loop Header: Depth=2
	v_mov_b32_e32 v21, v5
	v_mov_b32_e32 v20, v4
	v_mul_lo_u32 v5, v21, s68
	v_mul_lo_u32 v8, v20, s69
	v_mad_u64_u32 v[3:4], s[10:11], v20, s68, 0
	v_mov_b32_e32 v9, s64
	v_lshlrev_b32_e32 v2, 2, v2
	v_add3_u32 v4, v4, v8, v5
	v_lshlrev_b64 v[3:4], 2, v[3:4]
	s_waitcnt vmcnt(0)
	ds_write_b32 v2, v7
	v_add_co_u32_e32 v3, vcc, s33, v3
	v_addc_co_u32_e32 v4, vcc, v9, v4, vcc
	global_load_dword v8, v[3:4], off
	v_add_co_u32_e32 v4, vcc, v20, v6
	v_addc_co_u32_e32 v5, vcc, 0, v21, vcc
	v_cmp_le_u64_e32 vcc, s[52:53], v[4:5]
	v_mov_b32_e32 v2, v20
	s_or_b64 s[8:9], vcc, s[8:9]
	v_mov_b32_e32 v3, v21
	s_waitcnt vmcnt(0)
	v_mov_b32_e32 v7, v8
	s_andn2_b64 exec, exec, s[8:9]
	s_cbranch_execnz .LBB93_36
; %bb.37:                               ;   in Loop: Header=BB93_17 Depth=1
	s_or_b64 exec, exec, s[8:9]
	v_sub_u32_e32 v2, v4, v6
	v_mov_b32_e32 v7, v8
.LBB93_38:                              ;   in Loop: Header=BB93_17 Depth=1
	s_or_b64 exec, exec, s[6:7]
	v_lshlrev_b32_e32 v2, 2, v2
	s_waitcnt vmcnt(0)
	ds_write_b32 v2, v7
.LBB93_39:                              ;   in Loop: Header=BB93_17 Depth=1
	s_or_b64 exec, exec, s[2:3]
	s_waitcnt lgkmcnt(0)
	s_barrier
	s_mov_b64 s[2:3], exec
	v_readlane_b32 s6, v47, 8
	v_readlane_b32 s7, v47, 9
	s_and_b64 s[6:7], s[2:3], s[6:7]
	s_mov_b64 exec, s[6:7]
; %bb.40:                               ;   in Loop: Header=BB93_17 Depth=1
	v_mov_b32_e32 v2, s52
	v_mov_b32_e32 v3, s53
	ds_write_b64 v10, v[2:3] offset:5120
; %bb.41:                               ;   in Loop: Header=BB93_17 Depth=1
	s_or_b64 exec, exec, s[2:3]
	s_mov_b64 s[6:7], -1
	s_waitcnt lgkmcnt(0)
	s_barrier
.LBB93_42:                              ;   in Loop: Header=BB93_17 Depth=1
	s_mov_b64 s[60:61], 0
	s_and_b64 vcc, exec, s[6:7]
	s_cbranch_vccz .LBB93_44
; %bb.43:                               ;   in Loop: Header=BB93_17 Depth=1
	ds_read_b64 v[2:3], v10 offset:5120
	s_waitcnt lgkmcnt(0)
	v_readfirstlane_b32 s60, v2
.LBB93_44:                              ;   in Loop: Header=BB93_17 Depth=1
	s_cmp_lt_i32 s60, 1
	s_mov_b64 s[2:3], -1
                                        ; implicit-def: $vgpr2_vgpr3
                                        ; implicit-def: $vgpr6_vgpr7
	s_cbranch_scc1 .LBB93_54
; %bb.45:                               ;   in Loop: Header=BB93_17 Depth=1
	s_and_b64 vcc, exec, s[2:3]
	s_cbranch_vccnz .LBB93_68
.LBB93_46:                              ;   in Loop: Header=BB93_17 Depth=1
	v_lshlrev_b32_e32 v16, 6, v33
	s_and_saveexec_b64 s[2:3], s[4:5]
	s_cbranch_execz .LBB93_48
.LBB93_47:                              ;   in Loop: Header=BB93_17 Depth=1
	v_lshl_add_u32 v20, v16, 3, v28
	ds_write_b128 v20, v[2:5]
	ds_write_b128 v20, v[6:9] offset:16
.LBB93_48:                              ;   in Loop: Header=BB93_17 Depth=1
	s_or_b64 exec, exec, s[2:3]
	s_waitcnt lgkmcnt(0)
	s_barrier
	s_and_saveexec_b64 s[2:3], s[80:81]
	s_cbranch_execz .LBB93_83
; %bb.49:                               ;   in Loop: Header=BB93_17 Depth=1
	v_readlane_b32 s6, v47, 28
	v_mov_b32_e32 v2, 0
	v_readlane_b32 s7, v47, 29
	v_mov_b32_e32 v3, 0
	s_andn2_b64 vcc, exec, s[6:7]
	s_cbranch_vccnz .LBB93_82
; %bb.50:                               ;   in Loop: Header=BB93_17 Depth=1
	v_readlane_b32 s6, v47, 32
	v_readlane_b32 s7, v47, 33
	s_andn2_b64 vcc, exec, s[6:7]
	s_cbranch_vccnz .LBB93_78
; %bb.51:                               ;   in Loop: Header=BB93_17 Depth=1
	v_mov_b32_e32 v2, 0
	v_lshl_add_u32 v4, v33, 9, v31
	v_mov_b32_e32 v3, 0
	s_mov_b32 s6, 0
.LBB93_52:                              ;   Parent Loop BB93_17 Depth=1
                                        ; =>  This Inner Loop Header: Depth=2
	ds_read2_b64 v[5:8], v4 offset1:4
	ds_read2_b64 v[35:38], v4 offset0:8 offset1:12
	ds_read2_b64 v[39:42], v4 offset0:16 offset1:20
	;; [unrolled: 1-line block ×3, first 2 shown]
	s_add_i32 s6, s6, 8
	s_waitcnt lgkmcnt(3)
	v_add_co_u32_e32 v2, vcc, v5, v2
	v_addc_co_u32_e32 v3, vcc, v6, v3, vcc
	v_add_co_u32_e32 v2, vcc, v7, v2
	v_addc_co_u32_e32 v3, vcc, v8, v3, vcc
	s_waitcnt lgkmcnt(2)
	v_add_co_u32_e32 v2, vcc, v35, v2
	v_addc_co_u32_e32 v3, vcc, v36, v3, vcc
	v_add_co_u32_e32 v2, vcc, v37, v2
	v_addc_co_u32_e32 v3, vcc, v38, v3, vcc
	;; [unrolled: 5-line block ×3, first 2 shown]
	s_waitcnt lgkmcnt(0)
	v_add_co_u32_e32 v2, vcc, v43, v2
	v_addc_co_u32_e32 v3, vcc, v44, v3, vcc
	v_add_co_u32_e32 v2, vcc, v45, v2
	v_add_u32_e32 v4, 0x100, v4
	s_cmp_eq_u32 s1, s6
	v_addc_co_u32_e32 v3, vcc, v46, v3, vcc
	s_cbranch_scc0 .LBB93_52
; %bb.53:                               ;   in Loop: Header=BB93_17 Depth=1
	s_mov_b32 s6, s1
	s_branch .LBB93_79
.LBB93_54:                              ;   in Loop: Header=BB93_17 Depth=1
	global_load_ushort v16, v10, s[86:87]
	s_mov_b32 s2, s79
	s_waitcnt vmcnt(0)
	v_readfirstlane_b32 s3, v16
	s_and_b32 s3, 0xffff, s3
	s_lshl_b32 s8, s3, 2
	s_mov_b32 s3, s53
	s_cmp_lg_u64 s[2:3], 0
	s_cbranch_scc0 .LBB93_77
; %bb.55:                               ;   in Loop: Header=BB93_17 Depth=1
	v_cvt_f32_u32_e32 v2, s8
	s_sub_u32 s6, 0, s8
	s_subb_u32 s7, 0, 0
	v_mac_f32_e32 v2, 0, v32
	v_rcp_f32_e32 v2, v2
	v_mul_f32_e32 v2, 0x5f7ffffc, v2
	v_mul_f32_e32 v3, 0x2f800000, v2
	v_trunc_f32_e32 v3, v3
	v_mac_f32_e32 v2, 0xcf800000, v3
	v_cvt_u32_f32_e32 v3, v3
	v_cvt_u32_f32_e32 v2, v2
	v_readfirstlane_b32 s9, v3
	v_readfirstlane_b32 s2, v2
	s_mul_i32 s3, s6, s9
	s_mul_hi_u32 s11, s6, s2
	s_mul_i32 s10, s7, s2
	s_add_i32 s3, s11, s3
	s_mul_i32 s12, s6, s2
	s_add_i32 s3, s3, s10
	s_mul_hi_u32 s11, s2, s12
	s_mul_i32 s13, s2, s3
	s_mul_hi_u32 s10, s2, s3
	s_add_u32 s11, s11, s13
	s_addc_u32 s10, 0, s10
	s_mul_hi_u32 s14, s9, s12
	s_mul_i32 s12, s9, s12
	s_add_u32 s11, s11, s12
	s_mul_hi_u32 s13, s9, s3
	s_addc_u32 s10, s10, s14
	s_addc_u32 s11, s13, 0
	s_mul_i32 s3, s9, s3
	s_add_u32 s3, s10, s3
	s_addc_u32 s10, 0, s11
	s_add_u32 s11, s2, s3
	s_cselect_b64 s[2:3], -1, 0
	s_cmp_lg_u64 s[2:3], 0
	s_addc_u32 s9, s9, s10
	s_mul_i32 s2, s6, s9
	s_mul_hi_u32 s3, s6, s11
	s_add_i32 s2, s3, s2
	s_mul_i32 s7, s7, s11
	s_add_i32 s2, s2, s7
	s_mul_i32 s6, s6, s11
	s_mul_hi_u32 s7, s9, s6
	s_mul_i32 s10, s9, s6
	s_mul_i32 s13, s11, s2
	s_mul_hi_u32 s6, s11, s6
	s_mul_hi_u32 s12, s11, s2
	s_add_u32 s6, s6, s13
	s_addc_u32 s12, 0, s12
	s_add_u32 s6, s6, s10
	s_mul_hi_u32 s3, s9, s2
	s_addc_u32 s6, s12, s7
	s_addc_u32 s3, s3, 0
	s_mul_i32 s2, s9, s2
	s_add_u32 s2, s6, s2
	s_addc_u32 s6, 0, s3
	s_add_u32 s7, s11, s2
	s_cselect_b64 s[2:3], -1, 0
	s_cmp_lg_u64 s[2:3], 0
	s_addc_u32 s2, s9, s6
	s_mul_i32 s6, s52, s2
	s_mul_hi_u32 s9, s52, s7
	s_mul_hi_u32 s3, s52, s2
	s_add_u32 s6, s9, s6
	s_addc_u32 s3, 0, s3
	s_mul_hi_u32 s10, s53, s7
	s_mul_i32 s7, s53, s7
	s_add_u32 s6, s6, s7
	s_mul_hi_u32 s9, s53, s2
	s_addc_u32 s3, s3, s10
	s_addc_u32 s6, s9, 0
	s_mul_i32 s2, s53, s2
	s_add_u32 s2, s3, s2
	s_addc_u32 s3, 0, s6
	s_mul_i32 s3, s8, s3
	s_mul_hi_u32 s6, s8, s2
	s_add_i32 s6, s6, s3
	s_mul_i32 s2, s8, s2
	s_sub_u32 s7, s52, s2
	s_cselect_b64 s[2:3], -1, 0
	s_cmp_lg_u64 s[2:3], 0
	s_subb_u32 s6, s53, s6
	s_sub_u32 s9, s7, s8
	s_cselect_b64 s[2:3], -1, 0
	s_cmp_lg_u64 s[2:3], 0
	s_subb_u32 s10, s6, 0
	;; [unrolled: 4-line block ×3, first 2 shown]
	s_cmp_ge_u32 s9, s8
	s_cselect_b32 s3, -1, 0
	s_cmp_eq_u32 s10, 0
	s_cselect_b32 s3, s3, -1
	s_cmp_lg_u32 s3, 0
	s_cselect_b32 s2, s2, s10
	s_cselect_b32 s9, s11, s9
	s_cmp_ge_u32 s7, s8
	s_cselect_b32 s3, -1, 0
	s_cmp_eq_u32 s6, 0
	s_cselect_b32 s3, s3, -1
	s_cmp_lg_u32 s3, 0
	s_cselect_b32 s3, s2, s6
	s_cselect_b32 s2, s9, s7
	s_cbranch_execnz .LBB93_57
.LBB93_56:                              ;   in Loop: Header=BB93_17 Depth=1
	v_cvt_f32_u32_e32 v2, s8
	s_sub_i32 s2, 0, s8
	v_rcp_iflag_f32_e32 v2, v2
	v_mul_f32_e32 v2, 0x4f7ffffe, v2
	v_cvt_u32_f32_e32 v2, v2
	v_readfirstlane_b32 s3, v2
	s_mul_i32 s2, s2, s3
	s_mul_hi_u32 s2, s3, s2
	s_add_i32 s3, s3, s2
	s_mul_hi_u32 s2, s52, s3
	s_mul_i32 s2, s2, s8
	s_sub_i32 s2, s52, s2
	s_sub_i32 s3, s2, s8
	s_cmp_ge_u32 s2, s8
	s_cselect_b32 s2, s3, s2
	s_sub_i32 s3, s2, s8
	s_cmp_ge_u32 s2, s8
	s_cselect_b32 s78, s3, s2
	s_mov_b64 s[2:3], s[78:79]
.LBB93_57:                              ;   in Loop: Header=BB93_17 Depth=1
	s_sub_u32 s50, s52, s2
	s_subb_u32 s51, s53, s3
	v_cmp_gt_u64_e32 vcc, s[50:51], v[11:12]
	v_mov_b32_e32 v2, 0
	v_mov_b32_e32 v4, 0
	;; [unrolled: 1-line block ×8, first 2 shown]
	s_and_saveexec_b64 s[62:63], vcc
	s_cbranch_execz .LBB93_61
; %bb.58:                               ;   in Loop: Header=BB93_17 Depth=1
	v_mov_b32_e32 v21, v12
	s_mov_b64 s[72:73], 0
	s_mov_b64 s[54:55], 0
	;; [unrolled: 1-line block ×5, first 2 shown]
	v_mov_b32_e32 v20, v11
.LBB93_59:                              ;   Parent Loop BB93_17 Depth=1
                                        ; =>  This Inner Loop Header: Depth=2
	v_mul_lo_u32 v4, v21, s68
	v_mul_lo_u32 v5, v20, s69
	v_mad_u64_u32 v[2:3], s[2:3], v20, s68, 0
	v_mov_b32_e32 v6, s64
	s_lshl_b64 s[2:3], s[68:69], 2
	v_add3_u32 v3, v3, v5, v4
	v_lshlrev_b64 v[2:3], 2, v[2:3]
	v_mov_b32_e32 v7, s3
	v_add_co_u32_e64 v2, s[6:7], s33, v2
	v_addc_co_u32_e64 v3, s[6:7], v6, v3, s[6:7]
	v_add_co_u32_e64 v4, s[6:7], s2, v2
	v_addc_co_u32_e64 v5, s[6:7], v3, v7, s[6:7]
	global_load_dword v6, v[2:3], off
	global_load_dword v8, v[4:5], off
	v_add_co_u32_e64 v2, s[6:7], s2, v4
	v_addc_co_u32_e64 v3, s[6:7], v5, v7, s[6:7]
	global_load_dword v4, v[2:3], off
	v_add_co_u32_e64 v2, s[6:7], s2, v2
	v_addc_co_u32_e64 v3, s[6:7], v3, v7, s[6:7]
	global_load_dword v2, v[2:3], off
	v_add_co_u32_e32 v20, vcc, s8, v20
	v_addc_co_u32_e32 v21, vcc, 0, v21, vcc
	v_cmp_le_u64_e32 vcc, s[50:51], v[20:21]
	s_waitcnt vmcnt(3)
	v_xor_b32_e32 v3, 0x80000000, v6
	s_waitcnt vmcnt(2)
	v_xor_b32_e32 v5, 0x80000000, v8
	v_and_b32_e32 v6, v3, v34
	v_bfe_u32 v3, v3, s83, 2
	v_cmp_eq_u32_e64 s[10:11], v6, v29
	v_and_b32_e32 v6, v5, v34
	s_waitcnt vmcnt(1)
	v_xor_b32_e32 v4, 0x80000000, v4
	v_bfe_u32 v5, v5, s83, 2
	v_cmp_eq_u32_e64 s[6:7], 0, v3
	v_cmp_eq_u32_e64 s[28:29], 1, v3
	;; [unrolled: 1-line block ×4, first 2 shown]
	s_waitcnt vmcnt(0)
	v_xor_b32_e32 v2, 0x80000000, v2
	v_cmp_eq_u32_e64 s[12:13], v6, v29
	v_and_b32_e32 v3, v4, v34
	v_bfe_u32 v4, v4, s83, 2
	v_cmp_eq_u32_e64 s[22:23], 0, v5
	s_and_b64 s[2:3], s[10:11], s[6:7]
	v_cmp_eq_u32_e64 s[34:35], 1, v5
	v_cmp_eq_u32_e64 s[36:37], 2, v5
	;; [unrolled: 1-line block ×3, first 2 shown]
	v_cndmask_b32_e64 v5, 0, 1, s[2:3]
	v_cmp_eq_u32_e64 s[18:19], v3, v29
	v_and_b32_e32 v3, v2, v34
	v_bfe_u32 v2, v2, s83, 2
	v_cmp_eq_u32_e64 s[6:7], 0, v4
	s_and_b64 s[2:3], s[12:13], s[22:23]
	v_cmp_eq_u32_e64 s[38:39], 1, v4
	v_cmp_eq_u32_e64 s[40:41], 2, v4
	;; [unrolled: 1-line block ×3, first 2 shown]
	v_cndmask_b32_e64 v4, 0, 1, s[2:3]
	v_cmp_eq_u32_e64 s[22:23], v3, v29
	v_cmp_eq_u32_e64 s[44:45], 0, v2
	s_and_b64 s[2:3], s[18:19], s[6:7]
	v_cmp_eq_u32_e64 s[46:47], 1, v2
	v_cmp_eq_u32_e64 s[48:49], 2, v2
	;; [unrolled: 1-line block ×3, first 2 shown]
	v_cndmask_b32_e64 v2, 0, 1, s[2:3]
	s_and_b64 s[2:3], s[22:23], s[44:45]
	v_cmp_ne_u32_e64 s[42:43], 0, v5
	v_cmp_ne_u32_e64 s[6:7], 0, v2
	v_cndmask_b32_e64 v2, 0, 1, s[2:3]
	s_bcnt1_i32_b64 s9, s[42:43]
	v_cmp_ne_u32_e64 s[42:43], 0, v4
	s_bcnt1_i32_b64 s2, s[6:7]
	v_cmp_ne_u32_e64 s[6:7], 0, v2
	s_bcnt1_i32_b64 s42, s[42:43]
	s_bcnt1_i32_b64 s3, s[6:7]
	s_add_u32 s6, s9, s90
	s_addc_u32 s7, 0, s91
	s_add_u32 s6, s6, s42
	s_addc_u32 s7, s7, 0
	s_add_u32 s2, s6, s2
	s_addc_u32 s6, s7, 0
	s_add_u32 s90, s2, s3
	s_addc_u32 s91, s6, 0
	s_and_b64 s[2:3], s[10:11], s[28:29]
	v_cndmask_b32_e64 v4, 0, 1, s[2:3]
	s_and_b64 s[2:3], s[12:13], s[34:35]
	v_cndmask_b32_e64 v5, 0, 1, s[2:3]
	s_and_b64 s[2:3], s[18:19], s[38:39]
	v_cndmask_b32_e64 v6, 0, 1, s[2:3]
	s_and_b64 s[2:3], s[22:23], s[46:47]
	v_cndmask_b32_e64 v7, 0, 1, s[2:3]
	v_cmp_ne_u32_e64 s[6:7], 0, v4
	v_cmp_ne_u32_e64 s[28:29], 0, v5
	v_cmp_ne_u32_e64 s[34:35], 0, v6
	v_cmp_ne_u32_e64 s[38:39], 0, v7
	s_bcnt1_i32_b64 s2, s[6:7]
	s_bcnt1_i32_b64 s3, s[28:29]
	s_bcnt1_i32_b64 s6, s[34:35]
	s_bcnt1_i32_b64 s7, s[38:39]
	s_add_u32 s2, s2, s88
	s_addc_u32 s9, 0, s89
	s_add_u32 s2, s2, s3
	s_addc_u32 s3, s9, 0
	s_add_u32 s2, s2, s6
	s_addc_u32 s3, s3, 0
	s_add_u32 s88, s2, s7
	s_addc_u32 s89, s3, 0
	s_and_b64 s[2:3], s[10:11], s[30:31]
	v_cndmask_b32_e64 v6, 0, 1, s[2:3]
	s_and_b64 s[2:3], s[12:13], s[36:37]
	v_cndmask_b32_e64 v7, 0, 1, s[2:3]
	s_and_b64 s[2:3], s[18:19], s[40:41]
	v_cndmask_b32_e64 v8, 0, 1, s[2:3]
	s_and_b64 s[2:3], s[22:23], s[48:49]
	v_cndmask_b32_e64 v9, 0, 1, s[2:3]
	v_cmp_ne_u32_e64 s[6:7], 0, v6
	v_cmp_ne_u32_e64 s[28:29], 0, v7
	v_cmp_ne_u32_e64 s[30:31], 0, v8
	v_cmp_ne_u32_e64 s[34:35], 0, v9
	s_bcnt1_i32_b64 s2, s[6:7]
	s_bcnt1_i32_b64 s3, s[28:29]
	;; [unrolled: 24-line block ×3, first 2 shown]
	s_bcnt1_i32_b64 s6, s[12:13]
	s_bcnt1_i32_b64 s7, s[14:15]
	s_add_u32 s2, s2, s54
	s_addc_u32 s9, 0, s55
	s_add_u32 s2, s2, s3
	s_addc_u32 s3, s9, 0
	;; [unrolled: 2-line block ×3, first 2 shown]
	s_add_u32 s54, s2, s7
	v_mov_b32_e32 v2, s90
	v_mov_b32_e32 v4, s88
	;; [unrolled: 1-line block ×3, first 2 shown]
	s_addc_u32 s55, s3, 0
	v_mov_b32_e32 v8, s54
	v_mov_b32_e32 v3, s91
	;; [unrolled: 1-line block ×4, first 2 shown]
	s_or_b64 s[72:73], vcc, s[72:73]
	v_mov_b32_e32 v9, s55
	s_andn2_b64 exec, exec, s[72:73]
	s_cbranch_execnz .LBB93_59
; %bb.60:                               ;   in Loop: Header=BB93_17 Depth=1
	s_or_b64 exec, exec, s[72:73]
.LBB93_61:                              ;   in Loop: Header=BB93_17 Depth=1
	s_or_b64 exec, exec, s[62:63]
	v_mov_b32_e32 v21, s51
	v_add_co_u32_e32 v20, vcc, s50, v0
	v_addc_co_u32_e32 v21, vcc, 0, v21, vcc
	v_cmp_gt_u64_e32 vcc, s[52:53], v[20:21]
	s_and_saveexec_b64 s[2:3], vcc
	s_cbranch_execz .LBB93_67
; %bb.62:                               ;   in Loop: Header=BB93_17 Depth=1
	v_mul_lo_u32 v37, v21, s68
	v_mul_lo_u32 v38, v20, s69
	v_mad_u64_u32 v[35:36], s[6:7], v20, s68, 0
	s_mov_b64 s[8:9], 0
	v_add3_u32 v36, v36, v38, v37
	v_lshlrev_b64 v[35:36], 2, v[35:36]
	v_mov_b32_e32 v37, s64
	v_add_co_u32_e32 v35, vcc, s33, v35
	v_addc_co_u32_e32 v36, vcc, v37, v36, vcc
	global_load_dword v36, v[35:36], off
	s_branch .LBB93_64
.LBB93_63:                              ;   in Loop: Header=BB93_64 Depth=2
	s_or_b64 exec, exec, s[10:11]
	s_waitcnt vmcnt(0)
	v_xor_b32_e32 v36, 0x80000000, v36
	s_and_b64 s[6:7], exec, vcc
	v_and_b32_e32 v37, v36, v34
	v_bfe_u32 v36, v36, s83, 2
	s_or_b64 s[8:9], s[6:7], s[8:9]
	v_cmp_eq_u32_e32 vcc, v37, v29
	v_cmp_eq_u32_e64 s[6:7], 0, v36
	s_and_b64 s[6:7], vcc, s[6:7]
	v_cndmask_b32_e64 v37, 0, 1, s[6:7]
	v_cmp_ne_u32_e64 s[6:7], 0, v37
	s_bcnt1_i32_b64 s6, s[6:7]
	v_add_co_u32_e64 v2, s[6:7], s6, v2
	v_addc_co_u32_e64 v3, s[6:7], 0, v3, s[6:7]
	v_cmp_eq_u32_e64 s[6:7], 1, v36
	s_and_b64 s[6:7], vcc, s[6:7]
	v_cndmask_b32_e64 v37, 0, 1, s[6:7]
	v_cmp_ne_u32_e64 s[6:7], 0, v37
	s_bcnt1_i32_b64 s6, s[6:7]
	v_add_co_u32_e64 v4, s[6:7], s6, v4
	v_addc_co_u32_e64 v5, s[6:7], 0, v5, s[6:7]
	;; [unrolled: 7-line block ×3, first 2 shown]
	v_cmp_eq_u32_e64 s[6:7], 3, v36
	s_and_b64 s[6:7], vcc, s[6:7]
	v_cndmask_b32_e64 v36, 0, 1, s[6:7]
	v_cmp_ne_u32_e32 vcc, 0, v36
	s_bcnt1_i32_b64 s6, vcc
	v_add_co_u32_e32 v8, vcc, s6, v8
	v_addc_co_u32_e32 v9, vcc, 0, v9, vcc
	v_mov_b32_e32 v36, v35
	s_andn2_b64 exec, exec, s[8:9]
	s_cbranch_execz .LBB93_66
.LBB93_64:                              ;   Parent Loop BB93_17 Depth=1
                                        ; =>  This Inner Loop Header: Depth=2
	v_add_co_u32_sdwa v20, vcc, v20, v16 dst_sel:DWORD dst_unused:UNUSED_PAD src0_sel:DWORD src1_sel:WORD_0
	v_addc_co_u32_e32 v21, vcc, 0, v21, vcc
	v_cmp_gt_u64_e64 s[6:7], s[52:53], v[20:21]
	v_cmp_le_u64_e32 vcc, s[52:53], v[20:21]
	v_mov_b32_e32 v35, 0
	s_and_saveexec_b64 s[10:11], s[6:7]
	s_cbranch_execz .LBB93_63
; %bb.65:                               ;   in Loop: Header=BB93_64 Depth=2
	v_mul_lo_u32 v35, v21, s68
	v_mul_lo_u32 v39, v20, s69
	v_mad_u64_u32 v[37:38], s[6:7], v20, s68, 0
	v_add3_u32 v38, v38, v39, v35
	v_lshlrev_b64 v[37:38], 2, v[37:38]
	v_mov_b32_e32 v35, s64
	v_add_co_u32_e64 v37, s[6:7], s33, v37
	v_addc_co_u32_e64 v38, s[6:7], v35, v38, s[6:7]
	global_load_dword v35, v[37:38], off
	s_branch .LBB93_63
.LBB93_66:                              ;   in Loop: Header=BB93_17 Depth=1
	s_or_b64 exec, exec, s[8:9]
.LBB93_67:                              ;   in Loop: Header=BB93_17 Depth=1
	s_or_b64 exec, exec, s[2:3]
	s_branch .LBB93_46
.LBB93_68:                              ;   in Loop: Header=BB93_17 Depth=1
	global_load_ushort v16, v10, s[86:87]
	v_mov_b32_e32 v6, 0
	v_mov_b32_e32 v7, 0
	s_waitcnt vmcnt(0)
	v_readfirstlane_b32 s2, v16
	s_and_b32 s2, 0xffff, s2
	s_lshl_b32 s61, s2, 2
	v_cvt_f32_u32_e32 v2, s61
	s_sub_i32 s3, 0, s61
	v_rcp_iflag_f32_e32 v4, v2
	v_mov_b32_e32 v2, 0
	v_mov_b32_e32 v3, 0
	v_mul_f32_e32 v4, 0x4f7ffffe, v4
	v_cvt_u32_f32_e32 v8, v4
	v_mov_b32_e32 v4, 0
	v_mov_b32_e32 v5, 0
	v_readfirstlane_b32 s6, v8
	s_mul_i32 s3, s3, s6
	s_mul_hi_u32 s3, s6, s3
	s_add_i32 s6, s6, s3
	s_mul_hi_u32 s3, s60, s6
	s_mul_i32 s6, s3, s61
	s_sub_i32 s6, s60, s6
	s_add_i32 s7, s3, 1
	s_sub_i32 s8, s6, s61
	s_cmp_ge_u32 s6, s61
	s_cselect_b32 s3, s7, s3
	s_cselect_b32 s6, s8, s6
	s_add_i32 s7, s3, 1
	s_cmp_ge_u32 s6, s61
	s_cselect_b32 s3, s7, s3
	s_mul_hi_u32 s63, s2, s3
	s_mul_i32 s62, s2, s3
	s_lshl_b64 s[54:55], s[62:63], 2
	v_cmp_gt_u64_e32 vcc, s[54:55], v[11:12]
	v_mov_b32_e32 v8, 0
	v_mov_b32_e32 v9, 0
	s_and_saveexec_b64 s[70:71], vcc
	s_cbranch_execz .LBB93_72
; %bb.69:                               ;   in Loop: Header=BB93_17 Depth=1
	v_mov_b32_e32 v21, v12
	s_lshl_b32 s63, s2, 4
	s_mov_b64 s[72:73], 0
	v_mov_b32_e32 v35, v30
	s_mov_b64 s[88:89], 0
	s_mov_b64 s[90:91], 0
	;; [unrolled: 1-line block ×4, first 2 shown]
	v_mov_b32_e32 v20, v11
.LBB93_70:                              ;   Parent Loop BB93_17 Depth=1
                                        ; =>  This Inner Loop Header: Depth=2
	ds_read_b128 v[2:5], v35
	v_add_co_u32_e32 v20, vcc, s61, v20
	v_addc_co_u32_e32 v21, vcc, 0, v21, vcc
	s_waitcnt lgkmcnt(0)
	v_xor_b32_e32 v2, 0x80000000, v2
	v_xor_b32_e32 v3, 0x80000000, v3
	v_and_b32_e32 v6, v2, v34
	v_bfe_u32 v2, v2, s83, 2
	v_xor_b32_e32 v4, 0x80000000, v4
	v_and_b32_e32 v7, v3, v34
	v_bfe_u32 v3, v3, s83, 2
	v_cmp_eq_u32_e64 s[16:17], v6, v29
	v_cmp_eq_u32_e64 s[6:7], 0, v2
	v_xor_b32_e32 v5, 0x80000000, v5
	v_and_b32_e32 v8, v4, v34
	v_bfe_u32 v4, v4, s83, 2
	v_cmp_eq_u32_e64 s[14:15], v7, v29
	v_cmp_eq_u32_e64 s[28:29], 0, v3
	s_and_b64 s[6:7], s[16:17], s[6:7]
	v_and_b32_e32 v9, v5, v34
	v_bfe_u32 v5, v5, s83, 2
	v_cmp_eq_u32_e64 s[12:13], v8, v29
	v_cmp_eq_u32_e64 s[30:31], 0, v4
	;; [unrolled: 1-line block ×5, first 2 shown]
	v_cndmask_b32_e64 v2, 0, 1, s[6:7]
	s_and_b64 s[6:7], s[14:15], s[28:29]
	v_cmp_eq_u32_e64 s[10:11], v9, v29
	v_cmp_eq_u32_e64 s[34:35], 0, v5
	;; [unrolled: 1-line block ×5, first 2 shown]
	v_cndmask_b32_e64 v3, 0, 1, s[6:7]
	s_and_b64 s[6:7], s[12:13], s[30:31]
	v_cmp_eq_u32_e64 s[40:41], 1, v4
	v_cmp_eq_u32_e64 s[48:49], 2, v4
	v_cmp_eq_u32_e64 s[20:21], 3, v4
	v_cndmask_b32_e64 v4, 0, 1, s[6:7]
	s_and_b64 s[6:7], s[10:11], s[34:35]
	v_cmp_eq_u32_e64 s[42:43], 1, v5
	v_cmp_eq_u32_e64 s[50:51], 2, v5
	;; [unrolled: 1-line block ×3, first 2 shown]
	v_cndmask_b32_e64 v5, 0, 1, s[6:7]
	v_cmp_ne_u32_e64 s[6:7], 0, v2
	v_cmp_ne_u32_e64 s[28:29], 0, v3
	v_cmp_ne_u32_e64 s[30:31], 0, v4
	v_cmp_ne_u32_e64 s[34:35], 0, v5
	s_bcnt1_i32_b64 s6, s[6:7]
	s_bcnt1_i32_b64 s7, s[28:29]
	s_bcnt1_i32_b64 s28, s[30:31]
	s_bcnt1_i32_b64 s29, s[34:35]
	s_add_u32 s6, s6, s8
	s_addc_u32 s8, 0, s9
	s_add_u32 s6, s6, s7
	s_addc_u32 s7, s8, 0
	s_add_u32 s6, s6, s28
	s_addc_u32 s7, s7, 0
	s_add_u32 s8, s6, s29
	s_addc_u32 s9, s7, 0
	s_and_b64 s[6:7], s[16:17], s[36:37]
	v_cndmask_b32_e64 v4, 0, 1, s[6:7]
	s_and_b64 s[6:7], s[14:15], s[38:39]
	v_cndmask_b32_e64 v5, 0, 1, s[6:7]
	s_and_b64 s[6:7], s[12:13], s[40:41]
	v_cndmask_b32_e64 v6, 0, 1, s[6:7]
	s_and_b64 s[6:7], s[10:11], s[42:43]
	v_cndmask_b32_e64 v7, 0, 1, s[6:7]
	v_cmp_ne_u32_e64 s[6:7], 0, v4
	v_cmp_ne_u32_e64 s[28:29], 0, v5
	v_cmp_ne_u32_e64 s[30:31], 0, v6
	v_cmp_ne_u32_e64 s[34:35], 0, v7
	s_bcnt1_i32_b64 s6, s[6:7]
	s_bcnt1_i32_b64 s7, s[28:29]
	s_bcnt1_i32_b64 s28, s[30:31]
	s_bcnt1_i32_b64 s29, s[34:35]
	s_add_u32 s2, s6, s2
	s_addc_u32 s3, 0, s3
	s_add_u32 s2, s2, s7
	s_addc_u32 s3, s3, 0
	s_add_u32 s2, s2, s28
	s_addc_u32 s3, s3, 0
	s_add_u32 s2, s2, s29
	s_addc_u32 s3, s3, 0
	s_and_b64 s[6:7], s[16:17], s[44:45]
	v_cndmask_b32_e64 v6, 0, 1, s[6:7]
	s_and_b64 s[6:7], s[14:15], s[46:47]
	v_cndmask_b32_e64 v7, 0, 1, s[6:7]
	s_and_b64 s[6:7], s[12:13], s[48:49]
	v_cndmask_b32_e64 v8, 0, 1, s[6:7]
	s_and_b64 s[6:7], s[10:11], s[50:51]
	;; [unrolled: 24-line block ×3, first 2 shown]
	v_cndmask_b32_e64 v37, 0, 1, s[6:7]
	v_cmp_ne_u32_e64 s[6:7], 0, v8
	v_cmp_ne_u32_e64 s[10:11], 0, v9
	;; [unrolled: 1-line block ×4, first 2 shown]
	s_bcnt1_i32_b64 s6, s[6:7]
	s_bcnt1_i32_b64 s7, s[10:11]
	;; [unrolled: 1-line block ×4, first 2 shown]
	s_add_u32 s6, s6, s88
	s_addc_u32 s12, 0, s89
	s_add_u32 s6, s6, s7
	s_addc_u32 s7, s12, 0
	;; [unrolled: 2-line block ×3, first 2 shown]
	v_cmp_le_u64_e32 vcc, s[54:55], v[20:21]
	s_add_u32 s88, s6, s11
	v_mov_b32_e32 v2, s8
	v_mov_b32_e32 v5, s3
	;; [unrolled: 1-line block ×3, first 2 shown]
	s_addc_u32 s89, s7, 0
	v_mov_b32_e32 v8, s88
	v_add_u32_e32 v35, s63, v35
	v_mov_b32_e32 v3, s9
	v_mov_b32_e32 v4, s2
	v_mov_b32_e32 v7, s91
	s_or_b64 s[72:73], vcc, s[72:73]
	v_mov_b32_e32 v9, s89
	s_andn2_b64 exec, exec, s[72:73]
	s_cbranch_execnz .LBB93_70
; %bb.71:                               ;   in Loop: Header=BB93_17 Depth=1
	s_or_b64 exec, exec, s[72:73]
.LBB93_72:                              ;   in Loop: Header=BB93_17 Depth=1
	s_or_b64 exec, exec, s[70:71]
	v_mov_b32_e32 v21, s55
	v_add_co_u32_e32 v20, vcc, s54, v0
	s_and_b32 s78, s60, 0x7fffffff
	v_addc_co_u32_e32 v21, vcc, 0, v21, vcc
	v_cmp_gt_u64_e32 vcc, s[78:79], v[20:21]
	s_and_saveexec_b64 s[2:3], vcc
	s_cbranch_execz .LBB93_76
; %bb.73:                               ;   in Loop: Header=BB93_17 Depth=1
	v_lshl_add_u32 v35, s62, 4, v11
	s_mov_b64 s[8:9], 0
.LBB93_74:                              ;   Parent Loop BB93_17 Depth=1
                                        ; =>  This Inner Loop Header: Depth=2
	ds_read_b32 v36, v35
	v_add_co_u32_sdwa v20, vcc, v20, v16 dst_sel:DWORD dst_unused:UNUSED_PAD src0_sel:DWORD src1_sel:WORD_0
	v_addc_co_u32_e32 v21, vcc, 0, v21, vcc
	s_waitcnt lgkmcnt(0)
	v_xor_b32_e32 v36, 0x80000000, v36
	v_and_b32_e32 v37, v36, v34
	v_bfe_u32 v36, v36, s83, 2
	v_cmp_eq_u32_e64 s[6:7], v37, v29
	v_cmp_eq_u32_e64 s[10:11], 0, v36
	;; [unrolled: 1-line block ×3, first 2 shown]
	s_and_b64 s[10:11], s[6:7], s[10:11]
	v_cmp_eq_u32_e64 s[14:15], 2, v36
	v_cmp_eq_u32_e64 s[16:17], 3, v36
	v_cndmask_b32_e64 v36, 0, 1, s[10:11]
	s_and_b64 s[10:11], s[6:7], s[12:13]
	v_cndmask_b32_e64 v37, 0, 1, s[10:11]
	s_and_b64 s[10:11], s[6:7], s[14:15]
	s_and_b64 s[6:7], s[6:7], s[16:17]
	v_cndmask_b32_e64 v39, 0, 1, s[6:7]
	v_cmp_ne_u32_e64 s[6:7], 0, v36
	s_bcnt1_i32_b64 s6, s[6:7]
	v_cndmask_b32_e64 v38, 0, 1, s[10:11]
	v_cmp_ne_u32_e64 s[10:11], 0, v37
	v_add_co_u32_e64 v2, s[6:7], s6, v2
	s_bcnt1_i32_b64 s10, s[10:11]
	v_addc_co_u32_e64 v3, s[6:7], 0, v3, s[6:7]
	v_cmp_le_u64_e32 vcc, s[78:79], v[20:21]
	v_cmp_ne_u32_e64 s[12:13], 0, v38
	v_cmp_ne_u32_e64 s[14:15], 0, v39
	v_add_co_u32_e64 v4, s[6:7], s10, v4
	s_bcnt1_i32_b64 s11, s[12:13]
	s_bcnt1_i32_b64 s12, s[14:15]
	v_addc_co_u32_e64 v5, s[6:7], 0, v5, s[6:7]
	v_add_co_u32_e64 v6, s[6:7], s11, v6
	s_or_b64 s[8:9], vcc, s[8:9]
	v_add_co_u32_e32 v8, vcc, s12, v8
	v_add_u32_e32 v35, s61, v35
	v_addc_co_u32_e64 v7, s[6:7], 0, v7, s[6:7]
	v_addc_co_u32_e32 v9, vcc, 0, v9, vcc
	s_andn2_b64 exec, exec, s[8:9]
	s_cbranch_execnz .LBB93_74
; %bb.75:                               ;   in Loop: Header=BB93_17 Depth=1
	s_or_b64 exec, exec, s[8:9]
.LBB93_76:                              ;   in Loop: Header=BB93_17 Depth=1
	s_or_b64 exec, exec, s[2:3]
	v_lshlrev_b32_e32 v16, 6, v33
	s_and_saveexec_b64 s[2:3], s[4:5]
	s_cbranch_execnz .LBB93_47
	s_branch .LBB93_48
.LBB93_77:                              ;   in Loop: Header=BB93_17 Depth=1
                                        ; implicit-def: $sgpr2_sgpr3
	s_branch .LBB93_56
.LBB93_78:                              ;   in Loop: Header=BB93_17 Depth=1
	v_mov_b32_e32 v2, 0
	v_mov_b32_e32 v3, 0
	s_mov_b32 s6, 0
.LBB93_79:                              ;   in Loop: Header=BB93_17 Depth=1
	v_readlane_b32 s8, v47, 35
	v_readlane_b32 s9, v47, 36
	s_andn2_b64 vcc, exec, s[8:9]
	s_cbranch_vccnz .LBB93_82
; %bb.80:                               ;   in Loop: Header=BB93_17 Depth=1
	v_lshlrev_b32_e32 v4, 9, v33
	s_lshl_b32 s6, s6, 5
	v_add_u32_e32 v4, s6, v4
	v_add_u32_e32 v4, v31, v4
	v_readlane_b32 s6, v47, 34
.LBB93_81:                              ;   Parent Loop BB93_17 Depth=1
                                        ; =>  This Inner Loop Header: Depth=2
	ds_read_b64 v[5:6], v4
	s_add_i32 s6, s6, -1
	v_add_u32_e32 v4, 32, v4
	s_cmp_lg_u32 s6, 0
	s_waitcnt lgkmcnt(0)
	v_add_co_u32_e32 v2, vcc, v5, v2
	v_addc_co_u32_e32 v3, vcc, v6, v3, vcc
	s_cbranch_scc1 .LBB93_81
.LBB93_82:                              ;   in Loop: Header=BB93_17 Depth=1
	v_add_lshl_u32 v4, v16, v22, 3
	ds_write_b64 v4, v[2:3] offset:3072
.LBB93_83:                              ;   in Loop: Header=BB93_17 Depth=1
	s_or_b64 exec, exec, s[2:3]
	v_lshlrev_b32_e32 v2, 3, v16
	s_waitcnt lgkmcnt(0)
	s_barrier
	ds_read_b128 v[6:9], v2 offset:3088
	ds_read_b128 v[2:5], v2 offset:3072
	v_cmp_eq_u64_e64 s[6:7], 1, v[18:19]
	s_lshl_b32 s62, 3, s83
	s_not_b32 s50, s62
	s_waitcnt lgkmcnt(1)
	v_readfirstlane_b32 s18, v6
	s_waitcnt lgkmcnt(0)
	v_cmp_eq_u64_e32 vcc, 1, v[2:3]
	v_readfirstlane_b32 s19, v7
	v_readfirstlane_b32 s10, v8
	v_readfirstlane_b32 s11, v9
	s_and_b64 s[14:15], vcc, s[6:7]
	s_mov_b64 s[6:7], -1
	s_mov_b64 s[2:3], -1
                                        ; implicit-def: $sgpr20_sgpr21
                                        ; implicit-def: $sgpr16_sgpr17
	s_and_saveexec_b64 s[12:13], s[14:15]
	s_cbranch_execz .LBB93_115
; %bb.84:                               ;   in Loop: Header=BB93_17 Depth=1
	ds_read_b64 v[6:7], v10 offset:5120
	s_waitcnt lgkmcnt(0)
	s_barrier
	v_readfirstlane_b32 s8, v6
	v_readfirstlane_b32 s9, v7
	s_and_saveexec_b64 s[2:3], s[26:27]
; %bb.85:                               ;   in Loop: Header=BB93_17 Depth=1
	ds_write_b32 v23, v10
; %bb.86:                               ;   in Loop: Header=BB93_17 Depth=1
	s_or_b64 exec, exec, s[2:3]
	v_and_b32_e32 v29, s50, v29
	v_or_b32_e32 v34, s62, v34
	s_mov_b64 s[16:17], -1
	s_mov_b64 s[20:21], 0
	s_cmp_eq_u64 s[8:9], 0
	s_mov_b64 s[2:3], 0
	s_mov_b64 s[22:23], -1
	s_waitcnt lgkmcnt(0)
	s_barrier
                                        ; implicit-def: $vgpr17
	s_cbranch_scc1 .LBB93_100
; %bb.87:                               ;   in Loop: Header=BB93_17 Depth=1
	v_readlane_b32 s2, v47, 30
	s_add_u32 s28, s8, s2
	v_readlane_b32 s2, v47, 31
	s_addc_u32 s3, s9, s2
	s_mov_b32 s2, s79
	s_cmp_lg_u64 s[2:3], 0
	s_cbranch_scc0 .LBB93_141
; %bb.88:                               ;   in Loop: Header=BB93_17 Depth=1
	v_cvt_f32_u32_e32 v6, s65
	s_sub_u32 s2, 0, s65
	s_subb_u32 s24, 0, 0
	v_mac_f32_e32 v6, 0, v32
	v_rcp_f32_e32 v6, v6
	v_mul_f32_e32 v6, 0x5f7ffffc, v6
	v_mul_f32_e32 v7, 0x2f800000, v6
	v_trunc_f32_e32 v7, v7
	v_mac_f32_e32 v6, 0xcf800000, v7
	v_cvt_u32_f32_e32 v7, v7
	v_cvt_u32_f32_e32 v6, v6
	v_readfirstlane_b32 s25, v7
	v_readfirstlane_b32 s22, v6
	s_mul_i32 s23, s2, s25
	s_mul_hi_u32 s30, s2, s22
	s_mul_i32 s29, s24, s22
	s_add_i32 s23, s30, s23
	s_mul_i32 s31, s2, s22
	s_add_i32 s23, s23, s29
	s_mul_hi_u32 s30, s22, s31
	s_mul_i32 s34, s22, s23
	s_mul_hi_u32 s29, s22, s23
	s_add_u32 s30, s30, s34
	s_addc_u32 s29, 0, s29
	s_mul_hi_u32 s35, s25, s31
	s_mul_i32 s31, s25, s31
	s_add_u32 s30, s30, s31
	s_mul_hi_u32 s34, s25, s23
	s_addc_u32 s29, s29, s35
	s_addc_u32 s30, s34, 0
	s_mul_i32 s23, s25, s23
	s_add_u32 s23, s29, s23
	s_addc_u32 s29, 0, s30
	s_add_u32 s30, s22, s23
	s_cselect_b64 s[22:23], -1, 0
	s_cmp_lg_u64 s[22:23], 0
	s_addc_u32 s25, s25, s29
	s_mul_i32 s22, s2, s25
	s_mul_hi_u32 s23, s2, s30
	s_add_i32 s22, s23, s22
	s_mul_i32 s24, s24, s30
	s_add_i32 s22, s22, s24
	s_mul_i32 s2, s2, s30
	s_mul_hi_u32 s24, s25, s2
	s_mul_i32 s29, s25, s2
	s_mul_i32 s34, s30, s22
	s_mul_hi_u32 s2, s30, s2
	s_mul_hi_u32 s31, s30, s22
	s_add_u32 s2, s2, s34
	s_addc_u32 s31, 0, s31
	s_add_u32 s2, s2, s29
	s_mul_hi_u32 s23, s25, s22
	s_addc_u32 s2, s31, s24
	s_addc_u32 s23, s23, 0
	s_mul_i32 s22, s25, s22
	s_add_u32 s2, s2, s22
	s_addc_u32 s24, 0, s23
	s_add_u32 s2, s30, s2
	s_cselect_b64 s[22:23], -1, 0
	s_cmp_lg_u64 s[22:23], 0
	s_addc_u32 s22, s25, s24
	s_mul_i32 s24, s28, s22
	s_mul_hi_u32 s25, s28, s2
	s_mul_hi_u32 s23, s28, s22
	s_add_u32 s24, s25, s24
	s_addc_u32 s23, 0, s23
	s_mul_hi_u32 s29, s3, s2
	s_mul_i32 s2, s3, s2
	s_add_u32 s2, s24, s2
	s_mul_hi_u32 s25, s3, s22
	s_addc_u32 s2, s23, s29
	s_addc_u32 s23, s25, 0
	s_mul_i32 s22, s3, s22
	s_add_u32 s2, s2, s22
	s_addc_u32 s22, 0, s23
	s_mul_i32 s22, s65, s22
	s_mul_hi_u32 s23, s65, s2
	s_add_i32 s24, s23, s22
	s_mul_i32 s2, s65, s2
	s_sub_u32 s2, s28, s2
	s_cselect_b64 s[22:23], -1, 0
	s_cmp_lg_u64 s[22:23], 0
	s_subb_u32 s24, s3, s24
	s_sub_u32 s25, s2, s65
	s_cselect_b64 s[22:23], -1, 0
	s_cmp_lg_u64 s[22:23], 0
	s_subb_u32 s29, s24, 0
	;; [unrolled: 4-line block ×3, first 2 shown]
	s_cmp_ge_u32 s25, s65
	s_cselect_b32 s23, -1, 0
	s_cmp_eq_u32 s29, 0
	s_cselect_b32 s23, s23, -1
	s_cmp_lg_u32 s23, 0
	s_cselect_b32 s22, s22, s29
	s_cselect_b32 s25, s30, s25
	s_cmp_ge_u32 s2, s65
	s_cselect_b32 s23, -1, 0
	s_cmp_eq_u32 s24, 0
	s_cselect_b32 s23, s23, -1
	s_cmp_lg_u32 s23, 0
	s_cselect_b32 s23, s22, s24
	s_cselect_b32 s22, s25, s2
	s_cbranch_execnz .LBB93_90
.LBB93_89:                              ;   in Loop: Header=BB93_17 Depth=1
	v_cvt_f32_u32_e32 v6, s65
	s_sub_i32 s2, 0, s65
	v_rcp_iflag_f32_e32 v6, v6
	v_mul_f32_e32 v6, 0x4f7ffffe, v6
	v_cvt_u32_f32_e32 v6, v6
	v_readfirstlane_b32 s22, v6
	s_mul_i32 s2, s2, s22
	s_mul_hi_u32 s2, s22, s2
	s_add_i32 s22, s22, s2
	s_mul_hi_u32 s2, s28, s22
	s_mul_i32 s2, s2, s65
	s_sub_i32 s2, s28, s2
	s_sub_i32 s22, s2, s65
	s_cmp_ge_u32 s2, s65
	s_cselect_b32 s2, s22, s2
	s_sub_i32 s22, s2, s65
	s_cmp_ge_u32 s2, s65
	s_cselect_b32 s78, s22, s2
	s_mov_b64 s[22:23], s[78:79]
.LBB93_90:                              ;   in Loop: Header=BB93_17 Depth=1
	s_sub_u32 s28, s28, s22
	s_subb_u32 s29, s3, s23
	v_cmp_gt_u64_e32 vcc, s[28:29], v[0:1]
	s_mov_b64 s[22:23], 0
	s_mov_b64 s[2:3], 0
                                        ; implicit-def: $vgpr17
	s_and_saveexec_b64 s[24:25], vcc
	s_cbranch_execz .LBB93_99
; %bb.91:                               ;   in Loop: Header=BB93_17 Depth=1
	v_mov_b32_e32 v7, v1
	v_mov_b32_e32 v8, v11
	;; [unrolled: 1-line block ×3, first 2 shown]
                                        ; implicit-def: $sgpr30_sgpr31
	s_branch .LBB93_94
.LBB93_92:                              ;   in Loop: Header=BB93_94 Depth=2
	s_or_b64 exec, exec, s[34:35]
	s_waitcnt lgkmcnt(0)
	s_barrier
	ds_read_b64 v[16:17], v10 offset:3072
	s_mov_b64 s[34:35], -1
	s_mov_b64 s[36:37], -1
	s_waitcnt lgkmcnt(0)
	s_barrier
	v_cmp_ne_u32_e32 vcc, 0, v16
	s_cbranch_vccz .LBB93_97
.LBB93_93:                              ;   in Loop: Header=BB93_94 Depth=2
	s_and_b64 s[34:35], exec, s[34:35]
	s_or_b64 s[2:3], s[34:35], s[2:3]
	s_andn2_b64 s[30:31], s[30:31], exec
	s_and_b64 s[34:35], s[36:37], exec
	s_or_b64 s[30:31], s[30:31], s[34:35]
	s_andn2_b64 exec, exec, s[2:3]
	s_cbranch_execz .LBB93_98
.LBB93_94:                              ;   Parent Loop BB93_17 Depth=1
                                        ; =>  This Inner Loop Header: Depth=2
	v_cmp_gt_u64_e32 vcc, s[8:9], v[6:7]
	s_and_saveexec_b64 s[34:35], vcc
	s_cbranch_execz .LBB93_92
; %bb.95:                               ;   in Loop: Header=BB93_94 Depth=2
	ds_read_b32 v16, v8
	s_waitcnt lgkmcnt(0)
	v_xor_b32_e32 v9, 0x80000000, v16
	v_and_b32_e32 v9, v9, v34
	v_cmp_eq_u32_e32 vcc, v9, v29
	s_and_b64 exec, exec, vcc
	s_cbranch_execz .LBB93_92
; %bb.96:                               ;   in Loop: Header=BB93_94 Depth=2
	ds_write_b64 v10, v[15:16] offset:3072
	s_branch .LBB93_92
.LBB93_97:                              ;   in Loop: Header=BB93_94 Depth=2
	v_add_co_u32_e32 v6, vcc, s65, v6
	v_addc_co_u32_e32 v7, vcc, 0, v7, vcc
	v_cmp_le_u64_e32 vcc, s[28:29], v[6:7]
	v_add_u32_e32 v8, s82, v8
	s_mov_b64 s[36:37], 0
	s_orn2_b64 s[34:35], vcc, exec
	s_branch .LBB93_93
.LBB93_98:                              ;   in Loop: Header=BB93_17 Depth=1
	s_or_b64 exec, exec, s[2:3]
	s_and_b64 s[2:3], s[30:31], exec
.LBB93_99:                              ;   in Loop: Header=BB93_17 Depth=1
	s_or_b64 exec, exec, s[24:25]
.LBB93_100:                             ;   in Loop: Header=BB93_17 Depth=1
	s_and_b64 vcc, exec, s[22:23]
	s_cbranch_vccz .LBB93_114
; %bb.101:                              ;   in Loop: Header=BB93_17 Depth=1
	s_mov_b32 s84, s79
	s_cmp_lg_u64 s[84:85], 0
	s_cbranch_scc0 .LBB93_145
; %bb.102:                              ;   in Loop: Header=BB93_17 Depth=1
	v_cvt_f32_u32_e32 v6, s65
	s_sub_u32 s16, 0, s65
	s_subb_u32 s17, 0, 0
	v_mac_f32_e32 v6, 0, v32
	v_rcp_f32_e32 v6, v6
	v_mul_f32_e32 v6, 0x5f7ffffc, v6
	v_mul_f32_e32 v7, 0x2f800000, v6
	v_trunc_f32_e32 v7, v7
	v_mac_f32_e32 v6, 0xcf800000, v7
	v_cvt_u32_f32_e32 v7, v7
	v_cvt_u32_f32_e32 v6, v6
	v_readfirstlane_b32 s20, v7
	v_readfirstlane_b32 s8, v6
	s_mul_i32 s9, s16, s20
	s_mul_hi_u32 s22, s16, s8
	s_mul_i32 s21, s17, s8
	s_add_i32 s9, s22, s9
	s_mul_i32 s23, s16, s8
	s_add_i32 s9, s9, s21
	s_mul_hi_u32 s22, s8, s23
	s_mul_i32 s24, s8, s9
	s_mul_hi_u32 s21, s8, s9
	s_add_u32 s22, s22, s24
	s_addc_u32 s21, 0, s21
	s_mul_hi_u32 s25, s20, s23
	s_mul_i32 s23, s20, s23
	s_add_u32 s22, s22, s23
	s_mul_hi_u32 s24, s20, s9
	s_addc_u32 s21, s21, s25
	s_addc_u32 s22, s24, 0
	s_mul_i32 s9, s20, s9
	s_add_u32 s9, s21, s9
	s_addc_u32 s21, 0, s22
	s_add_u32 s22, s8, s9
	s_cselect_b64 s[8:9], -1, 0
	s_cmp_lg_u64 s[8:9], 0
	s_addc_u32 s20, s20, s21
	s_mul_i32 s8, s16, s20
	s_mul_hi_u32 s9, s16, s22
	s_add_i32 s8, s9, s8
	s_mul_i32 s17, s17, s22
	s_add_i32 s8, s8, s17
	s_mul_i32 s16, s16, s22
	s_mul_hi_u32 s17, s20, s16
	s_mul_i32 s21, s20, s16
	s_mul_i32 s24, s22, s8
	s_mul_hi_u32 s16, s22, s16
	s_mul_hi_u32 s23, s22, s8
	s_add_u32 s16, s16, s24
	s_addc_u32 s23, 0, s23
	s_add_u32 s16, s16, s21
	s_mul_hi_u32 s9, s20, s8
	s_addc_u32 s16, s23, s17
	s_addc_u32 s9, s9, 0
	s_mul_i32 s8, s20, s8
	s_add_u32 s8, s16, s8
	s_addc_u32 s16, 0, s9
	s_add_u32 s17, s22, s8
	s_cselect_b64 s[8:9], -1, 0
	s_cmp_lg_u64 s[8:9], 0
	s_addc_u32 s8, s20, s16
	s_mul_i32 s16, s0, s8
	s_mul_hi_u32 s20, s0, s17
	s_mul_hi_u32 s9, s0, s8
	s_add_u32 s16, s20, s16
	s_addc_u32 s9, 0, s9
	s_mul_hi_u32 s21, s85, s17
	s_mul_i32 s17, s85, s17
	s_add_u32 s16, s16, s17
	s_mul_hi_u32 s20, s85, s8
	s_addc_u32 s9, s9, s21
	s_addc_u32 s16, s20, 0
	s_mul_i32 s8, s85, s8
	s_add_u32 s8, s9, s8
	s_addc_u32 s9, 0, s16
	s_mul_i32 s9, s65, s9
	s_mul_hi_u32 s16, s65, s8
	s_add_i32 s16, s16, s9
	s_mul_i32 s8, s65, s8
	s_sub_u32 s17, s0, s8
	s_cselect_b64 s[8:9], -1, 0
	s_cmp_lg_u64 s[8:9], 0
	s_subb_u32 s16, s85, s16
	s_sub_u32 s20, s17, s65
	s_cselect_b64 s[8:9], -1, 0
	s_cmp_lg_u64 s[8:9], 0
	s_subb_u32 s21, s16, 0
	;; [unrolled: 4-line block ×3, first 2 shown]
	s_cmp_ge_u32 s20, s65
	s_cselect_b32 s9, -1, 0
	s_cmp_eq_u32 s21, 0
	s_cselect_b32 s9, s9, -1
	s_cmp_lg_u32 s9, 0
	s_cselect_b32 s8, s8, s21
	s_cselect_b32 s20, s22, s20
	s_cmp_ge_u32 s17, s65
	s_cselect_b32 s9, -1, 0
	s_cmp_eq_u32 s16, 0
	s_cselect_b32 s9, s9, -1
	s_cmp_lg_u32 s9, 0
	s_cselect_b32 s9, s8, s16
	s_cselect_b32 s8, s20, s17
	s_cbranch_execnz .LBB93_104
.LBB93_103:                             ;   in Loop: Header=BB93_17 Depth=1
	v_cvt_f32_u32_e32 v6, s65
	s_sub_i32 s8, 0, s65
	v_rcp_iflag_f32_e32 v6, v6
	v_mul_f32_e32 v6, 0x4f7ffffe, v6
	v_cvt_u32_f32_e32 v6, v6
	v_readfirstlane_b32 s9, v6
	s_mul_i32 s8, s8, s9
	s_mul_hi_u32 s8, s9, s8
	s_add_i32 s9, s9, s8
	s_mul_hi_u32 s8, s0, s9
	s_mul_i32 s8, s8, s65
	s_sub_i32 s8, s0, s8
	s_sub_i32 s9, s8, s65
	s_cmp_ge_u32 s8, s65
	s_cselect_b32 s8, s9, s8
	s_sub_i32 s9, s8, s65
	s_cmp_ge_u32 s8, s65
	s_cselect_b32 s78, s9, s8
	s_mov_b64 s[8:9], s[78:79]
.LBB93_104:                             ;   in Loop: Header=BB93_17 Depth=1
	s_sub_u32 s16, s0, s8
	s_subb_u32 s17, s85, s9
	v_cmp_gt_u64_e32 vcc, s[16:17], v[0:1]
                                        ; implicit-def: $vgpr17
	s_and_saveexec_b64 s[8:9], vcc
	s_cbranch_execz .LBB93_113
; %bb.105:                              ;   in Loop: Header=BB93_17 Depth=1
	v_mov_b32_e32 v7, v1
	s_mov_b64 s[20:21], 0
	v_mov_b32_e32 v6, v0
                                        ; implicit-def: $sgpr22_sgpr23
	s_branch .LBB93_108
.LBB93_106:                             ;   in Loop: Header=BB93_108 Depth=2
	s_or_b64 exec, exec, s[24:25]
	s_waitcnt lgkmcnt(0)
	s_barrier
	ds_read_b64 v[16:17], v10 offset:3072
	s_mov_b64 s[24:25], -1
	s_mov_b64 s[28:29], -1
	s_waitcnt lgkmcnt(0)
	s_barrier
	v_cmp_ne_u32_e32 vcc, 0, v16
	s_cbranch_vccz .LBB93_111
.LBB93_107:                             ;   in Loop: Header=BB93_108 Depth=2
	s_and_b64 s[24:25], exec, s[24:25]
	s_or_b64 s[20:21], s[24:25], s[20:21]
	s_andn2_b64 s[22:23], s[22:23], exec
	s_and_b64 s[24:25], s[28:29], exec
	s_or_b64 s[22:23], s[22:23], s[24:25]
	s_andn2_b64 exec, exec, s[20:21]
	s_cbranch_execz .LBB93_112
.LBB93_108:                             ;   Parent Loop BB93_17 Depth=1
                                        ; =>  This Inner Loop Header: Depth=2
	v_cmp_gt_u64_e32 vcc, s[52:53], v[6:7]
	s_and_saveexec_b64 s[24:25], vcc
	s_cbranch_execz .LBB93_106
; %bb.109:                              ;   in Loop: Header=BB93_108 Depth=2
	v_mul_lo_u32 v16, v7, s68
	v_mul_lo_u32 v17, v6, s69
	v_mad_u64_u32 v[8:9], s[28:29], v6, s68, 0
	v_add3_u32 v9, v9, v17, v16
	v_lshlrev_b64 v[8:9], 2, v[8:9]
	v_mov_b32_e32 v16, s64
	v_add_co_u32_e32 v8, vcc, s33, v8
	v_addc_co_u32_e32 v9, vcc, v16, v9, vcc
	global_load_dword v16, v[8:9], off
	s_waitcnt vmcnt(0)
	v_xor_b32_e32 v8, 0x80000000, v16
	v_and_b32_e32 v8, v8, v34
	v_cmp_eq_u32_e32 vcc, v8, v29
	s_and_b64 exec, exec, vcc
	s_cbranch_execz .LBB93_106
; %bb.110:                              ;   in Loop: Header=BB93_108 Depth=2
	ds_write_b64 v10, v[15:16] offset:3072
	s_branch .LBB93_106
.LBB93_111:                             ;   in Loop: Header=BB93_108 Depth=2
	v_add_co_u32_e32 v6, vcc, s65, v6
	v_addc_co_u32_e32 v7, vcc, 0, v7, vcc
	v_cmp_le_u64_e32 vcc, s[16:17], v[6:7]
	s_mov_b64 s[28:29], 0
	s_orn2_b64 s[24:25], vcc, exec
	s_branch .LBB93_107
.LBB93_112:                             ;   in Loop: Header=BB93_17 Depth=1
	s_or_b64 exec, exec, s[20:21]
	s_andn2_b64 s[2:3], s[2:3], exec
	s_and_b64 s[16:17], s[22:23], exec
	s_or_b64 s[2:3], s[2:3], s[16:17]
.LBB93_113:                             ;   in Loop: Header=BB93_17 Depth=1
	s_or_b64 exec, exec, s[8:9]
	s_mov_b64 s[16:17], 0
	s_mov_b64 s[20:21], -1
.LBB93_114:                             ;   in Loop: Header=BB93_17 Depth=1
	s_orn2_b64 s[2:3], s[2:3], exec
.LBB93_115:                             ;   in Loop: Header=BB93_17 Depth=1
	s_or_b64 exec, exec, s[12:13]
	s_andn2_b64 s[8:9], s[66:67], exec
	s_and_b64 s[12:13], s[20:21], exec
	s_or_b64 s[66:67], s[8:9], s[12:13]
	s_andn2_b64 s[8:9], s[76:77], exec
	s_and_b64 s[12:13], s[16:17], exec
	s_andn2_b64 s[58:59], s[58:59], exec
	s_or_b64 s[76:77], s[8:9], s[12:13]
                                        ; implicit-def: $vgpr6_vgpr7
	s_and_saveexec_b64 s[12:13], s[2:3]
	s_cbranch_execz .LBB93_16
; %bb.116:                              ;   in Loop: Header=BB93_17 Depth=1
	v_mov_b32_e32 v6, 1
	s_xor_b64 s[6:7], s[14:15], -1
	v_mov_b32_e32 v8, 1
	v_mov_b32_e32 v7, 0
	s_mov_b64 s[8:9], 0
	s_and_saveexec_b64 s[2:3], s[6:7]
	s_cbranch_execz .LBB93_125
; %bb.117:                              ;   in Loop: Header=BB93_17 Depth=1
	v_cmp_le_u64_e32 vcc, v[18:19], v[2:3]
	s_and_saveexec_b64 s[6:7], vcc
	s_xor_b64 s[6:7], exec, s[6:7]
	s_cbranch_execz .LBB93_122
; %bb.118:                              ;   in Loop: Header=BB93_17 Depth=1
	ds_read_b64 v[6:7], v10 offset:5120
	v_and_b32_e32 v29, s50, v29
	v_or_b32_e32 v34, s62, v34
	s_waitcnt lgkmcnt(0)
	v_cmp_ne_u64_e32 vcc, 0, v[6:7]
	s_cbranch_vccnz .LBB93_122
; %bb.119:                              ;   in Loop: Header=BB93_17 Depth=1
	s_mov_b64 s[8:9], exec
	v_readlane_b32 s14, v47, 8
	v_readlane_b32 s15, v47, 9
	s_and_b64 s[14:15], s[8:9], s[14:15]
	s_mov_b64 exec, s[14:15]
; %bb.120:                              ;   in Loop: Header=BB93_17 Depth=1
	ds_write_b64 v10, v[2:3] offset:5128
; %bb.121:                              ;   in Loop: Header=BB93_17 Depth=1
	s_or_b64 exec, exec, s[8:9]
	s_waitcnt lgkmcnt(0)
	s_barrier
.LBB93_122:                             ;   in Loop: Header=BB93_17 Depth=1
	s_or_saveexec_b64 s[6:7], s[6:7]
	s_mov_b64 s[8:9], 0
	v_mov_b32_e32 v8, 8
	s_xor_b64 exec, exec, s[6:7]
; %bb.123:                              ;   in Loop: Header=BB93_17 Depth=1
	v_sub_co_u32_e32 v18, vcc, v18, v2
	s_mov_b64 s[8:9], exec
	v_subb_co_u32_e32 v19, vcc, v19, v3, vcc
	v_mov_b32_e32 v8, 0
; %bb.124:                              ;   in Loop: Header=BB93_17 Depth=1
	s_or_b64 exec, exec, s[6:7]
	v_mov_b32_e32 v6, v18
	s_and_b64 s[8:9], s[8:9], exec
	v_mov_b32_e32 v7, v19
.LBB93_125:                             ;   in Loop: Header=BB93_17 Depth=1
	s_or_b64 exec, exec, s[2:3]
	s_mov_b64 s[14:15], -1
	s_mov_b64 s[2:3], -1
                                        ; implicit-def: $sgpr6_sgpr7
                                        ; implicit-def: $sgpr20_sgpr21
	s_and_saveexec_b64 s[16:17], s[8:9]
	s_xor_b64 s[16:17], exec, s[16:17]
	s_cbranch_execz .LBB93_270
; %bb.126:                              ;   in Loop: Header=BB93_17 Depth=1
	v_cmp_eq_u64_e32 vcc, 1, v[4:5]
	v_cmp_eq_u64_e64 s[6:7], 1, v[6:7]
                                        ; implicit-def: $sgpr20_sgpr21
	s_and_b64 s[24:25], vcc, s[6:7]
                                        ; implicit-def: $sgpr6_sgpr7
	s_and_saveexec_b64 s[22:23], s[24:25]
	s_cbranch_execz .LBB93_163
; %bb.127:                              ;   in Loop: Header=BB93_17 Depth=1
	ds_read_b64 v[2:3], v10 offset:5120
	s_waitcnt lgkmcnt(0)
	s_barrier
	v_readfirstlane_b32 s8, v2
	v_readfirstlane_b32 s9, v3
	s_and_saveexec_b64 s[2:3], s[26:27]
; %bb.128:                              ;   in Loop: Header=BB93_17 Depth=1
	ds_write_b32 v23, v10
; %bb.129:                              ;   in Loop: Header=BB93_17 Depth=1
	s_or_b64 exec, exec, s[2:3]
	v_and_b32_e32 v2, s50, v29
	v_lshl_or_b32 v29, 1, s83, v2
	v_or_b32_e32 v34, s62, v34
	s_mov_b64 s[6:7], -1
	s_mov_b64 s[20:21], 0
	s_cmp_eq_u64 s[8:9], 0
	s_mov_b64 s[2:3], 0
	s_mov_b64 s[28:29], -1
	s_waitcnt lgkmcnt(0)
	s_barrier
                                        ; implicit-def: $vgpr17
	s_cbranch_scc1 .LBB93_148
; %bb.130:                              ;   in Loop: Header=BB93_17 Depth=1
	v_readlane_b32 s2, v47, 30
	s_add_u32 s34, s8, s2
	v_readlane_b32 s2, v47, 31
	s_addc_u32 s3, s9, s2
	s_mov_b32 s2, s79
	s_cmp_lg_u64 s[2:3], 0
	s_cbranch_scc0 .LBB93_190
; %bb.131:                              ;   in Loop: Header=BB93_17 Depth=1
	v_cvt_f32_u32_e32 v2, s65
	s_sub_u32 s2, 0, s65
	s_subb_u32 s30, 0, 0
	v_mac_f32_e32 v2, 0, v32
	v_rcp_f32_e32 v2, v2
	v_mul_f32_e32 v2, 0x5f7ffffc, v2
	v_mul_f32_e32 v3, 0x2f800000, v2
	v_trunc_f32_e32 v3, v3
	v_mac_f32_e32 v2, 0xcf800000, v3
	v_cvt_u32_f32_e32 v3, v3
	v_cvt_u32_f32_e32 v2, v2
	v_readfirstlane_b32 s31, v3
	v_readfirstlane_b32 s28, v2
	s_mul_i32 s29, s2, s31
	s_mul_hi_u32 s36, s2, s28
	s_mul_i32 s35, s30, s28
	s_add_i32 s29, s36, s29
	s_mul_i32 s37, s2, s28
	s_add_i32 s29, s29, s35
	s_mul_hi_u32 s36, s28, s37
	s_mul_i32 s38, s28, s29
	s_mul_hi_u32 s35, s28, s29
	s_add_u32 s36, s36, s38
	s_addc_u32 s35, 0, s35
	s_mul_hi_u32 s39, s31, s37
	s_mul_i32 s37, s31, s37
	s_add_u32 s36, s36, s37
	s_mul_hi_u32 s38, s31, s29
	s_addc_u32 s35, s35, s39
	s_addc_u32 s36, s38, 0
	s_mul_i32 s29, s31, s29
	s_add_u32 s29, s35, s29
	s_addc_u32 s35, 0, s36
	s_add_u32 s36, s28, s29
	s_cselect_b64 s[28:29], -1, 0
	s_cmp_lg_u64 s[28:29], 0
	s_addc_u32 s31, s31, s35
	s_mul_i32 s28, s2, s31
	s_mul_hi_u32 s29, s2, s36
	s_add_i32 s28, s29, s28
	s_mul_i32 s30, s30, s36
	s_add_i32 s28, s28, s30
	s_mul_i32 s2, s2, s36
	s_mul_hi_u32 s30, s31, s2
	s_mul_i32 s35, s31, s2
	s_mul_i32 s38, s36, s28
	s_mul_hi_u32 s2, s36, s2
	s_mul_hi_u32 s37, s36, s28
	s_add_u32 s2, s2, s38
	s_addc_u32 s37, 0, s37
	s_add_u32 s2, s2, s35
	s_mul_hi_u32 s29, s31, s28
	s_addc_u32 s2, s37, s30
	s_addc_u32 s29, s29, 0
	s_mul_i32 s28, s31, s28
	s_add_u32 s2, s2, s28
	s_addc_u32 s30, 0, s29
	s_add_u32 s2, s36, s2
	s_cselect_b64 s[28:29], -1, 0
	s_cmp_lg_u64 s[28:29], 0
	s_addc_u32 s28, s31, s30
	s_mul_i32 s30, s34, s28
	s_mul_hi_u32 s31, s34, s2
	s_mul_hi_u32 s29, s34, s28
	s_add_u32 s30, s31, s30
	s_addc_u32 s29, 0, s29
	s_mul_hi_u32 s35, s3, s2
	s_mul_i32 s2, s3, s2
	s_add_u32 s2, s30, s2
	s_mul_hi_u32 s31, s3, s28
	s_addc_u32 s2, s29, s35
	s_addc_u32 s29, s31, 0
	s_mul_i32 s28, s3, s28
	s_add_u32 s2, s2, s28
	s_addc_u32 s28, 0, s29
	s_mul_i32 s28, s65, s28
	s_mul_hi_u32 s29, s65, s2
	s_add_i32 s30, s29, s28
	s_mul_i32 s2, s65, s2
	s_sub_u32 s2, s34, s2
	s_cselect_b64 s[28:29], -1, 0
	s_cmp_lg_u64 s[28:29], 0
	s_subb_u32 s30, s3, s30
	s_sub_u32 s31, s2, s65
	s_cselect_b64 s[28:29], -1, 0
	s_cmp_lg_u64 s[28:29], 0
	s_subb_u32 s35, s30, 0
	;; [unrolled: 4-line block ×3, first 2 shown]
	s_cmp_ge_u32 s31, s65
	s_cselect_b32 s29, -1, 0
	s_cmp_eq_u32 s35, 0
	s_cselect_b32 s29, s29, -1
	s_cmp_lg_u32 s29, 0
	s_cselect_b32 s28, s28, s35
	s_cselect_b32 s31, s36, s31
	s_cmp_ge_u32 s2, s65
	s_cselect_b32 s29, -1, 0
	s_cmp_eq_u32 s30, 0
	s_cselect_b32 s29, s29, -1
	s_cmp_lg_u32 s29, 0
	s_cselect_b32 s29, s28, s30
	s_cselect_b32 s28, s31, s2
	s_cbranch_execnz .LBB93_133
.LBB93_132:                             ;   in Loop: Header=BB93_17 Depth=1
	v_cvt_f32_u32_e32 v2, s65
	s_sub_i32 s2, 0, s65
	v_rcp_iflag_f32_e32 v2, v2
	v_mul_f32_e32 v2, 0x4f7ffffe, v2
	v_cvt_u32_f32_e32 v2, v2
	v_readfirstlane_b32 s28, v2
	s_mul_i32 s2, s2, s28
	s_mul_hi_u32 s2, s28, s2
	s_add_i32 s28, s28, s2
	s_mul_hi_u32 s2, s34, s28
	s_mul_i32 s2, s2, s65
	s_sub_i32 s2, s34, s2
	s_sub_i32 s28, s2, s65
	s_cmp_ge_u32 s2, s65
	s_cselect_b32 s2, s28, s2
	s_sub_i32 s28, s2, s65
	s_cmp_ge_u32 s2, s65
	s_cselect_b32 s78, s28, s2
	s_mov_b64 s[28:29], s[78:79]
.LBB93_133:                             ;   in Loop: Header=BB93_17 Depth=1
	s_sub_u32 s34, s34, s28
	s_subb_u32 s35, s3, s29
	v_cmp_gt_u64_e32 vcc, s[34:35], v[0:1]
	s_mov_b64 s[28:29], 0
	s_mov_b64 s[2:3], 0
                                        ; implicit-def: $vgpr17
	s_and_saveexec_b64 s[30:31], vcc
	s_cbranch_execz .LBB93_147
; %bb.134:                              ;   in Loop: Header=BB93_17 Depth=1
	v_mov_b32_e32 v3, v1
	v_mov_b32_e32 v9, v11
	;; [unrolled: 1-line block ×3, first 2 shown]
                                        ; implicit-def: $sgpr36_sgpr37
	s_branch .LBB93_137
.LBB93_135:                             ;   in Loop: Header=BB93_137 Depth=2
	s_or_b64 exec, exec, s[38:39]
	s_waitcnt lgkmcnt(0)
	s_barrier
	ds_read_b64 v[16:17], v10 offset:3072
	s_mov_b64 s[38:39], -1
	s_mov_b64 s[40:41], -1
	s_waitcnt lgkmcnt(0)
	s_barrier
	v_cmp_ne_u32_e32 vcc, 0, v16
	s_cbranch_vccz .LBB93_140
.LBB93_136:                             ;   in Loop: Header=BB93_137 Depth=2
	s_and_b64 s[38:39], exec, s[38:39]
	s_or_b64 s[2:3], s[38:39], s[2:3]
	s_andn2_b64 s[36:37], s[36:37], exec
	s_and_b64 s[38:39], s[40:41], exec
	s_or_b64 s[36:37], s[36:37], s[38:39]
	s_andn2_b64 exec, exec, s[2:3]
	s_cbranch_execz .LBB93_146
.LBB93_137:                             ;   Parent Loop BB93_17 Depth=1
                                        ; =>  This Inner Loop Header: Depth=2
	v_cmp_gt_u64_e32 vcc, s[8:9], v[2:3]
	s_and_saveexec_b64 s[38:39], vcc
	s_cbranch_execz .LBB93_135
; %bb.138:                              ;   in Loop: Header=BB93_137 Depth=2
	ds_read_b32 v16, v9
	s_waitcnt lgkmcnt(0)
	v_xor_b32_e32 v17, 0x80000000, v16
	v_and_b32_e32 v17, v17, v34
	v_cmp_eq_u32_e32 vcc, v17, v29
	s_and_b64 exec, exec, vcc
	s_cbranch_execz .LBB93_135
; %bb.139:                              ;   in Loop: Header=BB93_137 Depth=2
	ds_write_b64 v10, v[15:16] offset:3072
	s_branch .LBB93_135
.LBB93_140:                             ;   in Loop: Header=BB93_137 Depth=2
	v_add_co_u32_e32 v2, vcc, s65, v2
	v_addc_co_u32_e32 v3, vcc, 0, v3, vcc
	v_cmp_le_u64_e32 vcc, s[34:35], v[2:3]
	v_add_u32_e32 v9, s82, v9
	s_mov_b64 s[40:41], 0
	s_orn2_b64 s[38:39], vcc, exec
	s_branch .LBB93_136
.LBB93_141:                             ;   in Loop: Header=BB93_17 Depth=1
                                        ; implicit-def: $sgpr22_sgpr23
	s_branch .LBB93_89
.LBB93_142:                             ;   in Loop: Header=BB93_17 Depth=1
	s_or_b64 exec, exec, s[8:9]
	s_waitcnt lgkmcnt(0)
	s_barrier
	s_mov_b64 s[6:7], exec
	v_readlane_b32 s8, v47, 8
	v_readlane_b32 s9, v47, 9
	s_and_b64 s[8:9], s[6:7], s[8:9]
	s_mov_b64 exec, s[8:9]
	s_cbranch_execz .LBB93_144
; %bb.143:                              ;   in Loop: Header=BB93_17 Depth=1
	ds_read_b32 v2, v10 offset:5144
	s_waitcnt lgkmcnt(0)
	v_ashrrev_i32_e32 v3, 31, v2
	ds_write_b64 v10, v[2:3] offset:5120
.LBB93_144:                             ;   in Loop: Header=BB93_17 Depth=1
	s_or_b64 exec, exec, s[6:7]
	s_waitcnt lgkmcnt(0)
	s_barrier
	s_mov_b64 s[6:7], -1
	s_and_b64 vcc, exec, s[2:3]
	s_cbranch_vccnz .LBB93_33
	s_branch .LBB93_42
.LBB93_145:                             ;   in Loop: Header=BB93_17 Depth=1
                                        ; implicit-def: $sgpr8_sgpr9
	s_branch .LBB93_103
.LBB93_146:                             ;   in Loop: Header=BB93_17 Depth=1
	s_or_b64 exec, exec, s[2:3]
	s_and_b64 s[2:3], s[36:37], exec
.LBB93_147:                             ;   in Loop: Header=BB93_17 Depth=1
	s_or_b64 exec, exec, s[30:31]
.LBB93_148:                             ;   in Loop: Header=BB93_17 Depth=1
	s_and_b64 vcc, exec, s[28:29]
	s_cbranch_vccz .LBB93_162
; %bb.149:                              ;   in Loop: Header=BB93_17 Depth=1
	s_mov_b32 s84, s79
	s_cmp_lg_u64 s[84:85], 0
	s_cbranch_scc0 .LBB93_191
; %bb.150:                              ;   in Loop: Header=BB93_17 Depth=1
	v_cvt_f32_u32_e32 v2, s65
	s_sub_u32 s8, 0, s65
	s_subb_u32 s9, 0, 0
	v_mac_f32_e32 v2, 0, v32
	v_rcp_f32_e32 v2, v2
	v_mul_f32_e32 v2, 0x5f7ffffc, v2
	v_mul_f32_e32 v3, 0x2f800000, v2
	v_trunc_f32_e32 v3, v3
	v_mac_f32_e32 v2, 0xcf800000, v3
	v_cvt_u32_f32_e32 v3, v3
	v_cvt_u32_f32_e32 v2, v2
	v_readfirstlane_b32 s20, v3
	v_readfirstlane_b32 s6, v2
	s_mul_i32 s7, s8, s20
	s_mul_hi_u32 s28, s8, s6
	s_mul_i32 s21, s9, s6
	s_add_i32 s7, s28, s7
	s_mul_i32 s29, s8, s6
	s_add_i32 s7, s7, s21
	s_mul_hi_u32 s28, s6, s29
	s_mul_i32 s30, s6, s7
	s_mul_hi_u32 s21, s6, s7
	s_add_u32 s28, s28, s30
	s_addc_u32 s21, 0, s21
	s_mul_hi_u32 s31, s20, s29
	s_mul_i32 s29, s20, s29
	s_add_u32 s28, s28, s29
	s_mul_hi_u32 s30, s20, s7
	s_addc_u32 s21, s21, s31
	s_addc_u32 s28, s30, 0
	s_mul_i32 s7, s20, s7
	s_add_u32 s7, s21, s7
	s_addc_u32 s21, 0, s28
	s_add_u32 s28, s6, s7
	s_cselect_b64 s[6:7], -1, 0
	s_cmp_lg_u64 s[6:7], 0
	s_addc_u32 s20, s20, s21
	s_mul_i32 s6, s8, s20
	s_mul_hi_u32 s7, s8, s28
	s_add_i32 s6, s7, s6
	s_mul_i32 s9, s9, s28
	s_add_i32 s6, s6, s9
	s_mul_i32 s8, s8, s28
	s_mul_hi_u32 s9, s20, s8
	s_mul_i32 s21, s20, s8
	s_mul_i32 s30, s28, s6
	s_mul_hi_u32 s8, s28, s8
	s_mul_hi_u32 s29, s28, s6
	s_add_u32 s8, s8, s30
	s_addc_u32 s29, 0, s29
	s_add_u32 s8, s8, s21
	s_mul_hi_u32 s7, s20, s6
	s_addc_u32 s8, s29, s9
	s_addc_u32 s7, s7, 0
	s_mul_i32 s6, s20, s6
	s_add_u32 s6, s8, s6
	s_addc_u32 s8, 0, s7
	s_add_u32 s9, s28, s6
	s_cselect_b64 s[6:7], -1, 0
	s_cmp_lg_u64 s[6:7], 0
	s_addc_u32 s6, s20, s8
	s_mul_i32 s8, s0, s6
	s_mul_hi_u32 s20, s0, s9
	s_mul_hi_u32 s7, s0, s6
	s_add_u32 s8, s20, s8
	s_addc_u32 s7, 0, s7
	s_mul_hi_u32 s21, s85, s9
	s_mul_i32 s9, s85, s9
	s_add_u32 s8, s8, s9
	s_mul_hi_u32 s20, s85, s6
	s_addc_u32 s7, s7, s21
	s_addc_u32 s8, s20, 0
	s_mul_i32 s6, s85, s6
	s_add_u32 s6, s7, s6
	s_addc_u32 s7, 0, s8
	s_mul_i32 s7, s65, s7
	s_mul_hi_u32 s8, s65, s6
	s_add_i32 s8, s8, s7
	s_mul_i32 s6, s65, s6
	s_sub_u32 s9, s0, s6
	s_cselect_b64 s[6:7], -1, 0
	s_cmp_lg_u64 s[6:7], 0
	s_subb_u32 s8, s85, s8
	s_sub_u32 s20, s9, s65
	s_cselect_b64 s[6:7], -1, 0
	s_cmp_lg_u64 s[6:7], 0
	s_subb_u32 s21, s8, 0
	;; [unrolled: 4-line block ×3, first 2 shown]
	s_cmp_ge_u32 s20, s65
	s_cselect_b32 s7, -1, 0
	s_cmp_eq_u32 s21, 0
	s_cselect_b32 s7, s7, -1
	s_cmp_lg_u32 s7, 0
	s_cselect_b32 s6, s6, s21
	s_cselect_b32 s20, s28, s20
	s_cmp_ge_u32 s9, s65
	s_cselect_b32 s7, -1, 0
	s_cmp_eq_u32 s8, 0
	s_cselect_b32 s7, s7, -1
	s_cmp_lg_u32 s7, 0
	s_cselect_b32 s7, s6, s8
	s_cselect_b32 s6, s20, s9
	s_cbranch_execnz .LBB93_152
.LBB93_151:                             ;   in Loop: Header=BB93_17 Depth=1
	v_cvt_f32_u32_e32 v2, s65
	s_sub_i32 s6, 0, s65
	v_rcp_iflag_f32_e32 v2, v2
	v_mul_f32_e32 v2, 0x4f7ffffe, v2
	v_cvt_u32_f32_e32 v2, v2
	v_readfirstlane_b32 s7, v2
	s_mul_i32 s6, s6, s7
	s_mul_hi_u32 s6, s7, s6
	s_add_i32 s7, s7, s6
	s_mul_hi_u32 s6, s0, s7
	s_mul_i32 s6, s6, s65
	s_sub_i32 s6, s0, s6
	s_sub_i32 s7, s6, s65
	s_cmp_ge_u32 s6, s65
	s_cselect_b32 s6, s7, s6
	s_sub_i32 s7, s6, s65
	s_cmp_ge_u32 s6, s65
	s_cselect_b32 s78, s7, s6
	s_mov_b64 s[6:7], s[78:79]
.LBB93_152:                             ;   in Loop: Header=BB93_17 Depth=1
	s_sub_u32 s8, s0, s6
	s_subb_u32 s9, s85, s7
	v_cmp_gt_u64_e32 vcc, s[8:9], v[0:1]
                                        ; implicit-def: $vgpr17
	s_and_saveexec_b64 s[6:7], vcc
	s_cbranch_execz .LBB93_161
; %bb.153:                              ;   in Loop: Header=BB93_17 Depth=1
	v_mov_b32_e32 v3, v1
	s_mov_b64 s[20:21], 0
	v_mov_b32_e32 v2, v0
                                        ; implicit-def: $sgpr28_sgpr29
	s_branch .LBB93_156
.LBB93_154:                             ;   in Loop: Header=BB93_156 Depth=2
	s_or_b64 exec, exec, s[30:31]
	s_waitcnt lgkmcnt(0)
	s_barrier
	ds_read_b64 v[16:17], v10 offset:3072
	s_mov_b64 s[30:31], -1
	s_mov_b64 s[34:35], -1
	s_waitcnt lgkmcnt(0)
	s_barrier
	v_cmp_eq_u32_e32 vcc, 0, v16
	s_cbranch_vccnz .LBB93_159
.LBB93_155:                             ;   in Loop: Header=BB93_156 Depth=2
	s_and_b64 s[30:31], exec, s[30:31]
	s_or_b64 s[20:21], s[30:31], s[20:21]
	s_andn2_b64 s[28:29], s[28:29], exec
	s_and_b64 s[30:31], s[34:35], exec
	s_or_b64 s[28:29], s[28:29], s[30:31]
	s_andn2_b64 exec, exec, s[20:21]
	s_cbranch_execz .LBB93_160
.LBB93_156:                             ;   Parent Loop BB93_17 Depth=1
                                        ; =>  This Inner Loop Header: Depth=2
	v_cmp_gt_u64_e32 vcc, s[52:53], v[2:3]
	s_and_saveexec_b64 s[30:31], vcc
	s_cbranch_execz .LBB93_154
; %bb.157:                              ;   in Loop: Header=BB93_156 Depth=2
	v_mul_lo_u32 v9, v3, s68
	v_mul_lo_u32 v18, v2, s69
	v_mad_u64_u32 v[16:17], s[34:35], v2, s68, 0
	v_add3_u32 v17, v17, v18, v9
	v_lshlrev_b64 v[16:17], 2, v[16:17]
	v_mov_b32_e32 v9, s64
	v_add_co_u32_e32 v16, vcc, s33, v16
	v_addc_co_u32_e32 v17, vcc, v9, v17, vcc
	global_load_dword v16, v[16:17], off
	s_waitcnt vmcnt(0)
	v_xor_b32_e32 v9, 0x80000000, v16
	v_and_b32_e32 v9, v9, v34
	v_cmp_eq_u32_e32 vcc, v9, v29
	s_and_b64 exec, exec, vcc
	s_cbranch_execz .LBB93_154
; %bb.158:                              ;   in Loop: Header=BB93_156 Depth=2
	ds_write_b64 v10, v[15:16] offset:3072
	s_branch .LBB93_154
.LBB93_159:                             ;   in Loop: Header=BB93_156 Depth=2
	v_add_co_u32_e32 v2, vcc, s65, v2
	v_addc_co_u32_e32 v3, vcc, 0, v3, vcc
	v_cmp_le_u64_e32 vcc, s[8:9], v[2:3]
	s_mov_b64 s[34:35], 0
	s_orn2_b64 s[30:31], vcc, exec
	s_branch .LBB93_155
.LBB93_160:                             ;   in Loop: Header=BB93_17 Depth=1
	s_or_b64 exec, exec, s[20:21]
	s_andn2_b64 s[2:3], s[2:3], exec
	s_and_b64 s[8:9], s[28:29], exec
	s_or_b64 s[2:3], s[2:3], s[8:9]
.LBB93_161:                             ;   in Loop: Header=BB93_17 Depth=1
	s_or_b64 exec, exec, s[6:7]
	s_mov_b64 s[6:7], 0
	s_mov_b64 s[20:21], -1
.LBB93_162:                             ;   in Loop: Header=BB93_17 Depth=1
	s_orn2_b64 s[2:3], s[2:3], exec
.LBB93_163:                             ;   in Loop: Header=BB93_17 Depth=1
	s_or_b64 exec, exec, s[22:23]
	s_mov_b64 s[8:9], 0
	s_and_saveexec_b64 s[22:23], s[2:3]
	s_cbranch_execz .LBB93_269
; %bb.164:                              ;   in Loop: Header=BB93_17 Depth=1
	v_mov_b32_e32 v2, 1
	s_xor_b64 s[24:25], s[24:25], -1
	v_mov_b32_e32 v8, 1
	v_mov_b32_e32 v3, 0
	s_and_saveexec_b64 s[2:3], s[24:25]
	s_cbranch_execz .LBB93_174
; %bb.165:                              ;   in Loop: Header=BB93_17 Depth=1
	v_cmp_le_u64_e32 vcc, v[6:7], v[4:5]
	s_and_saveexec_b64 s[8:9], vcc
	s_xor_b64 s[8:9], exec, s[8:9]
	s_cbranch_execz .LBB93_171
; %bb.166:                              ;   in Loop: Header=BB93_17 Depth=1
	ds_read_b64 v[2:3], v10 offset:5120
	v_and_b32_e32 v8, s50, v29
	v_lshl_or_b32 v29, 1, s83, v8
	v_or_b32_e32 v34, s62, v34
	s_waitcnt lgkmcnt(0)
	v_cmp_ne_u64_e32 vcc, 0, v[2:3]
	s_cbranch_vccnz .LBB93_170
; %bb.167:                              ;   in Loop: Header=BB93_17 Depth=1
	s_mov_b64 s[24:25], exec
	v_readlane_b32 s28, v47, 8
	v_readlane_b32 s29, v47, 9
	s_and_b64 s[28:29], s[24:25], s[28:29]
	s_mov_b64 exec, s[28:29]
; %bb.168:                              ;   in Loop: Header=BB93_17 Depth=1
	ds_write_b64 v10, v[4:5] offset:5128
; %bb.169:                              ;   in Loop: Header=BB93_17 Depth=1
	s_or_b64 exec, exec, s[24:25]
	s_waitcnt lgkmcnt(0)
	s_barrier
.LBB93_170:                             ;   in Loop: Header=BB93_17 Depth=1
                                        ; implicit-def: $vgpr2_vgpr3_vgpr4_vgpr5
.LBB93_171:                             ;   in Loop: Header=BB93_17 Depth=1
	s_or_saveexec_b64 s[8:9], s[8:9]
	s_mov_b64 s[24:25], 0
	v_mov_b32_e32 v8, 8
	s_xor_b64 exec, exec, s[8:9]
; %bb.172:                              ;   in Loop: Header=BB93_17 Depth=1
	v_sub_co_u32_e32 v6, vcc, v6, v4
	s_mov_b64 s[24:25], exec
	v_subb_co_u32_e32 v7, vcc, v7, v5, vcc
	v_mov_b32_e32 v8, 0
; %bb.173:                              ;   in Loop: Header=BB93_17 Depth=1
	s_or_b64 exec, exec, s[8:9]
	v_mov_b32_e32 v2, v6
	s_and_b64 s[8:9], s[24:25], exec
	v_mov_b32_e32 v3, v7
.LBB93_174:                             ;   in Loop: Header=BB93_17 Depth=1
	s_or_b64 exec, exec, s[2:3]
	s_mov_b64 s[2:3], -1
                                        ; implicit-def: $sgpr28_sgpr29
                                        ; implicit-def: $sgpr30_sgpr31
	s_and_saveexec_b64 s[24:25], s[8:9]
	s_cbranch_execz .LBB93_268
; %bb.175:                              ;   in Loop: Header=BB93_17 Depth=1
	s_cmp_eq_u64 s[18:19], 1
	v_cmp_eq_u64_e32 vcc, 1, v[2:3]
	s_cselect_b64 s[2:3], -1, 0
	s_and_b64 s[36:37], s[2:3], vcc
	s_mov_b64 s[2:3], -1
                                        ; implicit-def: $sgpr30_sgpr31
                                        ; implicit-def: $sgpr28_sgpr29
	s_and_saveexec_b64 s[34:35], s[36:37]
	s_cbranch_execz .LBB93_209
; %bb.176:                              ;   in Loop: Header=BB93_17 Depth=1
	ds_read_b64 v[4:5], v10 offset:5120
	s_waitcnt lgkmcnt(0)
	s_barrier
	v_readfirstlane_b32 s8, v4
	v_readfirstlane_b32 s9, v5
	s_and_saveexec_b64 s[2:3], s[26:27]
; %bb.177:                              ;   in Loop: Header=BB93_17 Depth=1
	ds_write_b32 v23, v10
; %bb.178:                              ;   in Loop: Header=BB93_17 Depth=1
	s_or_b64 exec, exec, s[2:3]
	v_and_b32_e32 v4, s50, v29
	v_lshl_or_b32 v29, 2, s83, v4
	v_or_b32_e32 v34, s62, v34
	s_mov_b64 s[28:29], -1
	s_mov_b64 s[30:31], 0
	s_cmp_eq_u64 s[8:9], 0
	s_mov_b64 s[2:3], 0
	s_mov_b64 s[38:39], -1
	s_waitcnt lgkmcnt(0)
	s_barrier
                                        ; implicit-def: $vgpr17
	s_cbranch_scc1 .LBB93_194
; %bb.179:                              ;   in Loop: Header=BB93_17 Depth=1
	v_readlane_b32 s2, v47, 30
	s_add_u32 s42, s8, s2
	v_readlane_b32 s2, v47, 31
	s_addc_u32 s3, s9, s2
	s_mov_b32 s2, s79
	s_cmp_lg_u64 s[2:3], 0
	s_cbranch_scc0 .LBB93_235
; %bb.180:                              ;   in Loop: Header=BB93_17 Depth=1
	v_cvt_f32_u32_e32 v4, s65
	s_sub_u32 s2, 0, s65
	s_subb_u32 s40, 0, 0
	v_mac_f32_e32 v4, 0, v32
	v_rcp_f32_e32 v4, v4
	v_mul_f32_e32 v4, 0x5f7ffffc, v4
	v_mul_f32_e32 v5, 0x2f800000, v4
	v_trunc_f32_e32 v5, v5
	v_mac_f32_e32 v4, 0xcf800000, v5
	v_cvt_u32_f32_e32 v5, v5
	v_cvt_u32_f32_e32 v4, v4
	v_readfirstlane_b32 s41, v5
	v_readfirstlane_b32 s38, v4
	s_mul_i32 s39, s2, s41
	s_mul_hi_u32 s44, s2, s38
	s_mul_i32 s43, s40, s38
	s_add_i32 s39, s44, s39
	s_mul_i32 s45, s2, s38
	s_add_i32 s39, s39, s43
	s_mul_hi_u32 s44, s38, s45
	s_mul_i32 s46, s38, s39
	s_mul_hi_u32 s43, s38, s39
	s_add_u32 s44, s44, s46
	s_addc_u32 s43, 0, s43
	s_mul_hi_u32 s47, s41, s45
	s_mul_i32 s45, s41, s45
	s_add_u32 s44, s44, s45
	s_mul_hi_u32 s46, s41, s39
	s_addc_u32 s43, s43, s47
	s_addc_u32 s44, s46, 0
	s_mul_i32 s39, s41, s39
	s_add_u32 s39, s43, s39
	s_addc_u32 s43, 0, s44
	s_add_u32 s44, s38, s39
	s_cselect_b64 s[38:39], -1, 0
	s_cmp_lg_u64 s[38:39], 0
	s_addc_u32 s41, s41, s43
	s_mul_i32 s38, s2, s41
	s_mul_hi_u32 s39, s2, s44
	s_add_i32 s38, s39, s38
	s_mul_i32 s40, s40, s44
	s_add_i32 s38, s38, s40
	s_mul_i32 s2, s2, s44
	s_mul_hi_u32 s40, s41, s2
	s_mul_i32 s43, s41, s2
	s_mul_i32 s46, s44, s38
	s_mul_hi_u32 s2, s44, s2
	s_mul_hi_u32 s45, s44, s38
	s_add_u32 s2, s2, s46
	s_addc_u32 s45, 0, s45
	s_add_u32 s2, s2, s43
	s_mul_hi_u32 s39, s41, s38
	s_addc_u32 s2, s45, s40
	s_addc_u32 s39, s39, 0
	s_mul_i32 s38, s41, s38
	s_add_u32 s2, s2, s38
	s_addc_u32 s40, 0, s39
	s_add_u32 s2, s44, s2
	s_cselect_b64 s[38:39], -1, 0
	s_cmp_lg_u64 s[38:39], 0
	s_addc_u32 s38, s41, s40
	s_mul_i32 s40, s42, s38
	s_mul_hi_u32 s41, s42, s2
	s_mul_hi_u32 s39, s42, s38
	s_add_u32 s40, s41, s40
	s_addc_u32 s39, 0, s39
	s_mul_hi_u32 s43, s3, s2
	s_mul_i32 s2, s3, s2
	s_add_u32 s2, s40, s2
	s_mul_hi_u32 s41, s3, s38
	s_addc_u32 s2, s39, s43
	s_addc_u32 s39, s41, 0
	s_mul_i32 s38, s3, s38
	s_add_u32 s2, s2, s38
	s_addc_u32 s38, 0, s39
	s_mul_i32 s38, s65, s38
	s_mul_hi_u32 s39, s65, s2
	s_add_i32 s40, s39, s38
	s_mul_i32 s2, s65, s2
	s_sub_u32 s2, s42, s2
	s_cselect_b64 s[38:39], -1, 0
	s_cmp_lg_u64 s[38:39], 0
	s_subb_u32 s40, s3, s40
	s_sub_u32 s41, s2, s65
	s_cselect_b64 s[38:39], -1, 0
	s_cmp_lg_u64 s[38:39], 0
	s_subb_u32 s43, s40, 0
	;; [unrolled: 4-line block ×3, first 2 shown]
	s_cmp_ge_u32 s41, s65
	s_cselect_b32 s39, -1, 0
	s_cmp_eq_u32 s43, 0
	s_cselect_b32 s39, s39, -1
	s_cmp_lg_u32 s39, 0
	s_cselect_b32 s38, s38, s43
	s_cselect_b32 s41, s44, s41
	s_cmp_ge_u32 s2, s65
	s_cselect_b32 s39, -1, 0
	s_cmp_eq_u32 s40, 0
	s_cselect_b32 s39, s39, -1
	s_cmp_lg_u32 s39, 0
	s_cselect_b32 s39, s38, s40
	s_cselect_b32 s38, s41, s2
	s_cbranch_execnz .LBB93_182
.LBB93_181:                             ;   in Loop: Header=BB93_17 Depth=1
	v_cvt_f32_u32_e32 v4, s65
	s_sub_i32 s2, 0, s65
	v_rcp_iflag_f32_e32 v4, v4
	v_mul_f32_e32 v4, 0x4f7ffffe, v4
	v_cvt_u32_f32_e32 v4, v4
	v_readfirstlane_b32 s38, v4
	s_mul_i32 s2, s2, s38
	s_mul_hi_u32 s2, s38, s2
	s_add_i32 s38, s38, s2
	s_mul_hi_u32 s2, s42, s38
	s_mul_i32 s2, s2, s65
	s_sub_i32 s2, s42, s2
	s_sub_i32 s38, s2, s65
	s_cmp_ge_u32 s2, s65
	s_cselect_b32 s2, s38, s2
	s_sub_i32 s38, s2, s65
	s_cmp_ge_u32 s2, s65
	s_cselect_b32 s78, s38, s2
	s_mov_b64 s[38:39], s[78:79]
.LBB93_182:                             ;   in Loop: Header=BB93_17 Depth=1
	s_sub_u32 s42, s42, s38
	s_subb_u32 s43, s3, s39
	v_cmp_gt_u64_e32 vcc, s[42:43], v[0:1]
	s_mov_b64 s[38:39], 0
	s_mov_b64 s[2:3], 0
                                        ; implicit-def: $vgpr17
	s_and_saveexec_b64 s[40:41], vcc
	s_cbranch_execz .LBB93_193
; %bb.183:                              ;   in Loop: Header=BB93_17 Depth=1
	v_mov_b32_e32 v5, v1
	v_mov_b32_e32 v6, v11
	;; [unrolled: 1-line block ×3, first 2 shown]
                                        ; implicit-def: $sgpr44_sgpr45
	s_branch .LBB93_186
.LBB93_184:                             ;   in Loop: Header=BB93_186 Depth=2
	s_or_b64 exec, exec, s[46:47]
	s_waitcnt lgkmcnt(0)
	s_barrier
	ds_read_b64 v[16:17], v10 offset:3072
	s_mov_b64 s[46:47], -1
	s_mov_b64 s[48:49], -1
	s_waitcnt lgkmcnt(0)
	s_barrier
	v_cmp_ne_u32_e32 vcc, 0, v16
	s_cbranch_vccz .LBB93_189
.LBB93_185:                             ;   in Loop: Header=BB93_186 Depth=2
	s_and_b64 s[46:47], exec, s[46:47]
	s_or_b64 s[2:3], s[46:47], s[2:3]
	s_andn2_b64 s[44:45], s[44:45], exec
	s_and_b64 s[46:47], s[48:49], exec
	s_or_b64 s[44:45], s[44:45], s[46:47]
	s_andn2_b64 exec, exec, s[2:3]
	s_cbranch_execz .LBB93_192
.LBB93_186:                             ;   Parent Loop BB93_17 Depth=1
                                        ; =>  This Inner Loop Header: Depth=2
	v_cmp_gt_u64_e32 vcc, s[8:9], v[4:5]
	s_and_saveexec_b64 s[46:47], vcc
	s_cbranch_execz .LBB93_184
; %bb.187:                              ;   in Loop: Header=BB93_186 Depth=2
	ds_read_b32 v16, v6
	s_waitcnt lgkmcnt(0)
	v_xor_b32_e32 v7, 0x80000000, v16
	v_and_b32_e32 v7, v7, v34
	v_cmp_eq_u32_e32 vcc, v7, v29
	s_and_b64 exec, exec, vcc
	s_cbranch_execz .LBB93_184
; %bb.188:                              ;   in Loop: Header=BB93_186 Depth=2
	ds_write_b64 v10, v[15:16] offset:3072
	s_branch .LBB93_184
.LBB93_189:                             ;   in Loop: Header=BB93_186 Depth=2
	v_add_co_u32_e32 v4, vcc, s65, v4
	v_addc_co_u32_e32 v5, vcc, 0, v5, vcc
	v_cmp_le_u64_e32 vcc, s[42:43], v[4:5]
	v_add_u32_e32 v6, s82, v6
	s_mov_b64 s[48:49], 0
	s_orn2_b64 s[46:47], vcc, exec
	s_branch .LBB93_185
.LBB93_190:                             ;   in Loop: Header=BB93_17 Depth=1
                                        ; implicit-def: $sgpr28_sgpr29
	s_branch .LBB93_132
.LBB93_191:                             ;   in Loop: Header=BB93_17 Depth=1
                                        ; implicit-def: $sgpr6_sgpr7
	s_branch .LBB93_151
.LBB93_192:                             ;   in Loop: Header=BB93_17 Depth=1
	s_or_b64 exec, exec, s[2:3]
	s_and_b64 s[2:3], s[44:45], exec
.LBB93_193:                             ;   in Loop: Header=BB93_17 Depth=1
	s_or_b64 exec, exec, s[40:41]
.LBB93_194:                             ;   in Loop: Header=BB93_17 Depth=1
	s_and_b64 vcc, exec, s[38:39]
	s_cbranch_vccz .LBB93_208
; %bb.195:                              ;   in Loop: Header=BB93_17 Depth=1
	s_mov_b32 s84, s79
	s_cmp_lg_u64 s[84:85], 0
	s_cbranch_scc0 .LBB93_236
; %bb.196:                              ;   in Loop: Header=BB93_17 Depth=1
	v_cvt_f32_u32_e32 v4, s65
	s_sub_u32 s28, 0, s65
	s_subb_u32 s29, 0, 0
	v_mac_f32_e32 v4, 0, v32
	v_rcp_f32_e32 v4, v4
	v_mul_f32_e32 v4, 0x5f7ffffc, v4
	v_mul_f32_e32 v5, 0x2f800000, v4
	v_trunc_f32_e32 v5, v5
	v_mac_f32_e32 v4, 0xcf800000, v5
	v_cvt_u32_f32_e32 v5, v5
	v_cvt_u32_f32_e32 v4, v4
	v_readfirstlane_b32 s30, v5
	v_readfirstlane_b32 s8, v4
	s_mul_i32 s9, s28, s30
	s_mul_hi_u32 s38, s28, s8
	s_mul_i32 s31, s29, s8
	s_add_i32 s9, s38, s9
	s_mul_i32 s39, s28, s8
	s_add_i32 s9, s9, s31
	s_mul_hi_u32 s38, s8, s39
	s_mul_i32 s40, s8, s9
	s_mul_hi_u32 s31, s8, s9
	s_add_u32 s38, s38, s40
	s_addc_u32 s31, 0, s31
	s_mul_hi_u32 s41, s30, s39
	s_mul_i32 s39, s30, s39
	s_add_u32 s38, s38, s39
	s_mul_hi_u32 s40, s30, s9
	s_addc_u32 s31, s31, s41
	s_addc_u32 s38, s40, 0
	s_mul_i32 s9, s30, s9
	s_add_u32 s9, s31, s9
	s_addc_u32 s31, 0, s38
	s_add_u32 s38, s8, s9
	s_cselect_b64 s[8:9], -1, 0
	s_cmp_lg_u64 s[8:9], 0
	s_addc_u32 s30, s30, s31
	s_mul_i32 s8, s28, s30
	s_mul_hi_u32 s9, s28, s38
	s_add_i32 s8, s9, s8
	s_mul_i32 s29, s29, s38
	s_add_i32 s8, s8, s29
	s_mul_i32 s28, s28, s38
	s_mul_hi_u32 s29, s30, s28
	s_mul_i32 s31, s30, s28
	s_mul_i32 s40, s38, s8
	s_mul_hi_u32 s28, s38, s28
	s_mul_hi_u32 s39, s38, s8
	s_add_u32 s28, s28, s40
	s_addc_u32 s39, 0, s39
	s_add_u32 s28, s28, s31
	s_mul_hi_u32 s9, s30, s8
	s_addc_u32 s28, s39, s29
	s_addc_u32 s9, s9, 0
	s_mul_i32 s8, s30, s8
	s_add_u32 s8, s28, s8
	s_addc_u32 s28, 0, s9
	s_add_u32 s29, s38, s8
	s_cselect_b64 s[8:9], -1, 0
	s_cmp_lg_u64 s[8:9], 0
	s_addc_u32 s8, s30, s28
	s_mul_i32 s28, s0, s8
	s_mul_hi_u32 s30, s0, s29
	s_mul_hi_u32 s9, s0, s8
	s_add_u32 s28, s30, s28
	s_addc_u32 s9, 0, s9
	s_mul_hi_u32 s31, s85, s29
	s_mul_i32 s29, s85, s29
	s_add_u32 s28, s28, s29
	s_mul_hi_u32 s30, s85, s8
	s_addc_u32 s9, s9, s31
	s_addc_u32 s28, s30, 0
	s_mul_i32 s8, s85, s8
	s_add_u32 s8, s9, s8
	s_addc_u32 s9, 0, s28
	s_mul_i32 s9, s65, s9
	s_mul_hi_u32 s28, s65, s8
	s_add_i32 s28, s28, s9
	s_mul_i32 s8, s65, s8
	s_sub_u32 s29, s0, s8
	s_cselect_b64 s[8:9], -1, 0
	s_cmp_lg_u64 s[8:9], 0
	s_subb_u32 s28, s85, s28
	s_sub_u32 s30, s29, s65
	s_cselect_b64 s[8:9], -1, 0
	s_cmp_lg_u64 s[8:9], 0
	s_subb_u32 s31, s28, 0
	;; [unrolled: 4-line block ×3, first 2 shown]
	s_cmp_ge_u32 s30, s65
	s_cselect_b32 s9, -1, 0
	s_cmp_eq_u32 s31, 0
	s_cselect_b32 s9, s9, -1
	s_cmp_lg_u32 s9, 0
	s_cselect_b32 s8, s8, s31
	s_cselect_b32 s30, s38, s30
	s_cmp_ge_u32 s29, s65
	s_cselect_b32 s9, -1, 0
	s_cmp_eq_u32 s28, 0
	s_cselect_b32 s9, s9, -1
	s_cmp_lg_u32 s9, 0
	s_cselect_b32 s9, s8, s28
	s_cselect_b32 s8, s30, s29
	s_cbranch_execnz .LBB93_198
.LBB93_197:                             ;   in Loop: Header=BB93_17 Depth=1
	v_cvt_f32_u32_e32 v4, s65
	s_sub_i32 s8, 0, s65
	v_rcp_iflag_f32_e32 v4, v4
	v_mul_f32_e32 v4, 0x4f7ffffe, v4
	v_cvt_u32_f32_e32 v4, v4
	v_readfirstlane_b32 s9, v4
	s_mul_i32 s8, s8, s9
	s_mul_hi_u32 s8, s9, s8
	s_add_i32 s9, s9, s8
	s_mul_hi_u32 s8, s0, s9
	s_mul_i32 s8, s8, s65
	s_sub_i32 s8, s0, s8
	s_sub_i32 s9, s8, s65
	s_cmp_ge_u32 s8, s65
	s_cselect_b32 s8, s9, s8
	s_sub_i32 s9, s8, s65
	s_cmp_ge_u32 s8, s65
	s_cselect_b32 s78, s9, s8
	s_mov_b64 s[8:9], s[78:79]
.LBB93_198:                             ;   in Loop: Header=BB93_17 Depth=1
	s_sub_u32 s28, s0, s8
	s_subb_u32 s29, s85, s9
	v_cmp_gt_u64_e32 vcc, s[28:29], v[0:1]
                                        ; implicit-def: $vgpr17
	s_and_saveexec_b64 s[8:9], vcc
	s_cbranch_execz .LBB93_207
; %bb.199:                              ;   in Loop: Header=BB93_17 Depth=1
	v_mov_b32_e32 v5, v1
	s_mov_b64 s[30:31], 0
	v_mov_b32_e32 v4, v0
                                        ; implicit-def: $sgpr38_sgpr39
	s_branch .LBB93_202
.LBB93_200:                             ;   in Loop: Header=BB93_202 Depth=2
	s_or_b64 exec, exec, s[40:41]
	s_waitcnt lgkmcnt(0)
	s_barrier
	ds_read_b64 v[16:17], v10 offset:3072
	s_mov_b64 s[40:41], -1
	s_mov_b64 s[42:43], -1
	s_waitcnt lgkmcnt(0)
	s_barrier
	v_cmp_eq_u32_e32 vcc, 0, v16
	s_cbranch_vccnz .LBB93_205
.LBB93_201:                             ;   in Loop: Header=BB93_202 Depth=2
	s_and_b64 s[40:41], exec, s[40:41]
	s_or_b64 s[30:31], s[40:41], s[30:31]
	s_andn2_b64 s[38:39], s[38:39], exec
	s_and_b64 s[40:41], s[42:43], exec
	s_or_b64 s[38:39], s[38:39], s[40:41]
	s_andn2_b64 exec, exec, s[30:31]
	s_cbranch_execz .LBB93_206
.LBB93_202:                             ;   Parent Loop BB93_17 Depth=1
                                        ; =>  This Inner Loop Header: Depth=2
	v_cmp_gt_u64_e32 vcc, s[52:53], v[4:5]
	s_and_saveexec_b64 s[40:41], vcc
	s_cbranch_execz .LBB93_200
; %bb.203:                              ;   in Loop: Header=BB93_202 Depth=2
	v_mul_lo_u32 v9, v5, s68
	v_mul_lo_u32 v16, v4, s69
	v_mad_u64_u32 v[6:7], s[42:43], v4, s68, 0
	v_add3_u32 v7, v7, v16, v9
	v_lshlrev_b64 v[6:7], 2, v[6:7]
	v_mov_b32_e32 v9, s64
	v_add_co_u32_e32 v6, vcc, s33, v6
	v_addc_co_u32_e32 v7, vcc, v9, v7, vcc
	global_load_dword v16, v[6:7], off
	s_waitcnt vmcnt(0)
	v_xor_b32_e32 v6, 0x80000000, v16
	v_and_b32_e32 v6, v6, v34
	v_cmp_eq_u32_e32 vcc, v6, v29
	s_and_b64 exec, exec, vcc
	s_cbranch_execz .LBB93_200
; %bb.204:                              ;   in Loop: Header=BB93_202 Depth=2
	ds_write_b64 v10, v[15:16] offset:3072
	s_branch .LBB93_200
.LBB93_205:                             ;   in Loop: Header=BB93_202 Depth=2
	v_add_co_u32_e32 v4, vcc, s65, v4
	v_addc_co_u32_e32 v5, vcc, 0, v5, vcc
	v_cmp_le_u64_e32 vcc, s[28:29], v[4:5]
	s_mov_b64 s[42:43], 0
	s_orn2_b64 s[40:41], vcc, exec
	s_branch .LBB93_201
.LBB93_206:                             ;   in Loop: Header=BB93_17 Depth=1
	s_or_b64 exec, exec, s[30:31]
	s_andn2_b64 s[2:3], s[2:3], exec
	s_and_b64 s[28:29], s[38:39], exec
	s_or_b64 s[2:3], s[2:3], s[28:29]
.LBB93_207:                             ;   in Loop: Header=BB93_17 Depth=1
	s_or_b64 exec, exec, s[8:9]
	s_mov_b64 s[28:29], 0
	s_mov_b64 s[30:31], -1
.LBB93_208:                             ;   in Loop: Header=BB93_17 Depth=1
	s_orn2_b64 s[2:3], s[2:3], exec
.LBB93_209:                             ;   in Loop: Header=BB93_17 Depth=1
	s_or_b64 exec, exec, s[34:35]
	s_mov_b64 s[8:9], 0
	s_and_saveexec_b64 s[34:35], s[2:3]
	s_cbranch_execz .LBB93_267
; %bb.210:                              ;   in Loop: Header=BB93_17 Depth=1
	v_mov_b32_e32 v4, 1
	s_xor_b64 s[36:37], s[36:37], -1
	v_mov_b32_e32 v8, 1
	v_mov_b32_e32 v5, 0
	s_and_saveexec_b64 s[2:3], s[36:37]
	s_cbranch_execz .LBB93_219
; %bb.211:                              ;   in Loop: Header=BB93_17 Depth=1
	v_cmp_ge_u64_e32 vcc, s[18:19], v[2:3]
	s_and_saveexec_b64 s[8:9], vcc
	s_xor_b64 s[8:9], exec, s[8:9]
	s_cbranch_execz .LBB93_216
; %bb.212:                              ;   in Loop: Header=BB93_17 Depth=1
	ds_read_b64 v[4:5], v10 offset:5120
	v_and_b32_e32 v6, s50, v29
	v_lshl_or_b32 v29, 2, s83, v6
	v_or_b32_e32 v34, s62, v34
	s_waitcnt lgkmcnt(0)
	v_cmp_ne_u64_e32 vcc, 0, v[4:5]
	s_cbranch_vccnz .LBB93_216
; %bb.213:                              ;   in Loop: Header=BB93_17 Depth=1
	s_mov_b64 s[36:37], exec
	v_readlane_b32 s38, v47, 8
	v_readlane_b32 s39, v47, 9
	s_and_b64 s[38:39], s[36:37], s[38:39]
	s_mov_b64 exec, s[38:39]
; %bb.214:                              ;   in Loop: Header=BB93_17 Depth=1
	v_mov_b32_e32 v4, s18
	v_mov_b32_e32 v5, s19
	ds_write_b64 v10, v[4:5] offset:5128
; %bb.215:                              ;   in Loop: Header=BB93_17 Depth=1
	s_or_b64 exec, exec, s[36:37]
	s_waitcnt lgkmcnt(0)
	s_barrier
.LBB93_216:                             ;   in Loop: Header=BB93_17 Depth=1
	s_or_saveexec_b64 s[8:9], s[8:9]
	s_mov_b64 s[36:37], 0
	v_mov_b32_e32 v8, 8
	s_xor_b64 exec, exec, s[8:9]
; %bb.217:                              ;   in Loop: Header=BB93_17 Depth=1
	v_mov_b32_e32 v4, s19
	v_subrev_co_u32_e32 v2, vcc, s18, v2
	s_mov_b64 s[36:37], exec
	v_subb_co_u32_e32 v3, vcc, v3, v4, vcc
	v_mov_b32_e32 v8, 0
; %bb.218:                              ;   in Loop: Header=BB93_17 Depth=1
	s_or_b64 exec, exec, s[8:9]
	v_mov_b32_e32 v5, v3
	s_and_b64 s[8:9], s[36:37], exec
	v_mov_b32_e32 v4, v2
.LBB93_219:                             ;   in Loop: Header=BB93_17 Depth=1
	s_or_b64 exec, exec, s[2:3]
	s_mov_b64 s[2:3], -1
                                        ; implicit-def: $sgpr42_sgpr43
                                        ; implicit-def: $sgpr40_sgpr41
	s_and_saveexec_b64 s[18:19], s[8:9]
	s_cbranch_execz .LBB93_266
; %bb.220:                              ;   in Loop: Header=BB93_17 Depth=1
	s_cmp_eq_u64 s[10:11], 1
	v_cmp_eq_u64_e32 vcc, 1, v[4:5]
	s_cselect_b64 s[2:3], -1, 0
	s_and_b64 s[36:37], s[2:3], vcc
	s_mov_b64 s[8:9], -1
                                        ; implicit-def: $sgpr42_sgpr43
                                        ; implicit-def: $sgpr40_sgpr41
	s_and_saveexec_b64 s[38:39], s[36:37]
	s_cbranch_execz .LBB93_254
; %bb.221:                              ;   in Loop: Header=BB93_17 Depth=1
	ds_read_b64 v[2:3], v10 offset:5120
	s_waitcnt lgkmcnt(0)
	s_barrier
	v_readfirstlane_b32 s8, v2
	v_readfirstlane_b32 s9, v3
	s_and_saveexec_b64 s[2:3], s[26:27]
; %bb.222:                              ;   in Loop: Header=BB93_17 Depth=1
	ds_write_b32 v23, v10
; %bb.223:                              ;   in Loop: Header=BB93_17 Depth=1
	s_or_b64 exec, exec, s[2:3]
	v_or_b32_e32 v29, s62, v29
	v_or_b32_e32 v34, s62, v34
	s_mov_b64 s[40:41], -1
	s_mov_b64 s[42:43], 0
	s_cmp_eq_u64 s[8:9], 0
	s_mov_b64 s[2:3], 0
	s_mov_b64 s[44:45], -1
	s_waitcnt lgkmcnt(0)
	s_barrier
                                        ; implicit-def: $vgpr17
	s_cbranch_scc1 .LBB93_239
; %bb.224:                              ;   in Loop: Header=BB93_17 Depth=1
	v_readlane_b32 s2, v47, 30
	s_add_u32 s48, s8, s2
	v_readlane_b32 s2, v47, 31
	s_addc_u32 s3, s9, s2
	s_mov_b32 s2, s79
	s_cmp_lg_u64 s[2:3], 0
	s_cbranch_scc0 .LBB93_273
; %bb.225:                              ;   in Loop: Header=BB93_17 Depth=1
	v_cvt_f32_u32_e32 v2, s65
	s_sub_u32 s2, 0, s65
	s_subb_u32 s46, 0, 0
	v_mac_f32_e32 v2, 0, v32
	v_rcp_f32_e32 v2, v2
	v_mul_f32_e32 v2, 0x5f7ffffc, v2
	v_mul_f32_e32 v3, 0x2f800000, v2
	v_trunc_f32_e32 v3, v3
	v_mac_f32_e32 v2, 0xcf800000, v3
	v_cvt_u32_f32_e32 v3, v3
	v_cvt_u32_f32_e32 v2, v2
	v_readfirstlane_b32 s47, v3
	v_readfirstlane_b32 s44, v2
	s_mul_i32 s45, s2, s47
	s_mul_hi_u32 s50, s2, s44
	s_mul_i32 s49, s46, s44
	s_add_i32 s45, s50, s45
	s_mul_i32 s51, s2, s44
	s_add_i32 s45, s45, s49
	s_mul_hi_u32 s50, s44, s51
	s_mul_i32 s54, s44, s45
	s_mul_hi_u32 s49, s44, s45
	s_add_u32 s50, s50, s54
	s_addc_u32 s49, 0, s49
	s_mul_hi_u32 s55, s47, s51
	s_mul_i32 s51, s47, s51
	s_add_u32 s50, s50, s51
	s_mul_hi_u32 s54, s47, s45
	s_addc_u32 s49, s49, s55
	s_addc_u32 s50, s54, 0
	s_mul_i32 s45, s47, s45
	s_add_u32 s45, s49, s45
	s_addc_u32 s49, 0, s50
	s_add_u32 s50, s44, s45
	s_cselect_b64 s[44:45], -1, 0
	s_cmp_lg_u64 s[44:45], 0
	s_addc_u32 s47, s47, s49
	s_mul_i32 s44, s2, s47
	s_mul_hi_u32 s45, s2, s50
	s_add_i32 s44, s45, s44
	s_mul_i32 s46, s46, s50
	s_add_i32 s44, s44, s46
	s_mul_i32 s2, s2, s50
	s_mul_hi_u32 s46, s47, s2
	s_mul_i32 s49, s47, s2
	s_mul_i32 s54, s50, s44
	s_mul_hi_u32 s2, s50, s2
	s_mul_hi_u32 s51, s50, s44
	s_add_u32 s2, s2, s54
	s_addc_u32 s51, 0, s51
	s_add_u32 s2, s2, s49
	s_mul_hi_u32 s45, s47, s44
	s_addc_u32 s2, s51, s46
	s_addc_u32 s45, s45, 0
	s_mul_i32 s44, s47, s44
	s_add_u32 s2, s2, s44
	s_addc_u32 s46, 0, s45
	s_add_u32 s2, s50, s2
	s_cselect_b64 s[44:45], -1, 0
	s_cmp_lg_u64 s[44:45], 0
	s_addc_u32 s44, s47, s46
	s_mul_i32 s46, s48, s44
	s_mul_hi_u32 s47, s48, s2
	s_mul_hi_u32 s45, s48, s44
	s_add_u32 s46, s47, s46
	s_addc_u32 s45, 0, s45
	s_mul_hi_u32 s49, s3, s2
	s_mul_i32 s2, s3, s2
	s_add_u32 s2, s46, s2
	s_mul_hi_u32 s47, s3, s44
	s_addc_u32 s2, s45, s49
	s_addc_u32 s45, s47, 0
	s_mul_i32 s44, s3, s44
	s_add_u32 s2, s2, s44
	s_addc_u32 s44, 0, s45
	s_mul_i32 s44, s65, s44
	s_mul_hi_u32 s45, s65, s2
	s_add_i32 s46, s45, s44
	s_mul_i32 s2, s65, s2
	s_sub_u32 s2, s48, s2
	s_cselect_b64 s[44:45], -1, 0
	s_cmp_lg_u64 s[44:45], 0
	s_subb_u32 s46, s3, s46
	s_sub_u32 s47, s2, s65
	s_cselect_b64 s[44:45], -1, 0
	s_cmp_lg_u64 s[44:45], 0
	s_subb_u32 s49, s46, 0
	;; [unrolled: 4-line block ×3, first 2 shown]
	s_cmp_ge_u32 s47, s65
	s_cselect_b32 s45, -1, 0
	s_cmp_eq_u32 s49, 0
	s_cselect_b32 s45, s45, -1
	s_cmp_lg_u32 s45, 0
	s_cselect_b32 s44, s44, s49
	s_cselect_b32 s47, s50, s47
	s_cmp_ge_u32 s2, s65
	s_cselect_b32 s45, -1, 0
	s_cmp_eq_u32 s46, 0
	s_cselect_b32 s45, s45, -1
	s_cmp_lg_u32 s45, 0
	s_cselect_b32 s45, s44, s46
	s_cselect_b32 s44, s47, s2
	s_cbranch_execnz .LBB93_227
.LBB93_226:                             ;   in Loop: Header=BB93_17 Depth=1
	v_cvt_f32_u32_e32 v2, s65
	s_sub_i32 s2, 0, s65
	v_rcp_iflag_f32_e32 v2, v2
	v_mul_f32_e32 v2, 0x4f7ffffe, v2
	v_cvt_u32_f32_e32 v2, v2
	v_readfirstlane_b32 s44, v2
	s_mul_i32 s2, s2, s44
	s_mul_hi_u32 s2, s44, s2
	s_add_i32 s44, s44, s2
	s_mul_hi_u32 s2, s48, s44
	s_mul_i32 s2, s2, s65
	s_sub_i32 s2, s48, s2
	s_sub_i32 s44, s2, s65
	s_cmp_ge_u32 s2, s65
	s_cselect_b32 s2, s44, s2
	s_sub_i32 s44, s2, s65
	s_cmp_ge_u32 s2, s65
	s_cselect_b32 s78, s44, s2
	s_mov_b64 s[44:45], s[78:79]
.LBB93_227:                             ;   in Loop: Header=BB93_17 Depth=1
	s_sub_u32 s48, s48, s44
	s_subb_u32 s49, s3, s45
	v_cmp_gt_u64_e32 vcc, s[48:49], v[0:1]
	s_mov_b64 s[44:45], 0
	s_mov_b64 s[2:3], 0
                                        ; implicit-def: $vgpr17
	s_and_saveexec_b64 s[46:47], vcc
	s_cbranch_execz .LBB93_238
; %bb.228:                              ;   in Loop: Header=BB93_17 Depth=1
	v_mov_b32_e32 v3, v1
	v_mov_b32_e32 v6, v11
	;; [unrolled: 1-line block ×3, first 2 shown]
                                        ; implicit-def: $sgpr50_sgpr51
	s_branch .LBB93_231
.LBB93_229:                             ;   in Loop: Header=BB93_231 Depth=2
	s_or_b64 exec, exec, s[54:55]
	s_waitcnt lgkmcnt(0)
	s_barrier
	ds_read_b64 v[16:17], v10 offset:3072
	s_mov_b64 s[54:55], -1
	s_mov_b64 s[60:61], -1
	s_waitcnt lgkmcnt(0)
	s_barrier
	v_cmp_ne_u32_e32 vcc, 0, v16
	s_cbranch_vccz .LBB93_234
.LBB93_230:                             ;   in Loop: Header=BB93_231 Depth=2
	s_and_b64 s[54:55], exec, s[54:55]
	s_or_b64 s[2:3], s[54:55], s[2:3]
	s_andn2_b64 s[50:51], s[50:51], exec
	s_and_b64 s[54:55], s[60:61], exec
	s_or_b64 s[50:51], s[50:51], s[54:55]
	s_andn2_b64 exec, exec, s[2:3]
	s_cbranch_execz .LBB93_237
.LBB93_231:                             ;   Parent Loop BB93_17 Depth=1
                                        ; =>  This Inner Loop Header: Depth=2
	v_cmp_gt_u64_e32 vcc, s[8:9], v[2:3]
	s_and_saveexec_b64 s[54:55], vcc
	s_cbranch_execz .LBB93_229
; %bb.232:                              ;   in Loop: Header=BB93_231 Depth=2
	ds_read_b32 v16, v6
	s_waitcnt lgkmcnt(0)
	v_xor_b32_e32 v7, 0x80000000, v16
	v_and_b32_e32 v7, v7, v34
	v_cmp_eq_u32_e32 vcc, v7, v29
	s_and_b64 exec, exec, vcc
	s_cbranch_execz .LBB93_229
; %bb.233:                              ;   in Loop: Header=BB93_231 Depth=2
	ds_write_b64 v10, v[15:16] offset:3072
	s_branch .LBB93_229
.LBB93_234:                             ;   in Loop: Header=BB93_231 Depth=2
	v_add_co_u32_e32 v2, vcc, s65, v2
	v_addc_co_u32_e32 v3, vcc, 0, v3, vcc
	v_cmp_le_u64_e32 vcc, s[48:49], v[2:3]
	v_add_u32_e32 v6, s82, v6
	s_mov_b64 s[60:61], 0
	s_orn2_b64 s[54:55], vcc, exec
	s_branch .LBB93_230
.LBB93_235:                             ;   in Loop: Header=BB93_17 Depth=1
                                        ; implicit-def: $sgpr38_sgpr39
	s_branch .LBB93_181
.LBB93_236:                             ;   in Loop: Header=BB93_17 Depth=1
                                        ; implicit-def: $sgpr8_sgpr9
	s_branch .LBB93_197
.LBB93_237:                             ;   in Loop: Header=BB93_17 Depth=1
	s_or_b64 exec, exec, s[2:3]
	s_and_b64 s[2:3], s[50:51], exec
.LBB93_238:                             ;   in Loop: Header=BB93_17 Depth=1
	s_or_b64 exec, exec, s[46:47]
.LBB93_239:                             ;   in Loop: Header=BB93_17 Depth=1
	s_and_b64 vcc, exec, s[44:45]
	s_cbranch_vccz .LBB93_253
; %bb.240:                              ;   in Loop: Header=BB93_17 Depth=1
	s_mov_b32 s84, s79
	s_cmp_lg_u64 s[84:85], 0
	s_cbranch_scc0 .LBB93_274
; %bb.241:                              ;   in Loop: Header=BB93_17 Depth=1
	v_cvt_f32_u32_e32 v2, s65
	s_sub_u32 s40, 0, s65
	s_subb_u32 s41, 0, 0
	v_mac_f32_e32 v2, 0, v32
	v_rcp_f32_e32 v2, v2
	v_mul_f32_e32 v2, 0x5f7ffffc, v2
	v_mul_f32_e32 v3, 0x2f800000, v2
	v_trunc_f32_e32 v3, v3
	v_mac_f32_e32 v2, 0xcf800000, v3
	v_cvt_u32_f32_e32 v3, v3
	v_cvt_u32_f32_e32 v2, v2
	v_readfirstlane_b32 s42, v3
	v_readfirstlane_b32 s8, v2
	s_mul_i32 s9, s40, s42
	s_mul_hi_u32 s44, s40, s8
	s_mul_i32 s43, s41, s8
	s_add_i32 s9, s44, s9
	s_mul_i32 s45, s40, s8
	s_add_i32 s9, s9, s43
	s_mul_hi_u32 s44, s8, s45
	s_mul_i32 s46, s8, s9
	s_mul_hi_u32 s43, s8, s9
	s_add_u32 s44, s44, s46
	s_addc_u32 s43, 0, s43
	s_mul_hi_u32 s47, s42, s45
	s_mul_i32 s45, s42, s45
	s_add_u32 s44, s44, s45
	s_mul_hi_u32 s46, s42, s9
	s_addc_u32 s43, s43, s47
	s_addc_u32 s44, s46, 0
	s_mul_i32 s9, s42, s9
	s_add_u32 s9, s43, s9
	s_addc_u32 s43, 0, s44
	s_add_u32 s44, s8, s9
	s_cselect_b64 s[8:9], -1, 0
	s_cmp_lg_u64 s[8:9], 0
	s_addc_u32 s42, s42, s43
	s_mul_i32 s8, s40, s42
	s_mul_hi_u32 s9, s40, s44
	s_add_i32 s8, s9, s8
	s_mul_i32 s41, s41, s44
	s_add_i32 s8, s8, s41
	s_mul_i32 s40, s40, s44
	s_mul_hi_u32 s41, s42, s40
	s_mul_i32 s43, s42, s40
	s_mul_i32 s46, s44, s8
	s_mul_hi_u32 s40, s44, s40
	s_mul_hi_u32 s45, s44, s8
	s_add_u32 s40, s40, s46
	s_addc_u32 s45, 0, s45
	s_add_u32 s40, s40, s43
	s_mul_hi_u32 s9, s42, s8
	s_addc_u32 s40, s45, s41
	s_addc_u32 s9, s9, 0
	s_mul_i32 s8, s42, s8
	s_add_u32 s8, s40, s8
	s_addc_u32 s40, 0, s9
	s_add_u32 s41, s44, s8
	s_cselect_b64 s[8:9], -1, 0
	s_cmp_lg_u64 s[8:9], 0
	s_addc_u32 s8, s42, s40
	s_mul_i32 s40, s0, s8
	s_mul_hi_u32 s42, s0, s41
	s_mul_hi_u32 s9, s0, s8
	s_add_u32 s40, s42, s40
	s_addc_u32 s9, 0, s9
	s_mul_hi_u32 s43, s85, s41
	s_mul_i32 s41, s85, s41
	s_add_u32 s40, s40, s41
	s_mul_hi_u32 s42, s85, s8
	s_addc_u32 s9, s9, s43
	s_addc_u32 s40, s42, 0
	s_mul_i32 s8, s85, s8
	s_add_u32 s8, s9, s8
	s_addc_u32 s9, 0, s40
	s_mul_i32 s9, s65, s9
	s_mul_hi_u32 s40, s65, s8
	s_add_i32 s40, s40, s9
	s_mul_i32 s8, s65, s8
	s_sub_u32 s41, s0, s8
	s_cselect_b64 s[8:9], -1, 0
	s_cmp_lg_u64 s[8:9], 0
	s_subb_u32 s40, s85, s40
	s_sub_u32 s42, s41, s65
	s_cselect_b64 s[8:9], -1, 0
	s_cmp_lg_u64 s[8:9], 0
	s_subb_u32 s43, s40, 0
	s_sub_u32 s44, s42, s65
	s_cselect_b64 s[8:9], -1, 0
	s_cmp_lg_u64 s[8:9], 0
	s_subb_u32 s8, s43, 0
	s_cmp_ge_u32 s42, s65
	s_cselect_b32 s9, -1, 0
	s_cmp_eq_u32 s43, 0
	s_cselect_b32 s9, s9, -1
	s_cmp_lg_u32 s9, 0
	s_cselect_b32 s8, s8, s43
	s_cselect_b32 s42, s44, s42
	s_cmp_ge_u32 s41, s65
	s_cselect_b32 s9, -1, 0
	s_cmp_eq_u32 s40, 0
	s_cselect_b32 s9, s9, -1
	s_cmp_lg_u32 s9, 0
	s_cselect_b32 s9, s8, s40
	s_cselect_b32 s8, s42, s41
	s_cbranch_execnz .LBB93_243
.LBB93_242:                             ;   in Loop: Header=BB93_17 Depth=1
	v_cvt_f32_u32_e32 v2, s65
	s_sub_i32 s8, 0, s65
	v_rcp_iflag_f32_e32 v2, v2
	v_mul_f32_e32 v2, 0x4f7ffffe, v2
	v_cvt_u32_f32_e32 v2, v2
	v_readfirstlane_b32 s9, v2
	s_mul_i32 s8, s8, s9
	s_mul_hi_u32 s8, s9, s8
	s_add_i32 s9, s9, s8
	s_mul_hi_u32 s8, s0, s9
	s_mul_i32 s8, s8, s65
	s_sub_i32 s8, s0, s8
	s_sub_i32 s9, s8, s65
	s_cmp_ge_u32 s8, s65
	s_cselect_b32 s8, s9, s8
	s_sub_i32 s9, s8, s65
	s_cmp_ge_u32 s8, s65
	s_cselect_b32 s78, s9, s8
	s_mov_b64 s[8:9], s[78:79]
.LBB93_243:                             ;   in Loop: Header=BB93_17 Depth=1
	s_sub_u32 s40, s0, s8
	s_subb_u32 s41, s85, s9
	v_cmp_gt_u64_e32 vcc, s[40:41], v[0:1]
                                        ; implicit-def: $vgpr17
	s_and_saveexec_b64 s[8:9], vcc
	s_cbranch_execz .LBB93_252
; %bb.244:                              ;   in Loop: Header=BB93_17 Depth=1
	v_mov_b32_e32 v3, v1
	s_mov_b64 s[42:43], 0
	v_mov_b32_e32 v2, v0
                                        ; implicit-def: $sgpr44_sgpr45
	s_branch .LBB93_247
.LBB93_245:                             ;   in Loop: Header=BB93_247 Depth=2
	s_or_b64 exec, exec, s[46:47]
	s_waitcnt lgkmcnt(0)
	s_barrier
	ds_read_b64 v[16:17], v10 offset:3072
	s_mov_b64 s[46:47], -1
	s_mov_b64 s[48:49], -1
	s_waitcnt lgkmcnt(0)
	s_barrier
	v_cmp_eq_u32_e32 vcc, 0, v16
	s_cbranch_vccnz .LBB93_250
.LBB93_246:                             ;   in Loop: Header=BB93_247 Depth=2
	s_and_b64 s[46:47], exec, s[46:47]
	s_or_b64 s[42:43], s[46:47], s[42:43]
	s_andn2_b64 s[44:45], s[44:45], exec
	s_and_b64 s[46:47], s[48:49], exec
	s_or_b64 s[44:45], s[44:45], s[46:47]
	s_andn2_b64 exec, exec, s[42:43]
	s_cbranch_execz .LBB93_251
.LBB93_247:                             ;   Parent Loop BB93_17 Depth=1
                                        ; =>  This Inner Loop Header: Depth=2
	v_cmp_gt_u64_e32 vcc, s[52:53], v[2:3]
	s_and_saveexec_b64 s[46:47], vcc
	s_cbranch_execz .LBB93_245
; %bb.248:                              ;   in Loop: Header=BB93_247 Depth=2
	v_mul_lo_u32 v9, v3, s68
	v_mul_lo_u32 v16, v2, s69
	v_mad_u64_u32 v[6:7], s[48:49], v2, s68, 0
	v_add3_u32 v7, v7, v16, v9
	v_lshlrev_b64 v[6:7], 2, v[6:7]
	v_mov_b32_e32 v9, s64
	v_add_co_u32_e32 v6, vcc, s33, v6
	v_addc_co_u32_e32 v7, vcc, v9, v7, vcc
	global_load_dword v16, v[6:7], off
	s_waitcnt vmcnt(0)
	v_xor_b32_e32 v6, 0x80000000, v16
	v_and_b32_e32 v6, v6, v34
	v_cmp_eq_u32_e32 vcc, v6, v29
	s_and_b64 exec, exec, vcc
	s_cbranch_execz .LBB93_245
; %bb.249:                              ;   in Loop: Header=BB93_247 Depth=2
	ds_write_b64 v10, v[15:16] offset:3072
	s_branch .LBB93_245
.LBB93_250:                             ;   in Loop: Header=BB93_247 Depth=2
	v_add_co_u32_e32 v2, vcc, s65, v2
	v_addc_co_u32_e32 v3, vcc, 0, v3, vcc
	v_cmp_le_u64_e32 vcc, s[40:41], v[2:3]
	s_mov_b64 s[48:49], 0
	s_orn2_b64 s[46:47], vcc, exec
	s_branch .LBB93_246
.LBB93_251:                             ;   in Loop: Header=BB93_17 Depth=1
	s_or_b64 exec, exec, s[42:43]
	s_andn2_b64 s[2:3], s[2:3], exec
	s_and_b64 s[40:41], s[44:45], exec
	s_or_b64 s[2:3], s[2:3], s[40:41]
.LBB93_252:                             ;   in Loop: Header=BB93_17 Depth=1
	s_or_b64 exec, exec, s[8:9]
	s_mov_b64 s[40:41], 0
	s_mov_b64 s[42:43], -1
.LBB93_253:                             ;   in Loop: Header=BB93_17 Depth=1
	s_orn2_b64 s[8:9], s[2:3], exec
.LBB93_254:                             ;   in Loop: Header=BB93_17 Depth=1
	s_or_b64 exec, exec, s[38:39]
	s_mov_b64 s[38:39], 0
	s_and_saveexec_b64 s[2:3], s[8:9]
	s_cbranch_execz .LBB93_265
; %bb.255:                              ;   in Loop: Header=BB93_17 Depth=1
	v_mov_b32_e32 v2, 1
	s_xor_b64 s[36:37], s[36:37], -1
	v_mov_b32_e32 v3, 0
	v_mov_b32_e32 v8, 1
	s_and_saveexec_b64 s[8:9], s[36:37]
	s_cbranch_execz .LBB93_264
; %bb.256:                              ;   in Loop: Header=BB93_17 Depth=1
	v_cmp_ge_u64_e32 vcc, s[10:11], v[4:5]
	s_and_saveexec_b64 s[36:37], vcc
	s_xor_b64 s[36:37], exec, s[36:37]
	s_cbranch_execz .LBB93_261
; %bb.257:                              ;   in Loop: Header=BB93_17 Depth=1
	ds_read_b64 v[2:3], v10 offset:5120
	v_or_b32_e32 v29, s62, v29
	v_or_b32_e32 v34, s62, v34
	s_waitcnt lgkmcnt(0)
	v_cmp_ne_u64_e32 vcc, 0, v[2:3]
	s_cbranch_vccnz .LBB93_261
; %bb.258:                              ;   in Loop: Header=BB93_17 Depth=1
	s_mov_b64 s[38:39], exec
	v_readlane_b32 s44, v47, 8
	v_readlane_b32 s45, v47, 9
	s_and_b64 s[44:45], s[38:39], s[44:45]
	s_mov_b64 exec, s[44:45]
; %bb.259:                              ;   in Loop: Header=BB93_17 Depth=1
	v_mov_b32_e32 v2, s10
	v_mov_b32_e32 v3, s11
	ds_write_b64 v10, v[2:3] offset:5128
; %bb.260:                              ;   in Loop: Header=BB93_17 Depth=1
	s_or_b64 exec, exec, s[38:39]
	s_waitcnt lgkmcnt(0)
	s_barrier
.LBB93_261:                             ;   in Loop: Header=BB93_17 Depth=1
	s_andn2_saveexec_b64 s[36:37], s[36:37]
; %bb.262:                              ;   in Loop: Header=BB93_17 Depth=1
	v_mov_b32_e32 v2, s11
	v_subrev_co_u32_e32 v4, vcc, s10, v4
	v_subb_co_u32_e32 v5, vcc, v5, v2, vcc
; %bb.263:                              ;   in Loop: Header=BB93_17 Depth=1
	s_or_b64 exec, exec, s[36:37]
	v_mov_b32_e32 v2, v4
	v_mov_b32_e32 v8, 8
	;; [unrolled: 1-line block ×3, first 2 shown]
.LBB93_264:                             ;   in Loop: Header=BB93_17 Depth=1
	s_or_b64 exec, exec, s[8:9]
	v_mov_b32_e32 v5, v3
	s_mov_b64 s[38:39], exec
	v_mov_b32_e32 v4, v2
.LBB93_265:                             ;   in Loop: Header=BB93_17 Depth=1
	s_or_b64 exec, exec, s[2:3]
	s_orn2_b64 s[2:3], s[38:39], exec
.LBB93_266:                             ;   in Loop: Header=BB93_17 Depth=1
	s_or_b64 exec, exec, s[18:19]
	s_andn2_b64 s[8:9], s[30:31], exec
	s_and_b64 s[10:11], s[42:43], exec
	s_or_b64 s[30:31], s[8:9], s[10:11]
	s_andn2_b64 s[8:9], s[28:29], exec
	s_and_b64 s[10:11], s[40:41], exec
	v_mov_b32_e32 v2, v4
	s_or_b64 s[28:29], s[8:9], s[10:11]
	s_and_b64 s[8:9], s[2:3], exec
	v_mov_b32_e32 v3, v5
.LBB93_267:                             ;   in Loop: Header=BB93_17 Depth=1
	s_or_b64 exec, exec, s[34:35]
	s_orn2_b64 s[2:3], s[8:9], exec
.LBB93_268:                             ;   in Loop: Header=BB93_17 Depth=1
	s_or_b64 exec, exec, s[24:25]
	s_andn2_b64 s[8:9], s[20:21], exec
	s_and_b64 s[10:11], s[30:31], exec
	s_or_b64 s[20:21], s[8:9], s[10:11]
	s_andn2_b64 s[6:7], s[6:7], exec
	s_and_b64 s[8:9], s[28:29], exec
	v_mov_b32_e32 v7, v3
	s_or_b64 s[6:7], s[6:7], s[8:9]
	s_and_b64 s[8:9], s[2:3], exec
	v_mov_b32_e32 v6, v2
.LBB93_269:                             ;   in Loop: Header=BB93_17 Depth=1
	s_or_b64 exec, exec, s[22:23]
	s_orn2_b64 s[2:3], s[8:9], exec
.LBB93_270:                             ;   in Loop: Header=BB93_17 Depth=1
	s_or_b64 exec, exec, s[16:17]
	s_mov_b64 s[8:9], 0
	s_and_saveexec_b64 s[10:11], s[2:3]
	s_xor_b64 s[2:3], exec, s[10:11]
	s_cbranch_execz .LBB93_15
; %bb.271:                              ;   in Loop: Header=BB93_17 Depth=1
	v_and_b32_e32 v2, 7, v8
	v_cmp_eq_u32_e32 vcc, 0, v2
	s_mov_b64 s[10:11], -1
	s_mov_b64 s[8:9], -1
	s_and_saveexec_b64 s[14:15], vcc
	s_cbranch_execz .LBB93_14
; %bb.272:                              ;   in Loop: Header=BB93_17 Depth=1
	s_add_i32 s16, s83, -2
	s_cmp_eq_u32 s83, 0
	s_cselect_b64 s[10:11], -1, 0
	v_xor_b32_e32 v33, 1, v33
	s_xor_b64 s[8:9], exec, -1
	s_orn2_b64 s[10:11], s[10:11], exec
	s_mov_b32 s83, s16
	s_branch .LBB93_14
.LBB93_273:                             ;   in Loop: Header=BB93_17 Depth=1
                                        ; implicit-def: $sgpr44_sgpr45
	s_branch .LBB93_226
.LBB93_274:                             ;   in Loop: Header=BB93_17 Depth=1
                                        ; implicit-def: $sgpr8_sgpr9
	s_branch .LBB93_242
.LBB93_275:
	s_or_b64 exec, exec, s[92:93]
	s_xor_b64 s[6:7], s[56:57], -1
	s_xor_b64 s[0:1], s[94:95], -1
	;; [unrolled: 1-line block ×3, first 2 shown]
	s_mov_b64 s[2:3], 0
	s_and_saveexec_b64 s[8:9], s[0:1]
	s_xor_b64 s[0:1], exec, s[8:9]
	s_cbranch_execnz .LBB93_280
; %bb.276:
	s_andn2_saveexec_b64 s[0:1], s[0:1]
	s_cbranch_execnz .LBB93_293
.LBB93_277:
	s_or_b64 exec, exec, s[0:1]
	s_and_saveexec_b64 s[0:1], s[2:3]
.LBB93_278:
	; divergent unreachable
.LBB93_279:
	s_endpgm
.LBB93_280:
	s_and_saveexec_b64 s[2:3], s[6:7]
	s_xor_b64 s[2:3], exec, s[2:3]
	s_cbranch_execz .LBB93_291
; %bb.281:
	s_and_saveexec_b64 s[6:7], s[4:5]
	s_xor_b64 s[4:5], exec, s[6:7]
; %bb.282:
	v_xor_b32_e32 v17, 0x80000000, v29
; %bb.283:
	s_or_b64 exec, exec, s[4:5]
	v_readlane_b32 s6, v47, 4
	v_readlane_b32 s4, v47, 2
	;; [unrolled: 1-line block ×4, first 2 shown]
	s_mov_b32 s8, s4
	s_mul_i32 s4, s4, s7
	s_mul_hi_u32 s5, s8, s6
	s_add_i32 s5, s5, s4
	s_mul_i32 s4, s8, s6
	v_readlane_b32 s18, v47, 22
	v_readlane_b32 s12, v47, 18
	s_sub_u32 s4, s18, s4
	v_readlane_b32 s14, v47, 20
	v_readlane_b32 s15, v47, 21
	s_subb_u32 s5, 0, s5
	s_mul_i32 s6, s4, s15
	s_mul_hi_u32 s7, s4, s14
	v_readlane_b32 s13, v47, 19
	s_add_i32 s6, s7, s6
	s_mul_i32 s5, s5, s14
	s_add_i32 s5, s6, s5
	s_mul_i32 s6, s8, s13
	s_mul_hi_u32 s7, s8, s12
	s_add_i32 s7, s7, s6
	s_mul_i32 s6, s8, s12
	s_lshl_b64 s[6:7], s[6:7], 2
	v_readlane_b32 s8, v47, 12
	s_mul_i32 s4, s4, s14
	v_readlane_b32 s9, v47, 13
	s_add_u32 s6, s8, s6
	s_addc_u32 s7, s9, s7
	s_lshl_b64 s[4:5], s[4:5], 2
	s_add_u32 s4, s6, s4
	s_addc_u32 s5, s7, s5
	v_mov_b32_e32 v2, 0
	v_readlane_b32 s19, v47, 23
	global_store_dword v2, v17, s[4:5]
	s_mov_b64 s[4:5], exec
	v_readlane_b32 s6, v47, 24
	v_readlane_b32 s7, v47, 25
	s_and_b64 s[6:7], s[4:5], s[6:7]
	s_mov_b64 exec, s[6:7]
	s_cbranch_execz .LBB93_290
; %bb.284:
	s_mov_b64 s[6:7], 0
	v_mov_b32_e32 v4, s64
                                        ; implicit-def: $sgpr8_sgpr9
                                        ; implicit-def: $sgpr12_sgpr13
                                        ; implicit-def: $sgpr10_sgpr11
	s_branch .LBB93_286
.LBB93_285:                             ;   in Loop: Header=BB93_286 Depth=1
	s_or_b64 exec, exec, s[14:15]
	s_and_b64 s[14:15], exec, s[12:13]
	s_or_b64 s[6:7], s[14:15], s[6:7]
	s_andn2_b64 s[8:9], s[8:9], exec
	s_and_b64 s[14:15], s[10:11], exec
	s_or_b64 s[8:9], s[8:9], s[14:15]
	s_andn2_b64 exec, exec, s[6:7]
	s_cbranch_execz .LBB93_288
.LBB93_286:                             ; =>This Inner Loop Header: Depth=1
	v_mov_b32_e32 v3, v1
	v_mov_b32_e32 v2, v0
	v_mul_lo_u32 v5, v3, s68
	v_mul_lo_u32 v6, v2, s69
	v_mad_u64_u32 v[0:1], s[14:15], v2, s68, 0
	s_or_b64 s[10:11], s[10:11], exec
	s_or_b64 s[12:13], s[12:13], exec
	v_add3_u32 v1, v1, v6, v5
	v_lshlrev_b64 v[0:1], 2, v[0:1]
	v_add_co_u32_e32 v0, vcc, s33, v0
	v_addc_co_u32_e32 v1, vcc, v4, v1, vcc
	global_load_dword v0, v[0:1], off
	s_waitcnt vmcnt(0)
	v_cmp_ne_u32_e32 vcc, v0, v17
                                        ; implicit-def: $vgpr0_vgpr1
	s_and_saveexec_b64 s[14:15], vcc
	s_cbranch_execz .LBB93_285
; %bb.287:                              ;   in Loop: Header=BB93_286 Depth=1
	v_add_co_u32_e32 v0, vcc, s65, v2
	v_addc_co_u32_e32 v1, vcc, 0, v3, vcc
	v_cmp_le_u64_e32 vcc, s[52:53], v[0:1]
	s_andn2_b64 s[12:13], s[12:13], exec
	s_and_b64 s[16:17], vcc, exec
	s_andn2_b64 s[10:11], s[10:11], exec
	s_or_b64 s[12:13], s[12:13], s[16:17]
	s_branch .LBB93_285
.LBB93_288:
	s_or_b64 exec, exec, s[6:7]
	s_and_saveexec_b64 s[6:7], s[8:9]
	s_xor_b64 s[6:7], exec, s[6:7]
	s_cbranch_execz .LBB93_290
; %bb.289:
	v_readlane_b32 s8, v47, 0
	v_readlane_b32 s6, v47, 6
	;; [unrolled: 1-line block ×4, first 2 shown]
	s_mov_b32 s10, s6
	s_mul_i32 s6, s6, s9
	s_mul_hi_u32 s7, s10, s8
	s_add_i32 s7, s7, s6
	s_mul_i32 s6, s10, s8
	v_readlane_b32 s12, v47, 14
	s_sub_u32 s6, s18, s6
	v_readlane_b32 s14, v47, 16
	v_readlane_b32 s15, v47, 17
	s_subb_u32 s7, 0, s7
	s_mul_i32 s8, s6, s15
	s_mul_hi_u32 s9, s6, s14
	v_readlane_b32 s13, v47, 15
	s_add_i32 s8, s9, s8
	s_mul_i32 s7, s7, s14
	s_add_i32 s7, s8, s7
	s_mul_i32 s8, s10, s13
	s_mul_hi_u32 s9, s10, s12
	s_add_i32 s9, s9, s8
	s_mul_i32 s8, s10, s12
	s_lshl_b64 s[8:9], s[8:9], 3
	v_readlane_b32 s10, v47, 10
	s_mul_i32 s6, s6, s14
	v_readlane_b32 s11, v47, 11
	s_add_u32 s8, s10, s8
	s_addc_u32 s9, s11, s9
	s_lshl_b64 s[6:7], s[6:7], 3
	s_add_u32 s6, s8, s6
	s_addc_u32 s7, s9, s7
	v_mov_b32_e32 v0, 0
	global_store_dwordx2 v0, v[2:3], s[6:7]
.LBB93_290:
	s_or_b64 exec, exec, s[4:5]
.LBB93_291:
	s_or_saveexec_b64 s[2:3], s[2:3]
	s_mov_b64 s[4:5], 0
	s_xor_b64 exec, exec, s[2:3]
	s_cbranch_execnz .LBB93_294
.LBB93_292:
	s_or_b64 exec, exec, s[2:3]
	s_and_b64 s[2:3], s[4:5], exec
	s_andn2_saveexec_b64 s[0:1], s[0:1]
	s_cbranch_execz .LBB93_277
.LBB93_293:
	s_or_b64 s[2:3], s[2:3], exec
	s_trap 2
	s_or_b64 exec, exec, s[0:1]
	s_and_saveexec_b64 s[0:1], s[2:3]
	s_cbranch_execnz .LBB93_278
	s_branch .LBB93_279
.LBB93_294:
	s_mov_b64 s[4:5], exec
	s_trap 2
	s_branch .LBB93_292
	.section	.rodata,"a",@progbits
	.p2align	6, 0x0
	.amdhsa_kernel _ZN2at6native12_GLOBAL__N_112gatherMedianIimLi2EEEvNS_4cuda6detail10TensorInfoIT_T0_EENS5_IlS7_EENS5_IKS6_S7_EES7_S7_S7_b
		.amdhsa_group_segment_fixed_size 5152
		.amdhsa_private_segment_fixed_size 0
		.amdhsa_kernarg_size 1536
		.amdhsa_user_sgpr_count 6
		.amdhsa_user_sgpr_private_segment_buffer 1
		.amdhsa_user_sgpr_dispatch_ptr 0
		.amdhsa_user_sgpr_queue_ptr 0
		.amdhsa_user_sgpr_kernarg_segment_ptr 1
		.amdhsa_user_sgpr_dispatch_id 0
		.amdhsa_user_sgpr_flat_scratch_init 0
		.amdhsa_user_sgpr_private_segment_size 0
		.amdhsa_uses_dynamic_stack 0
		.amdhsa_system_sgpr_private_segment_wavefront_offset 0
		.amdhsa_system_sgpr_workgroup_id_x 1
		.amdhsa_system_sgpr_workgroup_id_y 1
		.amdhsa_system_sgpr_workgroup_id_z 1
		.amdhsa_system_sgpr_workgroup_info 0
		.amdhsa_system_vgpr_workitem_id 0
		.amdhsa_next_free_vgpr 48
		.amdhsa_next_free_sgpr 96
		.amdhsa_reserve_vcc 1
		.amdhsa_reserve_flat_scratch 0
		.amdhsa_float_round_mode_32 0
		.amdhsa_float_round_mode_16_64 0
		.amdhsa_float_denorm_mode_32 3
		.amdhsa_float_denorm_mode_16_64 3
		.amdhsa_dx10_clamp 1
		.amdhsa_ieee_mode 1
		.amdhsa_fp16_overflow 0
		.amdhsa_exception_fp_ieee_invalid_op 0
		.amdhsa_exception_fp_denorm_src 0
		.amdhsa_exception_fp_ieee_div_zero 0
		.amdhsa_exception_fp_ieee_overflow 0
		.amdhsa_exception_fp_ieee_underflow 0
		.amdhsa_exception_fp_ieee_inexact 0
		.amdhsa_exception_int_div_zero 0
	.end_amdhsa_kernel
	.section	.text._ZN2at6native12_GLOBAL__N_112gatherMedianIimLi2EEEvNS_4cuda6detail10TensorInfoIT_T0_EENS5_IlS7_EENS5_IKS6_S7_EES7_S7_S7_b,"axG",@progbits,_ZN2at6native12_GLOBAL__N_112gatherMedianIimLi2EEEvNS_4cuda6detail10TensorInfoIT_T0_EENS5_IlS7_EENS5_IKS6_S7_EES7_S7_S7_b,comdat
.Lfunc_end93:
	.size	_ZN2at6native12_GLOBAL__N_112gatherMedianIimLi2EEEvNS_4cuda6detail10TensorInfoIT_T0_EENS5_IlS7_EENS5_IKS6_S7_EES7_S7_S7_b, .Lfunc_end93-_ZN2at6native12_GLOBAL__N_112gatherMedianIimLi2EEEvNS_4cuda6detail10TensorInfoIT_T0_EENS5_IlS7_EENS5_IKS6_S7_EES7_S7_S7_b
                                        ; -- End function
	.set _ZN2at6native12_GLOBAL__N_112gatherMedianIimLi2EEEvNS_4cuda6detail10TensorInfoIT_T0_EENS5_IlS7_EENS5_IKS6_S7_EES7_S7_S7_b.num_vgpr, 48
	.set _ZN2at6native12_GLOBAL__N_112gatherMedianIimLi2EEEvNS_4cuda6detail10TensorInfoIT_T0_EENS5_IlS7_EENS5_IKS6_S7_EES7_S7_S7_b.num_agpr, 0
	.set _ZN2at6native12_GLOBAL__N_112gatherMedianIimLi2EEEvNS_4cuda6detail10TensorInfoIT_T0_EENS5_IlS7_EENS5_IKS6_S7_EES7_S7_S7_b.numbered_sgpr, 96
	.set _ZN2at6native12_GLOBAL__N_112gatherMedianIimLi2EEEvNS_4cuda6detail10TensorInfoIT_T0_EENS5_IlS7_EENS5_IKS6_S7_EES7_S7_S7_b.num_named_barrier, 0
	.set _ZN2at6native12_GLOBAL__N_112gatherMedianIimLi2EEEvNS_4cuda6detail10TensorInfoIT_T0_EENS5_IlS7_EENS5_IKS6_S7_EES7_S7_S7_b.private_seg_size, 0
	.set _ZN2at6native12_GLOBAL__N_112gatherMedianIimLi2EEEvNS_4cuda6detail10TensorInfoIT_T0_EENS5_IlS7_EENS5_IKS6_S7_EES7_S7_S7_b.uses_vcc, 1
	.set _ZN2at6native12_GLOBAL__N_112gatherMedianIimLi2EEEvNS_4cuda6detail10TensorInfoIT_T0_EENS5_IlS7_EENS5_IKS6_S7_EES7_S7_S7_b.uses_flat_scratch, 0
	.set _ZN2at6native12_GLOBAL__N_112gatherMedianIimLi2EEEvNS_4cuda6detail10TensorInfoIT_T0_EENS5_IlS7_EENS5_IKS6_S7_EES7_S7_S7_b.has_dyn_sized_stack, 0
	.set _ZN2at6native12_GLOBAL__N_112gatherMedianIimLi2EEEvNS_4cuda6detail10TensorInfoIT_T0_EENS5_IlS7_EENS5_IKS6_S7_EES7_S7_S7_b.has_recursion, 0
	.set _ZN2at6native12_GLOBAL__N_112gatherMedianIimLi2EEEvNS_4cuda6detail10TensorInfoIT_T0_EENS5_IlS7_EENS5_IKS6_S7_EES7_S7_S7_b.has_indirect_call, 0
	.section	.AMDGPU.csdata,"",@progbits
; Kernel info:
; codeLenInByte = 15028
; TotalNumSgprs: 100
; NumVgprs: 48
; ScratchSize: 0
; MemoryBound: 0
; FloatMode: 240
; IeeeMode: 1
; LDSByteSize: 5152 bytes/workgroup (compile time only)
; SGPRBlocks: 12
; VGPRBlocks: 11
; NumSGPRsForWavesPerEU: 100
; NumVGPRsForWavesPerEU: 48
; Occupancy: 5
; WaveLimiterHint : 1
; COMPUTE_PGM_RSRC2:SCRATCH_EN: 0
; COMPUTE_PGM_RSRC2:USER_SGPR: 6
; COMPUTE_PGM_RSRC2:TRAP_HANDLER: 0
; COMPUTE_PGM_RSRC2:TGID_X_EN: 1
; COMPUTE_PGM_RSRC2:TGID_Y_EN: 1
; COMPUTE_PGM_RSRC2:TGID_Z_EN: 1
; COMPUTE_PGM_RSRC2:TIDIG_COMP_CNT: 0
	.section	.text._ZN2at6native12_GLOBAL__N_112gatherMedianIimLi3EEEvNS_4cuda6detail10TensorInfoIT_T0_EENS5_IlS7_EENS5_IKS6_S7_EES7_S7_S7_b,"axG",@progbits,_ZN2at6native12_GLOBAL__N_112gatherMedianIimLi3EEEvNS_4cuda6detail10TensorInfoIT_T0_EENS5_IlS7_EENS5_IKS6_S7_EES7_S7_S7_b,comdat
	.globl	_ZN2at6native12_GLOBAL__N_112gatherMedianIimLi3EEEvNS_4cuda6detail10TensorInfoIT_T0_EENS5_IlS7_EENS5_IKS6_S7_EES7_S7_S7_b ; -- Begin function _ZN2at6native12_GLOBAL__N_112gatherMedianIimLi3EEEvNS_4cuda6detail10TensorInfoIT_T0_EENS5_IlS7_EENS5_IKS6_S7_EES7_S7_S7_b
	.p2align	8
	.type	_ZN2at6native12_GLOBAL__N_112gatherMedianIimLi3EEEvNS_4cuda6detail10TensorInfoIT_T0_EENS5_IlS7_EENS5_IKS6_S7_EES7_S7_S7_b,@function
_ZN2at6native12_GLOBAL__N_112gatherMedianIimLi3EEEvNS_4cuda6detail10TensorInfoIT_T0_EENS5_IlS7_EENS5_IKS6_S7_EES7_S7_S7_b: ; @_ZN2at6native12_GLOBAL__N_112gatherMedianIimLi3EEEvNS_4cuda6detail10TensorInfoIT_T0_EENS5_IlS7_EENS5_IKS6_S7_EES7_S7_S7_b
; %bb.0:
	s_load_dwordx2 s[16:17], s[4:5], 0x500
	s_load_dwordx4 s[52:55], s[4:5], 0x4e0
	s_add_u32 s18, s4, 0x500
	s_addc_u32 s19, s5, 0
	s_mov_b32 s27, 0
	s_waitcnt lgkmcnt(0)
	s_mul_i32 s0, s17, s8
	s_add_i32 s0, s0, s7
	s_mul_i32 s0, s0, s16
	s_add_i32 s26, s0, s6
	v_mov_b32_e32 v1, s26
	v_mov_b32_e32 v2, s27
	v_cmp_le_u64_e32 vcc, s[54:55], v[1:2]
	s_cbranch_vccnz .LBB94_285
; %bb.1:
	s_load_dwordx4 s[20:23], s[4:5], 0x10
	s_mov_b64 s[28:29], 0
	s_mov_b64 s[24:25], 0
	s_waitcnt lgkmcnt(0)
	v_mov_b32_e32 v1, s22
	v_mov_b32_e32 v2, s23
	v_cmp_lt_u64_e32 vcc, s[26:27], v[1:2]
	s_cbranch_vccnz .LBB94_3
; %bb.2:
	v_cvt_f32_u32_e32 v1, s22
	s_sub_i32 s0, 0, s22
	s_mov_b32 s25, 0
	v_rcp_iflag_f32_e32 v1, v1
	v_mul_f32_e32 v1, 0x4f7ffffe, v1
	v_cvt_u32_f32_e32 v1, v1
	v_readfirstlane_b32 s1, v1
	s_mul_i32 s0, s0, s1
	s_mul_hi_u32 s0, s1, s0
	s_add_i32 s1, s1, s0
	s_mul_hi_u32 s0, s26, s1
	s_mul_i32 s2, s0, s22
	s_sub_i32 s2, s26, s2
	s_add_i32 s1, s0, 1
	s_sub_i32 s3, s2, s22
	s_cmp_ge_u32 s2, s22
	s_cselect_b32 s0, s1, s0
	s_cselect_b32 s2, s3, s2
	s_add_i32 s1, s0, 1
	s_cmp_ge_u32 s2, s22
	s_cselect_b32 s24, s1, s0
.LBB94_3:
	s_load_dwordx4 s[0:3], s[4:5], 0x1b0
	v_mov_b32_e32 v1, s20
	v_mov_b32_e32 v2, s21
                                        ; implicit-def: $vgpr47 : SGPR spill to VGPR lane
	v_cmp_lt_u64_e32 vcc, s[24:25], v[1:2]
	s_and_b64 vcc, exec, vcc
	s_waitcnt lgkmcnt(0)
	v_writelane_b32 v47, s0, 0
	v_writelane_b32 v47, s1, 1
	;; [unrolled: 1-line block ×4, first 2 shown]
	s_cbranch_vccnz .LBB94_5
; %bb.4:
	v_cvt_f32_u32_e32 v1, s20
	s_sub_i32 s0, 0, s20
	v_rcp_iflag_f32_e32 v1, v1
	v_mul_f32_e32 v1, 0x4f7ffffe, v1
	v_cvt_u32_f32_e32 v1, v1
	v_readfirstlane_b32 s1, v1
	s_mul_i32 s0, s0, s1
	s_mul_hi_u32 s0, s1, s0
	s_add_i32 s1, s1, s0
	s_mul_hi_u32 s0, s24, s1
	s_mul_i32 s2, s0, s20
	s_sub_i32 s2, s24, s2
	s_add_i32 s1, s0, 1
	s_sub_i32 s3, s2, s20
	s_cmp_ge_u32 s2, s20
	s_cselect_b32 s0, s1, s0
	s_cselect_b32 s2, s3, s2
	s_add_i32 s1, s0, 1
	s_cmp_ge_u32 s2, s20
	s_cselect_b32 s28, s1, s0
	s_load_dwordx4 s[0:3], s[4:5], 0x1b0
.LBB94_5:
	s_waitcnt lgkmcnt(0)
	v_mov_b32_e32 v1, s2
	v_mov_b32_e32 v2, s3
	v_cmp_lt_u64_e32 vcc, s[26:27], v[1:2]
	s_mov_b64 s[14:15], 0
	s_mov_b64 s[12:13], 0
	s_cbranch_vccnz .LBB94_7
; %bb.6:
	v_cvt_f32_u32_e32 v1, s2
	s_load_dwordx4 s[0:3], s[4:5], 0x1b0
	s_load_dwordx4 s[8:11], s[4:5], 0x1b0
	s_mov_b32 s13, 0
	v_rcp_iflag_f32_e32 v1, v1
	s_waitcnt lgkmcnt(0)
	s_sub_i32 s0, 0, s2
	v_mul_f32_e32 v1, 0x4f7ffffe, v1
	v_cvt_u32_f32_e32 v1, v1
	v_readfirstlane_b32 s1, v1
	s_mul_i32 s0, s0, s1
	s_mul_hi_u32 s0, s1, s0
	s_add_i32 s1, s1, s0
	s_mul_hi_u32 s0, s26, s1
	s_mul_i32 s2, s0, s10
	s_load_dwordx4 s[8:11], s[4:5], 0x1b0
	s_sub_i32 s2, s26, s2
	s_add_i32 s1, s0, 1
	s_waitcnt lgkmcnt(0)
	s_sub_i32 s3, s2, s10
	s_load_dwordx4 s[8:11], s[4:5], 0x1b0
	s_waitcnt lgkmcnt(0)
	s_cmp_ge_u32 s2, s10
	s_load_dwordx4 s[8:11], s[4:5], 0x1b0
	s_cselect_b32 s0, s1, s0
	s_cselect_b32 s2, s3, s2
	s_add_i32 s1, s0, 1
	s_waitcnt lgkmcnt(0)
	s_cmp_ge_u32 s2, s10
	s_cselect_b32 s12, s1, s0
	s_load_dwordx4 s[0:3], s[4:5], 0x1b0
.LBB94_7:
	v_writelane_b32 v47, s28, 4
	v_writelane_b32 v47, s29, 5
	;; [unrolled: 1-line block ×7, first 2 shown]
	s_load_dwordx4 s[8:11], s[4:5], 0x350
	s_waitcnt lgkmcnt(0)
	v_mov_b32_e32 v2, s1
	v_writelane_b32 v47, s23, 11
	v_mov_b32_e32 v1, s0
	v_writelane_b32 v47, s12, 12
	v_cmp_lt_u64_e32 vcc, s[12:13], v[1:2]
	v_writelane_b32 v47, s13, 13
	s_cbranch_vccnz .LBB94_9
; %bb.8:
	s_load_dwordx4 s[0:3], s[4:5], 0x1b0
	s_waitcnt lgkmcnt(0)
	s_mov_b64 s[14:15], s[2:3]
	s_mov_b64 s[12:13], s[0:1]
	v_cvt_f32_u32_e32 v1, s12
	s_sub_i32 s0, 0, s12
	v_readlane_b32 s14, v47, 12
	v_readlane_b32 s15, v47, 13
	v_rcp_iflag_f32_e32 v1, v1
	v_mul_f32_e32 v1, 0x4f7ffffe, v1
	v_cvt_u32_f32_e32 v1, v1
	v_readfirstlane_b32 s1, v1
	s_mul_i32 s0, s0, s1
	s_mul_hi_u32 s0, s1, s0
	s_add_i32 s1, s1, s0
	s_mul_hi_u32 s0, s14, s1
	s_mul_i32 s2, s0, s12
	s_sub_i32 s2, s14, s2
	s_add_i32 s1, s0, 1
	s_sub_i32 s3, s2, s12
	s_cmp_ge_u32 s2, s12
	s_cselect_b32 s0, s1, s0
	s_cselect_b32 s2, s3, s2
	s_add_i32 s1, s0, 1
	s_cmp_ge_u32 s2, s12
	s_cselect_b32 s14, s1, s0
.LBB94_9:
	s_load_dwordx2 s[80:81], s[4:5], 0x4f0
	v_mov_b32_e32 v1, s10
	v_mov_b32_e32 v2, s11
	v_cmp_lt_u64_e32 vcc, s[26:27], v[1:2]
	s_mov_b64 s[2:3], 0
	s_mov_b64 s[20:21], 0
	s_cbranch_vccnz .LBB94_11
; %bb.10:
	v_cvt_f32_u32_e32 v1, s10
	s_sub_i32 s0, 0, s10
	s_mov_b32 s21, 0
	v_rcp_iflag_f32_e32 v1, v1
	v_mul_f32_e32 v1, 0x4f7ffffe, v1
	v_cvt_u32_f32_e32 v1, v1
	v_readfirstlane_b32 s1, v1
	s_mul_i32 s0, s0, s1
	s_mul_hi_u32 s0, s1, s0
	s_add_i32 s1, s1, s0
	s_mul_hi_u32 s0, s26, s1
	s_mul_i32 s3, s0, s10
	s_sub_i32 s3, s26, s3
	s_add_i32 s1, s0, 1
	s_sub_i32 s7, s3, s10
	s_cmp_ge_u32 s3, s10
	s_cselect_b32 s0, s1, s0
	s_cselect_b32 s3, s7, s3
	s_add_i32 s1, s0, 1
	s_cmp_ge_u32 s3, s10
	s_cselect_b32 s20, s1, s0
.LBB94_11:
	v_mov_b32_e32 v1, s8
	v_mov_b32_e32 v2, s9
	v_cmp_lt_u64_e32 vcc, s[20:21], v[1:2]
	v_writelane_b32 v47, s14, 14
	v_writelane_b32 v47, s15, 15
	s_cbranch_vccnz .LBB94_13
; %bb.12:
	v_cvt_f32_u32_e32 v1, s8
	s_sub_i32 s0, 0, s8
	v_rcp_iflag_f32_e32 v1, v1
	v_mul_f32_e32 v1, 0x4f7ffffe, v1
	v_cvt_u32_f32_e32 v1, v1
	v_readfirstlane_b32 s1, v1
	s_mul_i32 s0, s0, s1
	s_mul_hi_u32 s0, s1, s0
	s_add_i32 s1, s1, s0
	s_mul_hi_u32 s0, s20, s1
	s_mul_i32 s2, s0, s8
	s_sub_i32 s2, s20, s2
	s_add_i32 s1, s0, 1
	s_sub_i32 s3, s2, s8
	s_cmp_ge_u32 s2, s8
	s_cselect_b32 s0, s1, s0
	s_cselect_b32 s2, s3, s2
	s_add_i32 s1, s0, 1
	s_cmp_ge_u32 s2, s8
	s_cselect_b32 s2, s1, s0
.LBB94_13:
	s_load_dwordx2 s[24:25], s[4:5], 0x420
	s_load_dwordx4 s[12:15], s[4:5], 0x410
	v_cmp_eq_u32_e64 s[0:1], 0, v0
	s_mov_b64 s[22:23], exec
	v_writelane_b32 v47, s0, 16
	v_writelane_b32 v47, s1, 17
	s_and_b64 s[0:1], s[22:23], s[0:1]
	s_mov_b64 exec, s[0:1]
; %bb.14:
	v_mov_b32_e32 v1, 0
	v_mov_b32_e32 v2, v1
	ds_write_b64 v1, v[1:2] offset:5136
; %bb.15:
	s_or_b64 exec, exec, s[22:23]
	s_load_dwordx2 s[28:29], s[4:5], 0x280
	v_mov_b32_e32 v1, 0
	s_load_dwordx2 s[22:23], s[4:5], 0x340
	s_load_dword s0, s[4:5], 0x4f8
	s_waitcnt lgkmcnt(0)
	s_barrier
	v_writelane_b32 v47, s28, 18
	v_writelane_b32 v47, s29, 19
	s_load_dwordx4 s[28:31], s[4:5], 0x270
	s_waitcnt lgkmcnt(0)
	s_barrier
	v_writelane_b32 v47, s28, 20
	v_writelane_b32 v47, s29, 21
	;; [unrolled: 1-line block ×4, first 2 shown]
	s_load_dwordx2 s[28:29], s[4:5], 0xe0
	ds_read_b64 v[1:2], v1 offset:5136
	s_bitcmp1_b32 s0, 0
	s_cselect_b64 s[0:1], -1, 0
	v_mov_b32_e32 v18, s52
	s_waitcnt lgkmcnt(0)
	v_writelane_b32 v47, s28, 24
	v_writelane_b32 v47, s29, 25
	s_load_dwordx4 s[28:31], s[4:5], 0xd0
	v_cmp_gt_i64_e32 vcc, 1, v[1:2]
	v_mov_b32_e32 v19, s53
	s_or_b64 s[0:1], s[0:1], vcc
	s_andn2_b64 vcc, exec, s[0:1]
	s_waitcnt lgkmcnt(0)
	v_writelane_b32 v47, s28, 26
	v_writelane_b32 v47, s29, 27
	;; [unrolled: 1-line block ×4, first 2 shown]
	s_cbranch_vccnz .LBB94_17
; %bb.16:
	v_not_b32_e32 v1, v1
	v_not_b32_e32 v2, v2
	v_mov_b32_e32 v3, s53
	v_add_co_u32_e32 v1, vcc, s52, v1
	v_addc_co_u32_e32 v2, vcc, v3, v2, vcc
	v_lshrrev_b64 v[1:2], 1, v[1:2]
	v_add_co_u32_e32 v18, vcc, 1, v1
	v_addc_co_u32_e32 v19, vcc, 0, v2, vcc
.LBB94_17:
	s_load_dwordx2 s[0:1], s[4:5], 0x1a0
	s_waitcnt lgkmcnt(0)
	v_writelane_b32 v47, s0, 30
	v_writelane_b32 v47, s1, 31
	s_load_dwordx2 s[0:1], s[4:5], 0x0
	s_waitcnt lgkmcnt(0)
	v_writelane_b32 v47, s0, 32
	v_writelane_b32 v47, s1, 33
	s_mov_b64 s[4:5], exec
	v_readlane_b32 s0, v47, 16
	v_readlane_b32 s1, v47, 17
	s_and_b64 s[0:1], s[4:5], s[0:1]
	s_mov_b64 exec, s[0:1]
	s_cbranch_execz .LBB94_19
; %bb.18:
	v_mov_b32_e32 v1, 0
	v_mov_b32_e32 v3, s52
	;; [unrolled: 1-line block ×4, first 2 shown]
	ds_write_b32 v1, v1 offset:5144
	ds_write_b128 v1, v[1:4] offset:5120
.LBB94_19:
	s_or_b64 exec, exec, s[4:5]
	s_mul_i32 s0, s20, s11
	s_mul_hi_u32 s1, s20, s10
	s_add_i32 s1, s1, s0
	s_mul_i32 s0, s20, s10
	s_mov_b32 s4, s26
	v_writelane_b32 v47, s4, 34
	s_sub_u32 s0, s26, s0
	v_writelane_b32 v47, s5, 35
	s_subb_u32 s1, 0, s1
	s_mul_i32 s3, s0, s25
	s_mul_hi_u32 s4, s0, s24
	s_add_i32 s3, s4, s3
	s_mul_i32 s1, s1, s24
	s_add_i32 s1, s3, s1
	s_mul_i32 s3, s2, s9
	s_mul_hi_u32 s4, s2, s8
	s_add_i32 s4, s4, s3
	s_mul_i32 s3, s2, s8
	s_sub_u32 s3, s20, s3
	s_subb_u32 s4, s21, s4
	s_mul_i32 s5, s3, s15
	s_mul_hi_u32 s7, s3, s14
	s_add_i32 s5, s7, s5
	s_mul_i32 s4, s4, s14
	s_add_i32 s5, s5, s4
	s_mul_i32 s4, s3, s14
	s_mul_i32 s3, s2, s13
	s_mul_hi_u32 s7, s2, s12
	s_add_i32 s3, s7, s3
	s_mul_i32 s2, s2, s12
	s_lshl_b64 s[2:3], s[2:3], 2
	s_add_u32 s7, s22, s2
	s_addc_u32 s8, s23, s3
	s_lshl_b64 s[2:3], s[4:5], 2
	s_mul_i32 s0, s0, s24
	s_add_u32 s2, s7, s2
	s_addc_u32 s3, s8, s3
	s_lshl_b64 s[0:1], s[0:1], 2
	v_mov_b32_e32 v10, 0
	s_add_u32 s33, s2, s0
	v_mov_b32_e32 v1, v10
	s_addc_u32 s72, s3, s1
	v_cmp_gt_u64_e64 s[0:1], s[52:53], v[0:1]
	v_mbcnt_lo_u32_b32 v2, -1, 0
	v_writelane_b32 v47, s0, 36
	v_writelane_b32 v47, s1, 37
	v_mbcnt_hi_u32_b32 v22, -1, v2
	v_mad_u64_u32 v[2:3], s[0:1], s80, v0, 0
	s_waitcnt lgkmcnt(0)
	s_barrier
	v_mad_u64_u32 v[3:4], s[0:1], s81, v0, v[3:4]
	v_mov_b32_e32 v4, 0x300
	v_mov_b32_e32 v5, 0
	v_cmp_gt_u64_e64 s[0:1], s[52:53], v[4:5]
	v_writelane_b32 v47, s0, 38
	v_writelane_b32 v47, s1, 39
	s_load_dword s0, s[18:19], 0xc
	v_cmp_gt_u32_e32 vcc, 64, v0
	v_cmp_gt_i32_e64 s[8:9], 4, v22
	s_and_b64 s[92:93], vcc, s[8:9]
	v_lshlrev_b64 v[2:3], 2, v[2:3]
	s_waitcnt lgkmcnt(0)
	s_and_b32 s73, s0, 0xffff
	s_bfe_u32 s1, s0, 0xa0006
	s_cmp_gt_u32 s73, 63
	s_cselect_b64 s[2:3], -1, 0
	v_writelane_b32 v47, s2, 40
	s_add_u32 s0, s73, -1
	v_writelane_b32 v47, s3, 41
	s_addc_u32 s2, 0, -1
	v_writelane_b32 v47, s0, 42
	s_add_u32 s0, s0, s52
	s_addc_u32 s85, s2, s53
	s_cmp_lt_u32 s6, s16
	v_writelane_b32 v47, s2, 43
	s_cselect_b32 s2, 12, 18
	s_add_u32 s82, s18, s2
	s_addc_u32 s83, s19, 0
	s_add_i32 s2, s1, -1
	v_mov_b32_e32 v24, s72
	v_add_co_u32_e32 v13, vcc, s33, v2
	s_bfe_u32 s3, s73, 0x30006
	s_and_b32 s2, s2, 0xffff
	v_addc_co_u32_e32 v14, vcc, v24, v3, vcc
	v_lshlrev_b64 v[2:3], v22, -1
	s_cmp_gt_u32 s2, 6
	s_cselect_b64 s[6:7], -1, 0
	v_not_b32_e32 v27, v2
	v_lshrrev_b32_e32 v2, 1, v0
	v_writelane_b32 v47, s6, 44
	s_and_b32 s1, s1, 0x3f8
	v_and_b32_e32 v2, 0x1e0, v2
	v_writelane_b32 v47, s7, 45
	s_cmp_lg_u32 s3, 0
	v_lshlrev_b32_e32 v11, 2, v0
	v_lshlrev_b32_e32 v4, 2, v22
	v_or_b32_e32 v28, 0xc00, v2
	v_writelane_b32 v47, s3, 46
	s_cselect_b64 s[2:3], -1, 0
	v_mov_b32_e32 v2, 0xc00
	s_mov_b32 s91, 0
	v_cmp_eq_u32_e64 s[4:5], 0, v22
	v_cmp_gt_u32_e64 s[26:27], 2, v0
	v_add_u32_e32 v23, 0xc00, v11
	v_mov_b32_e32 v12, v10
	v_and_b32_e32 v25, 0x100, v4
	v_not_b32_e32 v26, v3
	v_writelane_b32 v47, s2, 47
	v_lshlrev_b32_e32 v30, 4, v0
	v_lshl_or_b32 v31, v22, 3, v2
	s_lshl_b32 s94, s73, 2
	s_mov_b32 s95, 30
	s_mov_b64 s[88:89], 0
	v_mov_b32_e32 v15, 1
	v_mov_b32_e32 v32, 0x4f800000
	;; [unrolled: 1-line block ×6, first 2 shown]
	v_writelane_b32 v47, s3, 48
                                        ; implicit-def: $sgpr74_sgpr75
                                        ; implicit-def: $sgpr68_sgpr69
                                        ; implicit-def: $sgpr86_sgpr87
                                        ; implicit-def: $sgpr78_sgpr79
                                        ; implicit-def: $sgpr54_sgpr55
                                        ; implicit-def: $sgpr70_sgpr71
	s_branch .LBB94_23
.LBB94_20:                              ;   in Loop: Header=BB94_23 Depth=1
	s_or_b64 exec, exec, s[14:15]
	s_and_b64 s[8:9], s[8:9], exec
	s_andn2_b64 s[20:21], s[20:21], exec
	s_andn2_b64 s[6:7], s[6:7], exec
	s_orn2_b64 s[14:15], s[10:11], exec
.LBB94_21:                              ;   in Loop: Header=BB94_23 Depth=1
	s_or_b64 exec, exec, s[2:3]
	s_andn2_b64 s[2:3], s[70:71], exec
	s_and_b64 s[8:9], s[8:9], exec
	s_or_b64 s[70:71], s[2:3], s[8:9]
	s_andn2_b64 s[2:3], s[54:55], exec
	s_and_b64 s[8:9], s[20:21], exec
	s_or_b64 s[54:55], s[2:3], s[8:9]
	;; [unrolled: 3-line block ×3, first 2 shown]
	s_orn2_b64 s[6:7], s[14:15], exec
.LBB94_22:                              ;   in Loop: Header=BB94_23 Depth=1
	s_or_b64 exec, exec, s[12:13]
	s_and_b64 s[2:3], exec, s[6:7]
	s_or_b64 s[88:89], s[2:3], s[88:89]
	s_andn2_b64 s[2:3], s[86:87], exec
	s_and_b64 s[6:7], s[70:71], exec
	s_or_b64 s[86:87], s[2:3], s[6:7]
	s_andn2_b64 s[2:3], s[68:69], exec
	s_and_b64 s[6:7], s[54:55], exec
	;; [unrolled: 3-line block ×3, first 2 shown]
	v_mov_b32_e32 v19, v7
	s_or_b64 s[74:75], s[2:3], s[6:7]
	v_mov_b32_e32 v18, v6
	s_andn2_b64 exec, exec, s[88:89]
	s_cbranch_execz .LBB94_281
.LBB94_23:                              ; =>This Loop Header: Depth=1
                                        ;     Child Loop BB94_29 Depth 2
                                        ;     Child Loop BB94_42 Depth 2
	;; [unrolled: 1-line block ×16, first 2 shown]
	ds_read_b128 v[2:5], v10 offset:5120
	s_waitcnt lgkmcnt(0)
	v_readfirstlane_b32 s77, v3
	v_readfirstlane_b32 s76, v2
	s_cmp_lg_u64 s[76:77], 0
	s_cbranch_scc1 .LBB94_50
; %bb.24:                               ;   in Loop: Header=BB94_23 Depth=1
	v_readlane_b32 s2, v47, 38
	v_readlane_b32 s3, v47, 39
	s_and_b64 vcc, exec, s[2:3]
	s_cbranch_vccz .LBB94_37
; %bb.25:                               ;   in Loop: Header=BB94_23 Depth=1
	s_mov_b64 s[2:3], 0x301
	v_cmp_gt_u64_e32 vcc, s[2:3], v[4:5]
	s_mov_b64 s[2:3], 0
	s_mov_b64 s[6:7], 0
	s_cbranch_vccz .LBB94_38
; %bb.26:                               ;   in Loop: Header=BB94_23 Depth=1
	s_mov_b64 s[8:9], exec
	v_readlane_b32 s6, v47, 36
	v_readlane_b32 s7, v47, 37
	s_and_b64 s[6:7], s[8:9], s[6:7]
	s_mov_b64 exec, s[6:7]
	s_cbranch_execz .LBB94_148
; %bb.27:                               ;   in Loop: Header=BB94_23 Depth=1
	global_load_dword v5, v[13:14], off
	global_load_ushort v4, v10, s[82:83]
	v_mov_b32_e32 v3, v1
	s_mov_b64 s[12:13], 0
	v_mov_b32_e32 v2, v0
	s_branch .LBB94_29
.LBB94_28:                              ;   in Loop: Header=BB94_29 Depth=2
	s_or_b64 exec, exec, s[6:7]
	s_waitcnt vmcnt(0)
	v_mov_b32_e32 v5, v6
	s_andn2_b64 exec, exec, s[12:13]
	s_cbranch_execz .LBB94_148
.LBB94_29:                              ;   Parent Loop BB94_23 Depth=1
                                        ; =>  This Inner Loop Header: Depth=2
	s_waitcnt vmcnt(0)
	v_add_co_u32_sdwa v2, vcc, v2, v4 dst_sel:DWORD dst_unused:UNUSED_PAD src0_sel:DWORD src1_sel:WORD_0
	v_addc_co_u32_e32 v3, vcc, 0, v3, vcc
	v_cmp_gt_u64_e64 s[6:7], s[52:53], v[2:3]
	v_cmp_le_u64_e32 vcc, s[52:53], v[2:3]
	s_waitcnt lgkmcnt(0)
	v_mov_b32_e32 v7, 0
	v_mov_b32_e32 v6, 0
	s_and_saveexec_b64 s[10:11], s[6:7]
	s_cbranch_execz .LBB94_31
; %bb.30:                               ;   in Loop: Header=BB94_29 Depth=2
	v_mul_lo_u32 v6, v3, s80
	v_mul_lo_u32 v16, v2, s81
	v_mad_u64_u32 v[8:9], s[6:7], v2, s80, 0
	v_add3_u32 v9, v9, v16, v6
	v_lshlrev_b64 v[8:9], 2, v[8:9]
	v_add_co_u32_e64 v8, s[6:7], s33, v8
	v_addc_co_u32_e64 v9, s[6:7], v24, v9, s[6:7]
	global_load_dword v6, v[8:9], off
.LBB94_31:                              ;   in Loop: Header=BB94_29 Depth=2
	s_or_b64 exec, exec, s[10:11]
	v_xor_b32_e32 v8, 0x80000000, v5
	v_and_b32_e32 v8, v8, v34
	v_cmp_eq_u32_e64 s[10:11], v8, v29
	s_cmp_lg_u64 s[10:11], 0
	s_cselect_b64 s[6:7], -1, 0
	s_and_b64 s[6:7], s[4:5], s[6:7]
	s_and_saveexec_b64 s[14:15], s[6:7]
	s_cbranch_execz .LBB94_35
; %bb.32:                               ;   in Loop: Header=BB94_29 Depth=2
	s_mov_b64 s[18:19], exec
	v_mbcnt_lo_u32_b32 v7, s18, 0
	v_mbcnt_hi_u32_b32 v7, s19, v7
	s_bcnt1_i32_b64 s20, s[10:11]
	v_cmp_eq_u32_e64 s[6:7], 0, v7
                                        ; implicit-def: $vgpr8
	s_and_saveexec_b64 s[16:17], s[6:7]
; %bb.33:                               ;   in Loop: Header=BB94_29 Depth=2
	s_bcnt1_i32_b64 s6, s[18:19]
	s_mul_i32 s6, s20, s6
	v_mov_b32_e32 v8, s6
	ds_add_rtn_u32 v8, v10, v8 offset:5144
; %bb.34:                               ;   in Loop: Header=BB94_29 Depth=2
	s_or_b64 exec, exec, s[16:17]
	s_waitcnt lgkmcnt(0)
	v_readfirstlane_b32 s6, v8
	v_mov_b32_e32 v8, s6
	v_mad_u32_u24 v7, s20, v7, v8
.LBB94_35:                              ;   in Loop: Header=BB94_29 Depth=2
	s_or_b64 exec, exec, s[14:15]
	ds_bpermute_b32 v7, v25, v7
	s_and_b64 s[6:7], exec, vcc
	s_or_b64 s[12:13], s[6:7], s[12:13]
	s_and_saveexec_b64 s[6:7], s[10:11]
	s_cbranch_execz .LBB94_28
; %bb.36:                               ;   in Loop: Header=BB94_29 Depth=2
	v_and_b32_e32 v9, s10, v27
	v_and_b32_e32 v8, s11, v26
	v_bcnt_u32_b32 v9, v9, 0
	v_bcnt_u32_b32 v8, v8, v9
	v_lshlrev_b32_e32 v8, 2, v8
	s_waitcnt lgkmcnt(0)
	v_lshl_add_u32 v7, v7, 2, v8
	ds_write_b32 v7, v5
	s_branch .LBB94_28
.LBB94_37:                              ;   in Loop: Header=BB94_23 Depth=1
	s_mov_b64 s[2:3], -1
	s_mov_b64 s[6:7], 0
.LBB94_38:                              ;   in Loop: Header=BB94_23 Depth=1
	s_and_b64 vcc, exec, s[2:3]
	s_cbranch_vccz .LBB94_48
.LBB94_39:                              ;   in Loop: Header=BB94_23 Depth=1
	s_mov_b64 s[2:3], exec
	v_readlane_b32 s6, v47, 36
	v_readlane_b32 s7, v47, 37
	s_and_b64 s[6:7], s[2:3], s[6:7]
	s_mov_b64 exec, s[6:7]
	s_cbranch_execz .LBB94_45
; %bb.40:                               ;   in Loop: Header=BB94_23 Depth=1
	global_load_ushort v2, v10, s[82:83]
	global_load_dword v7, v[13:14], off
	s_waitcnt vmcnt(1)
	v_and_b32_e32 v6, 0xffff, v2
	v_add_u32_e32 v9, v6, v0
	v_cmp_gt_u64_e32 vcc, s[52:53], v[9:10]
	v_mov_b32_e32 v2, v0
	s_and_saveexec_b64 s[6:7], vcc
	s_cbranch_execz .LBB94_44
; %bb.41:                               ;   in Loop: Header=BB94_23 Depth=1
	v_mov_b32_e32 v4, v9
	v_mov_b32_e32 v3, v1
	s_mov_b64 s[8:9], 0
	v_mov_b32_e32 v5, v10
	v_mov_b32_e32 v2, v0
.LBB94_42:                              ;   Parent Loop BB94_23 Depth=1
                                        ; =>  This Inner Loop Header: Depth=2
	v_mov_b32_e32 v21, v5
	v_mov_b32_e32 v20, v4
	v_mul_lo_u32 v5, v21, s80
	v_mul_lo_u32 v8, v20, s81
	v_mad_u64_u32 v[3:4], s[10:11], v20, s80, 0
	v_mov_b32_e32 v9, s72
	v_lshlrev_b32_e32 v2, 2, v2
	v_add3_u32 v4, v4, v8, v5
	v_lshlrev_b64 v[3:4], 2, v[3:4]
	s_waitcnt vmcnt(0)
	ds_write_b32 v2, v7
	v_add_co_u32_e32 v3, vcc, s33, v3
	v_addc_co_u32_e32 v4, vcc, v9, v4, vcc
	global_load_dword v8, v[3:4], off
	v_add_co_u32_e32 v4, vcc, v20, v6
	v_addc_co_u32_e32 v5, vcc, 0, v21, vcc
	v_cmp_le_u64_e32 vcc, s[52:53], v[4:5]
	v_mov_b32_e32 v2, v20
	s_or_b64 s[8:9], vcc, s[8:9]
	v_mov_b32_e32 v3, v21
	s_waitcnt vmcnt(0)
	v_mov_b32_e32 v7, v8
	s_andn2_b64 exec, exec, s[8:9]
	s_cbranch_execnz .LBB94_42
; %bb.43:                               ;   in Loop: Header=BB94_23 Depth=1
	s_or_b64 exec, exec, s[8:9]
	v_sub_u32_e32 v2, v4, v6
	v_mov_b32_e32 v7, v8
.LBB94_44:                              ;   in Loop: Header=BB94_23 Depth=1
	s_or_b64 exec, exec, s[6:7]
	v_lshlrev_b32_e32 v2, 2, v2
	s_waitcnt vmcnt(0)
	ds_write_b32 v2, v7
.LBB94_45:                              ;   in Loop: Header=BB94_23 Depth=1
	s_or_b64 exec, exec, s[2:3]
	s_waitcnt lgkmcnt(0)
	s_barrier
	s_mov_b64 s[2:3], exec
	v_readlane_b32 s6, v47, 16
	v_readlane_b32 s7, v47, 17
	s_and_b64 s[6:7], s[2:3], s[6:7]
	s_mov_b64 exec, s[6:7]
; %bb.46:                               ;   in Loop: Header=BB94_23 Depth=1
	v_mov_b32_e32 v2, s52
	v_mov_b32_e32 v3, s53
	ds_write_b64 v10, v[2:3] offset:5120
; %bb.47:                               ;   in Loop: Header=BB94_23 Depth=1
	s_or_b64 exec, exec, s[2:3]
	s_mov_b64 s[6:7], -1
	s_waitcnt lgkmcnt(0)
	s_barrier
.LBB94_48:                              ;   in Loop: Header=BB94_23 Depth=1
	s_mov_b64 s[76:77], 0
	s_and_b64 vcc, exec, s[6:7]
	s_cbranch_vccz .LBB94_50
; %bb.49:                               ;   in Loop: Header=BB94_23 Depth=1
	ds_read_b64 v[2:3], v10 offset:5120
	s_waitcnt lgkmcnt(0)
	v_readfirstlane_b32 s76, v2
.LBB94_50:                              ;   in Loop: Header=BB94_23 Depth=1
	s_cmp_lt_i32 s76, 1
	s_mov_b64 s[2:3], -1
                                        ; implicit-def: $vgpr2_vgpr3
                                        ; implicit-def: $vgpr6_vgpr7
	s_cbranch_scc1 .LBB94_60
; %bb.51:                               ;   in Loop: Header=BB94_23 Depth=1
	s_and_b64 vcc, exec, s[2:3]
	s_cbranch_vccnz .LBB94_74
.LBB94_52:                              ;   in Loop: Header=BB94_23 Depth=1
	v_lshlrev_b32_e32 v16, 6, v33
	s_and_saveexec_b64 s[2:3], s[4:5]
	s_cbranch_execz .LBB94_54
.LBB94_53:                              ;   in Loop: Header=BB94_23 Depth=1
	v_lshl_add_u32 v20, v16, 3, v28
	ds_write_b128 v20, v[2:5]
	ds_write_b128 v20, v[6:9] offset:16
.LBB94_54:                              ;   in Loop: Header=BB94_23 Depth=1
	s_or_b64 exec, exec, s[2:3]
	s_waitcnt lgkmcnt(0)
	s_barrier
	s_and_saveexec_b64 s[2:3], s[92:93]
	s_cbranch_execz .LBB94_89
; %bb.55:                               ;   in Loop: Header=BB94_23 Depth=1
	v_readlane_b32 s6, v47, 40
	v_mov_b32_e32 v2, 0
	v_readlane_b32 s7, v47, 41
	v_mov_b32_e32 v3, 0
	s_andn2_b64 vcc, exec, s[6:7]
	s_cbranch_vccnz .LBB94_88
; %bb.56:                               ;   in Loop: Header=BB94_23 Depth=1
	v_readlane_b32 s6, v47, 44
	v_readlane_b32 s7, v47, 45
	s_andn2_b64 vcc, exec, s[6:7]
	s_cbranch_vccnz .LBB94_84
; %bb.57:                               ;   in Loop: Header=BB94_23 Depth=1
	v_mov_b32_e32 v2, 0
	v_lshl_add_u32 v4, v33, 9, v31
	v_mov_b32_e32 v3, 0
	s_mov_b32 s6, 0
.LBB94_58:                              ;   Parent Loop BB94_23 Depth=1
                                        ; =>  This Inner Loop Header: Depth=2
	ds_read2_b64 v[5:8], v4 offset1:4
	ds_read2_b64 v[35:38], v4 offset0:8 offset1:12
	ds_read2_b64 v[39:42], v4 offset0:16 offset1:20
	;; [unrolled: 1-line block ×3, first 2 shown]
	s_add_i32 s6, s6, 8
	s_waitcnt lgkmcnt(3)
	v_add_co_u32_e32 v2, vcc, v5, v2
	v_addc_co_u32_e32 v3, vcc, v6, v3, vcc
	v_add_co_u32_e32 v2, vcc, v7, v2
	v_addc_co_u32_e32 v3, vcc, v8, v3, vcc
	s_waitcnt lgkmcnt(2)
	v_add_co_u32_e32 v2, vcc, v35, v2
	v_addc_co_u32_e32 v3, vcc, v36, v3, vcc
	v_add_co_u32_e32 v2, vcc, v37, v2
	v_addc_co_u32_e32 v3, vcc, v38, v3, vcc
	;; [unrolled: 5-line block ×3, first 2 shown]
	s_waitcnt lgkmcnt(0)
	v_add_co_u32_e32 v2, vcc, v43, v2
	v_addc_co_u32_e32 v3, vcc, v44, v3, vcc
	v_add_co_u32_e32 v2, vcc, v45, v2
	v_add_u32_e32 v4, 0x100, v4
	s_cmp_eq_u32 s1, s6
	v_addc_co_u32_e32 v3, vcc, v46, v3, vcc
	s_cbranch_scc0 .LBB94_58
; %bb.59:                               ;   in Loop: Header=BB94_23 Depth=1
	s_mov_b32 s6, s1
	s_branch .LBB94_85
.LBB94_60:                              ;   in Loop: Header=BB94_23 Depth=1
	global_load_ushort v16, v10, s[82:83]
	s_mov_b32 s2, s91
	s_waitcnt vmcnt(0)
	v_readfirstlane_b32 s3, v16
	s_and_b32 s3, 0xffff, s3
	s_lshl_b32 s8, s3, 2
	s_mov_b32 s3, s53
	s_cmp_lg_u64 s[2:3], 0
	s_cbranch_scc0 .LBB94_83
; %bb.61:                               ;   in Loop: Header=BB94_23 Depth=1
	v_cvt_f32_u32_e32 v2, s8
	s_sub_u32 s6, 0, s8
	s_subb_u32 s7, 0, 0
	v_mac_f32_e32 v2, 0, v32
	v_rcp_f32_e32 v2, v2
	v_mul_f32_e32 v2, 0x5f7ffffc, v2
	v_mul_f32_e32 v3, 0x2f800000, v2
	v_trunc_f32_e32 v3, v3
	v_mac_f32_e32 v2, 0xcf800000, v3
	v_cvt_u32_f32_e32 v3, v3
	v_cvt_u32_f32_e32 v2, v2
	v_readfirstlane_b32 s9, v3
	v_readfirstlane_b32 s2, v2
	s_mul_i32 s3, s6, s9
	s_mul_hi_u32 s11, s6, s2
	s_mul_i32 s10, s7, s2
	s_add_i32 s3, s11, s3
	s_mul_i32 s12, s6, s2
	s_add_i32 s3, s3, s10
	s_mul_hi_u32 s11, s2, s12
	s_mul_i32 s13, s2, s3
	s_mul_hi_u32 s10, s2, s3
	s_add_u32 s11, s11, s13
	s_addc_u32 s10, 0, s10
	s_mul_hi_u32 s14, s9, s12
	s_mul_i32 s12, s9, s12
	s_add_u32 s11, s11, s12
	s_mul_hi_u32 s13, s9, s3
	s_addc_u32 s10, s10, s14
	s_addc_u32 s11, s13, 0
	s_mul_i32 s3, s9, s3
	s_add_u32 s3, s10, s3
	s_addc_u32 s10, 0, s11
	s_add_u32 s11, s2, s3
	s_cselect_b64 s[2:3], -1, 0
	s_cmp_lg_u64 s[2:3], 0
	s_addc_u32 s9, s9, s10
	s_mul_i32 s2, s6, s9
	s_mul_hi_u32 s3, s6, s11
	s_add_i32 s2, s3, s2
	s_mul_i32 s7, s7, s11
	s_add_i32 s2, s2, s7
	s_mul_i32 s6, s6, s11
	s_mul_hi_u32 s7, s9, s6
	s_mul_i32 s10, s9, s6
	s_mul_i32 s13, s11, s2
	s_mul_hi_u32 s6, s11, s6
	s_mul_hi_u32 s12, s11, s2
	s_add_u32 s6, s6, s13
	s_addc_u32 s12, 0, s12
	s_add_u32 s6, s6, s10
	s_mul_hi_u32 s3, s9, s2
	s_addc_u32 s6, s12, s7
	s_addc_u32 s3, s3, 0
	s_mul_i32 s2, s9, s2
	s_add_u32 s2, s6, s2
	s_addc_u32 s6, 0, s3
	s_add_u32 s7, s11, s2
	s_cselect_b64 s[2:3], -1, 0
	s_cmp_lg_u64 s[2:3], 0
	s_addc_u32 s2, s9, s6
	s_mul_i32 s6, s52, s2
	s_mul_hi_u32 s9, s52, s7
	s_mul_hi_u32 s3, s52, s2
	s_add_u32 s6, s9, s6
	s_addc_u32 s3, 0, s3
	s_mul_hi_u32 s10, s53, s7
	s_mul_i32 s7, s53, s7
	s_add_u32 s6, s6, s7
	s_mul_hi_u32 s9, s53, s2
	s_addc_u32 s3, s3, s10
	s_addc_u32 s6, s9, 0
	s_mul_i32 s2, s53, s2
	s_add_u32 s2, s3, s2
	s_addc_u32 s3, 0, s6
	s_mul_i32 s3, s8, s3
	s_mul_hi_u32 s6, s8, s2
	s_add_i32 s6, s6, s3
	s_mul_i32 s2, s8, s2
	s_sub_u32 s7, s52, s2
	s_cselect_b64 s[2:3], -1, 0
	s_cmp_lg_u64 s[2:3], 0
	s_subb_u32 s6, s53, s6
	s_sub_u32 s9, s7, s8
	s_cselect_b64 s[2:3], -1, 0
	s_cmp_lg_u64 s[2:3], 0
	s_subb_u32 s10, s6, 0
	;; [unrolled: 4-line block ×3, first 2 shown]
	s_cmp_ge_u32 s9, s8
	s_cselect_b32 s3, -1, 0
	s_cmp_eq_u32 s10, 0
	s_cselect_b32 s3, s3, -1
	s_cmp_lg_u32 s3, 0
	s_cselect_b32 s2, s2, s10
	s_cselect_b32 s9, s11, s9
	s_cmp_ge_u32 s7, s8
	s_cselect_b32 s3, -1, 0
	s_cmp_eq_u32 s6, 0
	s_cselect_b32 s3, s3, -1
	s_cmp_lg_u32 s3, 0
	s_cselect_b32 s3, s2, s6
	s_cselect_b32 s2, s9, s7
	s_cbranch_execnz .LBB94_63
.LBB94_62:                              ;   in Loop: Header=BB94_23 Depth=1
	v_cvt_f32_u32_e32 v2, s8
	s_sub_i32 s2, 0, s8
	v_rcp_iflag_f32_e32 v2, v2
	v_mul_f32_e32 v2, 0x4f7ffffe, v2
	v_cvt_u32_f32_e32 v2, v2
	v_readfirstlane_b32 s3, v2
	s_mul_i32 s2, s2, s3
	s_mul_hi_u32 s2, s3, s2
	s_add_i32 s3, s3, s2
	s_mul_hi_u32 s2, s52, s3
	s_mul_i32 s2, s2, s8
	s_sub_i32 s2, s52, s2
	s_sub_i32 s3, s2, s8
	s_cmp_ge_u32 s2, s8
	s_cselect_b32 s2, s3, s2
	s_sub_i32 s3, s2, s8
	s_cmp_ge_u32 s2, s8
	s_cselect_b32 s90, s3, s2
	s_mov_b64 s[2:3], s[90:91]
.LBB94_63:                              ;   in Loop: Header=BB94_23 Depth=1
	s_sub_u32 s50, s52, s2
	s_subb_u32 s51, s53, s3
	v_cmp_gt_u64_e32 vcc, s[50:51], v[11:12]
	v_mov_b32_e32 v2, 0
	v_mov_b32_e32 v4, 0
	;; [unrolled: 1-line block ×8, first 2 shown]
	s_and_saveexec_b64 s[56:57], vcc
	s_cbranch_execz .LBB94_67
; %bb.64:                               ;   in Loop: Header=BB94_23 Depth=1
	v_mov_b32_e32 v21, v12
	s_mov_b64 s[58:59], 0
	s_mov_b64 s[64:65], 0
	;; [unrolled: 1-line block ×5, first 2 shown]
	v_mov_b32_e32 v20, v11
.LBB94_65:                              ;   Parent Loop BB94_23 Depth=1
                                        ; =>  This Inner Loop Header: Depth=2
	v_mul_lo_u32 v4, v21, s80
	v_mul_lo_u32 v5, v20, s81
	v_mad_u64_u32 v[2:3], s[2:3], v20, s80, 0
	v_mov_b32_e32 v6, s72
	s_lshl_b64 s[2:3], s[80:81], 2
	v_add3_u32 v3, v3, v5, v4
	v_lshlrev_b64 v[2:3], 2, v[2:3]
	v_mov_b32_e32 v7, s3
	v_add_co_u32_e64 v2, s[6:7], s33, v2
	v_addc_co_u32_e64 v3, s[6:7], v6, v3, s[6:7]
	v_add_co_u32_e64 v4, s[6:7], s2, v2
	v_addc_co_u32_e64 v5, s[6:7], v3, v7, s[6:7]
	global_load_dword v6, v[2:3], off
	global_load_dword v8, v[4:5], off
	v_add_co_u32_e64 v2, s[6:7], s2, v4
	v_addc_co_u32_e64 v3, s[6:7], v5, v7, s[6:7]
	global_load_dword v4, v[2:3], off
	v_add_co_u32_e64 v2, s[6:7], s2, v2
	v_addc_co_u32_e64 v3, s[6:7], v3, v7, s[6:7]
	global_load_dword v2, v[2:3], off
	v_add_co_u32_e32 v20, vcc, s8, v20
	v_addc_co_u32_e32 v21, vcc, 0, v21, vcc
	v_cmp_le_u64_e32 vcc, s[50:51], v[20:21]
	s_waitcnt vmcnt(3)
	v_xor_b32_e32 v3, 0x80000000, v6
	s_waitcnt vmcnt(2)
	v_xor_b32_e32 v5, 0x80000000, v8
	v_and_b32_e32 v6, v3, v34
	v_bfe_u32 v3, v3, s95, 2
	v_cmp_eq_u32_e64 s[10:11], v6, v29
	v_and_b32_e32 v6, v5, v34
	s_waitcnt vmcnt(1)
	v_xor_b32_e32 v4, 0x80000000, v4
	v_bfe_u32 v5, v5, s95, 2
	v_cmp_eq_u32_e64 s[6:7], 0, v3
	v_cmp_eq_u32_e64 s[28:29], 1, v3
	;; [unrolled: 1-line block ×4, first 2 shown]
	s_waitcnt vmcnt(0)
	v_xor_b32_e32 v2, 0x80000000, v2
	v_cmp_eq_u32_e64 s[12:13], v6, v29
	v_and_b32_e32 v3, v4, v34
	v_bfe_u32 v4, v4, s95, 2
	v_cmp_eq_u32_e64 s[22:23], 0, v5
	s_and_b64 s[2:3], s[10:11], s[6:7]
	v_cmp_eq_u32_e64 s[34:35], 1, v5
	v_cmp_eq_u32_e64 s[36:37], 2, v5
	;; [unrolled: 1-line block ×3, first 2 shown]
	v_cndmask_b32_e64 v5, 0, 1, s[2:3]
	v_cmp_eq_u32_e64 s[18:19], v3, v29
	v_and_b32_e32 v3, v2, v34
	v_bfe_u32 v2, v2, s95, 2
	v_cmp_eq_u32_e64 s[6:7], 0, v4
	s_and_b64 s[2:3], s[12:13], s[22:23]
	v_cmp_eq_u32_e64 s[38:39], 1, v4
	v_cmp_eq_u32_e64 s[40:41], 2, v4
	;; [unrolled: 1-line block ×3, first 2 shown]
	v_cndmask_b32_e64 v4, 0, 1, s[2:3]
	v_cmp_eq_u32_e64 s[22:23], v3, v29
	v_cmp_eq_u32_e64 s[44:45], 0, v2
	s_and_b64 s[2:3], s[18:19], s[6:7]
	v_cmp_eq_u32_e64 s[46:47], 1, v2
	v_cmp_eq_u32_e64 s[48:49], 2, v2
	;; [unrolled: 1-line block ×3, first 2 shown]
	v_cndmask_b32_e64 v2, 0, 1, s[2:3]
	s_and_b64 s[2:3], s[22:23], s[44:45]
	v_cmp_ne_u32_e64 s[42:43], 0, v5
	v_cmp_ne_u32_e64 s[6:7], 0, v2
	v_cndmask_b32_e64 v2, 0, 1, s[2:3]
	s_bcnt1_i32_b64 s9, s[42:43]
	v_cmp_ne_u32_e64 s[42:43], 0, v4
	s_bcnt1_i32_b64 s2, s[6:7]
	v_cmp_ne_u32_e64 s[6:7], 0, v2
	s_bcnt1_i32_b64 s42, s[42:43]
	s_bcnt1_i32_b64 s3, s[6:7]
	s_add_u32 s6, s9, s62
	s_addc_u32 s7, 0, s63
	s_add_u32 s6, s6, s42
	s_addc_u32 s7, s7, 0
	s_add_u32 s2, s6, s2
	s_addc_u32 s6, s7, 0
	s_add_u32 s62, s2, s3
	s_addc_u32 s63, s6, 0
	s_and_b64 s[2:3], s[10:11], s[28:29]
	v_cndmask_b32_e64 v4, 0, 1, s[2:3]
	s_and_b64 s[2:3], s[12:13], s[34:35]
	v_cndmask_b32_e64 v5, 0, 1, s[2:3]
	s_and_b64 s[2:3], s[18:19], s[38:39]
	v_cndmask_b32_e64 v6, 0, 1, s[2:3]
	s_and_b64 s[2:3], s[22:23], s[46:47]
	v_cndmask_b32_e64 v7, 0, 1, s[2:3]
	v_cmp_ne_u32_e64 s[6:7], 0, v4
	v_cmp_ne_u32_e64 s[28:29], 0, v5
	v_cmp_ne_u32_e64 s[34:35], 0, v6
	v_cmp_ne_u32_e64 s[38:39], 0, v7
	s_bcnt1_i32_b64 s2, s[6:7]
	s_bcnt1_i32_b64 s3, s[28:29]
	s_bcnt1_i32_b64 s6, s[34:35]
	s_bcnt1_i32_b64 s7, s[38:39]
	s_add_u32 s2, s2, s60
	s_addc_u32 s9, 0, s61
	s_add_u32 s2, s2, s3
	s_addc_u32 s3, s9, 0
	s_add_u32 s2, s2, s6
	s_addc_u32 s3, s3, 0
	s_add_u32 s60, s2, s7
	s_addc_u32 s61, s3, 0
	s_and_b64 s[2:3], s[10:11], s[30:31]
	v_cndmask_b32_e64 v6, 0, 1, s[2:3]
	s_and_b64 s[2:3], s[12:13], s[36:37]
	v_cndmask_b32_e64 v7, 0, 1, s[2:3]
	s_and_b64 s[2:3], s[18:19], s[40:41]
	v_cndmask_b32_e64 v8, 0, 1, s[2:3]
	s_and_b64 s[2:3], s[22:23], s[48:49]
	v_cndmask_b32_e64 v9, 0, 1, s[2:3]
	v_cmp_ne_u32_e64 s[6:7], 0, v6
	v_cmp_ne_u32_e64 s[28:29], 0, v7
	v_cmp_ne_u32_e64 s[30:31], 0, v8
	v_cmp_ne_u32_e64 s[34:35], 0, v9
	s_bcnt1_i32_b64 s2, s[6:7]
	s_bcnt1_i32_b64 s3, s[28:29]
	;; [unrolled: 24-line block ×3, first 2 shown]
	s_bcnt1_i32_b64 s6, s[12:13]
	s_bcnt1_i32_b64 s7, s[14:15]
	s_add_u32 s2, s2, s64
	s_addc_u32 s9, 0, s65
	s_add_u32 s2, s2, s3
	s_addc_u32 s3, s9, 0
	;; [unrolled: 2-line block ×3, first 2 shown]
	s_add_u32 s64, s2, s7
	v_mov_b32_e32 v2, s62
	v_mov_b32_e32 v4, s60
	;; [unrolled: 1-line block ×3, first 2 shown]
	s_addc_u32 s65, s3, 0
	v_mov_b32_e32 v8, s64
	v_mov_b32_e32 v3, s63
	;; [unrolled: 1-line block ×4, first 2 shown]
	s_or_b64 s[58:59], vcc, s[58:59]
	v_mov_b32_e32 v9, s65
	s_andn2_b64 exec, exec, s[58:59]
	s_cbranch_execnz .LBB94_65
; %bb.66:                               ;   in Loop: Header=BB94_23 Depth=1
	s_or_b64 exec, exec, s[58:59]
.LBB94_67:                              ;   in Loop: Header=BB94_23 Depth=1
	s_or_b64 exec, exec, s[56:57]
	v_mov_b32_e32 v21, s51
	v_add_co_u32_e32 v20, vcc, s50, v0
	v_addc_co_u32_e32 v21, vcc, 0, v21, vcc
	v_cmp_gt_u64_e32 vcc, s[52:53], v[20:21]
	s_and_saveexec_b64 s[2:3], vcc
	s_cbranch_execz .LBB94_73
; %bb.68:                               ;   in Loop: Header=BB94_23 Depth=1
	v_mul_lo_u32 v37, v21, s80
	v_mul_lo_u32 v38, v20, s81
	v_mad_u64_u32 v[35:36], s[6:7], v20, s80, 0
	s_mov_b64 s[8:9], 0
	v_add3_u32 v36, v36, v38, v37
	v_lshlrev_b64 v[35:36], 2, v[35:36]
	v_mov_b32_e32 v37, s72
	v_add_co_u32_e32 v35, vcc, s33, v35
	v_addc_co_u32_e32 v36, vcc, v37, v36, vcc
	global_load_dword v36, v[35:36], off
	s_branch .LBB94_70
.LBB94_69:                              ;   in Loop: Header=BB94_70 Depth=2
	s_or_b64 exec, exec, s[10:11]
	s_waitcnt vmcnt(0)
	v_xor_b32_e32 v36, 0x80000000, v36
	s_and_b64 s[6:7], exec, vcc
	v_and_b32_e32 v37, v36, v34
	v_bfe_u32 v36, v36, s95, 2
	s_or_b64 s[8:9], s[6:7], s[8:9]
	v_cmp_eq_u32_e32 vcc, v37, v29
	v_cmp_eq_u32_e64 s[6:7], 0, v36
	s_and_b64 s[6:7], vcc, s[6:7]
	v_cndmask_b32_e64 v37, 0, 1, s[6:7]
	v_cmp_ne_u32_e64 s[6:7], 0, v37
	s_bcnt1_i32_b64 s6, s[6:7]
	v_add_co_u32_e64 v2, s[6:7], s6, v2
	v_addc_co_u32_e64 v3, s[6:7], 0, v3, s[6:7]
	v_cmp_eq_u32_e64 s[6:7], 1, v36
	s_and_b64 s[6:7], vcc, s[6:7]
	v_cndmask_b32_e64 v37, 0, 1, s[6:7]
	v_cmp_ne_u32_e64 s[6:7], 0, v37
	s_bcnt1_i32_b64 s6, s[6:7]
	v_add_co_u32_e64 v4, s[6:7], s6, v4
	v_addc_co_u32_e64 v5, s[6:7], 0, v5, s[6:7]
	;; [unrolled: 7-line block ×3, first 2 shown]
	v_cmp_eq_u32_e64 s[6:7], 3, v36
	s_and_b64 s[6:7], vcc, s[6:7]
	v_cndmask_b32_e64 v36, 0, 1, s[6:7]
	v_cmp_ne_u32_e32 vcc, 0, v36
	s_bcnt1_i32_b64 s6, vcc
	v_add_co_u32_e32 v8, vcc, s6, v8
	v_addc_co_u32_e32 v9, vcc, 0, v9, vcc
	v_mov_b32_e32 v36, v35
	s_andn2_b64 exec, exec, s[8:9]
	s_cbranch_execz .LBB94_72
.LBB94_70:                              ;   Parent Loop BB94_23 Depth=1
                                        ; =>  This Inner Loop Header: Depth=2
	v_add_co_u32_sdwa v20, vcc, v20, v16 dst_sel:DWORD dst_unused:UNUSED_PAD src0_sel:DWORD src1_sel:WORD_0
	v_addc_co_u32_e32 v21, vcc, 0, v21, vcc
	v_cmp_gt_u64_e64 s[6:7], s[52:53], v[20:21]
	v_cmp_le_u64_e32 vcc, s[52:53], v[20:21]
	v_mov_b32_e32 v35, 0
	s_and_saveexec_b64 s[10:11], s[6:7]
	s_cbranch_execz .LBB94_69
; %bb.71:                               ;   in Loop: Header=BB94_70 Depth=2
	v_mul_lo_u32 v35, v21, s80
	v_mul_lo_u32 v39, v20, s81
	v_mad_u64_u32 v[37:38], s[6:7], v20, s80, 0
	v_add3_u32 v38, v38, v39, v35
	v_lshlrev_b64 v[37:38], 2, v[37:38]
	v_mov_b32_e32 v35, s72
	v_add_co_u32_e64 v37, s[6:7], s33, v37
	v_addc_co_u32_e64 v38, s[6:7], v35, v38, s[6:7]
	global_load_dword v35, v[37:38], off
	s_branch .LBB94_69
.LBB94_72:                              ;   in Loop: Header=BB94_23 Depth=1
	s_or_b64 exec, exec, s[8:9]
.LBB94_73:                              ;   in Loop: Header=BB94_23 Depth=1
	s_or_b64 exec, exec, s[2:3]
	s_branch .LBB94_52
.LBB94_74:                              ;   in Loop: Header=BB94_23 Depth=1
	global_load_ushort v16, v10, s[82:83]
	v_mov_b32_e32 v6, 0
	v_mov_b32_e32 v7, 0
	s_waitcnt vmcnt(0)
	v_readfirstlane_b32 s2, v16
	s_and_b32 s2, 0xffff, s2
	s_lshl_b32 s77, s2, 2
	v_cvt_f32_u32_e32 v2, s77
	s_sub_i32 s3, 0, s77
	v_rcp_iflag_f32_e32 v4, v2
	v_mov_b32_e32 v2, 0
	v_mov_b32_e32 v3, 0
	v_mul_f32_e32 v4, 0x4f7ffffe, v4
	v_cvt_u32_f32_e32 v8, v4
	v_mov_b32_e32 v4, 0
	v_mov_b32_e32 v5, 0
	v_readfirstlane_b32 s6, v8
	s_mul_i32 s3, s3, s6
	s_mul_hi_u32 s3, s6, s3
	s_add_i32 s6, s6, s3
	s_mul_hi_u32 s3, s76, s6
	s_mul_i32 s6, s3, s77
	s_sub_i32 s6, s76, s6
	s_add_i32 s7, s3, 1
	s_sub_i32 s8, s6, s77
	s_cmp_ge_u32 s6, s77
	s_cselect_b32 s3, s7, s3
	s_cselect_b32 s6, s8, s6
	s_add_i32 s7, s3, 1
	s_cmp_ge_u32 s6, s77
	s_cselect_b32 s3, s7, s3
	s_mul_hi_u32 s57, s2, s3
	s_mul_i32 s56, s2, s3
	s_lshl_b64 s[58:59], s[56:57], 2
	v_cmp_gt_u64_e32 vcc, s[58:59], v[11:12]
	v_mov_b32_e32 v8, 0
	v_mov_b32_e32 v9, 0
	s_and_saveexec_b64 s[60:61], vcc
	s_cbranch_execz .LBB94_78
; %bb.75:                               ;   in Loop: Header=BB94_23 Depth=1
	v_mov_b32_e32 v21, v12
	s_lshl_b32 s57, s2, 4
	s_mov_b64 s[62:63], 0
	v_mov_b32_e32 v35, v30
	s_mov_b64 s[64:65], 0
	s_mov_b64 s[66:67], 0
	;; [unrolled: 1-line block ×4, first 2 shown]
	v_mov_b32_e32 v20, v11
.LBB94_76:                              ;   Parent Loop BB94_23 Depth=1
                                        ; =>  This Inner Loop Header: Depth=2
	ds_read_b128 v[2:5], v35
	v_add_co_u32_e32 v20, vcc, s77, v20
	v_addc_co_u32_e32 v21, vcc, 0, v21, vcc
	s_waitcnt lgkmcnt(0)
	v_xor_b32_e32 v2, 0x80000000, v2
	v_xor_b32_e32 v3, 0x80000000, v3
	v_and_b32_e32 v6, v2, v34
	v_bfe_u32 v2, v2, s95, 2
	v_xor_b32_e32 v4, 0x80000000, v4
	v_and_b32_e32 v7, v3, v34
	v_bfe_u32 v3, v3, s95, 2
	v_cmp_eq_u32_e64 s[16:17], v6, v29
	v_cmp_eq_u32_e64 s[6:7], 0, v2
	v_xor_b32_e32 v5, 0x80000000, v5
	v_and_b32_e32 v8, v4, v34
	v_bfe_u32 v4, v4, s95, 2
	v_cmp_eq_u32_e64 s[14:15], v7, v29
	v_cmp_eq_u32_e64 s[28:29], 0, v3
	s_and_b64 s[6:7], s[16:17], s[6:7]
	v_and_b32_e32 v9, v5, v34
	v_bfe_u32 v5, v5, s95, 2
	v_cmp_eq_u32_e64 s[12:13], v8, v29
	v_cmp_eq_u32_e64 s[30:31], 0, v4
	;; [unrolled: 1-line block ×5, first 2 shown]
	v_cndmask_b32_e64 v2, 0, 1, s[6:7]
	s_and_b64 s[6:7], s[14:15], s[28:29]
	v_cmp_eq_u32_e64 s[10:11], v9, v29
	v_cmp_eq_u32_e64 s[34:35], 0, v5
	;; [unrolled: 1-line block ×5, first 2 shown]
	v_cndmask_b32_e64 v3, 0, 1, s[6:7]
	s_and_b64 s[6:7], s[12:13], s[30:31]
	v_cmp_eq_u32_e64 s[40:41], 1, v4
	v_cmp_eq_u32_e64 s[48:49], 2, v4
	;; [unrolled: 1-line block ×3, first 2 shown]
	v_cndmask_b32_e64 v4, 0, 1, s[6:7]
	s_and_b64 s[6:7], s[10:11], s[34:35]
	v_cmp_eq_u32_e64 s[42:43], 1, v5
	v_cmp_eq_u32_e64 s[50:51], 2, v5
	;; [unrolled: 1-line block ×3, first 2 shown]
	v_cndmask_b32_e64 v5, 0, 1, s[6:7]
	v_cmp_ne_u32_e64 s[6:7], 0, v2
	v_cmp_ne_u32_e64 s[28:29], 0, v3
	v_cmp_ne_u32_e64 s[30:31], 0, v4
	v_cmp_ne_u32_e64 s[34:35], 0, v5
	s_bcnt1_i32_b64 s6, s[6:7]
	s_bcnt1_i32_b64 s7, s[28:29]
	s_bcnt1_i32_b64 s28, s[30:31]
	s_bcnt1_i32_b64 s29, s[34:35]
	s_add_u32 s6, s6, s8
	s_addc_u32 s8, 0, s9
	s_add_u32 s6, s6, s7
	s_addc_u32 s7, s8, 0
	s_add_u32 s6, s6, s28
	s_addc_u32 s7, s7, 0
	s_add_u32 s8, s6, s29
	s_addc_u32 s9, s7, 0
	s_and_b64 s[6:7], s[16:17], s[36:37]
	v_cndmask_b32_e64 v4, 0, 1, s[6:7]
	s_and_b64 s[6:7], s[14:15], s[38:39]
	v_cndmask_b32_e64 v5, 0, 1, s[6:7]
	s_and_b64 s[6:7], s[12:13], s[40:41]
	v_cndmask_b32_e64 v6, 0, 1, s[6:7]
	s_and_b64 s[6:7], s[10:11], s[42:43]
	v_cndmask_b32_e64 v7, 0, 1, s[6:7]
	v_cmp_ne_u32_e64 s[6:7], 0, v4
	v_cmp_ne_u32_e64 s[28:29], 0, v5
	v_cmp_ne_u32_e64 s[30:31], 0, v6
	v_cmp_ne_u32_e64 s[34:35], 0, v7
	s_bcnt1_i32_b64 s6, s[6:7]
	s_bcnt1_i32_b64 s7, s[28:29]
	s_bcnt1_i32_b64 s28, s[30:31]
	s_bcnt1_i32_b64 s29, s[34:35]
	s_add_u32 s2, s6, s2
	s_addc_u32 s3, 0, s3
	s_add_u32 s2, s2, s7
	s_addc_u32 s3, s3, 0
	s_add_u32 s2, s2, s28
	s_addc_u32 s3, s3, 0
	s_add_u32 s2, s2, s29
	s_addc_u32 s3, s3, 0
	s_and_b64 s[6:7], s[16:17], s[44:45]
	v_cndmask_b32_e64 v6, 0, 1, s[6:7]
	s_and_b64 s[6:7], s[14:15], s[46:47]
	v_cndmask_b32_e64 v7, 0, 1, s[6:7]
	s_and_b64 s[6:7], s[12:13], s[48:49]
	v_cndmask_b32_e64 v8, 0, 1, s[6:7]
	s_and_b64 s[6:7], s[10:11], s[50:51]
	;; [unrolled: 24-line block ×3, first 2 shown]
	v_cndmask_b32_e64 v37, 0, 1, s[6:7]
	v_cmp_ne_u32_e64 s[6:7], 0, v8
	v_cmp_ne_u32_e64 s[10:11], 0, v9
	;; [unrolled: 1-line block ×4, first 2 shown]
	s_bcnt1_i32_b64 s6, s[6:7]
	s_bcnt1_i32_b64 s7, s[10:11]
	;; [unrolled: 1-line block ×4, first 2 shown]
	s_add_u32 s6, s6, s64
	s_addc_u32 s12, 0, s65
	s_add_u32 s6, s6, s7
	s_addc_u32 s7, s12, 0
	s_add_u32 s6, s6, s10
	s_addc_u32 s7, s7, 0
	v_cmp_le_u64_e32 vcc, s[58:59], v[20:21]
	s_add_u32 s64, s6, s11
	v_mov_b32_e32 v2, s8
	v_mov_b32_e32 v5, s3
	;; [unrolled: 1-line block ×3, first 2 shown]
	s_addc_u32 s65, s7, 0
	v_mov_b32_e32 v8, s64
	v_add_u32_e32 v35, s57, v35
	v_mov_b32_e32 v3, s9
	v_mov_b32_e32 v4, s2
	;; [unrolled: 1-line block ×3, first 2 shown]
	s_or_b64 s[62:63], vcc, s[62:63]
	v_mov_b32_e32 v9, s65
	s_andn2_b64 exec, exec, s[62:63]
	s_cbranch_execnz .LBB94_76
; %bb.77:                               ;   in Loop: Header=BB94_23 Depth=1
	s_or_b64 exec, exec, s[62:63]
.LBB94_78:                              ;   in Loop: Header=BB94_23 Depth=1
	s_or_b64 exec, exec, s[60:61]
	v_mov_b32_e32 v21, s59
	v_add_co_u32_e32 v20, vcc, s58, v0
	s_and_b32 s90, s76, 0x7fffffff
	v_addc_co_u32_e32 v21, vcc, 0, v21, vcc
	v_cmp_gt_u64_e32 vcc, s[90:91], v[20:21]
	s_and_saveexec_b64 s[2:3], vcc
	s_cbranch_execz .LBB94_82
; %bb.79:                               ;   in Loop: Header=BB94_23 Depth=1
	v_lshl_add_u32 v35, s56, 4, v11
	s_mov_b64 s[8:9], 0
.LBB94_80:                              ;   Parent Loop BB94_23 Depth=1
                                        ; =>  This Inner Loop Header: Depth=2
	ds_read_b32 v36, v35
	v_add_co_u32_sdwa v20, vcc, v20, v16 dst_sel:DWORD dst_unused:UNUSED_PAD src0_sel:DWORD src1_sel:WORD_0
	v_addc_co_u32_e32 v21, vcc, 0, v21, vcc
	s_waitcnt lgkmcnt(0)
	v_xor_b32_e32 v36, 0x80000000, v36
	v_and_b32_e32 v37, v36, v34
	v_bfe_u32 v36, v36, s95, 2
	v_cmp_eq_u32_e64 s[6:7], v37, v29
	v_cmp_eq_u32_e64 s[10:11], 0, v36
	;; [unrolled: 1-line block ×3, first 2 shown]
	s_and_b64 s[10:11], s[6:7], s[10:11]
	v_cmp_eq_u32_e64 s[14:15], 2, v36
	v_cmp_eq_u32_e64 s[16:17], 3, v36
	v_cndmask_b32_e64 v36, 0, 1, s[10:11]
	s_and_b64 s[10:11], s[6:7], s[12:13]
	v_cndmask_b32_e64 v37, 0, 1, s[10:11]
	s_and_b64 s[10:11], s[6:7], s[14:15]
	s_and_b64 s[6:7], s[6:7], s[16:17]
	v_cndmask_b32_e64 v38, 0, 1, s[10:11]
	v_cndmask_b32_e64 v39, 0, 1, s[6:7]
	v_cmp_le_u64_e32 vcc, s[90:91], v[20:21]
	v_cmp_ne_u32_e64 s[6:7], 0, v36
	v_cmp_ne_u32_e64 s[10:11], 0, v37
	;; [unrolled: 1-line block ×4, first 2 shown]
	s_bcnt1_i32_b64 s6, s[6:7]
	s_bcnt1_i32_b64 s7, s[10:11]
	;; [unrolled: 1-line block ×4, first 2 shown]
	s_or_b64 s[8:9], vcc, s[8:9]
	v_add_co_u32_e32 v2, vcc, s6, v2
	v_addc_co_u32_e32 v3, vcc, 0, v3, vcc
	v_add_co_u32_e32 v4, vcc, s7, v4
	v_addc_co_u32_e32 v5, vcc, 0, v5, vcc
	;; [unrolled: 2-line block ×3, first 2 shown]
	v_add_co_u32_e32 v8, vcc, s11, v8
	v_add_u32_e32 v35, s77, v35
	v_addc_co_u32_e32 v9, vcc, 0, v9, vcc
	s_andn2_b64 exec, exec, s[8:9]
	s_cbranch_execnz .LBB94_80
; %bb.81:                               ;   in Loop: Header=BB94_23 Depth=1
	s_or_b64 exec, exec, s[8:9]
.LBB94_82:                              ;   in Loop: Header=BB94_23 Depth=1
	s_or_b64 exec, exec, s[2:3]
	v_lshlrev_b32_e32 v16, 6, v33
	s_and_saveexec_b64 s[2:3], s[4:5]
	s_cbranch_execnz .LBB94_53
	s_branch .LBB94_54
.LBB94_83:                              ;   in Loop: Header=BB94_23 Depth=1
                                        ; implicit-def: $sgpr2_sgpr3
	s_branch .LBB94_62
.LBB94_84:                              ;   in Loop: Header=BB94_23 Depth=1
	v_mov_b32_e32 v2, 0
	v_mov_b32_e32 v3, 0
	s_mov_b32 s6, 0
.LBB94_85:                              ;   in Loop: Header=BB94_23 Depth=1
	v_readlane_b32 s8, v47, 47
	v_readlane_b32 s9, v47, 48
	s_andn2_b64 vcc, exec, s[8:9]
	s_cbranch_vccnz .LBB94_88
; %bb.86:                               ;   in Loop: Header=BB94_23 Depth=1
	v_lshlrev_b32_e32 v4, 9, v33
	s_lshl_b32 s6, s6, 5
	v_add_u32_e32 v4, s6, v4
	v_add_u32_e32 v4, v31, v4
	v_readlane_b32 s6, v47, 46
.LBB94_87:                              ;   Parent Loop BB94_23 Depth=1
                                        ; =>  This Inner Loop Header: Depth=2
	ds_read_b64 v[5:6], v4
	s_add_i32 s6, s6, -1
	v_add_u32_e32 v4, 32, v4
	s_cmp_lg_u32 s6, 0
	s_waitcnt lgkmcnt(0)
	v_add_co_u32_e32 v2, vcc, v5, v2
	v_addc_co_u32_e32 v3, vcc, v6, v3, vcc
	s_cbranch_scc1 .LBB94_87
.LBB94_88:                              ;   in Loop: Header=BB94_23 Depth=1
	v_add_lshl_u32 v4, v16, v22, 3
	ds_write_b64 v4, v[2:3] offset:3072
.LBB94_89:                              ;   in Loop: Header=BB94_23 Depth=1
	s_or_b64 exec, exec, s[2:3]
	v_lshlrev_b32_e32 v2, 3, v16
	s_waitcnt lgkmcnt(0)
	s_barrier
	ds_read_b128 v[6:9], v2 offset:3088
	ds_read_b128 v[2:5], v2 offset:3072
	v_cmp_eq_u64_e64 s[6:7], 1, v[18:19]
	s_lshl_b32 s60, 3, s95
	s_not_b32 s50, s60
	s_waitcnt lgkmcnt(1)
	v_readfirstlane_b32 s18, v6
	s_waitcnt lgkmcnt(0)
	v_cmp_eq_u64_e32 vcc, 1, v[2:3]
	v_readfirstlane_b32 s19, v7
	v_readfirstlane_b32 s10, v8
	;; [unrolled: 1-line block ×3, first 2 shown]
	s_and_b64 s[14:15], vcc, s[6:7]
	s_mov_b64 s[6:7], -1
	s_mov_b64 s[2:3], -1
                                        ; implicit-def: $sgpr20_sgpr21
                                        ; implicit-def: $sgpr16_sgpr17
	s_and_saveexec_b64 s[12:13], s[14:15]
	s_cbranch_execz .LBB94_121
; %bb.90:                               ;   in Loop: Header=BB94_23 Depth=1
	ds_read_b64 v[6:7], v10 offset:5120
	s_waitcnt lgkmcnt(0)
	s_barrier
	v_readfirstlane_b32 s8, v6
	v_readfirstlane_b32 s9, v7
	s_and_saveexec_b64 s[2:3], s[26:27]
; %bb.91:                               ;   in Loop: Header=BB94_23 Depth=1
	ds_write_b32 v23, v10
; %bb.92:                               ;   in Loop: Header=BB94_23 Depth=1
	s_or_b64 exec, exec, s[2:3]
	v_and_b32_e32 v29, s50, v29
	v_or_b32_e32 v34, s60, v34
	s_mov_b64 s[16:17], -1
	s_mov_b64 s[20:21], 0
	s_cmp_eq_u64 s[8:9], 0
	s_mov_b64 s[2:3], 0
	s_mov_b64 s[22:23], -1
	s_waitcnt lgkmcnt(0)
	s_barrier
                                        ; implicit-def: $vgpr17
	s_cbranch_scc1 .LBB94_106
; %bb.93:                               ;   in Loop: Header=BB94_23 Depth=1
	v_readlane_b32 s2, v47, 42
	s_add_u32 s28, s8, s2
	v_readlane_b32 s2, v47, 43
	s_addc_u32 s3, s9, s2
	s_mov_b32 s2, s91
	s_cmp_lg_u64 s[2:3], 0
	s_cbranch_scc0 .LBB94_147
; %bb.94:                               ;   in Loop: Header=BB94_23 Depth=1
	v_cvt_f32_u32_e32 v6, s73
	s_sub_u32 s2, 0, s73
	s_subb_u32 s24, 0, 0
	v_mac_f32_e32 v6, 0, v32
	v_rcp_f32_e32 v6, v6
	v_mul_f32_e32 v6, 0x5f7ffffc, v6
	v_mul_f32_e32 v7, 0x2f800000, v6
	v_trunc_f32_e32 v7, v7
	v_mac_f32_e32 v6, 0xcf800000, v7
	v_cvt_u32_f32_e32 v7, v7
	v_cvt_u32_f32_e32 v6, v6
	v_readfirstlane_b32 s25, v7
	v_readfirstlane_b32 s22, v6
	s_mul_i32 s23, s2, s25
	s_mul_hi_u32 s30, s2, s22
	s_mul_i32 s29, s24, s22
	s_add_i32 s23, s30, s23
	s_mul_i32 s31, s2, s22
	s_add_i32 s23, s23, s29
	s_mul_hi_u32 s30, s22, s31
	s_mul_i32 s34, s22, s23
	s_mul_hi_u32 s29, s22, s23
	s_add_u32 s30, s30, s34
	s_addc_u32 s29, 0, s29
	s_mul_hi_u32 s35, s25, s31
	s_mul_i32 s31, s25, s31
	s_add_u32 s30, s30, s31
	s_mul_hi_u32 s34, s25, s23
	s_addc_u32 s29, s29, s35
	s_addc_u32 s30, s34, 0
	s_mul_i32 s23, s25, s23
	s_add_u32 s23, s29, s23
	s_addc_u32 s29, 0, s30
	s_add_u32 s30, s22, s23
	s_cselect_b64 s[22:23], -1, 0
	s_cmp_lg_u64 s[22:23], 0
	s_addc_u32 s25, s25, s29
	s_mul_i32 s22, s2, s25
	s_mul_hi_u32 s23, s2, s30
	s_add_i32 s22, s23, s22
	s_mul_i32 s24, s24, s30
	s_add_i32 s22, s22, s24
	s_mul_i32 s2, s2, s30
	s_mul_hi_u32 s24, s25, s2
	s_mul_i32 s29, s25, s2
	s_mul_i32 s34, s30, s22
	s_mul_hi_u32 s2, s30, s2
	s_mul_hi_u32 s31, s30, s22
	s_add_u32 s2, s2, s34
	s_addc_u32 s31, 0, s31
	s_add_u32 s2, s2, s29
	s_mul_hi_u32 s23, s25, s22
	s_addc_u32 s2, s31, s24
	s_addc_u32 s23, s23, 0
	s_mul_i32 s22, s25, s22
	s_add_u32 s2, s2, s22
	s_addc_u32 s24, 0, s23
	s_add_u32 s2, s30, s2
	s_cselect_b64 s[22:23], -1, 0
	s_cmp_lg_u64 s[22:23], 0
	s_addc_u32 s22, s25, s24
	s_mul_i32 s24, s28, s22
	s_mul_hi_u32 s25, s28, s2
	s_mul_hi_u32 s23, s28, s22
	s_add_u32 s24, s25, s24
	s_addc_u32 s23, 0, s23
	s_mul_hi_u32 s29, s3, s2
	s_mul_i32 s2, s3, s2
	s_add_u32 s2, s24, s2
	s_mul_hi_u32 s25, s3, s22
	s_addc_u32 s2, s23, s29
	s_addc_u32 s23, s25, 0
	s_mul_i32 s22, s3, s22
	s_add_u32 s2, s2, s22
	s_addc_u32 s22, 0, s23
	s_mul_i32 s22, s73, s22
	s_mul_hi_u32 s23, s73, s2
	s_add_i32 s24, s23, s22
	s_mul_i32 s2, s73, s2
	s_sub_u32 s2, s28, s2
	s_cselect_b64 s[22:23], -1, 0
	s_cmp_lg_u64 s[22:23], 0
	s_subb_u32 s24, s3, s24
	s_sub_u32 s25, s2, s73
	s_cselect_b64 s[22:23], -1, 0
	s_cmp_lg_u64 s[22:23], 0
	s_subb_u32 s29, s24, 0
	;; [unrolled: 4-line block ×3, first 2 shown]
	s_cmp_ge_u32 s25, s73
	s_cselect_b32 s23, -1, 0
	s_cmp_eq_u32 s29, 0
	s_cselect_b32 s23, s23, -1
	s_cmp_lg_u32 s23, 0
	s_cselect_b32 s22, s22, s29
	s_cselect_b32 s25, s30, s25
	s_cmp_ge_u32 s2, s73
	s_cselect_b32 s23, -1, 0
	s_cmp_eq_u32 s24, 0
	s_cselect_b32 s23, s23, -1
	s_cmp_lg_u32 s23, 0
	s_cselect_b32 s23, s22, s24
	s_cselect_b32 s22, s25, s2
	s_cbranch_execnz .LBB94_96
.LBB94_95:                              ;   in Loop: Header=BB94_23 Depth=1
	v_cvt_f32_u32_e32 v6, s73
	s_sub_i32 s2, 0, s73
	v_rcp_iflag_f32_e32 v6, v6
	v_mul_f32_e32 v6, 0x4f7ffffe, v6
	v_cvt_u32_f32_e32 v6, v6
	v_readfirstlane_b32 s22, v6
	s_mul_i32 s2, s2, s22
	s_mul_hi_u32 s2, s22, s2
	s_add_i32 s22, s22, s2
	s_mul_hi_u32 s2, s28, s22
	s_mul_i32 s2, s2, s73
	s_sub_i32 s2, s28, s2
	s_sub_i32 s22, s2, s73
	s_cmp_ge_u32 s2, s73
	s_cselect_b32 s2, s22, s2
	s_sub_i32 s22, s2, s73
	s_cmp_ge_u32 s2, s73
	s_cselect_b32 s90, s22, s2
	s_mov_b64 s[22:23], s[90:91]
.LBB94_96:                              ;   in Loop: Header=BB94_23 Depth=1
	s_sub_u32 s28, s28, s22
	s_subb_u32 s29, s3, s23
	v_cmp_gt_u64_e32 vcc, s[28:29], v[0:1]
	s_mov_b64 s[22:23], 0
	s_mov_b64 s[2:3], 0
                                        ; implicit-def: $vgpr17
	s_and_saveexec_b64 s[24:25], vcc
	s_cbranch_execz .LBB94_105
; %bb.97:                               ;   in Loop: Header=BB94_23 Depth=1
	v_mov_b32_e32 v7, v1
	v_mov_b32_e32 v8, v11
	;; [unrolled: 1-line block ×3, first 2 shown]
                                        ; implicit-def: $sgpr30_sgpr31
	s_branch .LBB94_100
.LBB94_98:                              ;   in Loop: Header=BB94_100 Depth=2
	s_or_b64 exec, exec, s[34:35]
	s_waitcnt lgkmcnt(0)
	s_barrier
	ds_read_b64 v[16:17], v10 offset:3072
	s_mov_b64 s[34:35], -1
	s_mov_b64 s[36:37], -1
	s_waitcnt lgkmcnt(0)
	s_barrier
	v_cmp_ne_u32_e32 vcc, 0, v16
	s_cbranch_vccz .LBB94_103
.LBB94_99:                              ;   in Loop: Header=BB94_100 Depth=2
	s_and_b64 s[34:35], exec, s[34:35]
	s_or_b64 s[2:3], s[34:35], s[2:3]
	s_andn2_b64 s[30:31], s[30:31], exec
	s_and_b64 s[34:35], s[36:37], exec
	s_or_b64 s[30:31], s[30:31], s[34:35]
	s_andn2_b64 exec, exec, s[2:3]
	s_cbranch_execz .LBB94_104
.LBB94_100:                             ;   Parent Loop BB94_23 Depth=1
                                        ; =>  This Inner Loop Header: Depth=2
	v_cmp_gt_u64_e32 vcc, s[8:9], v[6:7]
	s_and_saveexec_b64 s[34:35], vcc
	s_cbranch_execz .LBB94_98
; %bb.101:                              ;   in Loop: Header=BB94_100 Depth=2
	ds_read_b32 v16, v8
	s_waitcnt lgkmcnt(0)
	v_xor_b32_e32 v9, 0x80000000, v16
	v_and_b32_e32 v9, v9, v34
	v_cmp_eq_u32_e32 vcc, v9, v29
	s_and_b64 exec, exec, vcc
	s_cbranch_execz .LBB94_98
; %bb.102:                              ;   in Loop: Header=BB94_100 Depth=2
	ds_write_b64 v10, v[15:16] offset:3072
	s_branch .LBB94_98
.LBB94_103:                             ;   in Loop: Header=BB94_100 Depth=2
	v_add_co_u32_e32 v6, vcc, s73, v6
	v_addc_co_u32_e32 v7, vcc, 0, v7, vcc
	v_cmp_le_u64_e32 vcc, s[28:29], v[6:7]
	v_add_u32_e32 v8, s94, v8
	s_mov_b64 s[36:37], 0
	s_orn2_b64 s[34:35], vcc, exec
	s_branch .LBB94_99
.LBB94_104:                             ;   in Loop: Header=BB94_23 Depth=1
	s_or_b64 exec, exec, s[2:3]
	s_and_b64 s[2:3], s[30:31], exec
.LBB94_105:                             ;   in Loop: Header=BB94_23 Depth=1
	s_or_b64 exec, exec, s[24:25]
.LBB94_106:                             ;   in Loop: Header=BB94_23 Depth=1
	s_and_b64 vcc, exec, s[22:23]
	s_cbranch_vccz .LBB94_120
; %bb.107:                              ;   in Loop: Header=BB94_23 Depth=1
	s_mov_b32 s84, s91
	s_cmp_lg_u64 s[84:85], 0
	s_cbranch_scc0 .LBB94_151
; %bb.108:                              ;   in Loop: Header=BB94_23 Depth=1
	v_cvt_f32_u32_e32 v6, s73
	s_sub_u32 s16, 0, s73
	s_subb_u32 s17, 0, 0
	v_mac_f32_e32 v6, 0, v32
	v_rcp_f32_e32 v6, v6
	v_mul_f32_e32 v6, 0x5f7ffffc, v6
	v_mul_f32_e32 v7, 0x2f800000, v6
	v_trunc_f32_e32 v7, v7
	v_mac_f32_e32 v6, 0xcf800000, v7
	v_cvt_u32_f32_e32 v7, v7
	v_cvt_u32_f32_e32 v6, v6
	v_readfirstlane_b32 s20, v7
	v_readfirstlane_b32 s8, v6
	s_mul_i32 s9, s16, s20
	s_mul_hi_u32 s22, s16, s8
	s_mul_i32 s21, s17, s8
	s_add_i32 s9, s22, s9
	s_mul_i32 s23, s16, s8
	s_add_i32 s9, s9, s21
	s_mul_hi_u32 s22, s8, s23
	s_mul_i32 s24, s8, s9
	s_mul_hi_u32 s21, s8, s9
	s_add_u32 s22, s22, s24
	s_addc_u32 s21, 0, s21
	s_mul_hi_u32 s25, s20, s23
	s_mul_i32 s23, s20, s23
	s_add_u32 s22, s22, s23
	s_mul_hi_u32 s24, s20, s9
	s_addc_u32 s21, s21, s25
	s_addc_u32 s22, s24, 0
	s_mul_i32 s9, s20, s9
	s_add_u32 s9, s21, s9
	s_addc_u32 s21, 0, s22
	s_add_u32 s22, s8, s9
	s_cselect_b64 s[8:9], -1, 0
	s_cmp_lg_u64 s[8:9], 0
	s_addc_u32 s20, s20, s21
	s_mul_i32 s8, s16, s20
	s_mul_hi_u32 s9, s16, s22
	s_add_i32 s8, s9, s8
	s_mul_i32 s17, s17, s22
	s_add_i32 s8, s8, s17
	s_mul_i32 s16, s16, s22
	s_mul_hi_u32 s17, s20, s16
	s_mul_i32 s21, s20, s16
	s_mul_i32 s24, s22, s8
	s_mul_hi_u32 s16, s22, s16
	s_mul_hi_u32 s23, s22, s8
	s_add_u32 s16, s16, s24
	s_addc_u32 s23, 0, s23
	s_add_u32 s16, s16, s21
	s_mul_hi_u32 s9, s20, s8
	s_addc_u32 s16, s23, s17
	s_addc_u32 s9, s9, 0
	s_mul_i32 s8, s20, s8
	s_add_u32 s8, s16, s8
	s_addc_u32 s16, 0, s9
	s_add_u32 s17, s22, s8
	s_cselect_b64 s[8:9], -1, 0
	s_cmp_lg_u64 s[8:9], 0
	s_addc_u32 s8, s20, s16
	s_mul_i32 s16, s0, s8
	s_mul_hi_u32 s20, s0, s17
	s_mul_hi_u32 s9, s0, s8
	s_add_u32 s16, s20, s16
	s_addc_u32 s9, 0, s9
	s_mul_hi_u32 s21, s85, s17
	s_mul_i32 s17, s85, s17
	s_add_u32 s16, s16, s17
	s_mul_hi_u32 s20, s85, s8
	s_addc_u32 s9, s9, s21
	s_addc_u32 s16, s20, 0
	s_mul_i32 s8, s85, s8
	s_add_u32 s8, s9, s8
	s_addc_u32 s9, 0, s16
	s_mul_i32 s9, s73, s9
	s_mul_hi_u32 s16, s73, s8
	s_add_i32 s16, s16, s9
	s_mul_i32 s8, s73, s8
	s_sub_u32 s17, s0, s8
	s_cselect_b64 s[8:9], -1, 0
	s_cmp_lg_u64 s[8:9], 0
	s_subb_u32 s16, s85, s16
	s_sub_u32 s20, s17, s73
	s_cselect_b64 s[8:9], -1, 0
	s_cmp_lg_u64 s[8:9], 0
	s_subb_u32 s21, s16, 0
	;; [unrolled: 4-line block ×3, first 2 shown]
	s_cmp_ge_u32 s20, s73
	s_cselect_b32 s9, -1, 0
	s_cmp_eq_u32 s21, 0
	s_cselect_b32 s9, s9, -1
	s_cmp_lg_u32 s9, 0
	s_cselect_b32 s8, s8, s21
	s_cselect_b32 s20, s22, s20
	s_cmp_ge_u32 s17, s73
	s_cselect_b32 s9, -1, 0
	s_cmp_eq_u32 s16, 0
	s_cselect_b32 s9, s9, -1
	s_cmp_lg_u32 s9, 0
	s_cselect_b32 s9, s8, s16
	s_cselect_b32 s8, s20, s17
	s_cbranch_execnz .LBB94_110
.LBB94_109:                             ;   in Loop: Header=BB94_23 Depth=1
	v_cvt_f32_u32_e32 v6, s73
	s_sub_i32 s8, 0, s73
	v_rcp_iflag_f32_e32 v6, v6
	v_mul_f32_e32 v6, 0x4f7ffffe, v6
	v_cvt_u32_f32_e32 v6, v6
	v_readfirstlane_b32 s9, v6
	s_mul_i32 s8, s8, s9
	s_mul_hi_u32 s8, s9, s8
	s_add_i32 s9, s9, s8
	s_mul_hi_u32 s8, s0, s9
	s_mul_i32 s8, s8, s73
	s_sub_i32 s8, s0, s8
	s_sub_i32 s9, s8, s73
	s_cmp_ge_u32 s8, s73
	s_cselect_b32 s8, s9, s8
	s_sub_i32 s9, s8, s73
	s_cmp_ge_u32 s8, s73
	s_cselect_b32 s90, s9, s8
	s_mov_b64 s[8:9], s[90:91]
.LBB94_110:                             ;   in Loop: Header=BB94_23 Depth=1
	s_sub_u32 s16, s0, s8
	s_subb_u32 s17, s85, s9
	v_cmp_gt_u64_e32 vcc, s[16:17], v[0:1]
                                        ; implicit-def: $vgpr17
	s_and_saveexec_b64 s[8:9], vcc
	s_cbranch_execz .LBB94_119
; %bb.111:                              ;   in Loop: Header=BB94_23 Depth=1
	v_mov_b32_e32 v7, v1
	s_mov_b64 s[20:21], 0
	v_mov_b32_e32 v6, v0
                                        ; implicit-def: $sgpr22_sgpr23
	s_branch .LBB94_114
.LBB94_112:                             ;   in Loop: Header=BB94_114 Depth=2
	s_or_b64 exec, exec, s[24:25]
	s_waitcnt lgkmcnt(0)
	s_barrier
	ds_read_b64 v[16:17], v10 offset:3072
	s_mov_b64 s[24:25], -1
	s_mov_b64 s[28:29], -1
	s_waitcnt lgkmcnt(0)
	s_barrier
	v_cmp_ne_u32_e32 vcc, 0, v16
	s_cbranch_vccz .LBB94_117
.LBB94_113:                             ;   in Loop: Header=BB94_114 Depth=2
	s_and_b64 s[24:25], exec, s[24:25]
	s_or_b64 s[20:21], s[24:25], s[20:21]
	s_andn2_b64 s[22:23], s[22:23], exec
	s_and_b64 s[24:25], s[28:29], exec
	s_or_b64 s[22:23], s[22:23], s[24:25]
	s_andn2_b64 exec, exec, s[20:21]
	s_cbranch_execz .LBB94_118
.LBB94_114:                             ;   Parent Loop BB94_23 Depth=1
                                        ; =>  This Inner Loop Header: Depth=2
	v_cmp_gt_u64_e32 vcc, s[52:53], v[6:7]
	s_and_saveexec_b64 s[24:25], vcc
	s_cbranch_execz .LBB94_112
; %bb.115:                              ;   in Loop: Header=BB94_114 Depth=2
	v_mul_lo_u32 v16, v7, s80
	v_mul_lo_u32 v17, v6, s81
	v_mad_u64_u32 v[8:9], s[28:29], v6, s80, 0
	v_add3_u32 v9, v9, v17, v16
	v_lshlrev_b64 v[8:9], 2, v[8:9]
	v_mov_b32_e32 v16, s72
	v_add_co_u32_e32 v8, vcc, s33, v8
	v_addc_co_u32_e32 v9, vcc, v16, v9, vcc
	global_load_dword v16, v[8:9], off
	s_waitcnt vmcnt(0)
	v_xor_b32_e32 v8, 0x80000000, v16
	v_and_b32_e32 v8, v8, v34
	v_cmp_eq_u32_e32 vcc, v8, v29
	s_and_b64 exec, exec, vcc
	s_cbranch_execz .LBB94_112
; %bb.116:                              ;   in Loop: Header=BB94_114 Depth=2
	ds_write_b64 v10, v[15:16] offset:3072
	s_branch .LBB94_112
.LBB94_117:                             ;   in Loop: Header=BB94_114 Depth=2
	v_add_co_u32_e32 v6, vcc, s73, v6
	v_addc_co_u32_e32 v7, vcc, 0, v7, vcc
	v_cmp_le_u64_e32 vcc, s[16:17], v[6:7]
	s_mov_b64 s[28:29], 0
	s_orn2_b64 s[24:25], vcc, exec
	s_branch .LBB94_113
.LBB94_118:                             ;   in Loop: Header=BB94_23 Depth=1
	s_or_b64 exec, exec, s[20:21]
	s_andn2_b64 s[2:3], s[2:3], exec
	s_and_b64 s[16:17], s[22:23], exec
	s_or_b64 s[2:3], s[2:3], s[16:17]
.LBB94_119:                             ;   in Loop: Header=BB94_23 Depth=1
	s_or_b64 exec, exec, s[8:9]
	s_mov_b64 s[16:17], 0
	s_mov_b64 s[20:21], -1
.LBB94_120:                             ;   in Loop: Header=BB94_23 Depth=1
	s_orn2_b64 s[2:3], s[2:3], exec
.LBB94_121:                             ;   in Loop: Header=BB94_23 Depth=1
	s_or_b64 exec, exec, s[12:13]
	s_andn2_b64 s[8:9], s[54:55], exec
	s_and_b64 s[12:13], s[20:21], exec
	s_or_b64 s[54:55], s[8:9], s[12:13]
	s_andn2_b64 s[8:9], s[78:79], exec
	s_and_b64 s[12:13], s[16:17], exec
	s_andn2_b64 s[70:71], s[70:71], exec
	s_or_b64 s[78:79], s[8:9], s[12:13]
                                        ; implicit-def: $vgpr6_vgpr7
	s_and_saveexec_b64 s[12:13], s[2:3]
	s_cbranch_execz .LBB94_22
; %bb.122:                              ;   in Loop: Header=BB94_23 Depth=1
	v_mov_b32_e32 v6, 1
	s_xor_b64 s[6:7], s[14:15], -1
	v_mov_b32_e32 v8, 1
	v_mov_b32_e32 v7, 0
	s_mov_b64 s[8:9], 0
	s_and_saveexec_b64 s[2:3], s[6:7]
	s_cbranch_execz .LBB94_131
; %bb.123:                              ;   in Loop: Header=BB94_23 Depth=1
	v_cmp_le_u64_e32 vcc, v[18:19], v[2:3]
	s_and_saveexec_b64 s[6:7], vcc
	s_xor_b64 s[6:7], exec, s[6:7]
	s_cbranch_execz .LBB94_128
; %bb.124:                              ;   in Loop: Header=BB94_23 Depth=1
	ds_read_b64 v[6:7], v10 offset:5120
	v_and_b32_e32 v29, s50, v29
	v_or_b32_e32 v34, s60, v34
	s_waitcnt lgkmcnt(0)
	v_cmp_ne_u64_e32 vcc, 0, v[6:7]
	s_cbranch_vccnz .LBB94_128
; %bb.125:                              ;   in Loop: Header=BB94_23 Depth=1
	s_mov_b64 s[8:9], exec
	v_readlane_b32 s14, v47, 16
	v_readlane_b32 s15, v47, 17
	s_and_b64 s[14:15], s[8:9], s[14:15]
	s_mov_b64 exec, s[14:15]
; %bb.126:                              ;   in Loop: Header=BB94_23 Depth=1
	ds_write_b64 v10, v[2:3] offset:5128
; %bb.127:                              ;   in Loop: Header=BB94_23 Depth=1
	s_or_b64 exec, exec, s[8:9]
	s_waitcnt lgkmcnt(0)
	s_barrier
.LBB94_128:                             ;   in Loop: Header=BB94_23 Depth=1
	s_or_saveexec_b64 s[6:7], s[6:7]
	s_mov_b64 s[8:9], 0
	v_mov_b32_e32 v8, 8
	s_xor_b64 exec, exec, s[6:7]
; %bb.129:                              ;   in Loop: Header=BB94_23 Depth=1
	v_sub_co_u32_e32 v18, vcc, v18, v2
	s_mov_b64 s[8:9], exec
	v_subb_co_u32_e32 v19, vcc, v19, v3, vcc
	v_mov_b32_e32 v8, 0
; %bb.130:                              ;   in Loop: Header=BB94_23 Depth=1
	s_or_b64 exec, exec, s[6:7]
	v_mov_b32_e32 v6, v18
	s_and_b64 s[8:9], s[8:9], exec
	v_mov_b32_e32 v7, v19
.LBB94_131:                             ;   in Loop: Header=BB94_23 Depth=1
	s_or_b64 exec, exec, s[2:3]
	s_mov_b64 s[14:15], -1
	s_mov_b64 s[2:3], -1
                                        ; implicit-def: $sgpr6_sgpr7
                                        ; implicit-def: $sgpr20_sgpr21
	s_and_saveexec_b64 s[16:17], s[8:9]
	s_xor_b64 s[16:17], exec, s[16:17]
	s_cbranch_execz .LBB94_276
; %bb.132:                              ;   in Loop: Header=BB94_23 Depth=1
	v_cmp_eq_u64_e32 vcc, 1, v[4:5]
	v_cmp_eq_u64_e64 s[6:7], 1, v[6:7]
                                        ; implicit-def: $sgpr20_sgpr21
	s_and_b64 s[24:25], vcc, s[6:7]
                                        ; implicit-def: $sgpr6_sgpr7
	s_and_saveexec_b64 s[22:23], s[24:25]
	s_cbranch_execz .LBB94_169
; %bb.133:                              ;   in Loop: Header=BB94_23 Depth=1
	ds_read_b64 v[2:3], v10 offset:5120
	s_waitcnt lgkmcnt(0)
	s_barrier
	v_readfirstlane_b32 s8, v2
	v_readfirstlane_b32 s9, v3
	s_and_saveexec_b64 s[2:3], s[26:27]
; %bb.134:                              ;   in Loop: Header=BB94_23 Depth=1
	ds_write_b32 v23, v10
; %bb.135:                              ;   in Loop: Header=BB94_23 Depth=1
	s_or_b64 exec, exec, s[2:3]
	v_and_b32_e32 v2, s50, v29
	v_lshl_or_b32 v29, 1, s95, v2
	v_or_b32_e32 v34, s60, v34
	s_mov_b64 s[6:7], -1
	s_mov_b64 s[20:21], 0
	s_cmp_eq_u64 s[8:9], 0
	s_mov_b64 s[2:3], 0
	s_mov_b64 s[28:29], -1
	s_waitcnt lgkmcnt(0)
	s_barrier
                                        ; implicit-def: $vgpr17
	s_cbranch_scc1 .LBB94_154
; %bb.136:                              ;   in Loop: Header=BB94_23 Depth=1
	v_readlane_b32 s2, v47, 42
	s_add_u32 s34, s8, s2
	v_readlane_b32 s2, v47, 43
	s_addc_u32 s3, s9, s2
	s_mov_b32 s2, s91
	s_cmp_lg_u64 s[2:3], 0
	s_cbranch_scc0 .LBB94_196
; %bb.137:                              ;   in Loop: Header=BB94_23 Depth=1
	v_cvt_f32_u32_e32 v2, s73
	s_sub_u32 s2, 0, s73
	s_subb_u32 s30, 0, 0
	v_mac_f32_e32 v2, 0, v32
	v_rcp_f32_e32 v2, v2
	v_mul_f32_e32 v2, 0x5f7ffffc, v2
	v_mul_f32_e32 v3, 0x2f800000, v2
	v_trunc_f32_e32 v3, v3
	v_mac_f32_e32 v2, 0xcf800000, v3
	v_cvt_u32_f32_e32 v3, v3
	v_cvt_u32_f32_e32 v2, v2
	v_readfirstlane_b32 s31, v3
	v_readfirstlane_b32 s28, v2
	s_mul_i32 s29, s2, s31
	s_mul_hi_u32 s36, s2, s28
	s_mul_i32 s35, s30, s28
	s_add_i32 s29, s36, s29
	s_mul_i32 s37, s2, s28
	s_add_i32 s29, s29, s35
	s_mul_hi_u32 s36, s28, s37
	s_mul_i32 s38, s28, s29
	s_mul_hi_u32 s35, s28, s29
	s_add_u32 s36, s36, s38
	s_addc_u32 s35, 0, s35
	s_mul_hi_u32 s39, s31, s37
	s_mul_i32 s37, s31, s37
	s_add_u32 s36, s36, s37
	s_mul_hi_u32 s38, s31, s29
	s_addc_u32 s35, s35, s39
	s_addc_u32 s36, s38, 0
	s_mul_i32 s29, s31, s29
	s_add_u32 s29, s35, s29
	s_addc_u32 s35, 0, s36
	s_add_u32 s36, s28, s29
	s_cselect_b64 s[28:29], -1, 0
	s_cmp_lg_u64 s[28:29], 0
	s_addc_u32 s31, s31, s35
	s_mul_i32 s28, s2, s31
	s_mul_hi_u32 s29, s2, s36
	s_add_i32 s28, s29, s28
	s_mul_i32 s30, s30, s36
	s_add_i32 s28, s28, s30
	s_mul_i32 s2, s2, s36
	s_mul_hi_u32 s30, s31, s2
	s_mul_i32 s35, s31, s2
	s_mul_i32 s38, s36, s28
	s_mul_hi_u32 s2, s36, s2
	s_mul_hi_u32 s37, s36, s28
	s_add_u32 s2, s2, s38
	s_addc_u32 s37, 0, s37
	s_add_u32 s2, s2, s35
	s_mul_hi_u32 s29, s31, s28
	s_addc_u32 s2, s37, s30
	s_addc_u32 s29, s29, 0
	s_mul_i32 s28, s31, s28
	s_add_u32 s2, s2, s28
	s_addc_u32 s30, 0, s29
	s_add_u32 s2, s36, s2
	s_cselect_b64 s[28:29], -1, 0
	s_cmp_lg_u64 s[28:29], 0
	s_addc_u32 s28, s31, s30
	s_mul_i32 s30, s34, s28
	s_mul_hi_u32 s31, s34, s2
	s_mul_hi_u32 s29, s34, s28
	s_add_u32 s30, s31, s30
	s_addc_u32 s29, 0, s29
	s_mul_hi_u32 s35, s3, s2
	s_mul_i32 s2, s3, s2
	s_add_u32 s2, s30, s2
	s_mul_hi_u32 s31, s3, s28
	s_addc_u32 s2, s29, s35
	s_addc_u32 s29, s31, 0
	s_mul_i32 s28, s3, s28
	s_add_u32 s2, s2, s28
	s_addc_u32 s28, 0, s29
	s_mul_i32 s28, s73, s28
	s_mul_hi_u32 s29, s73, s2
	s_add_i32 s30, s29, s28
	s_mul_i32 s2, s73, s2
	s_sub_u32 s2, s34, s2
	s_cselect_b64 s[28:29], -1, 0
	s_cmp_lg_u64 s[28:29], 0
	s_subb_u32 s30, s3, s30
	s_sub_u32 s31, s2, s73
	s_cselect_b64 s[28:29], -1, 0
	s_cmp_lg_u64 s[28:29], 0
	s_subb_u32 s35, s30, 0
	;; [unrolled: 4-line block ×3, first 2 shown]
	s_cmp_ge_u32 s31, s73
	s_cselect_b32 s29, -1, 0
	s_cmp_eq_u32 s35, 0
	s_cselect_b32 s29, s29, -1
	s_cmp_lg_u32 s29, 0
	s_cselect_b32 s28, s28, s35
	s_cselect_b32 s31, s36, s31
	s_cmp_ge_u32 s2, s73
	s_cselect_b32 s29, -1, 0
	s_cmp_eq_u32 s30, 0
	s_cselect_b32 s29, s29, -1
	s_cmp_lg_u32 s29, 0
	s_cselect_b32 s29, s28, s30
	s_cselect_b32 s28, s31, s2
	s_cbranch_execnz .LBB94_139
.LBB94_138:                             ;   in Loop: Header=BB94_23 Depth=1
	v_cvt_f32_u32_e32 v2, s73
	s_sub_i32 s2, 0, s73
	v_rcp_iflag_f32_e32 v2, v2
	v_mul_f32_e32 v2, 0x4f7ffffe, v2
	v_cvt_u32_f32_e32 v2, v2
	v_readfirstlane_b32 s28, v2
	s_mul_i32 s2, s2, s28
	s_mul_hi_u32 s2, s28, s2
	s_add_i32 s28, s28, s2
	s_mul_hi_u32 s2, s34, s28
	s_mul_i32 s2, s2, s73
	s_sub_i32 s2, s34, s2
	s_sub_i32 s28, s2, s73
	s_cmp_ge_u32 s2, s73
	s_cselect_b32 s2, s28, s2
	s_sub_i32 s28, s2, s73
	s_cmp_ge_u32 s2, s73
	s_cselect_b32 s90, s28, s2
	s_mov_b64 s[28:29], s[90:91]
.LBB94_139:                             ;   in Loop: Header=BB94_23 Depth=1
	s_sub_u32 s34, s34, s28
	s_subb_u32 s35, s3, s29
	v_cmp_gt_u64_e32 vcc, s[34:35], v[0:1]
	s_mov_b64 s[28:29], 0
	s_mov_b64 s[2:3], 0
                                        ; implicit-def: $vgpr17
	s_and_saveexec_b64 s[30:31], vcc
	s_cbranch_execz .LBB94_153
; %bb.140:                              ;   in Loop: Header=BB94_23 Depth=1
	v_mov_b32_e32 v3, v1
	v_mov_b32_e32 v9, v11
	;; [unrolled: 1-line block ×3, first 2 shown]
                                        ; implicit-def: $sgpr36_sgpr37
	s_branch .LBB94_143
.LBB94_141:                             ;   in Loop: Header=BB94_143 Depth=2
	s_or_b64 exec, exec, s[38:39]
	s_waitcnt lgkmcnt(0)
	s_barrier
	ds_read_b64 v[16:17], v10 offset:3072
	s_mov_b64 s[38:39], -1
	s_mov_b64 s[40:41], -1
	s_waitcnt lgkmcnt(0)
	s_barrier
	v_cmp_ne_u32_e32 vcc, 0, v16
	s_cbranch_vccz .LBB94_146
.LBB94_142:                             ;   in Loop: Header=BB94_143 Depth=2
	s_and_b64 s[38:39], exec, s[38:39]
	s_or_b64 s[2:3], s[38:39], s[2:3]
	s_andn2_b64 s[36:37], s[36:37], exec
	s_and_b64 s[38:39], s[40:41], exec
	s_or_b64 s[36:37], s[36:37], s[38:39]
	s_andn2_b64 exec, exec, s[2:3]
	s_cbranch_execz .LBB94_152
.LBB94_143:                             ;   Parent Loop BB94_23 Depth=1
                                        ; =>  This Inner Loop Header: Depth=2
	v_cmp_gt_u64_e32 vcc, s[8:9], v[2:3]
	s_and_saveexec_b64 s[38:39], vcc
	s_cbranch_execz .LBB94_141
; %bb.144:                              ;   in Loop: Header=BB94_143 Depth=2
	ds_read_b32 v16, v9
	s_waitcnt lgkmcnt(0)
	v_xor_b32_e32 v17, 0x80000000, v16
	v_and_b32_e32 v17, v17, v34
	v_cmp_eq_u32_e32 vcc, v17, v29
	s_and_b64 exec, exec, vcc
	s_cbranch_execz .LBB94_141
; %bb.145:                              ;   in Loop: Header=BB94_143 Depth=2
	ds_write_b64 v10, v[15:16] offset:3072
	s_branch .LBB94_141
.LBB94_146:                             ;   in Loop: Header=BB94_143 Depth=2
	v_add_co_u32_e32 v2, vcc, s73, v2
	v_addc_co_u32_e32 v3, vcc, 0, v3, vcc
	v_cmp_le_u64_e32 vcc, s[34:35], v[2:3]
	v_add_u32_e32 v9, s94, v9
	s_mov_b64 s[40:41], 0
	s_orn2_b64 s[38:39], vcc, exec
	s_branch .LBB94_142
.LBB94_147:                             ;   in Loop: Header=BB94_23 Depth=1
                                        ; implicit-def: $sgpr22_sgpr23
	s_branch .LBB94_95
.LBB94_148:                             ;   in Loop: Header=BB94_23 Depth=1
	s_or_b64 exec, exec, s[8:9]
	s_waitcnt lgkmcnt(0)
	s_barrier
	s_mov_b64 s[6:7], exec
	v_readlane_b32 s8, v47, 16
	v_readlane_b32 s9, v47, 17
	s_and_b64 s[8:9], s[6:7], s[8:9]
	s_mov_b64 exec, s[8:9]
	s_cbranch_execz .LBB94_150
; %bb.149:                              ;   in Loop: Header=BB94_23 Depth=1
	ds_read_b32 v2, v10 offset:5144
	s_waitcnt lgkmcnt(0)
	v_ashrrev_i32_e32 v3, 31, v2
	ds_write_b64 v10, v[2:3] offset:5120
.LBB94_150:                             ;   in Loop: Header=BB94_23 Depth=1
	s_or_b64 exec, exec, s[6:7]
	s_waitcnt lgkmcnt(0)
	s_barrier
	s_mov_b64 s[6:7], -1
	s_and_b64 vcc, exec, s[2:3]
	s_cbranch_vccnz .LBB94_39
	s_branch .LBB94_48
.LBB94_151:                             ;   in Loop: Header=BB94_23 Depth=1
                                        ; implicit-def: $sgpr8_sgpr9
	s_branch .LBB94_109
.LBB94_152:                             ;   in Loop: Header=BB94_23 Depth=1
	s_or_b64 exec, exec, s[2:3]
	s_and_b64 s[2:3], s[36:37], exec
.LBB94_153:                             ;   in Loop: Header=BB94_23 Depth=1
	s_or_b64 exec, exec, s[30:31]
.LBB94_154:                             ;   in Loop: Header=BB94_23 Depth=1
	s_and_b64 vcc, exec, s[28:29]
	s_cbranch_vccz .LBB94_168
; %bb.155:                              ;   in Loop: Header=BB94_23 Depth=1
	s_mov_b32 s84, s91
	s_cmp_lg_u64 s[84:85], 0
	s_cbranch_scc0 .LBB94_197
; %bb.156:                              ;   in Loop: Header=BB94_23 Depth=1
	v_cvt_f32_u32_e32 v2, s73
	s_sub_u32 s8, 0, s73
	s_subb_u32 s9, 0, 0
	v_mac_f32_e32 v2, 0, v32
	v_rcp_f32_e32 v2, v2
	v_mul_f32_e32 v2, 0x5f7ffffc, v2
	v_mul_f32_e32 v3, 0x2f800000, v2
	v_trunc_f32_e32 v3, v3
	v_mac_f32_e32 v2, 0xcf800000, v3
	v_cvt_u32_f32_e32 v3, v3
	v_cvt_u32_f32_e32 v2, v2
	v_readfirstlane_b32 s20, v3
	v_readfirstlane_b32 s6, v2
	s_mul_i32 s7, s8, s20
	s_mul_hi_u32 s28, s8, s6
	s_mul_i32 s21, s9, s6
	s_add_i32 s7, s28, s7
	s_mul_i32 s29, s8, s6
	s_add_i32 s7, s7, s21
	s_mul_hi_u32 s28, s6, s29
	s_mul_i32 s30, s6, s7
	s_mul_hi_u32 s21, s6, s7
	s_add_u32 s28, s28, s30
	s_addc_u32 s21, 0, s21
	s_mul_hi_u32 s31, s20, s29
	s_mul_i32 s29, s20, s29
	s_add_u32 s28, s28, s29
	s_mul_hi_u32 s30, s20, s7
	s_addc_u32 s21, s21, s31
	s_addc_u32 s28, s30, 0
	s_mul_i32 s7, s20, s7
	s_add_u32 s7, s21, s7
	s_addc_u32 s21, 0, s28
	s_add_u32 s28, s6, s7
	s_cselect_b64 s[6:7], -1, 0
	s_cmp_lg_u64 s[6:7], 0
	s_addc_u32 s20, s20, s21
	s_mul_i32 s6, s8, s20
	s_mul_hi_u32 s7, s8, s28
	s_add_i32 s6, s7, s6
	s_mul_i32 s9, s9, s28
	s_add_i32 s6, s6, s9
	s_mul_i32 s8, s8, s28
	s_mul_hi_u32 s9, s20, s8
	s_mul_i32 s21, s20, s8
	s_mul_i32 s30, s28, s6
	s_mul_hi_u32 s8, s28, s8
	s_mul_hi_u32 s29, s28, s6
	s_add_u32 s8, s8, s30
	s_addc_u32 s29, 0, s29
	s_add_u32 s8, s8, s21
	s_mul_hi_u32 s7, s20, s6
	s_addc_u32 s8, s29, s9
	s_addc_u32 s7, s7, 0
	s_mul_i32 s6, s20, s6
	s_add_u32 s6, s8, s6
	s_addc_u32 s8, 0, s7
	s_add_u32 s9, s28, s6
	s_cselect_b64 s[6:7], -1, 0
	s_cmp_lg_u64 s[6:7], 0
	s_addc_u32 s6, s20, s8
	s_mul_i32 s8, s0, s6
	s_mul_hi_u32 s20, s0, s9
	s_mul_hi_u32 s7, s0, s6
	s_add_u32 s8, s20, s8
	s_addc_u32 s7, 0, s7
	s_mul_hi_u32 s21, s85, s9
	s_mul_i32 s9, s85, s9
	s_add_u32 s8, s8, s9
	s_mul_hi_u32 s20, s85, s6
	s_addc_u32 s7, s7, s21
	s_addc_u32 s8, s20, 0
	s_mul_i32 s6, s85, s6
	s_add_u32 s6, s7, s6
	s_addc_u32 s7, 0, s8
	s_mul_i32 s7, s73, s7
	s_mul_hi_u32 s8, s73, s6
	s_add_i32 s8, s8, s7
	s_mul_i32 s6, s73, s6
	s_sub_u32 s9, s0, s6
	s_cselect_b64 s[6:7], -1, 0
	s_cmp_lg_u64 s[6:7], 0
	s_subb_u32 s8, s85, s8
	s_sub_u32 s20, s9, s73
	s_cselect_b64 s[6:7], -1, 0
	s_cmp_lg_u64 s[6:7], 0
	s_subb_u32 s21, s8, 0
	;; [unrolled: 4-line block ×3, first 2 shown]
	s_cmp_ge_u32 s20, s73
	s_cselect_b32 s7, -1, 0
	s_cmp_eq_u32 s21, 0
	s_cselect_b32 s7, s7, -1
	s_cmp_lg_u32 s7, 0
	s_cselect_b32 s6, s6, s21
	s_cselect_b32 s20, s28, s20
	s_cmp_ge_u32 s9, s73
	s_cselect_b32 s7, -1, 0
	s_cmp_eq_u32 s8, 0
	s_cselect_b32 s7, s7, -1
	s_cmp_lg_u32 s7, 0
	s_cselect_b32 s7, s6, s8
	s_cselect_b32 s6, s20, s9
	s_cbranch_execnz .LBB94_158
.LBB94_157:                             ;   in Loop: Header=BB94_23 Depth=1
	v_cvt_f32_u32_e32 v2, s73
	s_sub_i32 s6, 0, s73
	v_rcp_iflag_f32_e32 v2, v2
	v_mul_f32_e32 v2, 0x4f7ffffe, v2
	v_cvt_u32_f32_e32 v2, v2
	v_readfirstlane_b32 s7, v2
	s_mul_i32 s6, s6, s7
	s_mul_hi_u32 s6, s7, s6
	s_add_i32 s7, s7, s6
	s_mul_hi_u32 s6, s0, s7
	s_mul_i32 s6, s6, s73
	s_sub_i32 s6, s0, s6
	s_sub_i32 s7, s6, s73
	s_cmp_ge_u32 s6, s73
	s_cselect_b32 s6, s7, s6
	s_sub_i32 s7, s6, s73
	s_cmp_ge_u32 s6, s73
	s_cselect_b32 s90, s7, s6
	s_mov_b64 s[6:7], s[90:91]
.LBB94_158:                             ;   in Loop: Header=BB94_23 Depth=1
	s_sub_u32 s8, s0, s6
	s_subb_u32 s9, s85, s7
	v_cmp_gt_u64_e32 vcc, s[8:9], v[0:1]
                                        ; implicit-def: $vgpr17
	s_and_saveexec_b64 s[6:7], vcc
	s_cbranch_execz .LBB94_167
; %bb.159:                              ;   in Loop: Header=BB94_23 Depth=1
	v_mov_b32_e32 v3, v1
	s_mov_b64 s[20:21], 0
	v_mov_b32_e32 v2, v0
                                        ; implicit-def: $sgpr28_sgpr29
	s_branch .LBB94_162
.LBB94_160:                             ;   in Loop: Header=BB94_162 Depth=2
	s_or_b64 exec, exec, s[30:31]
	s_waitcnt lgkmcnt(0)
	s_barrier
	ds_read_b64 v[16:17], v10 offset:3072
	s_mov_b64 s[30:31], -1
	s_mov_b64 s[34:35], -1
	s_waitcnt lgkmcnt(0)
	s_barrier
	v_cmp_eq_u32_e32 vcc, 0, v16
	s_cbranch_vccnz .LBB94_165
.LBB94_161:                             ;   in Loop: Header=BB94_162 Depth=2
	s_and_b64 s[30:31], exec, s[30:31]
	s_or_b64 s[20:21], s[30:31], s[20:21]
	s_andn2_b64 s[28:29], s[28:29], exec
	s_and_b64 s[30:31], s[34:35], exec
	s_or_b64 s[28:29], s[28:29], s[30:31]
	s_andn2_b64 exec, exec, s[20:21]
	s_cbranch_execz .LBB94_166
.LBB94_162:                             ;   Parent Loop BB94_23 Depth=1
                                        ; =>  This Inner Loop Header: Depth=2
	v_cmp_gt_u64_e32 vcc, s[52:53], v[2:3]
	s_and_saveexec_b64 s[30:31], vcc
	s_cbranch_execz .LBB94_160
; %bb.163:                              ;   in Loop: Header=BB94_162 Depth=2
	v_mul_lo_u32 v9, v3, s80
	v_mul_lo_u32 v18, v2, s81
	v_mad_u64_u32 v[16:17], s[34:35], v2, s80, 0
	v_add3_u32 v17, v17, v18, v9
	v_lshlrev_b64 v[16:17], 2, v[16:17]
	v_mov_b32_e32 v9, s72
	v_add_co_u32_e32 v16, vcc, s33, v16
	v_addc_co_u32_e32 v17, vcc, v9, v17, vcc
	global_load_dword v16, v[16:17], off
	s_waitcnt vmcnt(0)
	v_xor_b32_e32 v9, 0x80000000, v16
	v_and_b32_e32 v9, v9, v34
	v_cmp_eq_u32_e32 vcc, v9, v29
	s_and_b64 exec, exec, vcc
	s_cbranch_execz .LBB94_160
; %bb.164:                              ;   in Loop: Header=BB94_162 Depth=2
	ds_write_b64 v10, v[15:16] offset:3072
	s_branch .LBB94_160
.LBB94_165:                             ;   in Loop: Header=BB94_162 Depth=2
	v_add_co_u32_e32 v2, vcc, s73, v2
	v_addc_co_u32_e32 v3, vcc, 0, v3, vcc
	v_cmp_le_u64_e32 vcc, s[8:9], v[2:3]
	s_mov_b64 s[34:35], 0
	s_orn2_b64 s[30:31], vcc, exec
	s_branch .LBB94_161
.LBB94_166:                             ;   in Loop: Header=BB94_23 Depth=1
	s_or_b64 exec, exec, s[20:21]
	s_andn2_b64 s[2:3], s[2:3], exec
	s_and_b64 s[8:9], s[28:29], exec
	s_or_b64 s[2:3], s[2:3], s[8:9]
.LBB94_167:                             ;   in Loop: Header=BB94_23 Depth=1
	s_or_b64 exec, exec, s[6:7]
	s_mov_b64 s[6:7], 0
	s_mov_b64 s[20:21], -1
.LBB94_168:                             ;   in Loop: Header=BB94_23 Depth=1
	s_orn2_b64 s[2:3], s[2:3], exec
.LBB94_169:                             ;   in Loop: Header=BB94_23 Depth=1
	s_or_b64 exec, exec, s[22:23]
	s_mov_b64 s[8:9], 0
	s_and_saveexec_b64 s[22:23], s[2:3]
	s_cbranch_execz .LBB94_275
; %bb.170:                              ;   in Loop: Header=BB94_23 Depth=1
	v_mov_b32_e32 v2, 1
	s_xor_b64 s[24:25], s[24:25], -1
	v_mov_b32_e32 v8, 1
	v_mov_b32_e32 v3, 0
	s_and_saveexec_b64 s[2:3], s[24:25]
	s_cbranch_execz .LBB94_180
; %bb.171:                              ;   in Loop: Header=BB94_23 Depth=1
	v_cmp_le_u64_e32 vcc, v[6:7], v[4:5]
	s_and_saveexec_b64 s[8:9], vcc
	s_xor_b64 s[8:9], exec, s[8:9]
	s_cbranch_execz .LBB94_177
; %bb.172:                              ;   in Loop: Header=BB94_23 Depth=1
	ds_read_b64 v[2:3], v10 offset:5120
	v_and_b32_e32 v8, s50, v29
	v_lshl_or_b32 v29, 1, s95, v8
	v_or_b32_e32 v34, s60, v34
	s_waitcnt lgkmcnt(0)
	v_cmp_ne_u64_e32 vcc, 0, v[2:3]
	s_cbranch_vccnz .LBB94_176
; %bb.173:                              ;   in Loop: Header=BB94_23 Depth=1
	s_mov_b64 s[24:25], exec
	v_readlane_b32 s28, v47, 16
	v_readlane_b32 s29, v47, 17
	s_and_b64 s[28:29], s[24:25], s[28:29]
	s_mov_b64 exec, s[28:29]
; %bb.174:                              ;   in Loop: Header=BB94_23 Depth=1
	ds_write_b64 v10, v[4:5] offset:5128
; %bb.175:                              ;   in Loop: Header=BB94_23 Depth=1
	s_or_b64 exec, exec, s[24:25]
	s_waitcnt lgkmcnt(0)
	s_barrier
.LBB94_176:                             ;   in Loop: Header=BB94_23 Depth=1
                                        ; implicit-def: $vgpr2_vgpr3_vgpr4_vgpr5
.LBB94_177:                             ;   in Loop: Header=BB94_23 Depth=1
	s_or_saveexec_b64 s[8:9], s[8:9]
	s_mov_b64 s[24:25], 0
	v_mov_b32_e32 v8, 8
	s_xor_b64 exec, exec, s[8:9]
; %bb.178:                              ;   in Loop: Header=BB94_23 Depth=1
	v_sub_co_u32_e32 v6, vcc, v6, v4
	s_mov_b64 s[24:25], exec
	v_subb_co_u32_e32 v7, vcc, v7, v5, vcc
	v_mov_b32_e32 v8, 0
; %bb.179:                              ;   in Loop: Header=BB94_23 Depth=1
	s_or_b64 exec, exec, s[8:9]
	v_mov_b32_e32 v2, v6
	s_and_b64 s[8:9], s[24:25], exec
	v_mov_b32_e32 v3, v7
.LBB94_180:                             ;   in Loop: Header=BB94_23 Depth=1
	s_or_b64 exec, exec, s[2:3]
	s_mov_b64 s[2:3], -1
                                        ; implicit-def: $sgpr28_sgpr29
                                        ; implicit-def: $sgpr30_sgpr31
	s_and_saveexec_b64 s[24:25], s[8:9]
	s_cbranch_execz .LBB94_274
; %bb.181:                              ;   in Loop: Header=BB94_23 Depth=1
	s_cmp_eq_u64 s[18:19], 1
	v_cmp_eq_u64_e32 vcc, 1, v[2:3]
	s_cselect_b64 s[2:3], -1, 0
	s_and_b64 s[36:37], s[2:3], vcc
	s_mov_b64 s[2:3], -1
                                        ; implicit-def: $sgpr30_sgpr31
                                        ; implicit-def: $sgpr28_sgpr29
	s_and_saveexec_b64 s[34:35], s[36:37]
	s_cbranch_execz .LBB94_215
; %bb.182:                              ;   in Loop: Header=BB94_23 Depth=1
	ds_read_b64 v[4:5], v10 offset:5120
	s_waitcnt lgkmcnt(0)
	s_barrier
	v_readfirstlane_b32 s8, v4
	v_readfirstlane_b32 s9, v5
	s_and_saveexec_b64 s[2:3], s[26:27]
; %bb.183:                              ;   in Loop: Header=BB94_23 Depth=1
	ds_write_b32 v23, v10
; %bb.184:                              ;   in Loop: Header=BB94_23 Depth=1
	s_or_b64 exec, exec, s[2:3]
	v_and_b32_e32 v4, s50, v29
	v_lshl_or_b32 v29, 2, s95, v4
	v_or_b32_e32 v34, s60, v34
	s_mov_b64 s[28:29], -1
	s_mov_b64 s[30:31], 0
	s_cmp_eq_u64 s[8:9], 0
	s_mov_b64 s[2:3], 0
	s_mov_b64 s[38:39], -1
	s_waitcnt lgkmcnt(0)
	s_barrier
                                        ; implicit-def: $vgpr17
	s_cbranch_scc1 .LBB94_200
; %bb.185:                              ;   in Loop: Header=BB94_23 Depth=1
	v_readlane_b32 s2, v47, 42
	s_add_u32 s42, s8, s2
	v_readlane_b32 s2, v47, 43
	s_addc_u32 s3, s9, s2
	s_mov_b32 s2, s91
	s_cmp_lg_u64 s[2:3], 0
	s_cbranch_scc0 .LBB94_241
; %bb.186:                              ;   in Loop: Header=BB94_23 Depth=1
	v_cvt_f32_u32_e32 v4, s73
	s_sub_u32 s2, 0, s73
	s_subb_u32 s40, 0, 0
	v_mac_f32_e32 v4, 0, v32
	v_rcp_f32_e32 v4, v4
	v_mul_f32_e32 v4, 0x5f7ffffc, v4
	v_mul_f32_e32 v5, 0x2f800000, v4
	v_trunc_f32_e32 v5, v5
	v_mac_f32_e32 v4, 0xcf800000, v5
	v_cvt_u32_f32_e32 v5, v5
	v_cvt_u32_f32_e32 v4, v4
	v_readfirstlane_b32 s41, v5
	v_readfirstlane_b32 s38, v4
	s_mul_i32 s39, s2, s41
	s_mul_hi_u32 s44, s2, s38
	s_mul_i32 s43, s40, s38
	s_add_i32 s39, s44, s39
	s_mul_i32 s45, s2, s38
	s_add_i32 s39, s39, s43
	s_mul_hi_u32 s44, s38, s45
	s_mul_i32 s46, s38, s39
	s_mul_hi_u32 s43, s38, s39
	s_add_u32 s44, s44, s46
	s_addc_u32 s43, 0, s43
	s_mul_hi_u32 s47, s41, s45
	s_mul_i32 s45, s41, s45
	s_add_u32 s44, s44, s45
	s_mul_hi_u32 s46, s41, s39
	s_addc_u32 s43, s43, s47
	s_addc_u32 s44, s46, 0
	s_mul_i32 s39, s41, s39
	s_add_u32 s39, s43, s39
	s_addc_u32 s43, 0, s44
	s_add_u32 s44, s38, s39
	s_cselect_b64 s[38:39], -1, 0
	s_cmp_lg_u64 s[38:39], 0
	s_addc_u32 s41, s41, s43
	s_mul_i32 s38, s2, s41
	s_mul_hi_u32 s39, s2, s44
	s_add_i32 s38, s39, s38
	s_mul_i32 s40, s40, s44
	s_add_i32 s38, s38, s40
	s_mul_i32 s2, s2, s44
	s_mul_hi_u32 s40, s41, s2
	s_mul_i32 s43, s41, s2
	s_mul_i32 s46, s44, s38
	s_mul_hi_u32 s2, s44, s2
	s_mul_hi_u32 s45, s44, s38
	s_add_u32 s2, s2, s46
	s_addc_u32 s45, 0, s45
	s_add_u32 s2, s2, s43
	s_mul_hi_u32 s39, s41, s38
	s_addc_u32 s2, s45, s40
	s_addc_u32 s39, s39, 0
	s_mul_i32 s38, s41, s38
	s_add_u32 s2, s2, s38
	s_addc_u32 s40, 0, s39
	s_add_u32 s2, s44, s2
	s_cselect_b64 s[38:39], -1, 0
	s_cmp_lg_u64 s[38:39], 0
	s_addc_u32 s38, s41, s40
	s_mul_i32 s40, s42, s38
	s_mul_hi_u32 s41, s42, s2
	s_mul_hi_u32 s39, s42, s38
	s_add_u32 s40, s41, s40
	s_addc_u32 s39, 0, s39
	s_mul_hi_u32 s43, s3, s2
	s_mul_i32 s2, s3, s2
	s_add_u32 s2, s40, s2
	s_mul_hi_u32 s41, s3, s38
	s_addc_u32 s2, s39, s43
	s_addc_u32 s39, s41, 0
	s_mul_i32 s38, s3, s38
	s_add_u32 s2, s2, s38
	s_addc_u32 s38, 0, s39
	s_mul_i32 s38, s73, s38
	s_mul_hi_u32 s39, s73, s2
	s_add_i32 s40, s39, s38
	s_mul_i32 s2, s73, s2
	s_sub_u32 s2, s42, s2
	s_cselect_b64 s[38:39], -1, 0
	s_cmp_lg_u64 s[38:39], 0
	s_subb_u32 s40, s3, s40
	s_sub_u32 s41, s2, s73
	s_cselect_b64 s[38:39], -1, 0
	s_cmp_lg_u64 s[38:39], 0
	s_subb_u32 s43, s40, 0
	;; [unrolled: 4-line block ×3, first 2 shown]
	s_cmp_ge_u32 s41, s73
	s_cselect_b32 s39, -1, 0
	s_cmp_eq_u32 s43, 0
	s_cselect_b32 s39, s39, -1
	s_cmp_lg_u32 s39, 0
	s_cselect_b32 s38, s38, s43
	s_cselect_b32 s41, s44, s41
	s_cmp_ge_u32 s2, s73
	s_cselect_b32 s39, -1, 0
	s_cmp_eq_u32 s40, 0
	s_cselect_b32 s39, s39, -1
	s_cmp_lg_u32 s39, 0
	s_cselect_b32 s39, s38, s40
	s_cselect_b32 s38, s41, s2
	s_cbranch_execnz .LBB94_188
.LBB94_187:                             ;   in Loop: Header=BB94_23 Depth=1
	v_cvt_f32_u32_e32 v4, s73
	s_sub_i32 s2, 0, s73
	v_rcp_iflag_f32_e32 v4, v4
	v_mul_f32_e32 v4, 0x4f7ffffe, v4
	v_cvt_u32_f32_e32 v4, v4
	v_readfirstlane_b32 s38, v4
	s_mul_i32 s2, s2, s38
	s_mul_hi_u32 s2, s38, s2
	s_add_i32 s38, s38, s2
	s_mul_hi_u32 s2, s42, s38
	s_mul_i32 s2, s2, s73
	s_sub_i32 s2, s42, s2
	s_sub_i32 s38, s2, s73
	s_cmp_ge_u32 s2, s73
	s_cselect_b32 s2, s38, s2
	s_sub_i32 s38, s2, s73
	s_cmp_ge_u32 s2, s73
	s_cselect_b32 s90, s38, s2
	s_mov_b64 s[38:39], s[90:91]
.LBB94_188:                             ;   in Loop: Header=BB94_23 Depth=1
	s_sub_u32 s42, s42, s38
	s_subb_u32 s43, s3, s39
	v_cmp_gt_u64_e32 vcc, s[42:43], v[0:1]
	s_mov_b64 s[38:39], 0
	s_mov_b64 s[2:3], 0
                                        ; implicit-def: $vgpr17
	s_and_saveexec_b64 s[40:41], vcc
	s_cbranch_execz .LBB94_199
; %bb.189:                              ;   in Loop: Header=BB94_23 Depth=1
	v_mov_b32_e32 v5, v1
	v_mov_b32_e32 v6, v11
	;; [unrolled: 1-line block ×3, first 2 shown]
                                        ; implicit-def: $sgpr44_sgpr45
	s_branch .LBB94_192
.LBB94_190:                             ;   in Loop: Header=BB94_192 Depth=2
	s_or_b64 exec, exec, s[46:47]
	s_waitcnt lgkmcnt(0)
	s_barrier
	ds_read_b64 v[16:17], v10 offset:3072
	s_mov_b64 s[46:47], -1
	s_mov_b64 s[48:49], -1
	s_waitcnt lgkmcnt(0)
	s_barrier
	v_cmp_ne_u32_e32 vcc, 0, v16
	s_cbranch_vccz .LBB94_195
.LBB94_191:                             ;   in Loop: Header=BB94_192 Depth=2
	s_and_b64 s[46:47], exec, s[46:47]
	s_or_b64 s[2:3], s[46:47], s[2:3]
	s_andn2_b64 s[44:45], s[44:45], exec
	s_and_b64 s[46:47], s[48:49], exec
	s_or_b64 s[44:45], s[44:45], s[46:47]
	s_andn2_b64 exec, exec, s[2:3]
	s_cbranch_execz .LBB94_198
.LBB94_192:                             ;   Parent Loop BB94_23 Depth=1
                                        ; =>  This Inner Loop Header: Depth=2
	v_cmp_gt_u64_e32 vcc, s[8:9], v[4:5]
	s_and_saveexec_b64 s[46:47], vcc
	s_cbranch_execz .LBB94_190
; %bb.193:                              ;   in Loop: Header=BB94_192 Depth=2
	ds_read_b32 v16, v6
	s_waitcnt lgkmcnt(0)
	v_xor_b32_e32 v7, 0x80000000, v16
	v_and_b32_e32 v7, v7, v34
	v_cmp_eq_u32_e32 vcc, v7, v29
	s_and_b64 exec, exec, vcc
	s_cbranch_execz .LBB94_190
; %bb.194:                              ;   in Loop: Header=BB94_192 Depth=2
	ds_write_b64 v10, v[15:16] offset:3072
	s_branch .LBB94_190
.LBB94_195:                             ;   in Loop: Header=BB94_192 Depth=2
	v_add_co_u32_e32 v4, vcc, s73, v4
	v_addc_co_u32_e32 v5, vcc, 0, v5, vcc
	v_cmp_le_u64_e32 vcc, s[42:43], v[4:5]
	v_add_u32_e32 v6, s94, v6
	s_mov_b64 s[48:49], 0
	s_orn2_b64 s[46:47], vcc, exec
	s_branch .LBB94_191
.LBB94_196:                             ;   in Loop: Header=BB94_23 Depth=1
                                        ; implicit-def: $sgpr28_sgpr29
	s_branch .LBB94_138
.LBB94_197:                             ;   in Loop: Header=BB94_23 Depth=1
                                        ; implicit-def: $sgpr6_sgpr7
	s_branch .LBB94_157
.LBB94_198:                             ;   in Loop: Header=BB94_23 Depth=1
	s_or_b64 exec, exec, s[2:3]
	s_and_b64 s[2:3], s[44:45], exec
.LBB94_199:                             ;   in Loop: Header=BB94_23 Depth=1
	s_or_b64 exec, exec, s[40:41]
.LBB94_200:                             ;   in Loop: Header=BB94_23 Depth=1
	s_and_b64 vcc, exec, s[38:39]
	s_cbranch_vccz .LBB94_214
; %bb.201:                              ;   in Loop: Header=BB94_23 Depth=1
	s_mov_b32 s84, s91
	s_cmp_lg_u64 s[84:85], 0
	s_cbranch_scc0 .LBB94_242
; %bb.202:                              ;   in Loop: Header=BB94_23 Depth=1
	v_cvt_f32_u32_e32 v4, s73
	s_sub_u32 s28, 0, s73
	s_subb_u32 s29, 0, 0
	v_mac_f32_e32 v4, 0, v32
	v_rcp_f32_e32 v4, v4
	v_mul_f32_e32 v4, 0x5f7ffffc, v4
	v_mul_f32_e32 v5, 0x2f800000, v4
	v_trunc_f32_e32 v5, v5
	v_mac_f32_e32 v4, 0xcf800000, v5
	v_cvt_u32_f32_e32 v5, v5
	v_cvt_u32_f32_e32 v4, v4
	v_readfirstlane_b32 s30, v5
	v_readfirstlane_b32 s8, v4
	s_mul_i32 s9, s28, s30
	s_mul_hi_u32 s38, s28, s8
	s_mul_i32 s31, s29, s8
	s_add_i32 s9, s38, s9
	s_mul_i32 s39, s28, s8
	s_add_i32 s9, s9, s31
	s_mul_hi_u32 s38, s8, s39
	s_mul_i32 s40, s8, s9
	s_mul_hi_u32 s31, s8, s9
	s_add_u32 s38, s38, s40
	s_addc_u32 s31, 0, s31
	s_mul_hi_u32 s41, s30, s39
	s_mul_i32 s39, s30, s39
	s_add_u32 s38, s38, s39
	s_mul_hi_u32 s40, s30, s9
	s_addc_u32 s31, s31, s41
	s_addc_u32 s38, s40, 0
	s_mul_i32 s9, s30, s9
	s_add_u32 s9, s31, s9
	s_addc_u32 s31, 0, s38
	s_add_u32 s38, s8, s9
	s_cselect_b64 s[8:9], -1, 0
	s_cmp_lg_u64 s[8:9], 0
	s_addc_u32 s30, s30, s31
	s_mul_i32 s8, s28, s30
	s_mul_hi_u32 s9, s28, s38
	s_add_i32 s8, s9, s8
	s_mul_i32 s29, s29, s38
	s_add_i32 s8, s8, s29
	s_mul_i32 s28, s28, s38
	s_mul_hi_u32 s29, s30, s28
	s_mul_i32 s31, s30, s28
	s_mul_i32 s40, s38, s8
	s_mul_hi_u32 s28, s38, s28
	s_mul_hi_u32 s39, s38, s8
	s_add_u32 s28, s28, s40
	s_addc_u32 s39, 0, s39
	s_add_u32 s28, s28, s31
	s_mul_hi_u32 s9, s30, s8
	s_addc_u32 s28, s39, s29
	s_addc_u32 s9, s9, 0
	s_mul_i32 s8, s30, s8
	s_add_u32 s8, s28, s8
	s_addc_u32 s28, 0, s9
	s_add_u32 s29, s38, s8
	s_cselect_b64 s[8:9], -1, 0
	s_cmp_lg_u64 s[8:9], 0
	s_addc_u32 s8, s30, s28
	s_mul_i32 s28, s0, s8
	s_mul_hi_u32 s30, s0, s29
	s_mul_hi_u32 s9, s0, s8
	s_add_u32 s28, s30, s28
	s_addc_u32 s9, 0, s9
	s_mul_hi_u32 s31, s85, s29
	s_mul_i32 s29, s85, s29
	s_add_u32 s28, s28, s29
	s_mul_hi_u32 s30, s85, s8
	s_addc_u32 s9, s9, s31
	s_addc_u32 s28, s30, 0
	s_mul_i32 s8, s85, s8
	s_add_u32 s8, s9, s8
	s_addc_u32 s9, 0, s28
	s_mul_i32 s9, s73, s9
	s_mul_hi_u32 s28, s73, s8
	s_add_i32 s28, s28, s9
	s_mul_i32 s8, s73, s8
	s_sub_u32 s29, s0, s8
	s_cselect_b64 s[8:9], -1, 0
	s_cmp_lg_u64 s[8:9], 0
	s_subb_u32 s28, s85, s28
	s_sub_u32 s30, s29, s73
	s_cselect_b64 s[8:9], -1, 0
	s_cmp_lg_u64 s[8:9], 0
	s_subb_u32 s31, s28, 0
	;; [unrolled: 4-line block ×3, first 2 shown]
	s_cmp_ge_u32 s30, s73
	s_cselect_b32 s9, -1, 0
	s_cmp_eq_u32 s31, 0
	s_cselect_b32 s9, s9, -1
	s_cmp_lg_u32 s9, 0
	s_cselect_b32 s8, s8, s31
	s_cselect_b32 s30, s38, s30
	s_cmp_ge_u32 s29, s73
	s_cselect_b32 s9, -1, 0
	s_cmp_eq_u32 s28, 0
	s_cselect_b32 s9, s9, -1
	s_cmp_lg_u32 s9, 0
	s_cselect_b32 s9, s8, s28
	s_cselect_b32 s8, s30, s29
	s_cbranch_execnz .LBB94_204
.LBB94_203:                             ;   in Loop: Header=BB94_23 Depth=1
	v_cvt_f32_u32_e32 v4, s73
	s_sub_i32 s8, 0, s73
	v_rcp_iflag_f32_e32 v4, v4
	v_mul_f32_e32 v4, 0x4f7ffffe, v4
	v_cvt_u32_f32_e32 v4, v4
	v_readfirstlane_b32 s9, v4
	s_mul_i32 s8, s8, s9
	s_mul_hi_u32 s8, s9, s8
	s_add_i32 s9, s9, s8
	s_mul_hi_u32 s8, s0, s9
	s_mul_i32 s8, s8, s73
	s_sub_i32 s8, s0, s8
	s_sub_i32 s9, s8, s73
	s_cmp_ge_u32 s8, s73
	s_cselect_b32 s8, s9, s8
	s_sub_i32 s9, s8, s73
	s_cmp_ge_u32 s8, s73
	s_cselect_b32 s90, s9, s8
	s_mov_b64 s[8:9], s[90:91]
.LBB94_204:                             ;   in Loop: Header=BB94_23 Depth=1
	s_sub_u32 s28, s0, s8
	s_subb_u32 s29, s85, s9
	v_cmp_gt_u64_e32 vcc, s[28:29], v[0:1]
                                        ; implicit-def: $vgpr17
	s_and_saveexec_b64 s[8:9], vcc
	s_cbranch_execz .LBB94_213
; %bb.205:                              ;   in Loop: Header=BB94_23 Depth=1
	v_mov_b32_e32 v5, v1
	s_mov_b64 s[30:31], 0
	v_mov_b32_e32 v4, v0
                                        ; implicit-def: $sgpr38_sgpr39
	s_branch .LBB94_208
.LBB94_206:                             ;   in Loop: Header=BB94_208 Depth=2
	s_or_b64 exec, exec, s[40:41]
	s_waitcnt lgkmcnt(0)
	s_barrier
	ds_read_b64 v[16:17], v10 offset:3072
	s_mov_b64 s[40:41], -1
	s_mov_b64 s[42:43], -1
	s_waitcnt lgkmcnt(0)
	s_barrier
	v_cmp_eq_u32_e32 vcc, 0, v16
	s_cbranch_vccnz .LBB94_211
.LBB94_207:                             ;   in Loop: Header=BB94_208 Depth=2
	s_and_b64 s[40:41], exec, s[40:41]
	s_or_b64 s[30:31], s[40:41], s[30:31]
	s_andn2_b64 s[38:39], s[38:39], exec
	s_and_b64 s[40:41], s[42:43], exec
	s_or_b64 s[38:39], s[38:39], s[40:41]
	s_andn2_b64 exec, exec, s[30:31]
	s_cbranch_execz .LBB94_212
.LBB94_208:                             ;   Parent Loop BB94_23 Depth=1
                                        ; =>  This Inner Loop Header: Depth=2
	v_cmp_gt_u64_e32 vcc, s[52:53], v[4:5]
	s_and_saveexec_b64 s[40:41], vcc
	s_cbranch_execz .LBB94_206
; %bb.209:                              ;   in Loop: Header=BB94_208 Depth=2
	v_mul_lo_u32 v9, v5, s80
	v_mul_lo_u32 v16, v4, s81
	v_mad_u64_u32 v[6:7], s[42:43], v4, s80, 0
	v_add3_u32 v7, v7, v16, v9
	v_lshlrev_b64 v[6:7], 2, v[6:7]
	v_mov_b32_e32 v9, s72
	v_add_co_u32_e32 v6, vcc, s33, v6
	v_addc_co_u32_e32 v7, vcc, v9, v7, vcc
	global_load_dword v16, v[6:7], off
	s_waitcnt vmcnt(0)
	v_xor_b32_e32 v6, 0x80000000, v16
	v_and_b32_e32 v6, v6, v34
	v_cmp_eq_u32_e32 vcc, v6, v29
	s_and_b64 exec, exec, vcc
	s_cbranch_execz .LBB94_206
; %bb.210:                              ;   in Loop: Header=BB94_208 Depth=2
	ds_write_b64 v10, v[15:16] offset:3072
	s_branch .LBB94_206
.LBB94_211:                             ;   in Loop: Header=BB94_208 Depth=2
	v_add_co_u32_e32 v4, vcc, s73, v4
	v_addc_co_u32_e32 v5, vcc, 0, v5, vcc
	v_cmp_le_u64_e32 vcc, s[28:29], v[4:5]
	s_mov_b64 s[42:43], 0
	s_orn2_b64 s[40:41], vcc, exec
	s_branch .LBB94_207
.LBB94_212:                             ;   in Loop: Header=BB94_23 Depth=1
	s_or_b64 exec, exec, s[30:31]
	s_andn2_b64 s[2:3], s[2:3], exec
	s_and_b64 s[28:29], s[38:39], exec
	s_or_b64 s[2:3], s[2:3], s[28:29]
.LBB94_213:                             ;   in Loop: Header=BB94_23 Depth=1
	s_or_b64 exec, exec, s[8:9]
	s_mov_b64 s[28:29], 0
	s_mov_b64 s[30:31], -1
.LBB94_214:                             ;   in Loop: Header=BB94_23 Depth=1
	s_orn2_b64 s[2:3], s[2:3], exec
.LBB94_215:                             ;   in Loop: Header=BB94_23 Depth=1
	s_or_b64 exec, exec, s[34:35]
	s_mov_b64 s[8:9], 0
	s_and_saveexec_b64 s[34:35], s[2:3]
	s_cbranch_execz .LBB94_273
; %bb.216:                              ;   in Loop: Header=BB94_23 Depth=1
	v_mov_b32_e32 v4, 1
	s_xor_b64 s[36:37], s[36:37], -1
	v_mov_b32_e32 v8, 1
	v_mov_b32_e32 v5, 0
	s_and_saveexec_b64 s[2:3], s[36:37]
	s_cbranch_execz .LBB94_225
; %bb.217:                              ;   in Loop: Header=BB94_23 Depth=1
	v_cmp_ge_u64_e32 vcc, s[18:19], v[2:3]
	s_and_saveexec_b64 s[8:9], vcc
	s_xor_b64 s[8:9], exec, s[8:9]
	s_cbranch_execz .LBB94_222
; %bb.218:                              ;   in Loop: Header=BB94_23 Depth=1
	ds_read_b64 v[4:5], v10 offset:5120
	v_and_b32_e32 v6, s50, v29
	v_lshl_or_b32 v29, 2, s95, v6
	v_or_b32_e32 v34, s60, v34
	s_waitcnt lgkmcnt(0)
	v_cmp_ne_u64_e32 vcc, 0, v[4:5]
	s_cbranch_vccnz .LBB94_222
; %bb.219:                              ;   in Loop: Header=BB94_23 Depth=1
	s_mov_b64 s[36:37], exec
	v_readlane_b32 s38, v47, 16
	v_readlane_b32 s39, v47, 17
	s_and_b64 s[38:39], s[36:37], s[38:39]
	s_mov_b64 exec, s[38:39]
; %bb.220:                              ;   in Loop: Header=BB94_23 Depth=1
	v_mov_b32_e32 v4, s18
	v_mov_b32_e32 v5, s19
	ds_write_b64 v10, v[4:5] offset:5128
; %bb.221:                              ;   in Loop: Header=BB94_23 Depth=1
	s_or_b64 exec, exec, s[36:37]
	s_waitcnt lgkmcnt(0)
	s_barrier
.LBB94_222:                             ;   in Loop: Header=BB94_23 Depth=1
	s_or_saveexec_b64 s[8:9], s[8:9]
	s_mov_b64 s[36:37], 0
	v_mov_b32_e32 v8, 8
	s_xor_b64 exec, exec, s[8:9]
; %bb.223:                              ;   in Loop: Header=BB94_23 Depth=1
	v_mov_b32_e32 v4, s19
	v_subrev_co_u32_e32 v2, vcc, s18, v2
	s_mov_b64 s[36:37], exec
	v_subb_co_u32_e32 v3, vcc, v3, v4, vcc
	v_mov_b32_e32 v8, 0
; %bb.224:                              ;   in Loop: Header=BB94_23 Depth=1
	s_or_b64 exec, exec, s[8:9]
	v_mov_b32_e32 v5, v3
	s_and_b64 s[8:9], s[36:37], exec
	v_mov_b32_e32 v4, v2
.LBB94_225:                             ;   in Loop: Header=BB94_23 Depth=1
	s_or_b64 exec, exec, s[2:3]
	s_mov_b64 s[2:3], -1
                                        ; implicit-def: $sgpr42_sgpr43
                                        ; implicit-def: $sgpr40_sgpr41
	s_and_saveexec_b64 s[18:19], s[8:9]
	s_cbranch_execz .LBB94_272
; %bb.226:                              ;   in Loop: Header=BB94_23 Depth=1
	s_cmp_eq_u64 s[10:11], 1
	v_cmp_eq_u64_e32 vcc, 1, v[4:5]
	s_cselect_b64 s[2:3], -1, 0
	s_and_b64 s[36:37], s[2:3], vcc
	s_mov_b64 s[8:9], -1
                                        ; implicit-def: $sgpr42_sgpr43
                                        ; implicit-def: $sgpr40_sgpr41
	s_and_saveexec_b64 s[38:39], s[36:37]
	s_cbranch_execz .LBB94_260
; %bb.227:                              ;   in Loop: Header=BB94_23 Depth=1
	ds_read_b64 v[2:3], v10 offset:5120
	s_waitcnt lgkmcnt(0)
	s_barrier
	v_readfirstlane_b32 s8, v2
	v_readfirstlane_b32 s9, v3
	s_and_saveexec_b64 s[2:3], s[26:27]
; %bb.228:                              ;   in Loop: Header=BB94_23 Depth=1
	ds_write_b32 v23, v10
; %bb.229:                              ;   in Loop: Header=BB94_23 Depth=1
	s_or_b64 exec, exec, s[2:3]
	v_or_b32_e32 v29, s60, v29
	v_or_b32_e32 v34, s60, v34
	s_mov_b64 s[40:41], -1
	s_mov_b64 s[42:43], 0
	s_cmp_eq_u64 s[8:9], 0
	s_mov_b64 s[2:3], 0
	s_mov_b64 s[44:45], -1
	s_waitcnt lgkmcnt(0)
	s_barrier
                                        ; implicit-def: $vgpr17
	s_cbranch_scc1 .LBB94_245
; %bb.230:                              ;   in Loop: Header=BB94_23 Depth=1
	v_readlane_b32 s2, v47, 42
	s_add_u32 s48, s8, s2
	v_readlane_b32 s2, v47, 43
	s_addc_u32 s3, s9, s2
	s_mov_b32 s2, s91
	s_cmp_lg_u64 s[2:3], 0
	s_cbranch_scc0 .LBB94_279
; %bb.231:                              ;   in Loop: Header=BB94_23 Depth=1
	v_cvt_f32_u32_e32 v2, s73
	s_sub_u32 s2, 0, s73
	s_subb_u32 s46, 0, 0
	v_mac_f32_e32 v2, 0, v32
	v_rcp_f32_e32 v2, v2
	v_mul_f32_e32 v2, 0x5f7ffffc, v2
	v_mul_f32_e32 v3, 0x2f800000, v2
	v_trunc_f32_e32 v3, v3
	v_mac_f32_e32 v2, 0xcf800000, v3
	v_cvt_u32_f32_e32 v3, v3
	v_cvt_u32_f32_e32 v2, v2
	v_readfirstlane_b32 s47, v3
	v_readfirstlane_b32 s44, v2
	s_mul_i32 s45, s2, s47
	s_mul_hi_u32 s50, s2, s44
	s_mul_i32 s49, s46, s44
	s_add_i32 s45, s50, s45
	s_mul_i32 s51, s2, s44
	s_add_i32 s45, s45, s49
	s_mul_hi_u32 s50, s44, s51
	s_mul_i32 s56, s44, s45
	s_mul_hi_u32 s49, s44, s45
	s_add_u32 s50, s50, s56
	s_addc_u32 s49, 0, s49
	s_mul_hi_u32 s57, s47, s51
	s_mul_i32 s51, s47, s51
	s_add_u32 s50, s50, s51
	s_mul_hi_u32 s56, s47, s45
	s_addc_u32 s49, s49, s57
	s_addc_u32 s50, s56, 0
	s_mul_i32 s45, s47, s45
	s_add_u32 s45, s49, s45
	s_addc_u32 s49, 0, s50
	s_add_u32 s50, s44, s45
	s_cselect_b64 s[44:45], -1, 0
	s_cmp_lg_u64 s[44:45], 0
	s_addc_u32 s47, s47, s49
	s_mul_i32 s44, s2, s47
	s_mul_hi_u32 s45, s2, s50
	s_add_i32 s44, s45, s44
	s_mul_i32 s46, s46, s50
	s_add_i32 s44, s44, s46
	s_mul_i32 s2, s2, s50
	s_mul_hi_u32 s46, s47, s2
	s_mul_i32 s49, s47, s2
	s_mul_i32 s56, s50, s44
	s_mul_hi_u32 s2, s50, s2
	s_mul_hi_u32 s51, s50, s44
	s_add_u32 s2, s2, s56
	s_addc_u32 s51, 0, s51
	s_add_u32 s2, s2, s49
	s_mul_hi_u32 s45, s47, s44
	s_addc_u32 s2, s51, s46
	s_addc_u32 s45, s45, 0
	s_mul_i32 s44, s47, s44
	s_add_u32 s2, s2, s44
	s_addc_u32 s46, 0, s45
	s_add_u32 s2, s50, s2
	s_cselect_b64 s[44:45], -1, 0
	s_cmp_lg_u64 s[44:45], 0
	s_addc_u32 s44, s47, s46
	s_mul_i32 s46, s48, s44
	s_mul_hi_u32 s47, s48, s2
	s_mul_hi_u32 s45, s48, s44
	s_add_u32 s46, s47, s46
	s_addc_u32 s45, 0, s45
	s_mul_hi_u32 s49, s3, s2
	s_mul_i32 s2, s3, s2
	s_add_u32 s2, s46, s2
	s_mul_hi_u32 s47, s3, s44
	s_addc_u32 s2, s45, s49
	s_addc_u32 s45, s47, 0
	s_mul_i32 s44, s3, s44
	s_add_u32 s2, s2, s44
	s_addc_u32 s44, 0, s45
	s_mul_i32 s44, s73, s44
	s_mul_hi_u32 s45, s73, s2
	s_add_i32 s46, s45, s44
	s_mul_i32 s2, s73, s2
	s_sub_u32 s2, s48, s2
	s_cselect_b64 s[44:45], -1, 0
	s_cmp_lg_u64 s[44:45], 0
	s_subb_u32 s46, s3, s46
	s_sub_u32 s47, s2, s73
	s_cselect_b64 s[44:45], -1, 0
	s_cmp_lg_u64 s[44:45], 0
	s_subb_u32 s49, s46, 0
	;; [unrolled: 4-line block ×3, first 2 shown]
	s_cmp_ge_u32 s47, s73
	s_cselect_b32 s45, -1, 0
	s_cmp_eq_u32 s49, 0
	s_cselect_b32 s45, s45, -1
	s_cmp_lg_u32 s45, 0
	s_cselect_b32 s44, s44, s49
	s_cselect_b32 s47, s50, s47
	s_cmp_ge_u32 s2, s73
	s_cselect_b32 s45, -1, 0
	s_cmp_eq_u32 s46, 0
	s_cselect_b32 s45, s45, -1
	s_cmp_lg_u32 s45, 0
	s_cselect_b32 s45, s44, s46
	s_cselect_b32 s44, s47, s2
	s_cbranch_execnz .LBB94_233
.LBB94_232:                             ;   in Loop: Header=BB94_23 Depth=1
	v_cvt_f32_u32_e32 v2, s73
	s_sub_i32 s2, 0, s73
	v_rcp_iflag_f32_e32 v2, v2
	v_mul_f32_e32 v2, 0x4f7ffffe, v2
	v_cvt_u32_f32_e32 v2, v2
	v_readfirstlane_b32 s44, v2
	s_mul_i32 s2, s2, s44
	s_mul_hi_u32 s2, s44, s2
	s_add_i32 s44, s44, s2
	s_mul_hi_u32 s2, s48, s44
	s_mul_i32 s2, s2, s73
	s_sub_i32 s2, s48, s2
	s_sub_i32 s44, s2, s73
	s_cmp_ge_u32 s2, s73
	s_cselect_b32 s2, s44, s2
	s_sub_i32 s44, s2, s73
	s_cmp_ge_u32 s2, s73
	s_cselect_b32 s90, s44, s2
	s_mov_b64 s[44:45], s[90:91]
.LBB94_233:                             ;   in Loop: Header=BB94_23 Depth=1
	s_sub_u32 s48, s48, s44
	s_subb_u32 s49, s3, s45
	v_cmp_gt_u64_e32 vcc, s[48:49], v[0:1]
	s_mov_b64 s[44:45], 0
	s_mov_b64 s[2:3], 0
                                        ; implicit-def: $vgpr17
	s_and_saveexec_b64 s[46:47], vcc
	s_cbranch_execz .LBB94_244
; %bb.234:                              ;   in Loop: Header=BB94_23 Depth=1
	v_mov_b32_e32 v3, v1
	v_mov_b32_e32 v6, v11
	;; [unrolled: 1-line block ×3, first 2 shown]
                                        ; implicit-def: $sgpr50_sgpr51
	s_branch .LBB94_237
.LBB94_235:                             ;   in Loop: Header=BB94_237 Depth=2
	s_or_b64 exec, exec, s[56:57]
	s_waitcnt lgkmcnt(0)
	s_barrier
	ds_read_b64 v[16:17], v10 offset:3072
	s_mov_b64 s[56:57], -1
	s_mov_b64 s[58:59], -1
	s_waitcnt lgkmcnt(0)
	s_barrier
	v_cmp_ne_u32_e32 vcc, 0, v16
	s_cbranch_vccz .LBB94_240
.LBB94_236:                             ;   in Loop: Header=BB94_237 Depth=2
	s_and_b64 s[56:57], exec, s[56:57]
	s_or_b64 s[2:3], s[56:57], s[2:3]
	s_andn2_b64 s[50:51], s[50:51], exec
	s_and_b64 s[56:57], s[58:59], exec
	s_or_b64 s[50:51], s[50:51], s[56:57]
	s_andn2_b64 exec, exec, s[2:3]
	s_cbranch_execz .LBB94_243
.LBB94_237:                             ;   Parent Loop BB94_23 Depth=1
                                        ; =>  This Inner Loop Header: Depth=2
	v_cmp_gt_u64_e32 vcc, s[8:9], v[2:3]
	s_and_saveexec_b64 s[56:57], vcc
	s_cbranch_execz .LBB94_235
; %bb.238:                              ;   in Loop: Header=BB94_237 Depth=2
	ds_read_b32 v16, v6
	s_waitcnt lgkmcnt(0)
	v_xor_b32_e32 v7, 0x80000000, v16
	v_and_b32_e32 v7, v7, v34
	v_cmp_eq_u32_e32 vcc, v7, v29
	s_and_b64 exec, exec, vcc
	s_cbranch_execz .LBB94_235
; %bb.239:                              ;   in Loop: Header=BB94_237 Depth=2
	ds_write_b64 v10, v[15:16] offset:3072
	s_branch .LBB94_235
.LBB94_240:                             ;   in Loop: Header=BB94_237 Depth=2
	v_add_co_u32_e32 v2, vcc, s73, v2
	v_addc_co_u32_e32 v3, vcc, 0, v3, vcc
	v_cmp_le_u64_e32 vcc, s[48:49], v[2:3]
	v_add_u32_e32 v6, s94, v6
	s_mov_b64 s[58:59], 0
	s_orn2_b64 s[56:57], vcc, exec
	s_branch .LBB94_236
.LBB94_241:                             ;   in Loop: Header=BB94_23 Depth=1
                                        ; implicit-def: $sgpr38_sgpr39
	s_branch .LBB94_187
.LBB94_242:                             ;   in Loop: Header=BB94_23 Depth=1
                                        ; implicit-def: $sgpr8_sgpr9
	s_branch .LBB94_203
.LBB94_243:                             ;   in Loop: Header=BB94_23 Depth=1
	s_or_b64 exec, exec, s[2:3]
	s_and_b64 s[2:3], s[50:51], exec
.LBB94_244:                             ;   in Loop: Header=BB94_23 Depth=1
	s_or_b64 exec, exec, s[46:47]
.LBB94_245:                             ;   in Loop: Header=BB94_23 Depth=1
	s_and_b64 vcc, exec, s[44:45]
	s_cbranch_vccz .LBB94_259
; %bb.246:                              ;   in Loop: Header=BB94_23 Depth=1
	s_mov_b32 s84, s91
	s_cmp_lg_u64 s[84:85], 0
	s_cbranch_scc0 .LBB94_280
; %bb.247:                              ;   in Loop: Header=BB94_23 Depth=1
	v_cvt_f32_u32_e32 v2, s73
	s_sub_u32 s40, 0, s73
	s_subb_u32 s41, 0, 0
	v_mac_f32_e32 v2, 0, v32
	v_rcp_f32_e32 v2, v2
	v_mul_f32_e32 v2, 0x5f7ffffc, v2
	v_mul_f32_e32 v3, 0x2f800000, v2
	v_trunc_f32_e32 v3, v3
	v_mac_f32_e32 v2, 0xcf800000, v3
	v_cvt_u32_f32_e32 v3, v3
	v_cvt_u32_f32_e32 v2, v2
	v_readfirstlane_b32 s42, v3
	v_readfirstlane_b32 s8, v2
	s_mul_i32 s9, s40, s42
	s_mul_hi_u32 s44, s40, s8
	s_mul_i32 s43, s41, s8
	s_add_i32 s9, s44, s9
	s_mul_i32 s45, s40, s8
	s_add_i32 s9, s9, s43
	s_mul_hi_u32 s44, s8, s45
	s_mul_i32 s46, s8, s9
	s_mul_hi_u32 s43, s8, s9
	s_add_u32 s44, s44, s46
	s_addc_u32 s43, 0, s43
	s_mul_hi_u32 s47, s42, s45
	s_mul_i32 s45, s42, s45
	s_add_u32 s44, s44, s45
	s_mul_hi_u32 s46, s42, s9
	s_addc_u32 s43, s43, s47
	s_addc_u32 s44, s46, 0
	s_mul_i32 s9, s42, s9
	s_add_u32 s9, s43, s9
	s_addc_u32 s43, 0, s44
	s_add_u32 s44, s8, s9
	s_cselect_b64 s[8:9], -1, 0
	s_cmp_lg_u64 s[8:9], 0
	s_addc_u32 s42, s42, s43
	s_mul_i32 s8, s40, s42
	s_mul_hi_u32 s9, s40, s44
	s_add_i32 s8, s9, s8
	s_mul_i32 s41, s41, s44
	s_add_i32 s8, s8, s41
	s_mul_i32 s40, s40, s44
	s_mul_hi_u32 s41, s42, s40
	s_mul_i32 s43, s42, s40
	s_mul_i32 s46, s44, s8
	s_mul_hi_u32 s40, s44, s40
	s_mul_hi_u32 s45, s44, s8
	s_add_u32 s40, s40, s46
	s_addc_u32 s45, 0, s45
	s_add_u32 s40, s40, s43
	s_mul_hi_u32 s9, s42, s8
	s_addc_u32 s40, s45, s41
	s_addc_u32 s9, s9, 0
	s_mul_i32 s8, s42, s8
	s_add_u32 s8, s40, s8
	s_addc_u32 s40, 0, s9
	s_add_u32 s41, s44, s8
	s_cselect_b64 s[8:9], -1, 0
	s_cmp_lg_u64 s[8:9], 0
	s_addc_u32 s8, s42, s40
	s_mul_i32 s40, s0, s8
	s_mul_hi_u32 s42, s0, s41
	s_mul_hi_u32 s9, s0, s8
	s_add_u32 s40, s42, s40
	s_addc_u32 s9, 0, s9
	s_mul_hi_u32 s43, s85, s41
	s_mul_i32 s41, s85, s41
	s_add_u32 s40, s40, s41
	s_mul_hi_u32 s42, s85, s8
	s_addc_u32 s9, s9, s43
	s_addc_u32 s40, s42, 0
	s_mul_i32 s8, s85, s8
	s_add_u32 s8, s9, s8
	s_addc_u32 s9, 0, s40
	s_mul_i32 s9, s73, s9
	s_mul_hi_u32 s40, s73, s8
	s_add_i32 s40, s40, s9
	s_mul_i32 s8, s73, s8
	s_sub_u32 s41, s0, s8
	s_cselect_b64 s[8:9], -1, 0
	s_cmp_lg_u64 s[8:9], 0
	s_subb_u32 s40, s85, s40
	s_sub_u32 s42, s41, s73
	s_cselect_b64 s[8:9], -1, 0
	s_cmp_lg_u64 s[8:9], 0
	s_subb_u32 s43, s40, 0
	;; [unrolled: 4-line block ×3, first 2 shown]
	s_cmp_ge_u32 s42, s73
	s_cselect_b32 s9, -1, 0
	s_cmp_eq_u32 s43, 0
	s_cselect_b32 s9, s9, -1
	s_cmp_lg_u32 s9, 0
	s_cselect_b32 s8, s8, s43
	s_cselect_b32 s42, s44, s42
	s_cmp_ge_u32 s41, s73
	s_cselect_b32 s9, -1, 0
	s_cmp_eq_u32 s40, 0
	s_cselect_b32 s9, s9, -1
	s_cmp_lg_u32 s9, 0
	s_cselect_b32 s9, s8, s40
	s_cselect_b32 s8, s42, s41
	s_cbranch_execnz .LBB94_249
.LBB94_248:                             ;   in Loop: Header=BB94_23 Depth=1
	v_cvt_f32_u32_e32 v2, s73
	s_sub_i32 s8, 0, s73
	v_rcp_iflag_f32_e32 v2, v2
	v_mul_f32_e32 v2, 0x4f7ffffe, v2
	v_cvt_u32_f32_e32 v2, v2
	v_readfirstlane_b32 s9, v2
	s_mul_i32 s8, s8, s9
	s_mul_hi_u32 s8, s9, s8
	s_add_i32 s9, s9, s8
	s_mul_hi_u32 s8, s0, s9
	s_mul_i32 s8, s8, s73
	s_sub_i32 s8, s0, s8
	s_sub_i32 s9, s8, s73
	s_cmp_ge_u32 s8, s73
	s_cselect_b32 s8, s9, s8
	s_sub_i32 s9, s8, s73
	s_cmp_ge_u32 s8, s73
	s_cselect_b32 s90, s9, s8
	s_mov_b64 s[8:9], s[90:91]
.LBB94_249:                             ;   in Loop: Header=BB94_23 Depth=1
	s_sub_u32 s40, s0, s8
	s_subb_u32 s41, s85, s9
	v_cmp_gt_u64_e32 vcc, s[40:41], v[0:1]
                                        ; implicit-def: $vgpr17
	s_and_saveexec_b64 s[8:9], vcc
	s_cbranch_execz .LBB94_258
; %bb.250:                              ;   in Loop: Header=BB94_23 Depth=1
	v_mov_b32_e32 v3, v1
	s_mov_b64 s[42:43], 0
	v_mov_b32_e32 v2, v0
                                        ; implicit-def: $sgpr44_sgpr45
	s_branch .LBB94_253
.LBB94_251:                             ;   in Loop: Header=BB94_253 Depth=2
	s_or_b64 exec, exec, s[46:47]
	s_waitcnt lgkmcnt(0)
	s_barrier
	ds_read_b64 v[16:17], v10 offset:3072
	s_mov_b64 s[46:47], -1
	s_mov_b64 s[48:49], -1
	s_waitcnt lgkmcnt(0)
	s_barrier
	v_cmp_eq_u32_e32 vcc, 0, v16
	s_cbranch_vccnz .LBB94_256
.LBB94_252:                             ;   in Loop: Header=BB94_253 Depth=2
	s_and_b64 s[46:47], exec, s[46:47]
	s_or_b64 s[42:43], s[46:47], s[42:43]
	s_andn2_b64 s[44:45], s[44:45], exec
	s_and_b64 s[46:47], s[48:49], exec
	s_or_b64 s[44:45], s[44:45], s[46:47]
	s_andn2_b64 exec, exec, s[42:43]
	s_cbranch_execz .LBB94_257
.LBB94_253:                             ;   Parent Loop BB94_23 Depth=1
                                        ; =>  This Inner Loop Header: Depth=2
	v_cmp_gt_u64_e32 vcc, s[52:53], v[2:3]
	s_and_saveexec_b64 s[46:47], vcc
	s_cbranch_execz .LBB94_251
; %bb.254:                              ;   in Loop: Header=BB94_253 Depth=2
	v_mul_lo_u32 v9, v3, s80
	v_mul_lo_u32 v16, v2, s81
	v_mad_u64_u32 v[6:7], s[48:49], v2, s80, 0
	v_add3_u32 v7, v7, v16, v9
	v_lshlrev_b64 v[6:7], 2, v[6:7]
	v_mov_b32_e32 v9, s72
	v_add_co_u32_e32 v6, vcc, s33, v6
	v_addc_co_u32_e32 v7, vcc, v9, v7, vcc
	global_load_dword v16, v[6:7], off
	s_waitcnt vmcnt(0)
	v_xor_b32_e32 v6, 0x80000000, v16
	v_and_b32_e32 v6, v6, v34
	v_cmp_eq_u32_e32 vcc, v6, v29
	s_and_b64 exec, exec, vcc
	s_cbranch_execz .LBB94_251
; %bb.255:                              ;   in Loop: Header=BB94_253 Depth=2
	ds_write_b64 v10, v[15:16] offset:3072
	s_branch .LBB94_251
.LBB94_256:                             ;   in Loop: Header=BB94_253 Depth=2
	v_add_co_u32_e32 v2, vcc, s73, v2
	v_addc_co_u32_e32 v3, vcc, 0, v3, vcc
	v_cmp_le_u64_e32 vcc, s[40:41], v[2:3]
	s_mov_b64 s[48:49], 0
	s_orn2_b64 s[46:47], vcc, exec
	s_branch .LBB94_252
.LBB94_257:                             ;   in Loop: Header=BB94_23 Depth=1
	s_or_b64 exec, exec, s[42:43]
	s_andn2_b64 s[2:3], s[2:3], exec
	s_and_b64 s[40:41], s[44:45], exec
	s_or_b64 s[2:3], s[2:3], s[40:41]
.LBB94_258:                             ;   in Loop: Header=BB94_23 Depth=1
	s_or_b64 exec, exec, s[8:9]
	s_mov_b64 s[40:41], 0
	s_mov_b64 s[42:43], -1
.LBB94_259:                             ;   in Loop: Header=BB94_23 Depth=1
	s_orn2_b64 s[8:9], s[2:3], exec
.LBB94_260:                             ;   in Loop: Header=BB94_23 Depth=1
	s_or_b64 exec, exec, s[38:39]
	s_mov_b64 s[38:39], 0
	s_and_saveexec_b64 s[2:3], s[8:9]
	s_cbranch_execz .LBB94_271
; %bb.261:                              ;   in Loop: Header=BB94_23 Depth=1
	v_mov_b32_e32 v2, 1
	s_xor_b64 s[36:37], s[36:37], -1
	v_mov_b32_e32 v3, 0
	v_mov_b32_e32 v8, 1
	s_and_saveexec_b64 s[8:9], s[36:37]
	s_cbranch_execz .LBB94_270
; %bb.262:                              ;   in Loop: Header=BB94_23 Depth=1
	v_cmp_ge_u64_e32 vcc, s[10:11], v[4:5]
	s_and_saveexec_b64 s[36:37], vcc
	s_xor_b64 s[36:37], exec, s[36:37]
	s_cbranch_execz .LBB94_267
; %bb.263:                              ;   in Loop: Header=BB94_23 Depth=1
	ds_read_b64 v[2:3], v10 offset:5120
	v_or_b32_e32 v29, s60, v29
	v_or_b32_e32 v34, s60, v34
	s_waitcnt lgkmcnt(0)
	v_cmp_ne_u64_e32 vcc, 0, v[2:3]
	s_cbranch_vccnz .LBB94_267
; %bb.264:                              ;   in Loop: Header=BB94_23 Depth=1
	s_mov_b64 s[38:39], exec
	v_readlane_b32 s44, v47, 16
	v_readlane_b32 s45, v47, 17
	s_and_b64 s[44:45], s[38:39], s[44:45]
	s_mov_b64 exec, s[44:45]
; %bb.265:                              ;   in Loop: Header=BB94_23 Depth=1
	v_mov_b32_e32 v2, s10
	v_mov_b32_e32 v3, s11
	ds_write_b64 v10, v[2:3] offset:5128
; %bb.266:                              ;   in Loop: Header=BB94_23 Depth=1
	s_or_b64 exec, exec, s[38:39]
	s_waitcnt lgkmcnt(0)
	s_barrier
.LBB94_267:                             ;   in Loop: Header=BB94_23 Depth=1
	s_andn2_saveexec_b64 s[36:37], s[36:37]
; %bb.268:                              ;   in Loop: Header=BB94_23 Depth=1
	v_mov_b32_e32 v2, s11
	v_subrev_co_u32_e32 v4, vcc, s10, v4
	v_subb_co_u32_e32 v5, vcc, v5, v2, vcc
; %bb.269:                              ;   in Loop: Header=BB94_23 Depth=1
	s_or_b64 exec, exec, s[36:37]
	v_mov_b32_e32 v2, v4
	v_mov_b32_e32 v8, 8
	;; [unrolled: 1-line block ×3, first 2 shown]
.LBB94_270:                             ;   in Loop: Header=BB94_23 Depth=1
	s_or_b64 exec, exec, s[8:9]
	v_mov_b32_e32 v5, v3
	s_mov_b64 s[38:39], exec
	v_mov_b32_e32 v4, v2
.LBB94_271:                             ;   in Loop: Header=BB94_23 Depth=1
	s_or_b64 exec, exec, s[2:3]
	s_orn2_b64 s[2:3], s[38:39], exec
.LBB94_272:                             ;   in Loop: Header=BB94_23 Depth=1
	s_or_b64 exec, exec, s[18:19]
	s_andn2_b64 s[8:9], s[30:31], exec
	s_and_b64 s[10:11], s[42:43], exec
	s_or_b64 s[30:31], s[8:9], s[10:11]
	s_andn2_b64 s[8:9], s[28:29], exec
	s_and_b64 s[10:11], s[40:41], exec
	v_mov_b32_e32 v2, v4
	s_or_b64 s[28:29], s[8:9], s[10:11]
	s_and_b64 s[8:9], s[2:3], exec
	v_mov_b32_e32 v3, v5
.LBB94_273:                             ;   in Loop: Header=BB94_23 Depth=1
	s_or_b64 exec, exec, s[34:35]
	s_orn2_b64 s[2:3], s[8:9], exec
.LBB94_274:                             ;   in Loop: Header=BB94_23 Depth=1
	s_or_b64 exec, exec, s[24:25]
	s_andn2_b64 s[8:9], s[20:21], exec
	s_and_b64 s[10:11], s[30:31], exec
	s_or_b64 s[20:21], s[8:9], s[10:11]
	s_andn2_b64 s[6:7], s[6:7], exec
	s_and_b64 s[8:9], s[28:29], exec
	v_mov_b32_e32 v7, v3
	s_or_b64 s[6:7], s[6:7], s[8:9]
	s_and_b64 s[8:9], s[2:3], exec
	v_mov_b32_e32 v6, v2
.LBB94_275:                             ;   in Loop: Header=BB94_23 Depth=1
	s_or_b64 exec, exec, s[22:23]
	s_orn2_b64 s[2:3], s[8:9], exec
.LBB94_276:                             ;   in Loop: Header=BB94_23 Depth=1
	s_or_b64 exec, exec, s[16:17]
	s_mov_b64 s[8:9], 0
	s_and_saveexec_b64 s[10:11], s[2:3]
	s_xor_b64 s[2:3], exec, s[10:11]
	s_cbranch_execz .LBB94_21
; %bb.277:                              ;   in Loop: Header=BB94_23 Depth=1
	v_and_b32_e32 v2, 7, v8
	v_cmp_eq_u32_e32 vcc, 0, v2
	s_mov_b64 s[10:11], -1
	s_mov_b64 s[8:9], -1
	s_and_saveexec_b64 s[14:15], vcc
	s_cbranch_execz .LBB94_20
; %bb.278:                              ;   in Loop: Header=BB94_23 Depth=1
	s_add_i32 s16, s95, -2
	s_cmp_eq_u32 s95, 0
	s_cselect_b64 s[10:11], -1, 0
	v_xor_b32_e32 v33, 1, v33
	s_xor_b64 s[8:9], exec, -1
	s_orn2_b64 s[10:11], s[10:11], exec
	s_mov_b32 s95, s16
	s_branch .LBB94_20
.LBB94_279:                             ;   in Loop: Header=BB94_23 Depth=1
                                        ; implicit-def: $sgpr44_sgpr45
	s_branch .LBB94_232
.LBB94_280:                             ;   in Loop: Header=BB94_23 Depth=1
                                        ; implicit-def: $sgpr8_sgpr9
	s_branch .LBB94_248
.LBB94_281:
	s_or_b64 exec, exec, s[88:89]
	s_xor_b64 s[6:7], s[68:69], -1
	s_xor_b64 s[0:1], s[74:75], -1
	;; [unrolled: 1-line block ×3, first 2 shown]
	s_mov_b64 s[2:3], 0
	s_and_saveexec_b64 s[8:9], s[0:1]
	s_xor_b64 s[0:1], exec, s[8:9]
	s_cbranch_execnz .LBB94_286
; %bb.282:
	s_andn2_saveexec_b64 s[0:1], s[0:1]
	s_cbranch_execnz .LBB94_299
.LBB94_283:
	s_or_b64 exec, exec, s[0:1]
	s_and_saveexec_b64 s[0:1], s[2:3]
.LBB94_284:
	; divergent unreachable
.LBB94_285:
	s_endpgm
.LBB94_286:
	s_and_saveexec_b64 s[2:3], s[6:7]
	s_xor_b64 s[2:3], exec, s[2:3]
	s_cbranch_execz .LBB94_297
; %bb.287:
	s_and_saveexec_b64 s[6:7], s[4:5]
	s_xor_b64 s[4:5], exec, s[6:7]
; %bb.288:
	v_xor_b32_e32 v17, 0x80000000, v29
; %bb.289:
	s_or_b64 exec, exec, s[4:5]
	v_readlane_b32 s8, v47, 8
	v_readlane_b32 s4, v47, 4
	;; [unrolled: 1-line block ×4, first 2 shown]
	s_mov_b32 s14, s4
	s_mul_i32 s4, s4, s9
	s_mul_hi_u32 s5, s14, s8
	s_add_i32 s5, s5, s4
	s_mul_i32 s4, s14, s8
	v_readlane_b32 s12, v47, 6
	v_readlane_b32 s16, v47, 26
	;; [unrolled: 1-line block ×3, first 2 shown]
	s_sub_u32 s4, s12, s4
	v_readlane_b32 s18, v47, 28
	v_readlane_b32 s19, v47, 29
	s_subb_u32 s5, s13, s5
	s_mul_i32 s6, s4, s19
	s_mul_hi_u32 s7, s4, s18
	v_readlane_b32 s10, v47, 10
	v_readlane_b32 s11, v47, 11
	;; [unrolled: 1-line block ×3, first 2 shown]
	s_add_i32 s6, s7, s6
	s_mul_i32 s5, s5, s18
	s_add_i32 s5, s6, s5
	s_mul_i32 s6, s14, s17
	s_mul_hi_u32 s7, s14, s16
	s_mul_i32 s8, s12, s11
	s_mul_hi_u32 s9, s12, s10
	s_mul_i32 s4, s4, s18
	s_add_i32 s7, s7, s6
	s_add_i32 s9, s9, s8
	s_mul_i32 s8, s12, s10
	v_readlane_b32 s18, v47, 34
	v_readlane_b32 s12, v47, 24
	s_sub_u32 s8, s18, s8
	v_readlane_b32 s13, v47, 25
	s_subb_u32 s9, 0, s9
	s_mul_i32 s10, s8, s13
	s_mul_hi_u32 s11, s8, s12
	s_mul_i32 s6, s14, s16
	s_add_i32 s10, s11, s10
	s_mul_i32 s9, s9, s12
	s_add_i32 s9, s10, s9
	s_lshl_b64 s[6:7], s[6:7], 2
	v_readlane_b32 s10, v47, 32
	v_readlane_b32 s11, v47, 33
	s_add_u32 s6, s10, s6
	s_addc_u32 s7, s11, s7
	s_lshl_b64 s[4:5], s[4:5], 2
	s_mul_i32 s8, s8, s12
	s_add_u32 s6, s6, s4
	s_addc_u32 s7, s7, s5
	s_lshl_b64 s[4:5], s[8:9], 2
	s_add_u32 s4, s6, s4
	s_addc_u32 s5, s7, s5
	v_mov_b32_e32 v2, 0
	v_readlane_b32 s19, v47, 35
	global_store_dword v2, v17, s[4:5]
	s_mov_b64 s[4:5], exec
	v_readlane_b32 s6, v47, 36
	v_readlane_b32 s7, v47, 37
	s_and_b64 s[6:7], s[4:5], s[6:7]
	s_mov_b64 exec, s[6:7]
	s_cbranch_execz .LBB94_296
; %bb.290:
	s_mov_b64 s[6:7], 0
	v_mov_b32_e32 v4, s72
                                        ; implicit-def: $sgpr8_sgpr9
                                        ; implicit-def: $sgpr12_sgpr13
                                        ; implicit-def: $sgpr10_sgpr11
	s_branch .LBB94_292
.LBB94_291:                             ;   in Loop: Header=BB94_292 Depth=1
	s_or_b64 exec, exec, s[14:15]
	s_and_b64 s[14:15], exec, s[12:13]
	s_or_b64 s[6:7], s[14:15], s[6:7]
	s_andn2_b64 s[8:9], s[8:9], exec
	s_and_b64 s[14:15], s[10:11], exec
	s_or_b64 s[8:9], s[8:9], s[14:15]
	s_andn2_b64 exec, exec, s[6:7]
	s_cbranch_execz .LBB94_294
.LBB94_292:                             ; =>This Inner Loop Header: Depth=1
	v_mov_b32_e32 v3, v1
	v_mov_b32_e32 v2, v0
	v_mul_lo_u32 v5, v3, s80
	v_mul_lo_u32 v6, v2, s81
	v_mad_u64_u32 v[0:1], s[14:15], v2, s80, 0
	s_or_b64 s[10:11], s[10:11], exec
	s_or_b64 s[12:13], s[12:13], exec
	v_add3_u32 v1, v1, v6, v5
	v_lshlrev_b64 v[0:1], 2, v[0:1]
	v_add_co_u32_e32 v0, vcc, s33, v0
	v_addc_co_u32_e32 v1, vcc, v4, v1, vcc
	global_load_dword v0, v[0:1], off
	s_waitcnt vmcnt(0)
	v_cmp_ne_u32_e32 vcc, v0, v17
                                        ; implicit-def: $vgpr0_vgpr1
	s_and_saveexec_b64 s[14:15], vcc
	s_cbranch_execz .LBB94_291
; %bb.293:                              ;   in Loop: Header=BB94_292 Depth=1
	v_add_co_u32_e32 v0, vcc, s73, v2
	v_addc_co_u32_e32 v1, vcc, 0, v3, vcc
	v_cmp_le_u64_e32 vcc, s[52:53], v[0:1]
	s_andn2_b64 s[12:13], s[12:13], exec
	s_and_b64 s[16:17], vcc, exec
	s_andn2_b64 s[10:11], s[10:11], exec
	s_or_b64 s[12:13], s[12:13], s[16:17]
	s_branch .LBB94_291
.LBB94_294:
	s_or_b64 exec, exec, s[6:7]
	s_and_saveexec_b64 s[6:7], s[8:9]
	s_xor_b64 s[6:7], exec, s[6:7]
	s_cbranch_execz .LBB94_296
; %bb.295:
	v_readlane_b32 s12, v47, 0
	v_readlane_b32 s6, v47, 14
	;; [unrolled: 1-line block ×4, first 2 shown]
	s_mov_b32 s10, s6
	s_mul_i32 s6, s6, s13
	s_mul_hi_u32 s7, s10, s12
	s_add_i32 s7, s7, s6
	s_mul_i32 s6, s10, s12
	v_readlane_b32 s12, v47, 12
	v_readlane_b32 s20, v47, 20
	;; [unrolled: 1-line block ×3, first 2 shown]
	s_sub_u32 s6, s12, s6
	v_readlane_b32 s22, v47, 22
	v_readlane_b32 s23, v47, 23
	s_subb_u32 s7, s13, s7
	s_mul_i32 s8, s6, s23
	s_mul_hi_u32 s9, s6, s22
	v_readlane_b32 s21, v47, 21
	s_add_i32 s8, s9, s8
	s_mul_i32 s7, s7, s22
	v_readlane_b32 s14, v47, 2
	v_readlane_b32 s15, v47, 3
	s_add_i32 s7, s8, s7
	s_mul_i32 s8, s10, s21
	s_mul_hi_u32 s9, s10, s20
	s_add_i32 s9, s9, s8
	s_mul_i32 s8, s10, s20
	s_mul_i32 s10, s12, s15
	s_mul_hi_u32 s11, s12, s14
	s_add_i32 s11, s11, s10
	s_mul_i32 s10, s12, s14
	v_readlane_b32 s14, v47, 18
	s_sub_u32 s10, s18, s10
	v_readlane_b32 s15, v47, 19
	s_subb_u32 s11, 0, s11
	s_mul_i32 s12, s10, s15
	s_mul_hi_u32 s13, s10, s14
	s_add_i32 s12, s13, s12
	s_mul_i32 s11, s11, s14
	s_add_i32 s11, s12, s11
	s_lshl_b64 s[8:9], s[8:9], 3
	v_readlane_b32 s12, v47, 30
	s_mul_i32 s6, s6, s22
	v_readlane_b32 s13, v47, 31
	s_add_u32 s8, s12, s8
	s_addc_u32 s9, s13, s9
	s_lshl_b64 s[6:7], s[6:7], 3
	s_mul_i32 s10, s10, s14
	s_add_u32 s8, s8, s6
	s_addc_u32 s9, s9, s7
	s_lshl_b64 s[6:7], s[10:11], 3
	s_add_u32 s6, s8, s6
	s_addc_u32 s7, s9, s7
	v_mov_b32_e32 v0, 0
	global_store_dwordx2 v0, v[2:3], s[6:7]
.LBB94_296:
	s_or_b64 exec, exec, s[4:5]
.LBB94_297:
	s_or_saveexec_b64 s[2:3], s[2:3]
	s_mov_b64 s[4:5], 0
	s_xor_b64 exec, exec, s[2:3]
	s_cbranch_execnz .LBB94_300
.LBB94_298:
	s_or_b64 exec, exec, s[2:3]
	s_and_b64 s[2:3], s[4:5], exec
	s_andn2_saveexec_b64 s[0:1], s[0:1]
	s_cbranch_execz .LBB94_283
.LBB94_299:
	s_or_b64 s[2:3], s[2:3], exec
	s_trap 2
	s_or_b64 exec, exec, s[0:1]
	s_and_saveexec_b64 s[0:1], s[2:3]
	s_cbranch_execnz .LBB94_284
	s_branch .LBB94_285
.LBB94_300:
	s_mov_b64 s[4:5], exec
	s_trap 2
	s_branch .LBB94_298
	.section	.rodata,"a",@progbits
	.p2align	6, 0x0
	.amdhsa_kernel _ZN2at6native12_GLOBAL__N_112gatherMedianIimLi3EEEvNS_4cuda6detail10TensorInfoIT_T0_EENS5_IlS7_EENS5_IKS6_S7_EES7_S7_S7_b
		.amdhsa_group_segment_fixed_size 5152
		.amdhsa_private_segment_fixed_size 0
		.amdhsa_kernarg_size 1536
		.amdhsa_user_sgpr_count 6
		.amdhsa_user_sgpr_private_segment_buffer 1
		.amdhsa_user_sgpr_dispatch_ptr 0
		.amdhsa_user_sgpr_queue_ptr 0
		.amdhsa_user_sgpr_kernarg_segment_ptr 1
		.amdhsa_user_sgpr_dispatch_id 0
		.amdhsa_user_sgpr_flat_scratch_init 0
		.amdhsa_user_sgpr_private_segment_size 0
		.amdhsa_uses_dynamic_stack 0
		.amdhsa_system_sgpr_private_segment_wavefront_offset 0
		.amdhsa_system_sgpr_workgroup_id_x 1
		.amdhsa_system_sgpr_workgroup_id_y 1
		.amdhsa_system_sgpr_workgroup_id_z 1
		.amdhsa_system_sgpr_workgroup_info 0
		.amdhsa_system_vgpr_workitem_id 0
		.amdhsa_next_free_vgpr 48
		.amdhsa_next_free_sgpr 96
		.amdhsa_reserve_vcc 1
		.amdhsa_reserve_flat_scratch 0
		.amdhsa_float_round_mode_32 0
		.amdhsa_float_round_mode_16_64 0
		.amdhsa_float_denorm_mode_32 3
		.amdhsa_float_denorm_mode_16_64 3
		.amdhsa_dx10_clamp 1
		.amdhsa_ieee_mode 1
		.amdhsa_fp16_overflow 0
		.amdhsa_exception_fp_ieee_invalid_op 0
		.amdhsa_exception_fp_denorm_src 0
		.amdhsa_exception_fp_ieee_div_zero 0
		.amdhsa_exception_fp_ieee_overflow 0
		.amdhsa_exception_fp_ieee_underflow 0
		.amdhsa_exception_fp_ieee_inexact 0
		.amdhsa_exception_int_div_zero 0
	.end_amdhsa_kernel
	.section	.text._ZN2at6native12_GLOBAL__N_112gatherMedianIimLi3EEEvNS_4cuda6detail10TensorInfoIT_T0_EENS5_IlS7_EENS5_IKS6_S7_EES7_S7_S7_b,"axG",@progbits,_ZN2at6native12_GLOBAL__N_112gatherMedianIimLi3EEEvNS_4cuda6detail10TensorInfoIT_T0_EENS5_IlS7_EENS5_IKS6_S7_EES7_S7_S7_b,comdat
.Lfunc_end94:
	.size	_ZN2at6native12_GLOBAL__N_112gatherMedianIimLi3EEEvNS_4cuda6detail10TensorInfoIT_T0_EENS5_IlS7_EENS5_IKS6_S7_EES7_S7_S7_b, .Lfunc_end94-_ZN2at6native12_GLOBAL__N_112gatherMedianIimLi3EEEvNS_4cuda6detail10TensorInfoIT_T0_EENS5_IlS7_EENS5_IKS6_S7_EES7_S7_S7_b
                                        ; -- End function
	.set _ZN2at6native12_GLOBAL__N_112gatherMedianIimLi3EEEvNS_4cuda6detail10TensorInfoIT_T0_EENS5_IlS7_EENS5_IKS6_S7_EES7_S7_S7_b.num_vgpr, 48
	.set _ZN2at6native12_GLOBAL__N_112gatherMedianIimLi3EEEvNS_4cuda6detail10TensorInfoIT_T0_EENS5_IlS7_EENS5_IKS6_S7_EES7_S7_S7_b.num_agpr, 0
	.set _ZN2at6native12_GLOBAL__N_112gatherMedianIimLi3EEEvNS_4cuda6detail10TensorInfoIT_T0_EENS5_IlS7_EENS5_IKS6_S7_EES7_S7_S7_b.numbered_sgpr, 96
	.set _ZN2at6native12_GLOBAL__N_112gatherMedianIimLi3EEEvNS_4cuda6detail10TensorInfoIT_T0_EENS5_IlS7_EENS5_IKS6_S7_EES7_S7_S7_b.num_named_barrier, 0
	.set _ZN2at6native12_GLOBAL__N_112gatherMedianIimLi3EEEvNS_4cuda6detail10TensorInfoIT_T0_EENS5_IlS7_EENS5_IKS6_S7_EES7_S7_S7_b.private_seg_size, 0
	.set _ZN2at6native12_GLOBAL__N_112gatherMedianIimLi3EEEvNS_4cuda6detail10TensorInfoIT_T0_EENS5_IlS7_EENS5_IKS6_S7_EES7_S7_S7_b.uses_vcc, 1
	.set _ZN2at6native12_GLOBAL__N_112gatherMedianIimLi3EEEvNS_4cuda6detail10TensorInfoIT_T0_EENS5_IlS7_EENS5_IKS6_S7_EES7_S7_S7_b.uses_flat_scratch, 0
	.set _ZN2at6native12_GLOBAL__N_112gatherMedianIimLi3EEEvNS_4cuda6detail10TensorInfoIT_T0_EENS5_IlS7_EENS5_IKS6_S7_EES7_S7_S7_b.has_dyn_sized_stack, 0
	.set _ZN2at6native12_GLOBAL__N_112gatherMedianIimLi3EEEvNS_4cuda6detail10TensorInfoIT_T0_EENS5_IlS7_EENS5_IKS6_S7_EES7_S7_S7_b.has_recursion, 0
	.set _ZN2at6native12_GLOBAL__N_112gatherMedianIimLi3EEEvNS_4cuda6detail10TensorInfoIT_T0_EENS5_IlS7_EENS5_IKS6_S7_EES7_S7_S7_b.has_indirect_call, 0
	.section	.AMDGPU.csdata,"",@progbits
; Kernel info:
; codeLenInByte = 15812
; TotalNumSgprs: 100
; NumVgprs: 48
; ScratchSize: 0
; MemoryBound: 0
; FloatMode: 240
; IeeeMode: 1
; LDSByteSize: 5152 bytes/workgroup (compile time only)
; SGPRBlocks: 12
; VGPRBlocks: 11
; NumSGPRsForWavesPerEU: 100
; NumVGPRsForWavesPerEU: 48
; Occupancy: 5
; WaveLimiterHint : 1
; COMPUTE_PGM_RSRC2:SCRATCH_EN: 0
; COMPUTE_PGM_RSRC2:USER_SGPR: 6
; COMPUTE_PGM_RSRC2:TRAP_HANDLER: 0
; COMPUTE_PGM_RSRC2:TGID_X_EN: 1
; COMPUTE_PGM_RSRC2:TGID_Y_EN: 1
; COMPUTE_PGM_RSRC2:TGID_Z_EN: 1
; COMPUTE_PGM_RSRC2:TIDIG_COMP_CNT: 0
	.section	.text._ZN2at6native12_GLOBAL__N_112gatherMedianIimLin1EEEvNS_4cuda6detail10TensorInfoIT_T0_EENS5_IlS7_EENS5_IKS6_S7_EES7_S7_S7_b,"axG",@progbits,_ZN2at6native12_GLOBAL__N_112gatherMedianIimLin1EEEvNS_4cuda6detail10TensorInfoIT_T0_EENS5_IlS7_EENS5_IKS6_S7_EES7_S7_S7_b,comdat
	.globl	_ZN2at6native12_GLOBAL__N_112gatherMedianIimLin1EEEvNS_4cuda6detail10TensorInfoIT_T0_EENS5_IlS7_EENS5_IKS6_S7_EES7_S7_S7_b ; -- Begin function _ZN2at6native12_GLOBAL__N_112gatherMedianIimLin1EEEvNS_4cuda6detail10TensorInfoIT_T0_EENS5_IlS7_EENS5_IKS6_S7_EES7_S7_S7_b
	.p2align	8
	.type	_ZN2at6native12_GLOBAL__N_112gatherMedianIimLin1EEEvNS_4cuda6detail10TensorInfoIT_T0_EENS5_IlS7_EENS5_IKS6_S7_EES7_S7_S7_b,@function
_ZN2at6native12_GLOBAL__N_112gatherMedianIimLin1EEEvNS_4cuda6detail10TensorInfoIT_T0_EENS5_IlS7_EENS5_IKS6_S7_EES7_S7_S7_b: ; @_ZN2at6native12_GLOBAL__N_112gatherMedianIimLin1EEEvNS_4cuda6detail10TensorInfoIT_T0_EENS5_IlS7_EENS5_IKS6_S7_EES7_S7_S7_b
; %bb.0:
	s_load_dwordx2 s[2:3], s[4:5], 0x500
	s_load_dwordx4 s[52:55], s[4:5], 0x4e0
	s_add_u32 s10, s4, 0x500
	s_addc_u32 s11, s5, 0
	s_mov_b32 s1, 0
	s_waitcnt lgkmcnt(0)
	s_mul_i32 s0, s3, s8
	s_add_i32 s0, s0, s7
	s_mul_i32 s0, s0, s2
	s_add_i32 s0, s0, s6
	v_mov_b32_e32 v2, s1
	v_mov_b32_e32 v1, s0
	v_cmp_le_u64_e32 vcc, s[54:55], v[1:2]
	s_cbranch_vccnz .LBB95_298
; %bb.1:
	s_load_dword s7, s[4:5], 0x198
	s_load_dwordx2 s[56:57], s[4:5], 0x4f0
	s_mov_b64 s[28:29], 0
	s_mov_b64 s[20:21], s[0:1]
	s_waitcnt lgkmcnt(0)
	s_cmp_lt_i32 s7, 2
	s_cbranch_scc1 .LBB95_9
; %bb.2:
	s_mov_b32 s8, 0
	s_add_i32 s12, s7, -1
	s_mov_b32 s13, s8
	s_add_i32 s3, s7, 1
	s_lshl_b64 s[12:13], s[12:13], 3
	s_add_u32 s7, s4, s12
	s_addc_u32 s9, s5, s13
	s_add_u32 s12, s7, 8
	s_addc_u32 s13, s9, 0
	s_mov_b64 s[14:15], s[0:1]
.LBB95_3:                               ; =>This Inner Loop Header: Depth=1
	s_load_dwordx2 s[16:17], s[12:13], 0x0
	s_waitcnt lgkmcnt(0)
	s_or_b64 s[18:19], s[14:15], s[16:17]
	s_mov_b32 s9, s19
	s_cmp_lg_u64 s[8:9], 0
	s_cbranch_scc0 .LBB95_8
; %bb.4:                                ;   in Loop: Header=BB95_3 Depth=1
	v_cvt_f32_u32_e32 v1, s16
	v_cvt_f32_u32_e32 v2, s17
	s_sub_u32 s7, 0, s16
	s_subb_u32 s9, 0, s17
	v_mac_f32_e32 v1, 0x4f800000, v2
	v_rcp_f32_e32 v1, v1
	v_mul_f32_e32 v1, 0x5f7ffffc, v1
	v_mul_f32_e32 v2, 0x2f800000, v1
	v_trunc_f32_e32 v2, v2
	v_mac_f32_e32 v1, 0xcf800000, v2
	v_cvt_u32_f32_e32 v2, v2
	v_cvt_u32_f32_e32 v1, v1
	v_readfirstlane_b32 s20, v2
	v_readfirstlane_b32 s18, v1
	s_mul_i32 s19, s7, s20
	s_mul_hi_u32 s22, s7, s18
	s_mul_i32 s21, s9, s18
	s_add_i32 s19, s22, s19
	s_mul_i32 s23, s7, s18
	s_add_i32 s19, s19, s21
	s_mul_i32 s22, s18, s19
	s_mul_hi_u32 s24, s18, s23
	s_mul_hi_u32 s21, s18, s19
	s_add_u32 s22, s24, s22
	s_addc_u32 s21, 0, s21
	s_mul_hi_u32 s25, s20, s23
	s_mul_i32 s23, s20, s23
	s_add_u32 s22, s22, s23
	s_mul_hi_u32 s24, s20, s19
	s_addc_u32 s21, s21, s25
	s_addc_u32 s22, s24, 0
	s_mul_i32 s19, s20, s19
	s_add_u32 s19, s21, s19
	s_addc_u32 s21, 0, s22
	s_add_u32 s22, s18, s19
	s_cselect_b64 s[18:19], -1, 0
	s_cmp_lg_u64 s[18:19], 0
	s_addc_u32 s20, s20, s21
	s_mul_i32 s18, s7, s20
	s_mul_hi_u32 s19, s7, s22
	s_add_i32 s18, s19, s18
	s_mul_i32 s9, s9, s22
	s_add_i32 s18, s18, s9
	s_mul_i32 s7, s7, s22
	s_mul_hi_u32 s19, s20, s7
	s_mul_i32 s21, s20, s7
	s_mul_i32 s24, s22, s18
	s_mul_hi_u32 s7, s22, s7
	s_mul_hi_u32 s23, s22, s18
	s_add_u32 s7, s7, s24
	s_addc_u32 s23, 0, s23
	s_add_u32 s7, s7, s21
	s_mul_hi_u32 s9, s20, s18
	s_addc_u32 s7, s23, s19
	s_addc_u32 s9, s9, 0
	s_mul_i32 s18, s20, s18
	s_add_u32 s7, s7, s18
	s_addc_u32 s9, 0, s9
	s_add_u32 s7, s22, s7
	s_cselect_b64 s[18:19], -1, 0
	s_cmp_lg_u64 s[18:19], 0
	s_addc_u32 s9, s20, s9
	s_mul_i32 s19, s14, s9
	s_mul_hi_u32 s20, s14, s7
	s_mul_hi_u32 s18, s14, s9
	s_add_u32 s19, s20, s19
	s_addc_u32 s18, 0, s18
	s_mul_hi_u32 s21, s15, s7
	s_mul_i32 s7, s15, s7
	s_add_u32 s7, s19, s7
	s_mul_hi_u32 s20, s15, s9
	s_addc_u32 s7, s18, s21
	s_addc_u32 s18, s20, 0
	s_mul_i32 s9, s15, s9
	s_add_u32 s7, s7, s9
	s_addc_u32 s9, 0, s18
	s_mul_i32 s18, s16, s9
	s_mul_hi_u32 s19, s16, s7
	s_add_i32 s18, s19, s18
	s_mul_i32 s19, s17, s7
	s_add_i32 s22, s18, s19
	s_sub_i32 s20, s15, s22
	s_mul_i32 s18, s16, s7
	s_sub_u32 s23, s14, s18
	s_cselect_b64 s[18:19], -1, 0
	s_cmp_lg_u64 s[18:19], 0
	s_subb_u32 s24, s20, s17
	s_sub_u32 s25, s23, s16
	s_cselect_b64 s[20:21], -1, 0
	s_cmp_lg_u64 s[20:21], 0
	s_subb_u32 s20, s24, 0
	s_cmp_ge_u32 s20, s17
	s_cselect_b32 s21, -1, 0
	s_cmp_ge_u32 s25, s16
	s_cselect_b32 s24, -1, 0
	s_cmp_eq_u32 s20, s17
	s_cselect_b32 s20, s24, s21
	s_add_u32 s21, s7, 1
	s_addc_u32 s24, s9, 0
	s_add_u32 s25, s7, 2
	s_addc_u32 s26, s9, 0
	s_cmp_lg_u32 s20, 0
	s_cselect_b32 s20, s25, s21
	s_cselect_b32 s21, s26, s24
	s_cmp_lg_u64 s[18:19], 0
	s_subb_u32 s18, s15, s22
	s_cmp_ge_u32 s18, s17
	s_cselect_b32 s19, -1, 0
	s_cmp_ge_u32 s23, s16
	s_cselect_b32 s22, -1, 0
	s_cmp_eq_u32 s18, s17
	s_cselect_b32 s18, s22, s19
	s_cmp_lg_u32 s18, 0
	s_cselect_b32 s21, s21, s9
	s_cselect_b32 s20, s20, s7
	s_cbranch_execnz .LBB95_6
.LBB95_5:                               ;   in Loop: Header=BB95_3 Depth=1
	v_cvt_f32_u32_e32 v1, s16
	s_sub_i32 s7, 0, s16
	s_mov_b32 s21, s8
	v_rcp_iflag_f32_e32 v1, v1
	v_mul_f32_e32 v1, 0x4f7ffffe, v1
	v_cvt_u32_f32_e32 v1, v1
	v_readfirstlane_b32 s9, v1
	s_mul_i32 s7, s7, s9
	s_mul_hi_u32 s7, s9, s7
	s_add_i32 s9, s9, s7
	s_mul_hi_u32 s7, s14, s9
	s_mul_i32 s18, s7, s16
	s_sub_i32 s18, s14, s18
	s_add_i32 s9, s7, 1
	s_sub_i32 s19, s18, s16
	s_cmp_ge_u32 s18, s16
	s_cselect_b32 s7, s9, s7
	s_cselect_b32 s18, s19, s18
	s_add_i32 s9, s7, 1
	s_cmp_ge_u32 s18, s16
	s_cselect_b32 s20, s9, s7
.LBB95_6:                               ;   in Loop: Header=BB95_3 Depth=1
	s_mul_i32 s7, s20, s17
	s_mul_hi_u32 s9, s20, s16
	s_load_dwordx2 s[18:19], s[12:13], 0xc8
	s_add_i32 s7, s9, s7
	s_mul_i32 s9, s21, s16
	s_add_i32 s7, s7, s9
	s_mul_i32 s9, s20, s16
	s_sub_u32 s9, s14, s9
	s_subb_u32 s7, s15, s7
	s_waitcnt lgkmcnt(0)
	s_mul_i32 s7, s18, s7
	s_mul_hi_u32 s14, s18, s9
	s_add_i32 s7, s14, s7
	s_mul_i32 s14, s19, s9
	s_add_i32 s7, s7, s14
	s_mul_i32 s9, s18, s9
	s_add_u32 s28, s9, s28
	s_addc_u32 s29, s7, s29
	s_add_i32 s3, s3, -1
	s_add_u32 s12, s12, -8
	s_addc_u32 s13, s13, -1
	s_cmp_gt_u32 s3, 2
	s_cbranch_scc0 .LBB95_9
; %bb.7:                                ;   in Loop: Header=BB95_3 Depth=1
	s_mov_b64 s[14:15], s[20:21]
	s_branch .LBB95_3
.LBB95_8:                               ;   in Loop: Header=BB95_3 Depth=1
                                        ; implicit-def: $sgpr20_sgpr21
	s_branch .LBB95_5
.LBB95_9:
                                        ; implicit-def: $vgpr56 : SGPR spill to VGPR lane
	s_load_dword s7, s[4:5], 0x338
	s_load_dwordx2 s[8:9], s[4:5], 0xd0
	v_writelane_b32 v56, s28, 0
	v_writelane_b32 v56, s29, 1
	;; [unrolled: 1-line block ×4, first 2 shown]
	s_waitcnt lgkmcnt(0)
	v_writelane_b32 v56, s8, 4
	v_writelane_b32 v56, s9, 5
	s_add_u32 s8, s4, 0x1a0
	s_addc_u32 s9, s5, 0
	s_mov_b64 s[44:45], 0
	s_cmp_lt_i32 s7, 2
	s_mov_b64 s[64:65], s[0:1]
	s_cbranch_scc1 .LBB95_17
; %bb.10:
	s_mov_b32 s12, 0
	s_add_i32 s14, s7, -1
	s_mov_b32 s15, s12
	s_add_i32 s3, s7, 1
	s_lshl_b64 s[14:15], s[14:15], 3
	s_add_u32 s7, s8, s14
	s_addc_u32 s13, s9, s15
	s_add_u32 s14, s7, 8
	s_addc_u32 s15, s13, 0
	s_mov_b64 s[16:17], s[0:1]
.LBB95_11:                              ; =>This Inner Loop Header: Depth=1
	s_load_dwordx2 s[18:19], s[14:15], 0x0
	s_waitcnt lgkmcnt(0)
	s_or_b64 s[20:21], s[16:17], s[18:19]
	s_mov_b32 s13, s21
	s_cmp_lg_u64 s[12:13], 0
	s_cbranch_scc0 .LBB95_16
; %bb.12:                               ;   in Loop: Header=BB95_11 Depth=1
	v_cvt_f32_u32_e32 v1, s18
	v_cvt_f32_u32_e32 v2, s19
	s_sub_u32 s7, 0, s18
	s_subb_u32 s13, 0, s19
	v_mac_f32_e32 v1, 0x4f800000, v2
	v_rcp_f32_e32 v1, v1
	v_mul_f32_e32 v1, 0x5f7ffffc, v1
	v_mul_f32_e32 v2, 0x2f800000, v1
	v_trunc_f32_e32 v2, v2
	v_mac_f32_e32 v1, 0xcf800000, v2
	v_cvt_u32_f32_e32 v2, v2
	v_cvt_u32_f32_e32 v1, v1
	v_readfirstlane_b32 s22, v2
	v_readfirstlane_b32 s20, v1
	s_mul_i32 s21, s7, s22
	s_mul_hi_u32 s24, s7, s20
	s_mul_i32 s23, s13, s20
	s_add_i32 s21, s24, s21
	s_mul_i32 s25, s7, s20
	s_add_i32 s21, s21, s23
	s_mul_i32 s24, s20, s21
	s_mul_hi_u32 s26, s20, s25
	s_mul_hi_u32 s23, s20, s21
	s_add_u32 s24, s26, s24
	s_addc_u32 s23, 0, s23
	s_mul_hi_u32 s27, s22, s25
	s_mul_i32 s25, s22, s25
	s_add_u32 s24, s24, s25
	s_mul_hi_u32 s26, s22, s21
	s_addc_u32 s23, s23, s27
	s_addc_u32 s24, s26, 0
	s_mul_i32 s21, s22, s21
	s_add_u32 s21, s23, s21
	s_addc_u32 s23, 0, s24
	s_add_u32 s24, s20, s21
	s_cselect_b64 s[20:21], -1, 0
	s_cmp_lg_u64 s[20:21], 0
	s_addc_u32 s22, s22, s23
	s_mul_i32 s20, s7, s22
	s_mul_hi_u32 s21, s7, s24
	s_add_i32 s20, s21, s20
	s_mul_i32 s13, s13, s24
	s_add_i32 s20, s20, s13
	s_mul_i32 s7, s7, s24
	s_mul_hi_u32 s21, s22, s7
	s_mul_i32 s23, s22, s7
	s_mul_i32 s26, s24, s20
	s_mul_hi_u32 s7, s24, s7
	s_mul_hi_u32 s25, s24, s20
	s_add_u32 s7, s7, s26
	s_addc_u32 s25, 0, s25
	s_add_u32 s7, s7, s23
	s_mul_hi_u32 s13, s22, s20
	s_addc_u32 s7, s25, s21
	s_addc_u32 s13, s13, 0
	s_mul_i32 s20, s22, s20
	s_add_u32 s7, s7, s20
	s_addc_u32 s13, 0, s13
	s_add_u32 s7, s24, s7
	s_cselect_b64 s[20:21], -1, 0
	s_cmp_lg_u64 s[20:21], 0
	s_addc_u32 s13, s22, s13
	s_mul_i32 s21, s16, s13
	s_mul_hi_u32 s22, s16, s7
	s_mul_hi_u32 s20, s16, s13
	s_add_u32 s21, s22, s21
	s_addc_u32 s20, 0, s20
	s_mul_hi_u32 s23, s17, s7
	s_mul_i32 s7, s17, s7
	s_add_u32 s7, s21, s7
	s_mul_hi_u32 s22, s17, s13
	s_addc_u32 s7, s20, s23
	s_addc_u32 s20, s22, 0
	s_mul_i32 s13, s17, s13
	s_add_u32 s7, s7, s13
	s_addc_u32 s13, 0, s20
	s_mul_i32 s20, s18, s13
	s_mul_hi_u32 s21, s18, s7
	s_add_i32 s20, s21, s20
	s_mul_i32 s21, s19, s7
	s_add_i32 s24, s20, s21
	s_sub_i32 s22, s17, s24
	s_mul_i32 s20, s18, s7
	s_sub_u32 s25, s16, s20
	s_cselect_b64 s[20:21], -1, 0
	s_cmp_lg_u64 s[20:21], 0
	s_subb_u32 s26, s22, s19
	s_sub_u32 s27, s25, s18
	s_cselect_b64 s[22:23], -1, 0
	s_cmp_lg_u64 s[22:23], 0
	s_subb_u32 s22, s26, 0
	s_cmp_ge_u32 s22, s19
	s_cselect_b32 s23, -1, 0
	s_cmp_ge_u32 s27, s18
	s_cselect_b32 s26, -1, 0
	s_cmp_eq_u32 s22, s19
	s_cselect_b32 s22, s26, s23
	s_add_u32 s23, s7, 1
	s_addc_u32 s26, s13, 0
	s_add_u32 s27, s7, 2
	s_addc_u32 s28, s13, 0
	s_cmp_lg_u32 s22, 0
	s_cselect_b32 s22, s27, s23
	s_cselect_b32 s23, s28, s26
	s_cmp_lg_u64 s[20:21], 0
	s_subb_u32 s20, s17, s24
	s_cmp_ge_u32 s20, s19
	s_cselect_b32 s21, -1, 0
	s_cmp_ge_u32 s25, s18
	s_cselect_b32 s24, -1, 0
	s_cmp_eq_u32 s20, s19
	s_cselect_b32 s20, s24, s21
	s_cmp_lg_u32 s20, 0
	s_cselect_b32 s65, s23, s13
	s_cselect_b32 s64, s22, s7
	s_cbranch_execnz .LBB95_14
.LBB95_13:                              ;   in Loop: Header=BB95_11 Depth=1
	v_cvt_f32_u32_e32 v1, s18
	s_sub_i32 s7, 0, s18
	s_mov_b32 s65, s12
	v_rcp_iflag_f32_e32 v1, v1
	v_mul_f32_e32 v1, 0x4f7ffffe, v1
	v_cvt_u32_f32_e32 v1, v1
	v_readfirstlane_b32 s13, v1
	s_mul_i32 s7, s7, s13
	s_mul_hi_u32 s7, s13, s7
	s_add_i32 s13, s13, s7
	s_mul_hi_u32 s7, s16, s13
	s_mul_i32 s20, s7, s18
	s_sub_i32 s20, s16, s20
	s_add_i32 s13, s7, 1
	s_sub_i32 s21, s20, s18
	s_cmp_ge_u32 s20, s18
	s_cselect_b32 s7, s13, s7
	s_cselect_b32 s20, s21, s20
	s_add_i32 s13, s7, 1
	s_cmp_ge_u32 s20, s18
	s_cselect_b32 s64, s13, s7
.LBB95_14:                              ;   in Loop: Header=BB95_11 Depth=1
	s_mul_i32 s7, s64, s19
	s_mul_hi_u32 s13, s64, s18
	s_load_dwordx2 s[20:21], s[14:15], 0xc8
	s_add_i32 s7, s13, s7
	s_mul_i32 s13, s65, s18
	s_add_i32 s7, s7, s13
	s_mul_i32 s13, s64, s18
	s_sub_u32 s13, s16, s13
	s_subb_u32 s7, s17, s7
	s_waitcnt lgkmcnt(0)
	s_mul_i32 s7, s20, s7
	s_mul_hi_u32 s16, s20, s13
	s_add_i32 s7, s16, s7
	s_mul_i32 s16, s21, s13
	s_add_i32 s7, s7, s16
	s_mul_i32 s13, s20, s13
	s_add_u32 s44, s13, s44
	s_addc_u32 s45, s7, s45
	s_add_i32 s3, s3, -1
	s_add_u32 s14, s14, -8
	s_addc_u32 s15, s15, -1
	s_cmp_gt_u32 s3, 2
	s_cbranch_scc0 .LBB95_17
; %bb.15:                               ;   in Loop: Header=BB95_11 Depth=1
	s_mov_b64 s[16:17], s[64:65]
	s_branch .LBB95_11
.LBB95_16:                              ;   in Loop: Header=BB95_11 Depth=1
                                        ; implicit-def: $sgpr64_sgpr65
	s_branch .LBB95_13
.LBB95_17:
	s_load_dword s12, s[4:5], 0x4d8
	s_load_dwordx2 s[14:15], s[8:9], 0xd0
	s_add_u32 s7, s4, 0x340
	s_addc_u32 s13, s5, 0
                                        ; kill: killed $sgpr8 killed $sgpr9
	s_mov_b64 s[8:9], 0
	s_waitcnt lgkmcnt(0)
	s_cmp_lt_i32 s12, 2
	v_writelane_b32 v56, s14, 6
	v_writelane_b32 v56, s15, 7
	s_cbranch_scc1 .LBB95_25
; %bb.18:
	s_add_i32 s3, s12, 1
	s_add_i32 s8, s12, -1
	s_mov_b32 s12, 0
	s_mov_b32 s9, s12
	s_lshl_b64 s[8:9], s[8:9], 3
	s_add_u32 s7, s7, s8
	s_addc_u32 s8, s13, s9
	s_add_u32 s14, s7, 8
	s_addc_u32 s15, s8, 0
	s_mov_b64 s[8:9], 0
.LBB95_19:                              ; =>This Inner Loop Header: Depth=1
	s_load_dwordx2 s[16:17], s[14:15], 0x0
	s_waitcnt lgkmcnt(0)
	s_or_b64 s[18:19], s[0:1], s[16:17]
	s_mov_b32 s13, s19
	s_cmp_lg_u64 s[12:13], 0
	s_cbranch_scc0 .LBB95_24
; %bb.20:                               ;   in Loop: Header=BB95_19 Depth=1
	v_cvt_f32_u32_e32 v1, s16
	v_cvt_f32_u32_e32 v2, s17
	s_sub_u32 s7, 0, s16
	s_subb_u32 s13, 0, s17
	v_mac_f32_e32 v1, 0x4f800000, v2
	v_rcp_f32_e32 v1, v1
	v_mul_f32_e32 v1, 0x5f7ffffc, v1
	v_mul_f32_e32 v2, 0x2f800000, v1
	v_trunc_f32_e32 v2, v2
	v_mac_f32_e32 v1, 0xcf800000, v2
	v_cvt_u32_f32_e32 v2, v2
	v_cvt_u32_f32_e32 v1, v1
	v_readfirstlane_b32 s20, v2
	v_readfirstlane_b32 s18, v1
	s_mul_i32 s19, s7, s20
	s_mul_hi_u32 s22, s7, s18
	s_mul_i32 s21, s13, s18
	s_add_i32 s19, s22, s19
	s_mul_i32 s23, s7, s18
	s_add_i32 s19, s19, s21
	s_mul_i32 s22, s18, s19
	s_mul_hi_u32 s24, s18, s23
	s_mul_hi_u32 s21, s18, s19
	s_add_u32 s22, s24, s22
	s_addc_u32 s21, 0, s21
	s_mul_hi_u32 s25, s20, s23
	s_mul_i32 s23, s20, s23
	s_add_u32 s22, s22, s23
	s_mul_hi_u32 s24, s20, s19
	s_addc_u32 s21, s21, s25
	s_addc_u32 s22, s24, 0
	s_mul_i32 s19, s20, s19
	s_add_u32 s19, s21, s19
	s_addc_u32 s21, 0, s22
	s_add_u32 s22, s18, s19
	s_cselect_b64 s[18:19], -1, 0
	s_cmp_lg_u64 s[18:19], 0
	s_addc_u32 s20, s20, s21
	s_mul_i32 s18, s7, s20
	s_mul_hi_u32 s19, s7, s22
	s_add_i32 s18, s19, s18
	s_mul_i32 s13, s13, s22
	s_add_i32 s18, s18, s13
	s_mul_i32 s7, s7, s22
	s_mul_hi_u32 s19, s20, s7
	s_mul_i32 s21, s20, s7
	s_mul_i32 s24, s22, s18
	s_mul_hi_u32 s7, s22, s7
	s_mul_hi_u32 s23, s22, s18
	s_add_u32 s7, s7, s24
	s_addc_u32 s23, 0, s23
	s_add_u32 s7, s7, s21
	s_mul_hi_u32 s13, s20, s18
	s_addc_u32 s7, s23, s19
	s_addc_u32 s13, s13, 0
	s_mul_i32 s18, s20, s18
	s_add_u32 s7, s7, s18
	s_addc_u32 s13, 0, s13
	s_add_u32 s7, s22, s7
	s_cselect_b64 s[18:19], -1, 0
	s_cmp_lg_u64 s[18:19], 0
	s_addc_u32 s13, s20, s13
	s_mul_i32 s19, s0, s13
	s_mul_hi_u32 s20, s0, s7
	s_mul_hi_u32 s18, s0, s13
	s_add_u32 s19, s20, s19
	s_addc_u32 s18, 0, s18
	s_mul_hi_u32 s21, s1, s7
	s_mul_i32 s7, s1, s7
	s_add_u32 s7, s19, s7
	s_mul_hi_u32 s20, s1, s13
	s_addc_u32 s7, s18, s21
	s_addc_u32 s18, s20, 0
	s_mul_i32 s13, s1, s13
	s_add_u32 s7, s7, s13
	s_addc_u32 s13, 0, s18
	s_mul_i32 s18, s16, s13
	s_mul_hi_u32 s19, s16, s7
	s_add_i32 s18, s19, s18
	s_mul_i32 s19, s17, s7
	s_add_i32 s22, s18, s19
	s_sub_i32 s20, s1, s22
	s_mul_i32 s18, s16, s7
	s_sub_u32 s23, s0, s18
	s_cselect_b64 s[18:19], -1, 0
	s_cmp_lg_u64 s[18:19], 0
	s_subb_u32 s24, s20, s17
	s_sub_u32 s25, s23, s16
	s_cselect_b64 s[20:21], -1, 0
	s_cmp_lg_u64 s[20:21], 0
	s_subb_u32 s20, s24, 0
	s_cmp_ge_u32 s20, s17
	s_cselect_b32 s21, -1, 0
	s_cmp_ge_u32 s25, s16
	s_cselect_b32 s24, -1, 0
	s_cmp_eq_u32 s20, s17
	s_cselect_b32 s20, s24, s21
	s_add_u32 s21, s7, 1
	s_addc_u32 s24, s13, 0
	s_add_u32 s25, s7, 2
	s_addc_u32 s26, s13, 0
	s_cmp_lg_u32 s20, 0
	s_cselect_b32 s20, s25, s21
	s_cselect_b32 s21, s26, s24
	s_cmp_lg_u64 s[18:19], 0
	s_subb_u32 s18, s1, s22
	s_cmp_ge_u32 s18, s17
	s_cselect_b32 s19, -1, 0
	s_cmp_ge_u32 s23, s16
	s_cselect_b32 s22, -1, 0
	s_cmp_eq_u32 s18, s17
	s_cselect_b32 s18, s22, s19
	s_cmp_lg_u32 s18, 0
	s_cselect_b32 s19, s21, s13
	s_cselect_b32 s18, s20, s7
	s_cbranch_execnz .LBB95_22
.LBB95_21:                              ;   in Loop: Header=BB95_19 Depth=1
	v_cvt_f32_u32_e32 v1, s16
	s_sub_i32 s7, 0, s16
	v_rcp_iflag_f32_e32 v1, v1
	v_mul_f32_e32 v1, 0x4f7ffffe, v1
	v_cvt_u32_f32_e32 v1, v1
	v_readfirstlane_b32 s13, v1
	s_mul_i32 s7, s7, s13
	s_mul_hi_u32 s7, s13, s7
	s_add_i32 s13, s13, s7
	s_mul_hi_u32 s7, s0, s13
	s_mul_i32 s18, s7, s16
	s_sub_i32 s18, s0, s18
	s_add_i32 s13, s7, 1
	s_sub_i32 s19, s18, s16
	s_cmp_ge_u32 s18, s16
	s_cselect_b32 s7, s13, s7
	s_cselect_b32 s18, s19, s18
	s_add_i32 s13, s7, 1
	s_cmp_ge_u32 s18, s16
	s_cselect_b32 s18, s13, s7
	s_mov_b32 s19, s12
.LBB95_22:                              ;   in Loop: Header=BB95_19 Depth=1
	s_mul_i32 s7, s18, s17
	s_mul_hi_u32 s13, s18, s16
	s_load_dwordx2 s[20:21], s[14:15], 0xc8
	s_add_i32 s7, s13, s7
	s_mul_i32 s13, s19, s16
	s_add_i32 s7, s7, s13
	s_mul_i32 s13, s18, s16
	s_sub_u32 s0, s0, s13
	s_subb_u32 s1, s1, s7
	s_waitcnt lgkmcnt(0)
	s_mul_i32 s1, s20, s1
	s_mul_hi_u32 s7, s20, s0
	s_add_i32 s1, s7, s1
	s_mul_i32 s7, s21, s0
	s_add_i32 s1, s1, s7
	s_mul_i32 s0, s20, s0
	s_add_u32 s8, s0, s8
	s_addc_u32 s9, s1, s9
	s_add_i32 s3, s3, -1
	s_add_u32 s14, s14, -8
	s_addc_u32 s15, s15, -1
	s_cmp_gt_u32 s3, 2
	s_cbranch_scc0 .LBB95_26
; %bb.23:                               ;   in Loop: Header=BB95_19 Depth=1
	s_mov_b64 s[0:1], s[18:19]
	s_branch .LBB95_19
.LBB95_24:                              ;   in Loop: Header=BB95_19 Depth=1
                                        ; implicit-def: $sgpr18_sgpr19
	s_branch .LBB95_21
.LBB95_25:
	s_mov_b64 s[18:19], s[0:1]
.LBB95_26:
	v_cmp_eq_u32_e64 s[12:13], 0, v0
	s_mov_b64 s[0:1], exec
	v_writelane_b32 v56, s12, 8
	v_writelane_b32 v56, s13, 9
	s_and_b64 s[12:13], s[0:1], s[12:13]
	s_mov_b64 exec, s[12:13]
; %bb.27:
	v_mov_b32_e32 v1, 0
	v_mov_b32_e32 v2, v1
	ds_write_b64 v1, v[1:2] offset:5136
; %bb.28:
	s_or_b64 exec, exec, s[0:1]
	v_mov_b32_e32 v1, 0
	s_load_dword s3, s[4:5], 0x4f8
	s_waitcnt lgkmcnt(0)
	s_barrier
	s_barrier
	ds_read_b64 v[1:2], v1 offset:5136
	s_load_dwordx2 s[12:13], s[4:5], 0x410
	s_load_dwordx2 s[0:1], s[4:5], 0x340
	s_bitcmp1_b32 s3, 0
	s_cselect_b64 s[14:15], -1, 0
	v_mov_b32_e32 v28, s52
	s_waitcnt lgkmcnt(0)
	v_cmp_gt_i64_e32 vcc, 1, v[1:2]
	v_mov_b32_e32 v29, s53
	s_or_b64 s[14:15], s[14:15], vcc
	s_andn2_b64 vcc, exec, s[14:15]
	s_cbranch_vccnz .LBB95_30
; %bb.29:
	v_not_b32_e32 v1, v1
	v_not_b32_e32 v2, v2
	v_mov_b32_e32 v3, s53
	v_add_co_u32_e32 v1, vcc, s52, v1
	v_addc_co_u32_e32 v2, vcc, v3, v2, vcc
	v_lshrrev_b64 v[1:2], 1, v[1:2]
	v_add_co_u32_e32 v28, vcc, 1, v1
	v_addc_co_u32_e32 v29, vcc, 0, v2, vcc
.LBB95_30:
	s_load_dwordx2 s[14:15], s[4:5], 0x0
                                        ; kill: killed $sgpr4 killed $sgpr5
	s_waitcnt lgkmcnt(0)
	v_writelane_b32 v56, s14, 10
	v_writelane_b32 v56, s15, 11
	s_load_dwordx2 s[14:15], s[4:5], 0x1a0
	s_waitcnt lgkmcnt(0)
	v_writelane_b32 v56, s14, 12
	v_writelane_b32 v56, s15, 13
	s_mov_b64 s[4:5], exec
	v_readlane_b32 s14, v56, 8
	v_readlane_b32 s15, v56, 9
	s_and_b64 s[14:15], s[4:5], s[14:15]
	s_mov_b64 exec, s[14:15]
	s_cbranch_execz .LBB95_32
; %bb.31:
	v_mov_b32_e32 v1, 0
	v_mov_b32_e32 v3, s52
	;; [unrolled: 1-line block ×4, first 2 shown]
	ds_write_b32 v1, v1 offset:5144
	ds_write_b128 v1, v[1:4] offset:5120
.LBB95_32:
	s_or_b64 exec, exec, s[4:5]
	s_mul_i32 s3, s12, s19
	s_mul_hi_u32 s4, s12, s18
	s_add_i32 s3, s4, s3
	s_mul_i32 s4, s13, s18
	v_mov_b32_e32 v10, 0
	s_add_i32 s5, s3, s4
	s_mul_i32 s4, s12, s18
	v_mov_b32_e32 v1, v10
	s_lshl_b64 s[12:13], s[4:5], 2
	v_cmp_gt_u64_e64 s[4:5], s[52:53], v[0:1]
	v_mbcnt_lo_u32_b32 v2, -1, 0
	v_writelane_b32 v56, s4, 14
	v_writelane_b32 v56, s5, 15
	v_mbcnt_hi_u32_b32 v40, -1, v2
	v_mad_u64_u32 v[2:3], s[4:5], s56, v0, 0
	s_waitcnt lgkmcnt(0)
	s_barrier
	v_mad_u64_u32 v[3:4], s[4:5], s57, v0, v[3:4]
	v_mov_b32_e32 v4, 0x300
	s_load_dword s3, s[10:11], 0xc
	v_mov_b32_e32 v5, 0
	s_add_u32 s14, s0, s12
	v_cmp_gt_u64_e64 s[4:5], s[52:53], v[4:5]
	s_addc_u32 s15, s1, s13
	s_lshl_b64 s[72:73], s[8:9], 2
	s_add_u32 s67, s14, s72
	v_cmp_gt_u32_e32 vcc, 64, v0
	v_cmp_gt_i32_e64 s[8:9], 4, v40
	v_writelane_b32 v56, s4, 16
	s_addc_u32 s63, s15, s73
	s_and_b64 s[84:85], vcc, s[8:9]
	v_writelane_b32 v56, s5, 17
	s_waitcnt lgkmcnt(0)
	s_and_b32 s33, s3, 0xffff
	s_bfe_u32 s4, s3, 0xa0006
	s_cmp_gt_u32 s33, 63
	v_lshlrev_b64 v[4:5], 2, v[2:3]
	s_cselect_b64 s[82:83], -1, 0
	s_add_u32 s5, s33, -1
	s_addc_u32 s3, 0, -1
	v_mov_b32_e32 v6, s63
	v_add_co_u32_e32 v15, vcc, s67, v4
	s_add_u32 s66, s5, s52
	v_addc_co_u32_e32 v16, vcc, v6, v5, vcc
	v_lshlrev_b64 v[6:7], v40, -1
	s_addc_u32 s91, s3, s53
	s_cmp_lt_u32 s6, s2
	v_not_b32_e32 v44, v6
	v_lshrrev_b32_e32 v6, 1, v0
	s_cselect_b32 s2, 12, 18
	v_and_b32_e32 v6, 0x1e0, v6
	s_add_u32 s88, s10, s2
	v_not_b32_e32 v43, v7
	v_or_b32_e32 v45, 0xc00, v6
	s_addc_u32 s89, s11, 0
	s_add_i32 s2, s4, -1
	v_lshlrev_b32_e32 v46, 4, v0
	v_mov_b32_e32 v6, s14
	v_writelane_b32 v56, s5, 18
	s_bfe_u32 s5, s33, 0x30006
	s_and_b32 s2, s2, 0xffff
	v_or_b32_e32 v9, 12, v46
	v_mov_b32_e32 v7, s15
	v_writelane_b32 v56, s3, 19
	s_cmp_gt_u32 s2, 6
	v_mad_u64_u32 v[17:18], s[2:3], s56, v9, v[6:7]
	v_lshlrev_b32_e32 v8, 2, v40
	s_cselect_b64 s[2:3], -1, 0
	v_and_b32_e32 v42, 0x100, v8
	v_writelane_b32 v56, s2, 20
	v_mov_b32_e32 v8, v18
	v_writelane_b32 v56, s3, 21
	v_mad_u64_u32 v[8:9], s[2:3], s57, v9, v[8:9]
	v_or_b32_e32 v9, 8, v46
	v_mad_u64_u32 v[19:20], s[2:3], s56, v9, v[6:7]
	s_and_b32 s4, s4, 0x3f8
	s_cmp_lg_u32 s5, 0
	v_writelane_b32 v56, s5, 22
	s_cselect_b64 s[2:3], -1, 0
	v_writelane_b32 v56, s2, 23
	v_mov_b32_e32 v18, v8
	v_mov_b32_e32 v8, v20
	v_writelane_b32 v56, s3, 24
	v_mad_u64_u32 v[8:9], s[2:3], s57, v9, v[8:9]
	v_or_b32_e32 v9, 4, v46
	v_mad_u64_u32 v[21:22], s[2:3], s56, v9, v[6:7]
	s_add_u32 s5, s12, s72
	s_addc_u32 s6, s13, s73
	s_add_u32 s8, s0, s5
	v_mov_b32_e32 v6, v22
	s_addc_u32 s9, s1, s6
	v_mad_u64_u32 v[6:7], s[2:3], s57, v9, v[6:7]
	v_writelane_b32 v56, s8, 25
	v_writelane_b32 v56, s9, 26
	s_lshl_b64 s[2:3], s[56:57], 2
	v_writelane_b32 v56, s2, 27
	v_writelane_b32 v56, s3, 28
	s_lshl_b64 s[2:3], s[56:57], 4
	s_lshl_b32 s62, s33, 2
	v_lshlrev_b64 v[2:3], 4, v[2:3]
	s_add_u32 s0, s0, s72
	s_addc_u32 s1, s1, s73
	v_mov_b32_e32 v22, v6
	v_mov_b32_e32 v6, s15
	v_add_co_u32_e32 v23, vcc, s14, v2
	s_add_u32 s0, s0, s12
	v_addc_co_u32_e32 v24, vcc, v6, v3, vcc
	s_addc_u32 s1, s1, s13
	v_mov_b32_e32 v2, s1
	v_add_co_u32_e32 v11, vcc, s0, v4
	s_mul_i32 s0, s57, s33
	s_mul_hi_u32 s1, s56, s33
	v_writelane_b32 v56, s2, 29
	s_add_i32 s1, s1, s0
	s_mul_i32 s0, s56, s33
	v_writelane_b32 v56, s3, 30
	s_lshl_b64 s[50:51], s[0:1], 2
	s_mov_b64 s[0:1], 0
	v_writelane_b32 v56, s0, 31
	v_writelane_b32 v56, s1, 32
                                        ; implicit-def: $sgpr0_sgpr1
	v_lshlrev_b32_e32 v13, 2, v0
	v_addc_co_u32_e32 v12, vcc, v2, v5, vcc
	v_mov_b32_e32 v2, 0xc00
                                        ; kill: killed $sgpr0_sgpr1
                                        ; implicit-def: $sgpr0_sgpr1
	s_mov_b32 s75, 0
	v_cmp_eq_u32_e64 s[80:81], 0, v40
	v_cmp_gt_u32_e64 s[86:87], 2, v0
	v_add_u32_e32 v41, 0xc00, v13
	v_mov_b32_e32 v14, v10
	v_mov_b32_e32 v20, v8
	v_lshl_or_b32 v47, v40, 3, v2
	s_mov_b32 s5, 30
	v_mov_b32_e32 v49, 0x4f800000
                                        ; kill: killed $sgpr0_sgpr1
                                        ; implicit-def: $sgpr0_sgpr1
	v_mov_b32_e32 v50, 0
	v_mov_b32_e32 v48, 0
	;; [unrolled: 1-line block ×5, first 2 shown]
                                        ; implicit-def: $sgpr94_sgpr95
                                        ; implicit-def: $sgpr48_sgpr49
                                        ; kill: killed $sgpr0_sgpr1
                                        ; implicit-def: $sgpr0_sgpr1
                                        ; kill: killed $sgpr0_sgpr1
	s_branch .LBB95_36
.LBB95_33:                              ;   in Loop: Header=BB95_36 Depth=1
	s_or_b64 exec, exec, s[10:11]
	s_and_b64 s[2:3], s[2:3], exec
	s_andn2_b64 s[20:21], s[20:21], exec
	s_andn2_b64 s[6:7], s[6:7], exec
	s_orn2_b64 s[14:15], s[8:9], exec
.LBB95_34:                              ;   in Loop: Header=BB95_36 Depth=1
	s_or_b64 exec, exec, s[0:1]
	s_andn2_b64 s[0:1], s[68:69], exec
	s_and_b64 s[2:3], s[2:3], exec
	s_or_b64 s[68:69], s[0:1], s[2:3]
	s_andn2_b64 s[0:1], s[76:77], exec
	s_and_b64 s[2:3], s[20:21], exec
	s_or_b64 s[76:77], s[0:1], s[2:3]
	;; [unrolled: 3-line block ×3, first 2 shown]
	s_orn2_b64 s[2:3], s[14:15], exec
.LBB95_35:                              ;   in Loop: Header=BB95_36 Depth=1
	s_or_b64 exec, exec, s[12:13]
	v_readlane_b32 s6, v56, 31
	s_and_b64 s[0:1], exec, s[2:3]
	v_readlane_b32 s7, v56, 32
	s_or_b64 s[6:7], s[0:1], s[6:7]
	v_writelane_b32 v56, s68, 33
	s_andn2_b64 s[0:1], s[48:49], exec
	v_writelane_b32 v56, s69, 34
	s_and_b64 s[2:3], s[68:69], exec
	s_or_b64 s[48:49], s[0:1], s[2:3]
	v_readlane_b32 s0, v56, 39
	v_readlane_b32 s1, v56, 40
	s_andn2_b64 s[0:1], s[0:1], exec
	v_writelane_b32 v56, s76, 35
	s_and_b64 s[2:3], s[76:77], exec
	v_writelane_b32 v56, s77, 36
	s_or_b64 s[0:1], s[0:1], s[2:3]
	v_writelane_b32 v56, s0, 39
	v_writelane_b32 v56, s1, 40
	;; [unrolled: 1-line block ×3, first 2 shown]
	s_andn2_b64 s[0:1], s[94:95], exec
	v_writelane_b32 v56, s71, 38
	s_and_b64 s[2:3], s[70:71], exec
	v_mov_b32_e32 v29, v7
	s_or_b64 s[94:95], s[0:1], s[2:3]
	v_mov_b32_e32 v28, v6
	v_writelane_b32 v56, s6, 31
	v_writelane_b32 v56, s7, 32
	s_andn2_b64 exec, exec, s[6:7]
	s_cbranch_execz .LBB95_294
.LBB95_36:                              ; =>This Loop Header: Depth=1
                                        ;     Child Loop BB95_42 Depth 2
                                        ;     Child Loop BB95_55 Depth 2
	;; [unrolled: 1-line block ×16, first 2 shown]
	ds_read_b128 v[2:5], v10 offset:5120
	s_waitcnt lgkmcnt(0)
	v_readfirstlane_b32 s3, v3
	v_readfirstlane_b32 s2, v2
	s_cmp_lg_u64 s[2:3], 0
	s_cbranch_scc1 .LBB95_63
; %bb.37:                               ;   in Loop: Header=BB95_36 Depth=1
	v_readlane_b32 s0, v56, 16
	v_readlane_b32 s1, v56, 17
	s_and_b64 vcc, exec, s[0:1]
	s_cbranch_vccz .LBB95_50
; %bb.38:                               ;   in Loop: Header=BB95_36 Depth=1
	s_mov_b64 s[0:1], 0x301
	v_cmp_gt_u64_e32 vcc, s[0:1], v[4:5]
	s_mov_b64 s[0:1], 0
	s_mov_b64 s[6:7], 0
	s_cbranch_vccz .LBB95_51
; %bb.39:                               ;   in Loop: Header=BB95_36 Depth=1
	s_mov_b64 s[2:3], exec
	v_readlane_b32 s6, v56, 14
	v_readlane_b32 s7, v56, 15
	s_and_b64 s[6:7], s[2:3], s[6:7]
	s_mov_b64 exec, s[6:7]
	s_cbranch_execz .LBB95_161
; %bb.40:                               ;   in Loop: Header=BB95_36 Depth=1
	global_load_ushort v6, v10, s[88:89]
	global_load_dword v7, v[15:16], off
	v_readlane_b32 s6, v56, 25
	v_readlane_b32 s7, v56, 26
	v_mov_b32_e32 v2, s6
	v_mov_b32_e32 v3, s7
	v_readlane_b32 s12, v56, 27
	v_readlane_b32 s13, v56, 28
	s_mov_b64 s[8:9], 0
	s_waitcnt vmcnt(1)
	v_readfirstlane_b32 s6, v6
	s_and_b32 s10, 0xffff, s6
	v_add_u32_e32 v4, s10, v0
	v_mad_u64_u32 v[2:3], s[6:7], s12, v4, v[2:3]
	s_mul_i32 s11, s13, s10
	s_mul_i32 s18, s12, s10
	v_mad_u64_u32 v[3:4], s[6:7], s13, v4, v[3:4]
	s_mul_hi_u32 s6, s12, s10
	v_mov_b32_e32 v5, v1
	s_add_i32 s19, s6, s11
	v_mov_b32_e32 v4, v0
	s_branch .LBB95_42
.LBB95_41:                              ;   in Loop: Header=BB95_42 Depth=2
	s_or_b64 exec, exec, s[6:7]
	v_mov_b32_e32 v7, s19
	v_add_co_u32_e32 v2, vcc, s18, v2
	v_addc_co_u32_e32 v3, vcc, v3, v7, vcc
	v_mov_b32_e32 v7, v8
	s_andn2_b64 exec, exec, s[8:9]
	s_cbranch_execz .LBB95_161
.LBB95_42:                              ;   Parent Loop BB95_36 Depth=1
                                        ; =>  This Inner Loop Header: Depth=2
	v_add_co_u32_sdwa v4, vcc, v4, v6 dst_sel:DWORD dst_unused:UNUSED_PAD src0_sel:DWORD src1_sel:WORD_0
	v_addc_co_u32_e32 v5, vcc, 0, v5, vcc
	v_cmp_gt_u64_e64 s[6:7], s[52:53], v[4:5]
	v_cmp_le_u64_e32 vcc, s[52:53], v[4:5]
	s_waitcnt lgkmcnt(0)
	v_mov_b32_e32 v9, 0
	v_mov_b32_e32 v8, 0
	s_and_saveexec_b64 s[10:11], s[6:7]
	s_cbranch_execz .LBB95_44
; %bb.43:                               ;   in Loop: Header=BB95_42 Depth=2
	global_load_dword v8, v[2:3], off
.LBB95_44:                              ;   in Loop: Header=BB95_42 Depth=2
	s_or_b64 exec, exec, s[10:11]
	s_waitcnt vmcnt(0)
	v_xor_b32_e32 v26, 0x80000000, v7
	v_and_b32_e32 v26, v26, v51
	v_cmp_eq_u32_e64 s[10:11], v26, v48
	s_cmp_lg_u64 s[10:11], 0
	s_cselect_b64 s[6:7], -1, 0
	s_and_b64 s[6:7], s[80:81], s[6:7]
	s_and_saveexec_b64 s[12:13], s[6:7]
	s_cbranch_execz .LBB95_48
; %bb.45:                               ;   in Loop: Header=BB95_42 Depth=2
	s_mov_b64 s[16:17], exec
	v_mbcnt_lo_u32_b32 v9, s16, 0
	v_mbcnt_hi_u32_b32 v9, s17, v9
	s_bcnt1_i32_b64 s20, s[10:11]
	v_cmp_eq_u32_e64 s[6:7], 0, v9
                                        ; implicit-def: $vgpr26
	s_and_saveexec_b64 s[14:15], s[6:7]
; %bb.46:                               ;   in Loop: Header=BB95_42 Depth=2
	s_bcnt1_i32_b64 s6, s[16:17]
	s_mul_i32 s6, s20, s6
	v_mov_b32_e32 v26, s6
	ds_add_rtn_u32 v26, v10, v26 offset:5144
; %bb.47:                               ;   in Loop: Header=BB95_42 Depth=2
	s_or_b64 exec, exec, s[14:15]
	s_waitcnt lgkmcnt(0)
	v_readfirstlane_b32 s6, v26
	v_mov_b32_e32 v26, s6
	v_mad_u32_u24 v9, s20, v9, v26
.LBB95_48:                              ;   in Loop: Header=BB95_42 Depth=2
	s_or_b64 exec, exec, s[12:13]
	ds_bpermute_b32 v9, v42, v9
	s_and_b64 s[6:7], exec, vcc
	s_or_b64 s[8:9], s[6:7], s[8:9]
	s_and_saveexec_b64 s[6:7], s[10:11]
	s_cbranch_execz .LBB95_41
; %bb.49:                               ;   in Loop: Header=BB95_42 Depth=2
	v_and_b32_e32 v30, s10, v44
	v_and_b32_e32 v26, s11, v43
	v_bcnt_u32_b32 v30, v30, 0
	v_bcnt_u32_b32 v26, v26, v30
	v_lshlrev_b32_e32 v26, 2, v26
	s_waitcnt lgkmcnt(0)
	v_lshl_add_u32 v9, v9, 2, v26
	ds_write_b32 v9, v7
	s_branch .LBB95_41
.LBB95_50:                              ;   in Loop: Header=BB95_36 Depth=1
	s_mov_b64 s[0:1], -1
	s_mov_b64 s[6:7], 0
.LBB95_51:                              ;   in Loop: Header=BB95_36 Depth=1
	s_and_b64 vcc, exec, s[0:1]
	s_cbranch_vccz .LBB95_61
.LBB95_52:                              ;   in Loop: Header=BB95_36 Depth=1
	s_mov_b64 s[0:1], exec
	v_readlane_b32 s2, v56, 14
	v_readlane_b32 s3, v56, 15
	s_and_b64 s[2:3], s[0:1], s[2:3]
	s_mov_b64 exec, s[2:3]
	s_cbranch_execz .LBB95_58
; %bb.53:                               ;   in Loop: Header=BB95_36 Depth=1
	global_load_ushort v2, v10, s[88:89]
	global_load_dword v8, v[15:16], off
	s_waitcnt vmcnt(1)
	v_add_u32_sdwa v9, v2, v0 dst_sel:DWORD dst_unused:UNUSED_PAD src0_sel:WORD_0 src1_sel:DWORD
	v_cmp_gt_u64_e32 vcc, s[52:53], v[9:10]
	v_readfirstlane_b32 s6, v2
	v_mov_b32_e32 v2, v0
	s_and_saveexec_b64 s[2:3], vcc
	s_cbranch_execz .LBB95_57
; %bb.54:                               ;   in Loop: Header=BB95_36 Depth=1
	v_readlane_b32 s8, v56, 25
	v_readlane_b32 s9, v56, 26
	v_mov_b32_e32 v2, s8
	v_mov_b32_e32 v3, s9
	v_readlane_b32 s12, v56, 27
	v_mad_u64_u32 v[2:3], s[8:9], s12, v9, v[2:3]
	v_readlane_b32 s13, v56, 28
	s_and_b32 s10, s6, 0xffff
	v_mad_u64_u32 v[3:4], s[6:7], s13, v9, v[3:4]
	s_mul_i32 s6, s13, s10
	s_mul_hi_u32 s7, s12, s10
	v_mov_b32_e32 v4, v9
	v_mov_b32_e32 v7, v1
	s_add_i32 s11, s7, s6
	s_mul_i32 s12, s12, s10
	s_mov_b64 s[8:9], 0
	v_mov_b32_e32 v5, v10
	v_mov_b32_e32 v6, v0
.LBB95_55:                              ;   Parent Loop BB95_36 Depth=1
                                        ; =>  This Inner Loop Header: Depth=2
	global_load_dword v9, v[2:3], off
	v_mov_b32_e32 v31, v5
	v_mov_b32_e32 v30, v4
	v_lshlrev_b32_e32 v4, 2, v6
	v_mov_b32_e32 v6, s11
	v_add_co_u32_e32 v2, vcc, s12, v2
	s_waitcnt vmcnt(1)
	ds_write_b32 v4, v8
	v_add_co_u32_e64 v4, s[6:7], s10, v30
	v_addc_co_u32_e64 v5, s[6:7], 0, v31, s[6:7]
	v_addc_co_u32_e32 v3, vcc, v3, v6, vcc
	v_cmp_le_u64_e32 vcc, s[52:53], v[4:5]
	v_mov_b32_e32 v6, v30
	s_or_b64 s[8:9], vcc, s[8:9]
	v_mov_b32_e32 v7, v31
	s_waitcnt vmcnt(0)
	v_mov_b32_e32 v8, v9
	s_andn2_b64 exec, exec, s[8:9]
	s_cbranch_execnz .LBB95_55
; %bb.56:                               ;   in Loop: Header=BB95_36 Depth=1
	s_or_b64 exec, exec, s[8:9]
	v_subrev_u32_e32 v2, s10, v4
	v_mov_b32_e32 v8, v9
.LBB95_57:                              ;   in Loop: Header=BB95_36 Depth=1
	s_or_b64 exec, exec, s[2:3]
	v_lshlrev_b32_e32 v2, 2, v2
	s_waitcnt vmcnt(0)
	ds_write_b32 v2, v8
.LBB95_58:                              ;   in Loop: Header=BB95_36 Depth=1
	s_or_b64 exec, exec, s[0:1]
	s_waitcnt lgkmcnt(0)
	s_barrier
	s_mov_b64 s[0:1], exec
	v_readlane_b32 s2, v56, 8
	v_readlane_b32 s3, v56, 9
	s_and_b64 s[2:3], s[0:1], s[2:3]
	s_mov_b64 exec, s[2:3]
; %bb.59:                               ;   in Loop: Header=BB95_36 Depth=1
	v_mov_b32_e32 v2, s52
	v_mov_b32_e32 v3, s53
	ds_write_b64 v10, v[2:3] offset:5120
; %bb.60:                               ;   in Loop: Header=BB95_36 Depth=1
	s_or_b64 exec, exec, s[0:1]
	s_waitcnt lgkmcnt(0)
	s_barrier
	s_mov_b64 s[6:7], -1
.LBB95_61:                              ;   in Loop: Header=BB95_36 Depth=1
	s_mov_b64 s[2:3], 0
	s_and_b64 vcc, exec, s[6:7]
	s_cbranch_vccz .LBB95_63
; %bb.62:                               ;   in Loop: Header=BB95_36 Depth=1
	ds_read_b64 v[2:3], v10 offset:5120
	s_waitcnt lgkmcnt(0)
	v_readfirstlane_b32 s2, v2
.LBB95_63:                              ;   in Loop: Header=BB95_36 Depth=1
	s_cmp_lt_i32 s2, 1
	s_mov_b64 s[0:1], -1
                                        ; implicit-def: $vgpr2_vgpr3
                                        ; implicit-def: $vgpr6_vgpr7
	s_cbranch_scc1 .LBB95_73
; %bb.64:                               ;   in Loop: Header=BB95_36 Depth=1
	s_and_b64 vcc, exec, s[0:1]
	s_cbranch_vccnz .LBB95_87
.LBB95_65:                              ;   in Loop: Header=BB95_36 Depth=1
	v_lshlrev_b32_e32 v26, 6, v50
	s_and_saveexec_b64 s[0:1], s[80:81]
	s_cbranch_execz .LBB95_67
.LBB95_66:                              ;   in Loop: Header=BB95_36 Depth=1
	v_lshl_add_u32 v30, v26, 3, v45
	ds_write_b128 v30, v[2:5]
	ds_write_b128 v30, v[6:9] offset:16
.LBB95_67:                              ;   in Loop: Header=BB95_36 Depth=1
	s_or_b64 exec, exec, s[0:1]
	s_waitcnt lgkmcnt(0)
	s_barrier
	s_and_saveexec_b64 s[0:1], s[84:85]
	s_cbranch_execz .LBB95_102
; %bb.68:                               ;   in Loop: Header=BB95_36 Depth=1
	v_mov_b32_e32 v2, 0
	v_mov_b32_e32 v3, 0
	s_andn2_b64 vcc, exec, s[82:83]
	s_cbranch_vccnz .LBB95_101
; %bb.69:                               ;   in Loop: Header=BB95_36 Depth=1
	v_readlane_b32 s2, v56, 20
	v_readlane_b32 s3, v56, 21
	s_andn2_b64 vcc, exec, s[2:3]
	s_cbranch_vccnz .LBB95_97
; %bb.70:                               ;   in Loop: Header=BB95_36 Depth=1
	v_mov_b32_e32 v2, 0
	v_lshl_add_u32 v4, v50, 9, v47
	v_mov_b32_e32 v3, 0
	s_mov_b32 s2, 0
.LBB95_71:                              ;   Parent Loop BB95_36 Depth=1
                                        ; =>  This Inner Loop Header: Depth=2
	ds_read2_b64 v[5:8], v4 offset1:4
	ds_read2_b64 v[30:33], v4 offset0:8 offset1:12
	ds_read2_b64 v[34:37], v4 offset0:16 offset1:20
	;; [unrolled: 1-line block ×3, first 2 shown]
	s_add_i32 s2, s2, 8
	s_waitcnt lgkmcnt(3)
	v_add_co_u32_e32 v2, vcc, v5, v2
	v_addc_co_u32_e32 v3, vcc, v6, v3, vcc
	v_add_co_u32_e32 v2, vcc, v7, v2
	v_addc_co_u32_e32 v3, vcc, v8, v3, vcc
	s_waitcnt lgkmcnt(2)
	v_add_co_u32_e32 v2, vcc, v30, v2
	v_addc_co_u32_e32 v3, vcc, v31, v3, vcc
	v_add_co_u32_e32 v2, vcc, v32, v2
	v_addc_co_u32_e32 v3, vcc, v33, v3, vcc
	;; [unrolled: 5-line block ×3, first 2 shown]
	s_waitcnt lgkmcnt(0)
	v_add_co_u32_e32 v2, vcc, v52, v2
	v_addc_co_u32_e32 v3, vcc, v53, v3, vcc
	v_add_co_u32_e32 v2, vcc, v54, v2
	v_add_u32_e32 v4, 0x100, v4
	s_cmp_eq_u32 s4, s2
	v_addc_co_u32_e32 v3, vcc, v55, v3, vcc
	s_cbranch_scc0 .LBB95_71
; %bb.72:                               ;   in Loop: Header=BB95_36 Depth=1
	s_mov_b32 s2, s4
	s_branch .LBB95_98
.LBB95_73:                              ;   in Loop: Header=BB95_36 Depth=1
	global_load_ushort v2, v10, s[88:89]
	s_mov_b32 s0, s75
	s_waitcnt vmcnt(0)
	v_readfirstlane_b32 s1, v2
	s_and_b32 s3, s1, 0xffff
	s_lshl_b32 s8, s3, 2
	s_mov_b32 s1, s53
	s_cmp_lg_u64 s[0:1], 0
	s_cbranch_scc0 .LBB95_96
; %bb.74:                               ;   in Loop: Header=BB95_36 Depth=1
	v_cvt_f32_u32_e32 v2, s8
	s_sub_u32 s6, 0, s8
	s_subb_u32 s7, 0, 0
	v_mac_f32_e32 v2, 0, v49
	v_rcp_f32_e32 v2, v2
	v_mul_f32_e32 v2, 0x5f7ffffc, v2
	v_mul_f32_e32 v3, 0x2f800000, v2
	v_trunc_f32_e32 v3, v3
	v_mac_f32_e32 v2, 0xcf800000, v3
	v_cvt_u32_f32_e32 v3, v3
	v_cvt_u32_f32_e32 v2, v2
	v_readfirstlane_b32 s9, v3
	v_readfirstlane_b32 s0, v2
	s_mul_i32 s1, s6, s9
	s_mul_hi_u32 s11, s6, s0
	s_mul_i32 s10, s7, s0
	s_add_i32 s1, s11, s1
	s_mul_i32 s12, s6, s0
	s_add_i32 s1, s1, s10
	s_mul_hi_u32 s11, s0, s12
	s_mul_i32 s13, s0, s1
	s_mul_hi_u32 s10, s0, s1
	s_add_u32 s11, s11, s13
	s_addc_u32 s10, 0, s10
	s_mul_hi_u32 s14, s9, s12
	s_mul_i32 s12, s9, s12
	s_add_u32 s11, s11, s12
	s_mul_hi_u32 s13, s9, s1
	s_addc_u32 s10, s10, s14
	s_addc_u32 s11, s13, 0
	s_mul_i32 s1, s9, s1
	s_add_u32 s1, s10, s1
	s_addc_u32 s10, 0, s11
	s_add_u32 s11, s0, s1
	s_cselect_b64 s[0:1], -1, 0
	s_cmp_lg_u64 s[0:1], 0
	s_addc_u32 s9, s9, s10
	s_mul_i32 s0, s6, s9
	s_mul_hi_u32 s1, s6, s11
	s_add_i32 s0, s1, s0
	s_mul_i32 s7, s7, s11
	s_add_i32 s0, s0, s7
	s_mul_i32 s6, s6, s11
	s_mul_hi_u32 s7, s9, s6
	s_mul_i32 s10, s9, s6
	s_mul_i32 s13, s11, s0
	s_mul_hi_u32 s6, s11, s6
	s_mul_hi_u32 s12, s11, s0
	s_add_u32 s6, s6, s13
	s_addc_u32 s12, 0, s12
	s_add_u32 s6, s6, s10
	s_mul_hi_u32 s1, s9, s0
	s_addc_u32 s6, s12, s7
	s_addc_u32 s1, s1, 0
	s_mul_i32 s0, s9, s0
	s_add_u32 s0, s6, s0
	s_addc_u32 s6, 0, s1
	s_add_u32 s7, s11, s0
	s_cselect_b64 s[0:1], -1, 0
	s_cmp_lg_u64 s[0:1], 0
	s_addc_u32 s0, s9, s6
	s_mul_i32 s6, s52, s0
	s_mul_hi_u32 s9, s52, s7
	s_mul_hi_u32 s1, s52, s0
	s_add_u32 s6, s9, s6
	s_addc_u32 s1, 0, s1
	s_mul_hi_u32 s10, s53, s7
	s_mul_i32 s7, s53, s7
	s_add_u32 s6, s6, s7
	s_mul_hi_u32 s9, s53, s0
	s_addc_u32 s1, s1, s10
	s_addc_u32 s6, s9, 0
	s_mul_i32 s0, s53, s0
	s_add_u32 s0, s1, s0
	s_addc_u32 s1, 0, s6
	s_mul_i32 s1, s8, s1
	s_mul_hi_u32 s6, s8, s0
	s_add_i32 s6, s6, s1
	s_mul_i32 s0, s8, s0
	s_sub_u32 s7, s52, s0
	s_cselect_b64 s[0:1], -1, 0
	s_cmp_lg_u64 s[0:1], 0
	s_subb_u32 s6, s53, s6
	s_sub_u32 s9, s7, s8
	s_cselect_b64 s[0:1], -1, 0
	s_cmp_lg_u64 s[0:1], 0
	s_subb_u32 s10, s6, 0
	;; [unrolled: 4-line block ×3, first 2 shown]
	s_cmp_ge_u32 s9, s8
	s_cselect_b32 s1, -1, 0
	s_cmp_eq_u32 s10, 0
	s_cselect_b32 s1, s1, -1
	s_cmp_lg_u32 s1, 0
	s_cselect_b32 s0, s0, s10
	s_cselect_b32 s9, s11, s9
	s_cmp_ge_u32 s7, s8
	s_cselect_b32 s1, -1, 0
	s_cmp_eq_u32 s6, 0
	s_cselect_b32 s1, s1, -1
	s_cmp_lg_u32 s1, 0
	s_cselect_b32 s1, s0, s6
	s_cselect_b32 s0, s9, s7
	s_cbranch_execnz .LBB95_76
.LBB95_75:                              ;   in Loop: Header=BB95_36 Depth=1
	v_cvt_f32_u32_e32 v2, s8
	s_sub_i32 s0, 0, s8
	v_rcp_iflag_f32_e32 v2, v2
	v_mul_f32_e32 v2, 0x4f7ffffe, v2
	v_cvt_u32_f32_e32 v2, v2
	v_readfirstlane_b32 s1, v2
	s_mul_i32 s0, s0, s1
	s_mul_hi_u32 s0, s1, s0
	s_add_i32 s1, s1, s0
	s_mul_hi_u32 s0, s52, s1
	s_mul_i32 s0, s0, s8
	s_sub_i32 s0, s52, s0
	s_sub_i32 s1, s0, s8
	s_cmp_ge_u32 s0, s8
	s_cselect_b32 s0, s1, s0
	s_sub_i32 s1, s0, s8
	s_cmp_ge_u32 s0, s8
	s_cselect_b32 s74, s1, s0
	s_mov_b64 s[0:1], s[74:75]
.LBB95_76:                              ;   in Loop: Header=BB95_36 Depth=1
	s_sub_u32 s16, s52, s0
	s_subb_u32 s17, s53, s1
	v_cmp_gt_u64_e32 vcc, s[16:17], v[13:14]
	v_mov_b32_e32 v2, 0
	v_mov_b32_e32 v4, 0
	;; [unrolled: 1-line block ×8, first 2 shown]
	s_and_saveexec_b64 s[18:19], vcc
	s_cbranch_execz .LBB95_80
; %bb.77:                               ;   in Loop: Header=BB95_36 Depth=1
	v_readlane_b32 s6, v56, 29
	v_readlane_b32 s7, v56, 30
	s_mul_i32 s0, s7, s3
	s_mul_hi_u32 s1, s6, s3
	v_mov_b32_e32 v31, v24
	v_mov_b32_e32 v33, v22
	;; [unrolled: 1-line block ×5, first 2 shown]
	s_add_i32 s0, s1, s0
	s_mul_i32 s1, s6, s3
	s_mov_b64 s[20:21], 0
	v_mov_b32_e32 v30, v23
	v_mov_b32_e32 v32, v21
	;; [unrolled: 1-line block ×4, first 2 shown]
	s_mov_b64 s[22:23], 0
	s_mov_b64 s[24:25], 0
	;; [unrolled: 1-line block ×4, first 2 shown]
	v_mov_b32_e32 v38, v13
.LBB95_78:                              ;   Parent Loop BB95_36 Depth=1
                                        ; =>  This Inner Loop Header: Depth=2
	v_add_co_u32_e32 v2, vcc, s72, v30
	v_mov_b32_e32 v4, s73
	v_addc_co_u32_e32 v3, vcc, v31, v4, vcc
	global_load_dword v5, v[2:3], off
	v_add_co_u32_e32 v2, vcc, s72, v32
	v_addc_co_u32_e32 v3, vcc, v33, v4, vcc
	global_load_dword v6, v[2:3], off
	v_add_co_u32_e32 v2, vcc, s72, v34
	;; [unrolled: 3-line block ×3, first 2 shown]
	v_addc_co_u32_e32 v3, vcc, v37, v4, vcc
	global_load_dword v2, v[2:3], off
	s_waitcnt vmcnt(3)
	v_xor_b32_e32 v3, 0x80000000, v5
	s_waitcnt vmcnt(2)
	v_xor_b32_e32 v4, 0x80000000, v6
	v_and_b32_e32 v6, v3, v51
	v_bfe_u32 v3, v3, s5, 2
	v_cmp_eq_u32_e32 vcc, v6, v48
	v_and_b32_e32 v6, v4, v51
	s_waitcnt vmcnt(1)
	v_xor_b32_e32 v5, 0x80000000, v7
	v_bfe_u32 v4, v4, s5, 2
	v_cmp_eq_u32_e64 s[14:15], 0, v3
	v_cmp_eq_u32_e64 s[6:7], v6, v48
	v_and_b32_e32 v6, v5, v51
	s_waitcnt vmcnt(0)
	v_xor_b32_e32 v2, 0x80000000, v2
	v_bfe_u32 v5, v5, s5, 2
	s_and_b64 s[26:27], vcc, s[14:15]
	v_cmp_eq_u32_e64 s[14:15], 0, v4
	v_cmp_eq_u32_e64 s[10:11], v6, v48
	v_and_b32_e32 v6, v2, v51
	v_bfe_u32 v2, v2, s5, 2
	s_and_b64 s[34:35], s[6:7], s[14:15]
	v_cmp_eq_u32_e64 s[14:15], 0, v5
	v_cmp_eq_u32_e64 s[12:13], v6, v48
	s_and_b64 s[36:37], s[10:11], s[14:15]
	v_cmp_eq_u32_e64 s[14:15], 0, v2
	v_cndmask_b32_e64 v6, 0, 1, s[26:27]
	s_and_b64 s[38:39], s[12:13], s[14:15]
	v_cmp_ne_u32_e64 s[14:15], 0, v6
	v_cndmask_b32_e64 v6, 0, 1, s[34:35]
	s_bcnt1_i32_b64 s9, s[14:15]
	v_cmp_ne_u32_e64 s[14:15], 0, v6
	v_cndmask_b32_e64 v6, 0, 1, s[36:37]
	s_bcnt1_i32_b64 s26, s[14:15]
	;; [unrolled: 3-line block ×3, first 2 shown]
	v_cmp_ne_u32_e64 s[14:15], 0, v6
	s_bcnt1_i32_b64 s14, s[14:15]
	s_add_u32 s9, s9, s30
	s_addc_u32 s15, 0, s31
	s_add_u32 s9, s9, s26
	s_addc_u32 s15, s15, 0
	;; [unrolled: 2-line block ×4, first 2 shown]
	v_cmp_eq_u32_e64 s[14:15], 1, v3
	s_and_b64 s[26:27], vcc, s[14:15]
	v_cmp_eq_u32_e64 s[14:15], 1, v4
	s_and_b64 s[34:35], s[6:7], s[14:15]
	v_cmp_eq_u32_e64 s[14:15], 1, v5
	s_and_b64 s[36:37], s[10:11], s[14:15]
	v_cmp_eq_u32_e64 s[14:15], 1, v2
	v_cndmask_b32_e64 v6, 0, 1, s[26:27]
	s_and_b64 s[38:39], s[12:13], s[14:15]
	v_cmp_ne_u32_e64 s[14:15], 0, v6
	v_cndmask_b32_e64 v6, 0, 1, s[34:35]
	s_bcnt1_i32_b64 s9, s[14:15]
	v_cmp_ne_u32_e64 s[14:15], 0, v6
	v_cndmask_b32_e64 v6, 0, 1, s[36:37]
	s_bcnt1_i32_b64 s26, s[14:15]
	;; [unrolled: 3-line block ×3, first 2 shown]
	v_cmp_ne_u32_e64 s[14:15], 0, v6
	s_bcnt1_i32_b64 s14, s[14:15]
	s_add_u32 s9, s9, s28
	s_addc_u32 s15, 0, s29
	s_add_u32 s9, s9, s26
	s_addc_u32 s15, s15, 0
	;; [unrolled: 2-line block ×4, first 2 shown]
	v_cmp_eq_u32_e64 s[14:15], 2, v3
	s_and_b64 s[26:27], vcc, s[14:15]
	v_cmp_eq_u32_e64 s[14:15], 2, v4
	s_and_b64 s[34:35], s[6:7], s[14:15]
	v_cmp_eq_u32_e64 s[14:15], 2, v5
	s_and_b64 s[36:37], s[10:11], s[14:15]
	v_cmp_eq_u32_e64 s[14:15], 2, v2
	v_cndmask_b32_e64 v6, 0, 1, s[26:27]
	s_and_b64 s[38:39], s[12:13], s[14:15]
	v_cmp_ne_u32_e64 s[14:15], 0, v6
	v_cndmask_b32_e64 v6, 0, 1, s[34:35]
	s_bcnt1_i32_b64 s9, s[14:15]
	v_cmp_ne_u32_e64 s[14:15], 0, v6
	v_cndmask_b32_e64 v6, 0, 1, s[36:37]
	s_bcnt1_i32_b64 s26, s[14:15]
	;; [unrolled: 3-line block ×3, first 2 shown]
	v_cmp_ne_u32_e64 s[14:15], 0, v6
	s_bcnt1_i32_b64 s14, s[14:15]
	s_add_u32 s9, s9, s24
	s_addc_u32 s15, 0, s25
	s_add_u32 s9, s9, s26
	s_addc_u32 s15, s15, 0
	;; [unrolled: 2-line block ×4, first 2 shown]
	v_cmp_eq_u32_e64 s[14:15], 3, v3
	s_and_b64 s[14:15], vcc, s[14:15]
	v_cmp_eq_u32_e32 vcc, 3, v4
	s_and_b64 s[6:7], s[6:7], vcc
	v_cmp_eq_u32_e32 vcc, 3, v5
	s_and_b64 s[10:11], s[10:11], vcc
	v_cmp_eq_u32_e32 vcc, 3, v2
	v_cndmask_b32_e64 v2, 0, 1, s[14:15]
	s_and_b64 s[12:13], s[12:13], vcc
	v_cmp_ne_u32_e32 vcc, 0, v2
	v_cndmask_b32_e64 v2, 0, 1, s[6:7]
	s_bcnt1_i32_b64 s9, vcc
	v_cmp_ne_u32_e32 vcc, 0, v2
	v_cndmask_b32_e64 v2, 0, 1, s[10:11]
	s_bcnt1_i32_b64 s6, vcc
	;; [unrolled: 3-line block ×3, first 2 shown]
	v_cmp_ne_u32_e32 vcc, 0, v2
	s_bcnt1_i32_b64 s10, vcc
	v_add_co_u32_e32 v38, vcc, s8, v38
	v_addc_co_u32_e32 v39, vcc, 0, v39, vcc
	v_add_co_u32_e32 v36, vcc, s1, v36
	v_mov_b32_e32 v2, s0
	v_addc_co_u32_e32 v37, vcc, v37, v2, vcc
	s_add_u32 s9, s9, s22
	v_add_co_u32_e32 v34, vcc, s1, v34
	s_addc_u32 s11, 0, s23
	v_addc_co_u32_e32 v35, vcc, v35, v2, vcc
	s_add_u32 s6, s9, s6
	v_add_co_u32_e32 v32, vcc, s1, v32
	s_addc_u32 s9, s11, 0
	;; [unrolled: 4-line block ×3, first 2 shown]
	v_addc_co_u32_e32 v31, vcc, v31, v2, vcc
	s_add_u32 s22, s6, s10
	v_cmp_le_u64_e32 vcc, s[16:17], v[38:39]
	s_addc_u32 s23, s7, 0
	v_mov_b32_e32 v2, s30
	v_mov_b32_e32 v4, s28
	;; [unrolled: 1-line block ×4, first 2 shown]
	s_or_b64 s[20:21], vcc, s[20:21]
	v_mov_b32_e32 v3, s31
	v_mov_b32_e32 v5, s29
	;; [unrolled: 1-line block ×4, first 2 shown]
	s_andn2_b64 exec, exec, s[20:21]
	s_cbranch_execnz .LBB95_78
; %bb.79:                               ;   in Loop: Header=BB95_36 Depth=1
	s_or_b64 exec, exec, s[20:21]
.LBB95_80:                              ;   in Loop: Header=BB95_36 Depth=1
	s_or_b64 exec, exec, s[18:19]
	v_mov_b32_e32 v26, s17
	v_add_co_u32_e32 v30, vcc, s16, v0
	v_addc_co_u32_e32 v31, vcc, 0, v26, vcc
	v_cmp_gt_u64_e32 vcc, s[52:53], v[30:31]
	s_and_saveexec_b64 s[0:1], vcc
	s_cbranch_execz .LBB95_86
; %bb.81:                               ;   in Loop: Header=BB95_36 Depth=1
	v_mul_lo_u32 v26, v31, s56
	v_mul_lo_u32 v34, v30, s57
	v_mad_u64_u32 v[32:33], s[6:7], v30, s56, 0
	s_mov_b64 s[8:9], 0
	v_add3_u32 v33, v33, v34, v26
	v_lshlrev_b64 v[32:33], 2, v[32:33]
	v_mov_b32_e32 v26, s63
	v_add_co_u32_e32 v32, vcc, s67, v32
	v_addc_co_u32_e32 v33, vcc, v26, v33, vcc
	global_load_dword v32, v[32:33], off
	s_branch .LBB95_83
.LBB95_82:                              ;   in Loop: Header=BB95_83 Depth=2
	s_or_b64 exec, exec, s[10:11]
	s_waitcnt vmcnt(0)
	v_xor_b32_e32 v32, 0x80000000, v32
	s_and_b64 s[6:7], exec, vcc
	v_and_b32_e32 v33, v32, v51
	v_bfe_u32 v32, v32, s5, 2
	s_or_b64 s[8:9], s[6:7], s[8:9]
	v_cmp_eq_u32_e32 vcc, v33, v48
	v_cmp_eq_u32_e64 s[6:7], 0, v32
	s_and_b64 s[6:7], vcc, s[6:7]
	v_cndmask_b32_e64 v33, 0, 1, s[6:7]
	v_cmp_ne_u32_e64 s[6:7], 0, v33
	s_bcnt1_i32_b64 s6, s[6:7]
	v_add_co_u32_e64 v2, s[6:7], s6, v2
	v_addc_co_u32_e64 v3, s[6:7], 0, v3, s[6:7]
	v_cmp_eq_u32_e64 s[6:7], 1, v32
	s_and_b64 s[6:7], vcc, s[6:7]
	v_cndmask_b32_e64 v33, 0, 1, s[6:7]
	v_cmp_ne_u32_e64 s[6:7], 0, v33
	s_bcnt1_i32_b64 s6, s[6:7]
	v_add_co_u32_e64 v4, s[6:7], s6, v4
	v_addc_co_u32_e64 v5, s[6:7], 0, v5, s[6:7]
	;; [unrolled: 7-line block ×3, first 2 shown]
	v_cmp_eq_u32_e64 s[6:7], 3, v32
	s_and_b64 s[6:7], vcc, s[6:7]
	v_cndmask_b32_e64 v32, 0, 1, s[6:7]
	v_cmp_ne_u32_e32 vcc, 0, v32
	s_bcnt1_i32_b64 s6, vcc
	v_add_co_u32_e32 v8, vcc, s6, v8
	v_addc_co_u32_e32 v9, vcc, 0, v9, vcc
	v_mov_b32_e32 v32, v26
	s_andn2_b64 exec, exec, s[8:9]
	s_cbranch_execz .LBB95_85
.LBB95_83:                              ;   Parent Loop BB95_36 Depth=1
                                        ; =>  This Inner Loop Header: Depth=2
	v_add_co_u32_e32 v30, vcc, s3, v30
	v_addc_co_u32_e32 v31, vcc, 0, v31, vcc
	v_cmp_gt_u64_e64 s[6:7], s[52:53], v[30:31]
	v_cmp_le_u64_e32 vcc, s[52:53], v[30:31]
	v_mov_b32_e32 v26, 0
	s_and_saveexec_b64 s[10:11], s[6:7]
	s_cbranch_execz .LBB95_82
; %bb.84:                               ;   in Loop: Header=BB95_83 Depth=2
	v_mul_lo_u32 v26, v31, s56
	v_mul_lo_u32 v35, v30, s57
	v_mad_u64_u32 v[33:34], s[6:7], v30, s56, 0
	v_add3_u32 v34, v34, v35, v26
	v_lshlrev_b64 v[33:34], 2, v[33:34]
	v_mov_b32_e32 v26, s63
	v_add_co_u32_e64 v33, s[6:7], s67, v33
	v_addc_co_u32_e64 v34, s[6:7], v26, v34, s[6:7]
	global_load_dword v26, v[33:34], off
	s_branch .LBB95_82
.LBB95_85:                              ;   in Loop: Header=BB95_36 Depth=1
	s_or_b64 exec, exec, s[8:9]
.LBB95_86:                              ;   in Loop: Header=BB95_36 Depth=1
	s_or_b64 exec, exec, s[0:1]
	s_branch .LBB95_65
.LBB95_87:                              ;   in Loop: Header=BB95_36 Depth=1
	global_load_ushort v26, v10, s[88:89]
	v_mov_b32_e32 v6, 0
	v_mov_b32_e32 v7, 0
	s_waitcnt vmcnt(0)
	v_readfirstlane_b32 s0, v26
	s_and_b32 s3, 0xffff, s0
	s_lshl_b32 s60, s3, 2
	v_cvt_f32_u32_e32 v2, s60
	s_sub_i32 s0, 0, s60
	v_rcp_iflag_f32_e32 v4, v2
	v_mov_b32_e32 v2, 0
	v_mov_b32_e32 v3, 0
	v_mul_f32_e32 v4, 0x4f7ffffe, v4
	v_cvt_u32_f32_e32 v8, v4
	v_mov_b32_e32 v4, 0
	v_mov_b32_e32 v5, 0
	v_readfirstlane_b32 s1, v8
	s_mul_i32 s0, s0, s1
	s_mul_hi_u32 s0, s1, s0
	s_add_i32 s1, s1, s0
	s_mul_hi_u32 s0, s2, s1
	s_mul_i32 s1, s0, s60
	s_sub_i32 s1, s2, s1
	s_add_i32 s6, s0, 1
	s_sub_i32 s7, s1, s60
	s_cmp_ge_u32 s1, s60
	s_cselect_b32 s0, s6, s0
	s_cselect_b32 s1, s7, s1
	s_add_i32 s6, s0, 1
	s_cmp_ge_u32 s1, s60
	s_cselect_b32 s0, s6, s0
	s_mul_hi_u32 s9, s3, s0
	s_mul_i32 s8, s3, s0
	s_lshl_b64 s[0:1], s[8:9], 2
	v_cmp_gt_u64_e32 vcc, s[0:1], v[13:14]
	v_mov_b32_e32 v8, 0
	v_mov_b32_e32 v9, 0
	s_and_saveexec_b64 s[92:93], vcc
	s_cbranch_execz .LBB95_91
; %bb.88:                               ;   in Loop: Header=BB95_36 Depth=1
	s_mov_b64 s[6:7], s[82:83]
	v_mov_b32_e32 v31, v14
	s_mov_b64 s[68:69], s[44:45]
	s_mov_b64 s[58:59], s[48:49]
	s_mov_b32 s54, s67
	s_mov_b32 s70, s4
	;; [unrolled: 1-line block ×3, first 2 shown]
	s_mov_b64 s[82:83], s[50:51]
	s_mov_b64 s[76:77], s[94:95]
	s_mov_b32 s61, s62
	s_mov_b64 s[62:63], s[88:89]
	s_mov_b32 s71, s91
	s_mov_b32 s74, s66
	s_mov_b64 s[66:67], s[6:7]
	s_mov_b64 s[88:89], s[86:87]
	;; [unrolled: 1-line block ×5, first 2 shown]
	s_lshl_b32 s3, s3, 4
	s_mov_b64 s[80:81], 0
	v_mov_b32_e32 v32, v46
	s_mov_b64 s[26:27], 0
	s_mov_b64 s[94:95], 0
	;; [unrolled: 1-line block ×4, first 2 shown]
	v_mov_b32_e32 v30, v13
.LBB95_89:                              ;   Parent Loop BB95_36 Depth=1
                                        ; =>  This Inner Loop Header: Depth=2
	ds_read_b128 v[2:5], v32
	v_add_co_u32_e32 v30, vcc, s60, v30
	v_addc_co_u32_e32 v31, vcc, 0, v31, vcc
	s_waitcnt lgkmcnt(0)
	v_xor_b32_e32 v2, 0x80000000, v2
	v_xor_b32_e32 v3, 0x80000000, v3
	v_and_b32_e32 v6, v2, v51
	v_bfe_u32 v2, v2, s5, 2
	v_xor_b32_e32 v4, 0x80000000, v4
	v_and_b32_e32 v7, v3, v51
	v_bfe_u32 v3, v3, s5, 2
	v_cmp_eq_u32_e64 s[16:17], v6, v48
	v_cmp_eq_u32_e64 s[6:7], 0, v2
	v_xor_b32_e32 v5, 0x80000000, v5
	v_and_b32_e32 v8, v4, v51
	v_bfe_u32 v4, v4, s5, 2
	v_cmp_eq_u32_e64 s[14:15], v7, v48
	v_cmp_eq_u32_e64 s[28:29], 0, v3
	s_and_b64 s[6:7], s[16:17], s[6:7]
	v_and_b32_e32 v9, v5, v51
	v_bfe_u32 v5, v5, s5, 2
	v_cmp_eq_u32_e64 s[12:13], v8, v48
	v_cmp_eq_u32_e64 s[30:31], 0, v4
	;; [unrolled: 1-line block ×5, first 2 shown]
	v_cndmask_b32_e64 v2, 0, 1, s[6:7]
	s_and_b64 s[6:7], s[14:15], s[28:29]
	v_cmp_eq_u32_e64 s[10:11], v9, v48
	v_cmp_eq_u32_e64 s[34:35], 0, v5
	;; [unrolled: 1-line block ×5, first 2 shown]
	v_cndmask_b32_e64 v3, 0, 1, s[6:7]
	s_and_b64 s[6:7], s[12:13], s[30:31]
	v_cmp_eq_u32_e64 s[40:41], 1, v4
	v_cmp_eq_u32_e64 s[48:49], 2, v4
	;; [unrolled: 1-line block ×3, first 2 shown]
	v_cndmask_b32_e64 v4, 0, 1, s[6:7]
	s_and_b64 s[6:7], s[10:11], s[34:35]
	v_cmp_eq_u32_e64 s[42:43], 1, v5
	v_cmp_eq_u32_e64 s[50:51], 2, v5
	;; [unrolled: 1-line block ×3, first 2 shown]
	v_cndmask_b32_e64 v5, 0, 1, s[6:7]
	v_cmp_ne_u32_e64 s[6:7], 0, v2
	v_cmp_ne_u32_e64 s[28:29], 0, v3
	v_cmp_ne_u32_e64 s[30:31], 0, v4
	v_cmp_ne_u32_e64 s[34:35], 0, v5
	s_bcnt1_i32_b64 s6, s[6:7]
	s_bcnt1_i32_b64 s7, s[28:29]
	s_bcnt1_i32_b64 s9, s[30:31]
	s_bcnt1_i32_b64 s28, s[34:35]
	s_add_u32 s6, s6, s84
	s_addc_u32 s29, 0, s85
	s_add_u32 s6, s6, s7
	s_addc_u32 s7, s29, 0
	s_add_u32 s6, s6, s9
	s_addc_u32 s7, s7, 0
	s_add_u32 s84, s6, s28
	s_addc_u32 s85, s7, 0
	s_and_b64 s[6:7], s[16:17], s[36:37]
	v_cndmask_b32_e64 v4, 0, 1, s[6:7]
	s_and_b64 s[6:7], s[14:15], s[38:39]
	v_cndmask_b32_e64 v5, 0, 1, s[6:7]
	s_and_b64 s[6:7], s[12:13], s[40:41]
	v_cndmask_b32_e64 v6, 0, 1, s[6:7]
	s_and_b64 s[6:7], s[10:11], s[42:43]
	v_cndmask_b32_e64 v7, 0, 1, s[6:7]
	v_cmp_ne_u32_e64 s[6:7], 0, v4
	v_cmp_ne_u32_e64 s[28:29], 0, v5
	v_cmp_ne_u32_e64 s[30:31], 0, v6
	v_cmp_ne_u32_e64 s[34:35], 0, v7
	s_bcnt1_i32_b64 s6, s[6:7]
	s_bcnt1_i32_b64 s7, s[28:29]
	s_bcnt1_i32_b64 s9, s[30:31]
	s_bcnt1_i32_b64 s28, s[34:35]
	s_add_u32 s6, s6, s78
	s_addc_u32 s29, 0, s79
	s_add_u32 s6, s6, s7
	s_addc_u32 s7, s29, 0
	s_add_u32 s6, s6, s9
	s_addc_u32 s7, s7, 0
	s_add_u32 s78, s6, s28
	s_addc_u32 s79, s7, 0
	s_and_b64 s[6:7], s[16:17], s[44:45]
	v_cndmask_b32_e64 v6, 0, 1, s[6:7]
	s_and_b64 s[6:7], s[14:15], s[46:47]
	v_cndmask_b32_e64 v7, 0, 1, s[6:7]
	s_and_b64 s[6:7], s[12:13], s[48:49]
	v_cndmask_b32_e64 v8, 0, 1, s[6:7]
	s_and_b64 s[6:7], s[10:11], s[50:51]
	;; [unrolled: 24-line block ×3, first 2 shown]
	v_cndmask_b32_e64 v34, 0, 1, s[6:7]
	v_cmp_ne_u32_e64 s[6:7], 0, v8
	v_cmp_ne_u32_e64 s[10:11], 0, v9
	;; [unrolled: 1-line block ×4, first 2 shown]
	s_bcnt1_i32_b64 s6, s[6:7]
	s_bcnt1_i32_b64 s7, s[10:11]
	;; [unrolled: 1-line block ×4, first 2 shown]
	s_add_u32 s6, s6, s26
	s_addc_u32 s11, 0, s27
	s_add_u32 s6, s6, s7
	s_addc_u32 s7, s11, 0
	;; [unrolled: 2-line block ×3, first 2 shown]
	v_cmp_le_u64_e32 vcc, s[0:1], v[30:31]
	s_add_u32 s26, s6, s10
	v_mov_b32_e32 v2, s84
	v_mov_b32_e32 v4, s78
	;; [unrolled: 1-line block ×3, first 2 shown]
	s_addc_u32 s27, s7, 0
	v_mov_b32_e32 v8, s26
	v_add_u32_e32 v32, s3, v32
	v_mov_b32_e32 v3, s85
	v_mov_b32_e32 v5, s79
	;; [unrolled: 1-line block ×3, first 2 shown]
	s_or_b64 s[80:81], vcc, s[80:81]
	v_mov_b32_e32 v9, s27
	s_andn2_b64 exec, exec, s[80:81]
	s_cbranch_execnz .LBB95_89
; %bb.90:                               ;   in Loop: Header=BB95_36 Depth=1
	s_or_b64 exec, exec, s[80:81]
	s_mov_b64 s[6:7], s[66:67]
	s_mov_b64 s[80:81], s[64:65]
	;; [unrolled: 1-line block ×5, first 2 shown]
	s_mov_b32 s66, s74
	s_mov_b32 s91, s71
	s_mov_b64 s[88:89], s[62:63]
	s_mov_b32 s62, s61
	s_mov_b64 s[94:95], s[76:77]
	s_mov_b64 s[50:51], s[82:83]
	;; [unrolled: 1-line block ×3, first 2 shown]
	s_mov_b32 s63, s4
	s_mov_b32 s4, s70
	;; [unrolled: 1-line block ×3, first 2 shown]
	s_mov_b64 s[48:49], s[58:59]
	s_mov_b64 s[44:45], s[68:69]
.LBB95_91:                              ;   in Loop: Header=BB95_36 Depth=1
	s_or_b64 exec, exec, s[92:93]
	v_mov_b32_e32 v31, s1
	v_add_co_u32_e32 v30, vcc, s0, v0
	s_and_b32 s74, s2, 0x7fffffff
	v_addc_co_u32_e32 v31, vcc, 0, v31, vcc
	v_cmp_gt_u64_e32 vcc, s[74:75], v[30:31]
	s_and_saveexec_b64 s[0:1], vcc
	s_cbranch_execz .LBB95_95
; %bb.92:                               ;   in Loop: Header=BB95_36 Depth=1
	v_lshl_add_u32 v32, s8, 4, v13
	s_mov_b64 s[2:3], 0
.LBB95_93:                              ;   Parent Loop BB95_36 Depth=1
                                        ; =>  This Inner Loop Header: Depth=2
	ds_read_b32 v33, v32
	v_add_co_u32_sdwa v30, vcc, v30, v26 dst_sel:DWORD dst_unused:UNUSED_PAD src0_sel:DWORD src1_sel:WORD_0
	v_addc_co_u32_e32 v31, vcc, 0, v31, vcc
	s_waitcnt lgkmcnt(0)
	v_xor_b32_e32 v33, 0x80000000, v33
	v_and_b32_e32 v34, v33, v51
	v_bfe_u32 v33, v33, s5, 2
	v_cmp_eq_u32_e64 s[6:7], v34, v48
	v_cmp_eq_u32_e64 s[10:11], 0, v33
	;; [unrolled: 1-line block ×3, first 2 shown]
	s_and_b64 s[8:9], s[6:7], s[10:11]
	v_cmp_eq_u32_e64 s[14:15], 2, v33
	v_cmp_eq_u32_e64 s[16:17], 3, v33
	v_cndmask_b32_e64 v33, 0, 1, s[8:9]
	s_and_b64 s[8:9], s[6:7], s[12:13]
	v_cndmask_b32_e64 v34, 0, 1, s[8:9]
	s_and_b64 s[8:9], s[6:7], s[14:15]
	s_and_b64 s[6:7], s[6:7], s[16:17]
	v_cndmask_b32_e64 v35, 0, 1, s[8:9]
	v_cndmask_b32_e64 v36, 0, 1, s[6:7]
	v_cmp_le_u64_e32 vcc, s[74:75], v[30:31]
	v_cmp_ne_u32_e64 s[6:7], 0, v33
	v_cmp_ne_u32_e64 s[10:11], 0, v34
	;; [unrolled: 1-line block ×4, first 2 shown]
	s_bcnt1_i32_b64 s6, s[6:7]
	s_bcnt1_i32_b64 s7, s[10:11]
	;; [unrolled: 1-line block ×4, first 2 shown]
	s_or_b64 s[2:3], vcc, s[2:3]
	v_add_co_u32_e32 v2, vcc, s6, v2
	v_addc_co_u32_e32 v3, vcc, 0, v3, vcc
	v_add_co_u32_e32 v4, vcc, s7, v4
	v_addc_co_u32_e32 v5, vcc, 0, v5, vcc
	v_add_co_u32_e32 v6, vcc, s8, v6
	v_addc_co_u32_e32 v7, vcc, 0, v7, vcc
	v_add_co_u32_e32 v8, vcc, s9, v8
	v_add_u32_e32 v32, s60, v32
	v_addc_co_u32_e32 v9, vcc, 0, v9, vcc
	s_andn2_b64 exec, exec, s[2:3]
	s_cbranch_execnz .LBB95_93
; %bb.94:                               ;   in Loop: Header=BB95_36 Depth=1
	s_or_b64 exec, exec, s[2:3]
.LBB95_95:                              ;   in Loop: Header=BB95_36 Depth=1
	s_or_b64 exec, exec, s[0:1]
	v_lshlrev_b32_e32 v26, 6, v50
	s_and_saveexec_b64 s[0:1], s[80:81]
	s_cbranch_execnz .LBB95_66
	s_branch .LBB95_67
.LBB95_96:                              ;   in Loop: Header=BB95_36 Depth=1
                                        ; implicit-def: $sgpr0_sgpr1
	s_branch .LBB95_75
.LBB95_97:                              ;   in Loop: Header=BB95_36 Depth=1
	v_mov_b32_e32 v2, 0
	v_mov_b32_e32 v3, 0
	s_mov_b32 s2, 0
.LBB95_98:                              ;   in Loop: Header=BB95_36 Depth=1
	v_readlane_b32 s6, v56, 23
	v_readlane_b32 s7, v56, 24
	s_andn2_b64 vcc, exec, s[6:7]
	s_cbranch_vccnz .LBB95_101
; %bb.99:                               ;   in Loop: Header=BB95_36 Depth=1
	v_lshlrev_b32_e32 v4, 9, v50
	s_lshl_b32 s2, s2, 5
	v_add_u32_e32 v4, s2, v4
	v_add_u32_e32 v4, v47, v4
	v_readlane_b32 s2, v56, 22
.LBB95_100:                             ;   Parent Loop BB95_36 Depth=1
                                        ; =>  This Inner Loop Header: Depth=2
	ds_read_b64 v[5:6], v4
	s_add_i32 s2, s2, -1
	v_add_u32_e32 v4, 32, v4
	s_cmp_lg_u32 s2, 0
	s_waitcnt lgkmcnt(0)
	v_add_co_u32_e32 v2, vcc, v5, v2
	v_addc_co_u32_e32 v3, vcc, v6, v3, vcc
	s_cbranch_scc1 .LBB95_100
.LBB95_101:                             ;   in Loop: Header=BB95_36 Depth=1
	v_add_lshl_u32 v4, v26, v40, 3
	ds_write_b64 v4, v[2:3] offset:3072
.LBB95_102:                             ;   in Loop: Header=BB95_36 Depth=1
	s_or_b64 exec, exec, s[0:1]
	v_lshlrev_b32_e32 v2, 3, v26
	s_waitcnt lgkmcnt(0)
	s_barrier
	ds_read_b128 v[6:9], v2 offset:3088
	ds_read_b128 v[2:5], v2 offset:3072
	v_cmp_eq_u64_e64 s[6:7], 1, v[28:29]
	s_lshl_b32 s78, 3, s5
	s_not_b32 s46, s78
	s_waitcnt lgkmcnt(1)
	v_readfirstlane_b32 s18, v6
	s_waitcnt lgkmcnt(0)
	v_cmp_eq_u64_e32 vcc, 1, v[2:3]
	v_readfirstlane_b32 s19, v7
	v_readfirstlane_b32 s10, v8
	;; [unrolled: 1-line block ×3, first 2 shown]
	s_and_b64 s[6:7], vcc, s[6:7]
	s_mov_b64 s[2:3], -1
	s_mov_b64 s[14:15], -1
                                        ; implicit-def: $sgpr8_sgpr9
                                        ; implicit-def: $sgpr0_sgpr1
	s_and_saveexec_b64 s[12:13], s[6:7]
	s_cbranch_execz .LBB95_134
; %bb.103:                              ;   in Loop: Header=BB95_36 Depth=1
	ds_read_b64 v[6:7], v10 offset:5120
	s_waitcnt lgkmcnt(0)
	s_barrier
	v_readfirstlane_b32 s16, v6
	v_readfirstlane_b32 s17, v7
	s_and_saveexec_b64 s[0:1], s[86:87]
; %bb.104:                              ;   in Loop: Header=BB95_36 Depth=1
	ds_write_b32 v41, v10
; %bb.105:                              ;   in Loop: Header=BB95_36 Depth=1
	s_or_b64 exec, exec, s[0:1]
	v_and_b32_e32 v48, s46, v48
	v_or_b32_e32 v51, s78, v51
	s_mov_b64 s[0:1], -1
	s_mov_b64 s[8:9], 0
	s_cmp_eq_u64 s[16:17], 0
	s_mov_b64 s[14:15], 0
	s_mov_b64 s[20:21], -1
	s_waitcnt lgkmcnt(0)
	s_barrier
                                        ; implicit-def: $vgpr27
	s_cbranch_scc1 .LBB95_119
; %bb.106:                              ;   in Loop: Header=BB95_36 Depth=1
	v_readlane_b32 s14, v56, 18
	s_add_u32 s24, s16, s14
	v_readlane_b32 s14, v56, 19
	s_addc_u32 s15, s17, s14
	s_mov_b32 s14, s75
	s_cmp_lg_u64 s[14:15], 0
	s_cbranch_scc0 .LBB95_160
; %bb.107:                              ;   in Loop: Header=BB95_36 Depth=1
	v_cvt_f32_u32_e32 v6, s33
	s_sub_u32 s14, 0, s33
	s_subb_u32 s22, 0, 0
	v_mac_f32_e32 v6, 0, v49
	v_rcp_f32_e32 v6, v6
	v_mul_f32_e32 v6, 0x5f7ffffc, v6
	v_mul_f32_e32 v7, 0x2f800000, v6
	v_trunc_f32_e32 v7, v7
	v_mac_f32_e32 v6, 0xcf800000, v7
	v_cvt_u32_f32_e32 v7, v7
	v_cvt_u32_f32_e32 v6, v6
	v_readfirstlane_b32 s23, v7
	v_readfirstlane_b32 s20, v6
	s_mul_i32 s21, s14, s23
	s_mul_hi_u32 s26, s14, s20
	s_mul_i32 s25, s22, s20
	s_add_i32 s21, s26, s21
	s_mul_i32 s27, s14, s20
	s_add_i32 s21, s21, s25
	s_mul_hi_u32 s26, s20, s27
	s_mul_i32 s28, s20, s21
	s_mul_hi_u32 s25, s20, s21
	s_add_u32 s26, s26, s28
	s_addc_u32 s25, 0, s25
	s_mul_hi_u32 s29, s23, s27
	s_mul_i32 s27, s23, s27
	s_add_u32 s26, s26, s27
	s_mul_hi_u32 s28, s23, s21
	s_addc_u32 s25, s25, s29
	s_addc_u32 s26, s28, 0
	s_mul_i32 s21, s23, s21
	s_add_u32 s21, s25, s21
	s_addc_u32 s25, 0, s26
	s_add_u32 s26, s20, s21
	s_cselect_b64 s[20:21], -1, 0
	s_cmp_lg_u64 s[20:21], 0
	s_addc_u32 s23, s23, s25
	s_mul_i32 s20, s14, s23
	s_mul_hi_u32 s21, s14, s26
	s_add_i32 s20, s21, s20
	s_mul_i32 s22, s22, s26
	s_add_i32 s20, s20, s22
	s_mul_i32 s14, s14, s26
	s_mul_hi_u32 s22, s23, s14
	s_mul_i32 s25, s23, s14
	s_mul_i32 s28, s26, s20
	s_mul_hi_u32 s14, s26, s14
	s_mul_hi_u32 s27, s26, s20
	s_add_u32 s14, s14, s28
	s_addc_u32 s27, 0, s27
	s_add_u32 s14, s14, s25
	s_mul_hi_u32 s21, s23, s20
	s_addc_u32 s14, s27, s22
	s_addc_u32 s21, s21, 0
	s_mul_i32 s20, s23, s20
	s_add_u32 s14, s14, s20
	s_addc_u32 s22, 0, s21
	s_add_u32 s14, s26, s14
	s_cselect_b64 s[20:21], -1, 0
	s_cmp_lg_u64 s[20:21], 0
	s_addc_u32 s20, s23, s22
	s_mul_i32 s22, s24, s20
	s_mul_hi_u32 s23, s24, s14
	s_mul_hi_u32 s21, s24, s20
	s_add_u32 s22, s23, s22
	s_addc_u32 s21, 0, s21
	s_mul_hi_u32 s25, s15, s14
	s_mul_i32 s14, s15, s14
	s_add_u32 s14, s22, s14
	s_mul_hi_u32 s23, s15, s20
	s_addc_u32 s14, s21, s25
	s_addc_u32 s21, s23, 0
	s_mul_i32 s20, s15, s20
	s_add_u32 s14, s14, s20
	s_addc_u32 s20, 0, s21
	s_mul_i32 s20, s33, s20
	s_mul_hi_u32 s21, s33, s14
	s_add_i32 s22, s21, s20
	s_mul_i32 s14, s33, s14
	s_sub_u32 s14, s24, s14
	s_cselect_b64 s[20:21], -1, 0
	s_cmp_lg_u64 s[20:21], 0
	s_subb_u32 s22, s15, s22
	s_sub_u32 s23, s14, s33
	s_cselect_b64 s[20:21], -1, 0
	s_cmp_lg_u64 s[20:21], 0
	s_subb_u32 s25, s22, 0
	s_sub_u32 s26, s23, s33
	s_cselect_b64 s[20:21], -1, 0
	s_cmp_lg_u64 s[20:21], 0
	s_subb_u32 s20, s25, 0
	s_cmp_ge_u32 s23, s33
	s_cselect_b32 s21, -1, 0
	s_cmp_eq_u32 s25, 0
	s_cselect_b32 s21, s21, -1
	s_cmp_lg_u32 s21, 0
	s_cselect_b32 s20, s20, s25
	s_cselect_b32 s23, s26, s23
	s_cmp_ge_u32 s14, s33
	s_cselect_b32 s21, -1, 0
	s_cmp_eq_u32 s22, 0
	s_cselect_b32 s21, s21, -1
	s_cmp_lg_u32 s21, 0
	s_cselect_b32 s21, s20, s22
	s_cselect_b32 s20, s23, s14
	s_cbranch_execnz .LBB95_109
.LBB95_108:                             ;   in Loop: Header=BB95_36 Depth=1
	v_cvt_f32_u32_e32 v6, s33
	s_sub_i32 s14, 0, s33
	v_rcp_iflag_f32_e32 v6, v6
	v_mul_f32_e32 v6, 0x4f7ffffe, v6
	v_cvt_u32_f32_e32 v6, v6
	v_readfirstlane_b32 s20, v6
	s_mul_i32 s14, s14, s20
	s_mul_hi_u32 s14, s20, s14
	s_add_i32 s20, s20, s14
	s_mul_hi_u32 s14, s24, s20
	s_mul_i32 s14, s14, s33
	s_sub_i32 s14, s24, s14
	s_sub_i32 s20, s14, s33
	s_cmp_ge_u32 s14, s33
	s_cselect_b32 s14, s20, s14
	s_sub_i32 s20, s14, s33
	s_cmp_ge_u32 s14, s33
	s_cselect_b32 s74, s20, s14
	s_mov_b64 s[20:21], s[74:75]
.LBB95_109:                             ;   in Loop: Header=BB95_36 Depth=1
	s_sub_u32 s24, s24, s20
	s_subb_u32 s25, s15, s21
	v_cmp_gt_u64_e32 vcc, s[24:25], v[0:1]
	s_mov_b64 s[20:21], 0
	s_mov_b64 s[14:15], 0
                                        ; implicit-def: $vgpr27
	s_and_saveexec_b64 s[22:23], vcc
	s_cbranch_execz .LBB95_118
; %bb.110:                              ;   in Loop: Header=BB95_36 Depth=1
	v_mov_b32_e32 v7, v1
	v_mov_b32_e32 v8, v13
	;; [unrolled: 1-line block ×3, first 2 shown]
                                        ; implicit-def: $sgpr26_sgpr27
	s_branch .LBB95_113
.LBB95_111:                             ;   in Loop: Header=BB95_113 Depth=2
	s_or_b64 exec, exec, s[28:29]
	s_waitcnt lgkmcnt(0)
	s_barrier
	ds_read_b64 v[26:27], v10 offset:3072
	s_mov_b64 s[28:29], -1
	s_mov_b64 s[30:31], -1
	s_waitcnt lgkmcnt(0)
	s_barrier
	v_cmp_ne_u32_e32 vcc, 0, v26
	s_cbranch_vccz .LBB95_116
.LBB95_112:                             ;   in Loop: Header=BB95_113 Depth=2
	s_and_b64 s[28:29], exec, s[28:29]
	s_or_b64 s[14:15], s[28:29], s[14:15]
	s_andn2_b64 s[26:27], s[26:27], exec
	s_and_b64 s[28:29], s[30:31], exec
	s_or_b64 s[26:27], s[26:27], s[28:29]
	s_andn2_b64 exec, exec, s[14:15]
	s_cbranch_execz .LBB95_117
.LBB95_113:                             ;   Parent Loop BB95_36 Depth=1
                                        ; =>  This Inner Loop Header: Depth=2
	v_cmp_gt_u64_e32 vcc, s[16:17], v[6:7]
	s_and_saveexec_b64 s[28:29], vcc
	s_cbranch_execz .LBB95_111
; %bb.114:                              ;   in Loop: Header=BB95_113 Depth=2
	ds_read_b32 v26, v8
	s_waitcnt lgkmcnt(0)
	v_xor_b32_e32 v9, 0x80000000, v26
	v_and_b32_e32 v9, v9, v51
	v_cmp_eq_u32_e32 vcc, v9, v48
	s_and_b64 exec, exec, vcc
	s_cbranch_execz .LBB95_111
; %bb.115:                              ;   in Loop: Header=BB95_113 Depth=2
	ds_write_b64 v10, v[25:26] offset:3072
	s_branch .LBB95_111
.LBB95_116:                             ;   in Loop: Header=BB95_113 Depth=2
	v_add_co_u32_e32 v6, vcc, s33, v6
	v_addc_co_u32_e32 v7, vcc, 0, v7, vcc
	v_cmp_le_u64_e32 vcc, s[24:25], v[6:7]
	v_add_u32_e32 v8, s62, v8
	s_mov_b64 s[30:31], 0
	s_orn2_b64 s[28:29], vcc, exec
	s_branch .LBB95_112
.LBB95_117:                             ;   in Loop: Header=BB95_36 Depth=1
	s_or_b64 exec, exec, s[14:15]
	s_and_b64 s[14:15], s[26:27], exec
.LBB95_118:                             ;   in Loop: Header=BB95_36 Depth=1
	s_or_b64 exec, exec, s[22:23]
.LBB95_119:                             ;   in Loop: Header=BB95_36 Depth=1
	s_and_b64 vcc, exec, s[20:21]
	s_cbranch_vccz .LBB95_133
; %bb.120:                              ;   in Loop: Header=BB95_36 Depth=1
	s_mov_b32 s90, s75
	s_cmp_lg_u64 s[90:91], 0
	s_cbranch_scc0 .LBB95_164
; %bb.121:                              ;   in Loop: Header=BB95_36 Depth=1
	v_cvt_f32_u32_e32 v6, s33
	s_sub_u32 s8, 0, s33
	s_subb_u32 s9, 0, 0
	v_mac_f32_e32 v6, 0, v49
	v_rcp_f32_e32 v6, v6
	v_mul_f32_e32 v6, 0x5f7ffffc, v6
	v_mul_f32_e32 v7, 0x2f800000, v6
	v_trunc_f32_e32 v7, v7
	v_mac_f32_e32 v6, 0xcf800000, v7
	v_cvt_u32_f32_e32 v7, v7
	v_cvt_u32_f32_e32 v6, v6
	v_readfirstlane_b32 s16, v7
	v_readfirstlane_b32 s0, v6
	s_mul_i32 s1, s8, s16
	s_mul_hi_u32 s20, s8, s0
	s_mul_i32 s17, s9, s0
	s_add_i32 s1, s20, s1
	s_mul_i32 s21, s8, s0
	s_add_i32 s1, s1, s17
	s_mul_hi_u32 s20, s0, s21
	s_mul_i32 s22, s0, s1
	s_mul_hi_u32 s17, s0, s1
	s_add_u32 s20, s20, s22
	s_addc_u32 s17, 0, s17
	s_mul_hi_u32 s23, s16, s21
	s_mul_i32 s21, s16, s21
	s_add_u32 s20, s20, s21
	s_mul_hi_u32 s22, s16, s1
	s_addc_u32 s17, s17, s23
	s_addc_u32 s20, s22, 0
	s_mul_i32 s1, s16, s1
	s_add_u32 s1, s17, s1
	s_addc_u32 s17, 0, s20
	s_add_u32 s20, s0, s1
	s_cselect_b64 s[0:1], -1, 0
	s_cmp_lg_u64 s[0:1], 0
	s_addc_u32 s16, s16, s17
	s_mul_i32 s0, s8, s16
	s_mul_hi_u32 s1, s8, s20
	s_add_i32 s0, s1, s0
	s_mul_i32 s9, s9, s20
	s_add_i32 s0, s0, s9
	s_mul_i32 s8, s8, s20
	s_mul_hi_u32 s9, s16, s8
	s_mul_i32 s17, s16, s8
	s_mul_i32 s22, s20, s0
	s_mul_hi_u32 s8, s20, s8
	s_mul_hi_u32 s21, s20, s0
	s_add_u32 s8, s8, s22
	s_addc_u32 s21, 0, s21
	s_add_u32 s8, s8, s17
	s_mul_hi_u32 s1, s16, s0
	s_addc_u32 s8, s21, s9
	s_addc_u32 s1, s1, 0
	s_mul_i32 s0, s16, s0
	s_add_u32 s0, s8, s0
	s_addc_u32 s8, 0, s1
	s_add_u32 s9, s20, s0
	s_cselect_b64 s[0:1], -1, 0
	s_cmp_lg_u64 s[0:1], 0
	s_addc_u32 s0, s16, s8
	s_mul_i32 s8, s66, s0
	s_mul_hi_u32 s16, s66, s9
	s_mul_hi_u32 s1, s66, s0
	s_add_u32 s8, s16, s8
	s_addc_u32 s1, 0, s1
	s_mul_hi_u32 s17, s91, s9
	s_mul_i32 s9, s91, s9
	s_add_u32 s8, s8, s9
	s_mul_hi_u32 s16, s91, s0
	s_addc_u32 s1, s1, s17
	s_addc_u32 s8, s16, 0
	s_mul_i32 s0, s91, s0
	s_add_u32 s0, s1, s0
	s_addc_u32 s1, 0, s8
	s_mul_i32 s1, s33, s1
	s_mul_hi_u32 s8, s33, s0
	s_add_i32 s8, s8, s1
	s_mul_i32 s0, s33, s0
	s_sub_u32 s9, s66, s0
	s_cselect_b64 s[0:1], -1, 0
	s_cmp_lg_u64 s[0:1], 0
	s_subb_u32 s8, s91, s8
	s_sub_u32 s16, s9, s33
	s_cselect_b64 s[0:1], -1, 0
	s_cmp_lg_u64 s[0:1], 0
	s_subb_u32 s17, s8, 0
	;; [unrolled: 4-line block ×3, first 2 shown]
	s_cmp_ge_u32 s16, s33
	s_cselect_b32 s1, -1, 0
	s_cmp_eq_u32 s17, 0
	s_cselect_b32 s1, s1, -1
	s_cmp_lg_u32 s1, 0
	s_cselect_b32 s0, s0, s17
	s_cselect_b32 s16, s20, s16
	s_cmp_ge_u32 s9, s33
	s_cselect_b32 s1, -1, 0
	s_cmp_eq_u32 s8, 0
	s_cselect_b32 s1, s1, -1
	s_cmp_lg_u32 s1, 0
	s_cselect_b32 s1, s0, s8
	s_cselect_b32 s0, s16, s9
	s_cbranch_execnz .LBB95_123
.LBB95_122:                             ;   in Loop: Header=BB95_36 Depth=1
	v_cvt_f32_u32_e32 v6, s33
	s_sub_i32 s0, 0, s33
	v_rcp_iflag_f32_e32 v6, v6
	v_mul_f32_e32 v6, 0x4f7ffffe, v6
	v_cvt_u32_f32_e32 v6, v6
	v_readfirstlane_b32 s1, v6
	s_mul_i32 s0, s0, s1
	s_mul_hi_u32 s0, s1, s0
	s_add_i32 s1, s1, s0
	s_mul_hi_u32 s0, s66, s1
	s_mul_i32 s0, s0, s33
	s_sub_i32 s0, s66, s0
	s_sub_i32 s1, s0, s33
	s_cmp_ge_u32 s0, s33
	s_cselect_b32 s0, s1, s0
	s_sub_i32 s1, s0, s33
	s_cmp_ge_u32 s0, s33
	s_cselect_b32 s74, s1, s0
	s_mov_b64 s[0:1], s[74:75]
.LBB95_123:                             ;   in Loop: Header=BB95_36 Depth=1
	s_sub_u32 s8, s66, s0
	s_subb_u32 s9, s91, s1
	v_cmp_gt_u64_e32 vcc, s[8:9], v[0:1]
                                        ; implicit-def: $vgpr27
	s_and_saveexec_b64 s[0:1], vcc
	s_cbranch_execz .LBB95_132
; %bb.124:                              ;   in Loop: Header=BB95_36 Depth=1
	v_mov_b32_e32 v6, v11
	v_mov_b32_e32 v9, v1
	s_mov_b64 s[16:17], 0
	v_mov_b32_e32 v7, v12
	v_mov_b32_e32 v8, v0
                                        ; implicit-def: $sgpr20_sgpr21
	s_branch .LBB95_127
.LBB95_125:                             ;   in Loop: Header=BB95_127 Depth=2
	s_or_b64 exec, exec, s[22:23]
	s_waitcnt lgkmcnt(0)
	s_barrier
	ds_read_b64 v[26:27], v10 offset:3072
	s_mov_b64 s[22:23], -1
	s_mov_b64 s[24:25], -1
	s_waitcnt lgkmcnt(0)
	s_barrier
	v_cmp_ne_u32_e32 vcc, 0, v26
	s_cbranch_vccz .LBB95_130
.LBB95_126:                             ;   in Loop: Header=BB95_127 Depth=2
	s_and_b64 s[22:23], exec, s[22:23]
	s_or_b64 s[16:17], s[22:23], s[16:17]
	s_andn2_b64 s[20:21], s[20:21], exec
	s_and_b64 s[22:23], s[24:25], exec
	s_or_b64 s[20:21], s[20:21], s[22:23]
	s_andn2_b64 exec, exec, s[16:17]
	s_cbranch_execz .LBB95_131
.LBB95_127:                             ;   Parent Loop BB95_36 Depth=1
                                        ; =>  This Inner Loop Header: Depth=2
	v_cmp_gt_u64_e32 vcc, s[52:53], v[8:9]
	s_and_saveexec_b64 s[22:23], vcc
	s_cbranch_execz .LBB95_125
; %bb.128:                              ;   in Loop: Header=BB95_127 Depth=2
	global_load_dword v26, v[6:7], off
	s_waitcnt vmcnt(0)
	v_xor_b32_e32 v27, 0x80000000, v26
	v_and_b32_e32 v27, v27, v51
	v_cmp_eq_u32_e32 vcc, v27, v48
	s_and_b64 exec, exec, vcc
	s_cbranch_execz .LBB95_125
; %bb.129:                              ;   in Loop: Header=BB95_127 Depth=2
	ds_write_b64 v10, v[25:26] offset:3072
	s_branch .LBB95_125
.LBB95_130:                             ;   in Loop: Header=BB95_127 Depth=2
	v_add_co_u32_e32 v8, vcc, s33, v8
	v_addc_co_u32_e32 v9, vcc, 0, v9, vcc
	v_mov_b32_e32 v26, s51
	v_add_co_u32_e32 v6, vcc, s50, v6
	v_addc_co_u32_e32 v7, vcc, v7, v26, vcc
	v_cmp_le_u64_e32 vcc, s[8:9], v[8:9]
	s_mov_b64 s[24:25], 0
	s_orn2_b64 s[22:23], vcc, exec
	s_branch .LBB95_126
.LBB95_131:                             ;   in Loop: Header=BB95_36 Depth=1
	s_or_b64 exec, exec, s[16:17]
	s_andn2_b64 s[8:9], s[14:15], exec
	s_and_b64 s[14:15], s[20:21], exec
	s_or_b64 s[14:15], s[8:9], s[14:15]
.LBB95_132:                             ;   in Loop: Header=BB95_36 Depth=1
	s_or_b64 exec, exec, s[0:1]
	s_mov_b64 s[0:1], 0
	s_mov_b64 s[8:9], -1
.LBB95_133:                             ;   in Loop: Header=BB95_36 Depth=1
	s_orn2_b64 s[14:15], s[14:15], exec
.LBB95_134:                             ;   in Loop: Header=BB95_36 Depth=1
	s_or_b64 exec, exec, s[12:13]
	v_readlane_b32 s12, v56, 35
	v_readlane_b32 s13, v56, 36
	s_andn2_b64 s[12:13], s[12:13], exec
	s_and_b64 s[8:9], s[8:9], exec
	s_or_b64 s[76:77], s[12:13], s[8:9]
	v_readlane_b32 s8, v56, 37
	v_readlane_b32 s68, v56, 33
	;; [unrolled: 1-line block ×4, first 2 shown]
	s_andn2_b64 s[8:9], s[8:9], exec
	s_and_b64 s[0:1], s[0:1], exec
	s_andn2_b64 s[68:69], s[68:69], exec
	s_or_b64 s[70:71], s[8:9], s[0:1]
                                        ; implicit-def: $vgpr6_vgpr7
	s_and_saveexec_b64 s[12:13], s[14:15]
	s_cbranch_execz .LBB95_35
; %bb.135:                              ;   in Loop: Header=BB95_36 Depth=1
	v_mov_b32_e32 v6, 1
	s_xor_b64 s[6:7], s[6:7], -1
	v_mov_b32_e32 v30, 1
	v_mov_b32_e32 v7, 0
	s_mov_b64 s[2:3], 0
	s_and_saveexec_b64 s[0:1], s[6:7]
	s_cbranch_execz .LBB95_144
; %bb.136:                              ;   in Loop: Header=BB95_36 Depth=1
	v_cmp_le_u64_e32 vcc, v[28:29], v[2:3]
	s_and_saveexec_b64 s[2:3], vcc
	s_xor_b64 s[2:3], exec, s[2:3]
	s_cbranch_execz .LBB95_141
; %bb.137:                              ;   in Loop: Header=BB95_36 Depth=1
	ds_read_b64 v[6:7], v10 offset:5120
	v_and_b32_e32 v48, s46, v48
	v_or_b32_e32 v51, s78, v51
	s_waitcnt lgkmcnt(0)
	v_cmp_ne_u64_e32 vcc, 0, v[6:7]
	s_cbranch_vccnz .LBB95_141
; %bb.138:                              ;   in Loop: Header=BB95_36 Depth=1
	s_mov_b64 s[6:7], exec
	v_readlane_b32 s8, v56, 8
	v_readlane_b32 s9, v56, 9
	s_and_b64 s[8:9], s[6:7], s[8:9]
	s_mov_b64 exec, s[8:9]
; %bb.139:                              ;   in Loop: Header=BB95_36 Depth=1
	ds_write_b64 v10, v[2:3] offset:5128
; %bb.140:                              ;   in Loop: Header=BB95_36 Depth=1
	s_or_b64 exec, exec, s[6:7]
	s_waitcnt lgkmcnt(0)
	s_barrier
.LBB95_141:                             ;   in Loop: Header=BB95_36 Depth=1
	s_or_saveexec_b64 s[2:3], s[2:3]
	s_mov_b64 s[6:7], 0
	v_mov_b32_e32 v30, 8
	s_xor_b64 exec, exec, s[2:3]
; %bb.142:                              ;   in Loop: Header=BB95_36 Depth=1
	v_sub_co_u32_e32 v28, vcc, v28, v2
	s_mov_b64 s[6:7], exec
	v_subb_co_u32_e32 v29, vcc, v29, v3, vcc
	v_mov_b32_e32 v30, 0
; %bb.143:                              ;   in Loop: Header=BB95_36 Depth=1
	s_or_b64 exec, exec, s[2:3]
	v_mov_b32_e32 v6, v28
	s_and_b64 s[2:3], s[6:7], exec
	v_mov_b32_e32 v7, v29
.LBB95_144:                             ;   in Loop: Header=BB95_36 Depth=1
	s_or_b64 exec, exec, s[0:1]
	s_mov_b64 s[14:15], -1
	s_mov_b64 s[0:1], -1
                                        ; implicit-def: $sgpr6_sgpr7
                                        ; implicit-def: $sgpr20_sgpr21
	s_and_saveexec_b64 s[8:9], s[2:3]
	s_xor_b64 s[16:17], exec, s[8:9]
	s_cbranch_execz .LBB95_289
; %bb.145:                              ;   in Loop: Header=BB95_36 Depth=1
	v_cmp_eq_u64_e32 vcc, 1, v[4:5]
	v_cmp_eq_u64_e64 s[6:7], 1, v[6:7]
                                        ; implicit-def: $sgpr20_sgpr21
	s_and_b64 s[22:23], vcc, s[6:7]
                                        ; implicit-def: $sgpr6_sgpr7
	s_and_saveexec_b64 s[2:3], s[22:23]
	s_cbranch_execz .LBB95_182
; %bb.146:                              ;   in Loop: Header=BB95_36 Depth=1
	ds_read_b64 v[2:3], v10 offset:5120
	s_waitcnt lgkmcnt(0)
	s_barrier
	v_readfirstlane_b32 s8, v2
	v_readfirstlane_b32 s9, v3
	s_and_saveexec_b64 s[0:1], s[86:87]
; %bb.147:                              ;   in Loop: Header=BB95_36 Depth=1
	ds_write_b32 v41, v10
; %bb.148:                              ;   in Loop: Header=BB95_36 Depth=1
	s_or_b64 exec, exec, s[0:1]
	v_and_b32_e32 v2, s46, v48
	v_lshl_or_b32 v48, 1, s5, v2
	v_or_b32_e32 v51, s78, v51
	s_mov_b64 s[6:7], -1
	s_mov_b64 s[20:21], 0
	s_cmp_eq_u64 s[8:9], 0
	s_mov_b64 s[0:1], 0
	s_mov_b64 s[24:25], -1
	s_waitcnt lgkmcnt(0)
	s_barrier
                                        ; implicit-def: $vgpr27
	s_cbranch_scc1 .LBB95_167
; %bb.149:                              ;   in Loop: Header=BB95_36 Depth=1
	v_readlane_b32 s0, v56, 18
	s_add_u32 s28, s8, s0
	v_readlane_b32 s0, v56, 19
	s_addc_u32 s1, s9, s0
	s_mov_b32 s0, s75
	s_cmp_lg_u64 s[0:1], 0
	s_cbranch_scc0 .LBB95_209
; %bb.150:                              ;   in Loop: Header=BB95_36 Depth=1
	v_cvt_f32_u32_e32 v2, s33
	s_sub_u32 s0, 0, s33
	s_subb_u32 s26, 0, 0
	v_mac_f32_e32 v2, 0, v49
	v_rcp_f32_e32 v2, v2
	v_mul_f32_e32 v2, 0x5f7ffffc, v2
	v_mul_f32_e32 v3, 0x2f800000, v2
	v_trunc_f32_e32 v3, v3
	v_mac_f32_e32 v2, 0xcf800000, v3
	v_cvt_u32_f32_e32 v3, v3
	v_cvt_u32_f32_e32 v2, v2
	v_readfirstlane_b32 s27, v3
	v_readfirstlane_b32 s24, v2
	s_mul_i32 s25, s0, s27
	s_mul_hi_u32 s30, s0, s24
	s_mul_i32 s29, s26, s24
	s_add_i32 s25, s30, s25
	s_mul_i32 s31, s0, s24
	s_add_i32 s25, s25, s29
	s_mul_hi_u32 s30, s24, s31
	s_mul_i32 s34, s24, s25
	s_mul_hi_u32 s29, s24, s25
	s_add_u32 s30, s30, s34
	s_addc_u32 s29, 0, s29
	s_mul_hi_u32 s35, s27, s31
	s_mul_i32 s31, s27, s31
	s_add_u32 s30, s30, s31
	s_mul_hi_u32 s34, s27, s25
	s_addc_u32 s29, s29, s35
	s_addc_u32 s30, s34, 0
	s_mul_i32 s25, s27, s25
	s_add_u32 s25, s29, s25
	s_addc_u32 s29, 0, s30
	s_add_u32 s30, s24, s25
	s_cselect_b64 s[24:25], -1, 0
	s_cmp_lg_u64 s[24:25], 0
	s_addc_u32 s27, s27, s29
	s_mul_i32 s24, s0, s27
	s_mul_hi_u32 s25, s0, s30
	s_add_i32 s24, s25, s24
	s_mul_i32 s26, s26, s30
	s_add_i32 s24, s24, s26
	s_mul_i32 s0, s0, s30
	s_mul_hi_u32 s26, s27, s0
	s_mul_i32 s29, s27, s0
	s_mul_i32 s34, s30, s24
	s_mul_hi_u32 s0, s30, s0
	s_mul_hi_u32 s31, s30, s24
	s_add_u32 s0, s0, s34
	s_addc_u32 s31, 0, s31
	s_add_u32 s0, s0, s29
	s_mul_hi_u32 s25, s27, s24
	s_addc_u32 s0, s31, s26
	s_addc_u32 s25, s25, 0
	s_mul_i32 s24, s27, s24
	s_add_u32 s0, s0, s24
	s_addc_u32 s26, 0, s25
	s_add_u32 s0, s30, s0
	s_cselect_b64 s[24:25], -1, 0
	s_cmp_lg_u64 s[24:25], 0
	s_addc_u32 s24, s27, s26
	s_mul_i32 s26, s28, s24
	s_mul_hi_u32 s27, s28, s0
	s_mul_hi_u32 s25, s28, s24
	s_add_u32 s26, s27, s26
	s_addc_u32 s25, 0, s25
	s_mul_hi_u32 s29, s1, s0
	s_mul_i32 s0, s1, s0
	s_add_u32 s0, s26, s0
	s_mul_hi_u32 s27, s1, s24
	s_addc_u32 s0, s25, s29
	s_addc_u32 s25, s27, 0
	s_mul_i32 s24, s1, s24
	s_add_u32 s0, s0, s24
	s_addc_u32 s24, 0, s25
	s_mul_i32 s24, s33, s24
	s_mul_hi_u32 s25, s33, s0
	s_add_i32 s26, s25, s24
	s_mul_i32 s0, s33, s0
	s_sub_u32 s0, s28, s0
	s_cselect_b64 s[24:25], -1, 0
	s_cmp_lg_u64 s[24:25], 0
	s_subb_u32 s26, s1, s26
	s_sub_u32 s27, s0, s33
	s_cselect_b64 s[24:25], -1, 0
	s_cmp_lg_u64 s[24:25], 0
	s_subb_u32 s29, s26, 0
	;; [unrolled: 4-line block ×3, first 2 shown]
	s_cmp_ge_u32 s27, s33
	s_cselect_b32 s25, -1, 0
	s_cmp_eq_u32 s29, 0
	s_cselect_b32 s25, s25, -1
	s_cmp_lg_u32 s25, 0
	s_cselect_b32 s24, s24, s29
	s_cselect_b32 s27, s30, s27
	s_cmp_ge_u32 s0, s33
	s_cselect_b32 s25, -1, 0
	s_cmp_eq_u32 s26, 0
	s_cselect_b32 s25, s25, -1
	s_cmp_lg_u32 s25, 0
	s_cselect_b32 s25, s24, s26
	s_cselect_b32 s24, s27, s0
	s_cbranch_execnz .LBB95_152
.LBB95_151:                             ;   in Loop: Header=BB95_36 Depth=1
	v_cvt_f32_u32_e32 v2, s33
	s_sub_i32 s0, 0, s33
	v_rcp_iflag_f32_e32 v2, v2
	v_mul_f32_e32 v2, 0x4f7ffffe, v2
	v_cvt_u32_f32_e32 v2, v2
	v_readfirstlane_b32 s24, v2
	s_mul_i32 s0, s0, s24
	s_mul_hi_u32 s0, s24, s0
	s_add_i32 s24, s24, s0
	s_mul_hi_u32 s0, s28, s24
	s_mul_i32 s0, s0, s33
	s_sub_i32 s0, s28, s0
	s_sub_i32 s24, s0, s33
	s_cmp_ge_u32 s0, s33
	s_cselect_b32 s0, s24, s0
	s_sub_i32 s24, s0, s33
	s_cmp_ge_u32 s0, s33
	s_cselect_b32 s74, s24, s0
	s_mov_b64 s[24:25], s[74:75]
.LBB95_152:                             ;   in Loop: Header=BB95_36 Depth=1
	s_sub_u32 s28, s28, s24
	s_subb_u32 s29, s1, s25
	v_cmp_gt_u64_e32 vcc, s[28:29], v[0:1]
	s_mov_b64 s[24:25], 0
	s_mov_b64 s[0:1], 0
                                        ; implicit-def: $vgpr27
	s_and_saveexec_b64 s[26:27], vcc
	s_cbranch_execz .LBB95_166
; %bb.153:                              ;   in Loop: Header=BB95_36 Depth=1
	v_mov_b32_e32 v3, v1
	v_mov_b32_e32 v8, v13
	v_mov_b32_e32 v2, v0
                                        ; implicit-def: $sgpr30_sgpr31
	s_branch .LBB95_156
.LBB95_154:                             ;   in Loop: Header=BB95_156 Depth=2
	s_or_b64 exec, exec, s[34:35]
	s_waitcnt lgkmcnt(0)
	s_barrier
	ds_read_b64 v[26:27], v10 offset:3072
	s_mov_b64 s[34:35], -1
	s_mov_b64 s[36:37], -1
	s_waitcnt lgkmcnt(0)
	s_barrier
	v_cmp_ne_u32_e32 vcc, 0, v26
	s_cbranch_vccz .LBB95_159
.LBB95_155:                             ;   in Loop: Header=BB95_156 Depth=2
	s_and_b64 s[34:35], exec, s[34:35]
	s_or_b64 s[0:1], s[34:35], s[0:1]
	s_andn2_b64 s[30:31], s[30:31], exec
	s_and_b64 s[34:35], s[36:37], exec
	s_or_b64 s[30:31], s[30:31], s[34:35]
	s_andn2_b64 exec, exec, s[0:1]
	s_cbranch_execz .LBB95_165
.LBB95_156:                             ;   Parent Loop BB95_36 Depth=1
                                        ; =>  This Inner Loop Header: Depth=2
	v_cmp_gt_u64_e32 vcc, s[8:9], v[2:3]
	s_and_saveexec_b64 s[34:35], vcc
	s_cbranch_execz .LBB95_154
; %bb.157:                              ;   in Loop: Header=BB95_156 Depth=2
	ds_read_b32 v26, v8
	s_waitcnt lgkmcnt(0)
	v_xor_b32_e32 v9, 0x80000000, v26
	v_and_b32_e32 v9, v9, v51
	v_cmp_eq_u32_e32 vcc, v9, v48
	s_and_b64 exec, exec, vcc
	s_cbranch_execz .LBB95_154
; %bb.158:                              ;   in Loop: Header=BB95_156 Depth=2
	ds_write_b64 v10, v[25:26] offset:3072
	s_branch .LBB95_154
.LBB95_159:                             ;   in Loop: Header=BB95_156 Depth=2
	v_add_co_u32_e32 v2, vcc, s33, v2
	v_addc_co_u32_e32 v3, vcc, 0, v3, vcc
	v_cmp_le_u64_e32 vcc, s[28:29], v[2:3]
	v_add_u32_e32 v8, s62, v8
	s_mov_b64 s[36:37], 0
	s_orn2_b64 s[34:35], vcc, exec
	s_branch .LBB95_155
.LBB95_160:                             ;   in Loop: Header=BB95_36 Depth=1
                                        ; implicit-def: $sgpr20_sgpr21
	s_branch .LBB95_108
.LBB95_161:                             ;   in Loop: Header=BB95_36 Depth=1
	s_or_b64 exec, exec, s[2:3]
	s_waitcnt lgkmcnt(0)
	s_barrier
	s_mov_b64 s[2:3], exec
	v_readlane_b32 s6, v56, 8
	v_readlane_b32 s7, v56, 9
	s_and_b64 s[6:7], s[2:3], s[6:7]
	s_mov_b64 exec, s[6:7]
	s_cbranch_execz .LBB95_163
; %bb.162:                              ;   in Loop: Header=BB95_36 Depth=1
	ds_read_b32 v2, v10 offset:5144
	s_waitcnt lgkmcnt(0)
	v_ashrrev_i32_e32 v3, 31, v2
	ds_write_b64 v10, v[2:3] offset:5120
.LBB95_163:                             ;   in Loop: Header=BB95_36 Depth=1
	s_or_b64 exec, exec, s[2:3]
	s_waitcnt lgkmcnt(0)
	s_barrier
	s_mov_b64 s[6:7], -1
	s_and_b64 vcc, exec, s[0:1]
	s_cbranch_vccnz .LBB95_52
	s_branch .LBB95_61
.LBB95_164:                             ;   in Loop: Header=BB95_36 Depth=1
                                        ; implicit-def: $sgpr0_sgpr1
	s_branch .LBB95_122
.LBB95_165:                             ;   in Loop: Header=BB95_36 Depth=1
	s_or_b64 exec, exec, s[0:1]
	s_and_b64 s[0:1], s[30:31], exec
.LBB95_166:                             ;   in Loop: Header=BB95_36 Depth=1
	s_or_b64 exec, exec, s[26:27]
.LBB95_167:                             ;   in Loop: Header=BB95_36 Depth=1
	s_and_b64 vcc, exec, s[24:25]
	s_cbranch_vccz .LBB95_181
; %bb.168:                              ;   in Loop: Header=BB95_36 Depth=1
	s_mov_b32 s90, s75
	s_cmp_lg_u64 s[90:91], 0
	s_cbranch_scc0 .LBB95_210
; %bb.169:                              ;   in Loop: Header=BB95_36 Depth=1
	v_cvt_f32_u32_e32 v2, s33
	s_sub_u32 s8, 0, s33
	s_subb_u32 s9, 0, 0
	v_mac_f32_e32 v2, 0, v49
	v_rcp_f32_e32 v2, v2
	v_mul_f32_e32 v2, 0x5f7ffffc, v2
	v_mul_f32_e32 v3, 0x2f800000, v2
	v_trunc_f32_e32 v3, v3
	v_mac_f32_e32 v2, 0xcf800000, v3
	v_cvt_u32_f32_e32 v3, v3
	v_cvt_u32_f32_e32 v2, v2
	v_readfirstlane_b32 s20, v3
	v_readfirstlane_b32 s6, v2
	s_mul_i32 s7, s8, s20
	s_mul_hi_u32 s24, s8, s6
	s_mul_i32 s21, s9, s6
	s_add_i32 s7, s24, s7
	s_mul_i32 s25, s8, s6
	s_add_i32 s7, s7, s21
	s_mul_hi_u32 s24, s6, s25
	s_mul_i32 s26, s6, s7
	s_mul_hi_u32 s21, s6, s7
	s_add_u32 s24, s24, s26
	s_addc_u32 s21, 0, s21
	s_mul_hi_u32 s27, s20, s25
	s_mul_i32 s25, s20, s25
	s_add_u32 s24, s24, s25
	s_mul_hi_u32 s26, s20, s7
	s_addc_u32 s21, s21, s27
	s_addc_u32 s24, s26, 0
	s_mul_i32 s7, s20, s7
	s_add_u32 s7, s21, s7
	s_addc_u32 s21, 0, s24
	s_add_u32 s24, s6, s7
	s_cselect_b64 s[6:7], -1, 0
	s_cmp_lg_u64 s[6:7], 0
	s_addc_u32 s20, s20, s21
	s_mul_i32 s6, s8, s20
	s_mul_hi_u32 s7, s8, s24
	s_add_i32 s6, s7, s6
	s_mul_i32 s9, s9, s24
	s_add_i32 s6, s6, s9
	s_mul_i32 s8, s8, s24
	s_mul_hi_u32 s9, s20, s8
	s_mul_i32 s21, s20, s8
	s_mul_i32 s26, s24, s6
	s_mul_hi_u32 s8, s24, s8
	s_mul_hi_u32 s25, s24, s6
	s_add_u32 s8, s8, s26
	s_addc_u32 s25, 0, s25
	s_add_u32 s8, s8, s21
	s_mul_hi_u32 s7, s20, s6
	s_addc_u32 s8, s25, s9
	s_addc_u32 s7, s7, 0
	s_mul_i32 s6, s20, s6
	s_add_u32 s6, s8, s6
	s_addc_u32 s8, 0, s7
	s_add_u32 s9, s24, s6
	s_cselect_b64 s[6:7], -1, 0
	s_cmp_lg_u64 s[6:7], 0
	s_addc_u32 s6, s20, s8
	s_mul_i32 s8, s66, s6
	s_mul_hi_u32 s20, s66, s9
	s_mul_hi_u32 s7, s66, s6
	s_add_u32 s8, s20, s8
	s_addc_u32 s7, 0, s7
	s_mul_hi_u32 s21, s91, s9
	s_mul_i32 s9, s91, s9
	s_add_u32 s8, s8, s9
	s_mul_hi_u32 s20, s91, s6
	s_addc_u32 s7, s7, s21
	s_addc_u32 s8, s20, 0
	s_mul_i32 s6, s91, s6
	s_add_u32 s6, s7, s6
	s_addc_u32 s7, 0, s8
	s_mul_i32 s7, s33, s7
	s_mul_hi_u32 s8, s33, s6
	s_add_i32 s8, s8, s7
	s_mul_i32 s6, s33, s6
	s_sub_u32 s9, s66, s6
	s_cselect_b64 s[6:7], -1, 0
	s_cmp_lg_u64 s[6:7], 0
	s_subb_u32 s8, s91, s8
	s_sub_u32 s20, s9, s33
	s_cselect_b64 s[6:7], -1, 0
	s_cmp_lg_u64 s[6:7], 0
	s_subb_u32 s21, s8, 0
	;; [unrolled: 4-line block ×3, first 2 shown]
	s_cmp_ge_u32 s20, s33
	s_cselect_b32 s7, -1, 0
	s_cmp_eq_u32 s21, 0
	s_cselect_b32 s7, s7, -1
	s_cmp_lg_u32 s7, 0
	s_cselect_b32 s6, s6, s21
	s_cselect_b32 s20, s24, s20
	s_cmp_ge_u32 s9, s33
	s_cselect_b32 s7, -1, 0
	s_cmp_eq_u32 s8, 0
	s_cselect_b32 s7, s7, -1
	s_cmp_lg_u32 s7, 0
	s_cselect_b32 s7, s6, s8
	s_cselect_b32 s6, s20, s9
	s_cbranch_execnz .LBB95_171
.LBB95_170:                             ;   in Loop: Header=BB95_36 Depth=1
	v_cvt_f32_u32_e32 v2, s33
	s_sub_i32 s6, 0, s33
	v_rcp_iflag_f32_e32 v2, v2
	v_mul_f32_e32 v2, 0x4f7ffffe, v2
	v_cvt_u32_f32_e32 v2, v2
	v_readfirstlane_b32 s7, v2
	s_mul_i32 s6, s6, s7
	s_mul_hi_u32 s6, s7, s6
	s_add_i32 s7, s7, s6
	s_mul_hi_u32 s6, s66, s7
	s_mul_i32 s6, s6, s33
	s_sub_i32 s6, s66, s6
	s_sub_i32 s7, s6, s33
	s_cmp_ge_u32 s6, s33
	s_cselect_b32 s6, s7, s6
	s_sub_i32 s7, s6, s33
	s_cmp_ge_u32 s6, s33
	s_cselect_b32 s74, s7, s6
	s_mov_b64 s[6:7], s[74:75]
.LBB95_171:                             ;   in Loop: Header=BB95_36 Depth=1
	s_sub_u32 s8, s66, s6
	s_subb_u32 s9, s91, s7
	v_cmp_gt_u64_e32 vcc, s[8:9], v[0:1]
                                        ; implicit-def: $vgpr27
	s_and_saveexec_b64 s[6:7], vcc
	s_cbranch_execz .LBB95_180
; %bb.172:                              ;   in Loop: Header=BB95_36 Depth=1
	v_mov_b32_e32 v2, v11
	v_mov_b32_e32 v9, v1
	s_mov_b64 s[20:21], 0
	v_mov_b32_e32 v3, v12
	v_mov_b32_e32 v8, v0
                                        ; implicit-def: $sgpr24_sgpr25
	s_branch .LBB95_175
.LBB95_173:                             ;   in Loop: Header=BB95_175 Depth=2
	s_or_b64 exec, exec, s[26:27]
	s_waitcnt lgkmcnt(0)
	s_barrier
	ds_read_b64 v[26:27], v10 offset:3072
	s_mov_b64 s[26:27], -1
	s_mov_b64 s[28:29], -1
	s_waitcnt lgkmcnt(0)
	s_barrier
	v_cmp_eq_u32_e32 vcc, 0, v26
	s_cbranch_vccnz .LBB95_178
.LBB95_174:                             ;   in Loop: Header=BB95_175 Depth=2
	s_and_b64 s[26:27], exec, s[26:27]
	s_or_b64 s[20:21], s[26:27], s[20:21]
	s_andn2_b64 s[24:25], s[24:25], exec
	s_and_b64 s[26:27], s[28:29], exec
	s_or_b64 s[24:25], s[24:25], s[26:27]
	s_andn2_b64 exec, exec, s[20:21]
	s_cbranch_execz .LBB95_179
.LBB95_175:                             ;   Parent Loop BB95_36 Depth=1
                                        ; =>  This Inner Loop Header: Depth=2
	v_cmp_gt_u64_e32 vcc, s[52:53], v[8:9]
	s_and_saveexec_b64 s[26:27], vcc
	s_cbranch_execz .LBB95_173
; %bb.176:                              ;   in Loop: Header=BB95_175 Depth=2
	global_load_dword v26, v[2:3], off
	s_waitcnt vmcnt(0)
	v_xor_b32_e32 v27, 0x80000000, v26
	v_and_b32_e32 v27, v27, v51
	v_cmp_eq_u32_e32 vcc, v27, v48
	s_and_b64 exec, exec, vcc
	s_cbranch_execz .LBB95_173
; %bb.177:                              ;   in Loop: Header=BB95_175 Depth=2
	ds_write_b64 v10, v[25:26] offset:3072
	s_branch .LBB95_173
.LBB95_178:                             ;   in Loop: Header=BB95_175 Depth=2
	v_add_co_u32_e32 v8, vcc, s33, v8
	v_addc_co_u32_e32 v9, vcc, 0, v9, vcc
	v_mov_b32_e32 v26, s51
	v_add_co_u32_e32 v2, vcc, s50, v2
	v_addc_co_u32_e32 v3, vcc, v3, v26, vcc
	v_cmp_le_u64_e32 vcc, s[8:9], v[8:9]
	s_mov_b64 s[28:29], 0
	s_orn2_b64 s[26:27], vcc, exec
	s_branch .LBB95_174
.LBB95_179:                             ;   in Loop: Header=BB95_36 Depth=1
	s_or_b64 exec, exec, s[20:21]
	s_andn2_b64 s[0:1], s[0:1], exec
	s_and_b64 s[8:9], s[24:25], exec
	s_or_b64 s[0:1], s[0:1], s[8:9]
.LBB95_180:                             ;   in Loop: Header=BB95_36 Depth=1
	s_or_b64 exec, exec, s[6:7]
	s_mov_b64 s[6:7], 0
	s_mov_b64 s[20:21], -1
.LBB95_181:                             ;   in Loop: Header=BB95_36 Depth=1
	s_orn2_b64 s[0:1], s[0:1], exec
.LBB95_182:                             ;   in Loop: Header=BB95_36 Depth=1
	s_or_b64 exec, exec, s[2:3]
	s_mov_b64 s[8:9], 0
	s_and_saveexec_b64 s[2:3], s[0:1]
	s_cbranch_execz .LBB95_288
; %bb.183:                              ;   in Loop: Header=BB95_36 Depth=1
	v_mov_b32_e32 v2, 1
	s_xor_b64 s[22:23], s[22:23], -1
	v_mov_b32_e32 v30, 1
	v_mov_b32_e32 v3, 0
	s_and_saveexec_b64 s[0:1], s[22:23]
	s_cbranch_execz .LBB95_193
; %bb.184:                              ;   in Loop: Header=BB95_36 Depth=1
	v_cmp_le_u64_e32 vcc, v[6:7], v[4:5]
	s_and_saveexec_b64 s[8:9], vcc
	s_xor_b64 s[8:9], exec, s[8:9]
	s_cbranch_execz .LBB95_190
; %bb.185:                              ;   in Loop: Header=BB95_36 Depth=1
	ds_read_b64 v[2:3], v10 offset:5120
	v_and_b32_e32 v8, s46, v48
	v_lshl_or_b32 v48, 1, s5, v8
	v_or_b32_e32 v51, s78, v51
	s_waitcnt lgkmcnt(0)
	v_cmp_ne_u64_e32 vcc, 0, v[2:3]
	s_cbranch_vccnz .LBB95_189
; %bb.186:                              ;   in Loop: Header=BB95_36 Depth=1
	s_mov_b64 s[22:23], exec
	v_readlane_b32 s24, v56, 8
	v_readlane_b32 s25, v56, 9
	s_and_b64 s[24:25], s[22:23], s[24:25]
	s_mov_b64 exec, s[24:25]
; %bb.187:                              ;   in Loop: Header=BB95_36 Depth=1
	ds_write_b64 v10, v[4:5] offset:5128
; %bb.188:                              ;   in Loop: Header=BB95_36 Depth=1
	s_or_b64 exec, exec, s[22:23]
	s_waitcnt lgkmcnt(0)
	s_barrier
.LBB95_189:                             ;   in Loop: Header=BB95_36 Depth=1
                                        ; implicit-def: $vgpr2_vgpr3_vgpr4_vgpr5
.LBB95_190:                             ;   in Loop: Header=BB95_36 Depth=1
	s_or_saveexec_b64 s[8:9], s[8:9]
	s_mov_b64 s[22:23], 0
	v_mov_b32_e32 v30, 8
	s_xor_b64 exec, exec, s[8:9]
; %bb.191:                              ;   in Loop: Header=BB95_36 Depth=1
	v_sub_co_u32_e32 v6, vcc, v6, v4
	v_subb_co_u32_e32 v7, vcc, v7, v5, vcc
	v_mov_b32_e32 v30, 0
	s_mov_b64 s[22:23], exec
; %bb.192:                              ;   in Loop: Header=BB95_36 Depth=1
	s_or_b64 exec, exec, s[8:9]
	v_mov_b32_e32 v2, v6
	s_and_b64 s[8:9], s[22:23], exec
	v_mov_b32_e32 v3, v7
.LBB95_193:                             ;   in Loop: Header=BB95_36 Depth=1
	s_or_b64 exec, exec, s[0:1]
	s_mov_b64 s[0:1], -1
                                        ; implicit-def: $sgpr24_sgpr25
                                        ; implicit-def: $sgpr28_sgpr29
	s_and_saveexec_b64 s[22:23], s[8:9]
	s_cbranch_execz .LBB95_287
; %bb.194:                              ;   in Loop: Header=BB95_36 Depth=1
	s_cmp_eq_u64 s[18:19], 1
	v_cmp_eq_u64_e32 vcc, 1, v[2:3]
	s_cselect_b64 s[0:1], -1, 0
	s_and_b64 s[34:35], s[0:1], vcc
	s_mov_b64 s[0:1], -1
                                        ; implicit-def: $sgpr28_sgpr29
                                        ; implicit-def: $sgpr24_sgpr25
	s_and_saveexec_b64 s[30:31], s[34:35]
	s_cbranch_execz .LBB95_228
; %bb.195:                              ;   in Loop: Header=BB95_36 Depth=1
	ds_read_b64 v[4:5], v10 offset:5120
	s_waitcnt lgkmcnt(0)
	s_barrier
	v_readfirstlane_b32 s8, v4
	v_readfirstlane_b32 s9, v5
	s_and_saveexec_b64 s[0:1], s[86:87]
; %bb.196:                              ;   in Loop: Header=BB95_36 Depth=1
	ds_write_b32 v41, v10
; %bb.197:                              ;   in Loop: Header=BB95_36 Depth=1
	s_or_b64 exec, exec, s[0:1]
	v_and_b32_e32 v4, s46, v48
	v_lshl_or_b32 v48, 2, s5, v4
	v_or_b32_e32 v51, s78, v51
	s_mov_b64 s[24:25], -1
	s_mov_b64 s[28:29], 0
	s_cmp_eq_u64 s[8:9], 0
	s_mov_b64 s[0:1], 0
	s_mov_b64 s[26:27], -1
	s_waitcnt lgkmcnt(0)
	s_barrier
                                        ; implicit-def: $vgpr27
	s_cbranch_scc1 .LBB95_213
; %bb.198:                              ;   in Loop: Header=BB95_36 Depth=1
	v_readlane_b32 s0, v56, 18
	s_add_u32 s38, s8, s0
	v_readlane_b32 s0, v56, 19
	s_addc_u32 s1, s9, s0
	s_mov_b32 s0, s75
	s_cmp_lg_u64 s[0:1], 0
	s_cbranch_scc0 .LBB95_254
; %bb.199:                              ;   in Loop: Header=BB95_36 Depth=1
	v_cvt_f32_u32_e32 v4, s33
	s_sub_u32 s0, 0, s33
	s_subb_u32 s36, 0, 0
	v_mac_f32_e32 v4, 0, v49
	v_rcp_f32_e32 v4, v4
	v_mul_f32_e32 v4, 0x5f7ffffc, v4
	v_mul_f32_e32 v5, 0x2f800000, v4
	v_trunc_f32_e32 v5, v5
	v_mac_f32_e32 v4, 0xcf800000, v5
	v_cvt_u32_f32_e32 v5, v5
	v_cvt_u32_f32_e32 v4, v4
	v_readfirstlane_b32 s37, v5
	v_readfirstlane_b32 s26, v4
	s_mul_i32 s27, s0, s37
	s_mul_hi_u32 s40, s0, s26
	s_mul_i32 s39, s36, s26
	s_add_i32 s27, s40, s27
	s_mul_i32 s41, s0, s26
	s_add_i32 s27, s27, s39
	s_mul_hi_u32 s40, s26, s41
	s_mul_i32 s42, s26, s27
	s_mul_hi_u32 s39, s26, s27
	s_add_u32 s40, s40, s42
	s_addc_u32 s39, 0, s39
	s_mul_hi_u32 s43, s37, s41
	s_mul_i32 s41, s37, s41
	s_add_u32 s40, s40, s41
	s_mul_hi_u32 s42, s37, s27
	s_addc_u32 s39, s39, s43
	s_addc_u32 s40, s42, 0
	s_mul_i32 s27, s37, s27
	s_add_u32 s27, s39, s27
	s_addc_u32 s39, 0, s40
	s_add_u32 s40, s26, s27
	s_cselect_b64 s[26:27], -1, 0
	s_cmp_lg_u64 s[26:27], 0
	s_addc_u32 s37, s37, s39
	s_mul_i32 s26, s0, s37
	s_mul_hi_u32 s27, s0, s40
	s_add_i32 s26, s27, s26
	s_mul_i32 s36, s36, s40
	s_add_i32 s26, s26, s36
	s_mul_i32 s0, s0, s40
	s_mul_hi_u32 s36, s37, s0
	s_mul_i32 s39, s37, s0
	s_mul_i32 s42, s40, s26
	s_mul_hi_u32 s0, s40, s0
	s_mul_hi_u32 s41, s40, s26
	s_add_u32 s0, s0, s42
	s_addc_u32 s41, 0, s41
	s_add_u32 s0, s0, s39
	s_mul_hi_u32 s27, s37, s26
	s_addc_u32 s0, s41, s36
	s_addc_u32 s27, s27, 0
	s_mul_i32 s26, s37, s26
	s_add_u32 s0, s0, s26
	s_addc_u32 s36, 0, s27
	s_add_u32 s0, s40, s0
	s_cselect_b64 s[26:27], -1, 0
	s_cmp_lg_u64 s[26:27], 0
	s_addc_u32 s26, s37, s36
	s_mul_i32 s36, s38, s26
	s_mul_hi_u32 s37, s38, s0
	s_mul_hi_u32 s27, s38, s26
	s_add_u32 s36, s37, s36
	s_addc_u32 s27, 0, s27
	s_mul_hi_u32 s39, s1, s0
	s_mul_i32 s0, s1, s0
	s_add_u32 s0, s36, s0
	s_mul_hi_u32 s37, s1, s26
	s_addc_u32 s0, s27, s39
	s_addc_u32 s27, s37, 0
	s_mul_i32 s26, s1, s26
	s_add_u32 s0, s0, s26
	s_addc_u32 s26, 0, s27
	s_mul_i32 s26, s33, s26
	s_mul_hi_u32 s27, s33, s0
	s_add_i32 s36, s27, s26
	s_mul_i32 s0, s33, s0
	s_sub_u32 s0, s38, s0
	s_cselect_b64 s[26:27], -1, 0
	s_cmp_lg_u64 s[26:27], 0
	s_subb_u32 s36, s1, s36
	s_sub_u32 s37, s0, s33
	s_cselect_b64 s[26:27], -1, 0
	s_cmp_lg_u64 s[26:27], 0
	s_subb_u32 s39, s36, 0
	;; [unrolled: 4-line block ×3, first 2 shown]
	s_cmp_ge_u32 s37, s33
	s_cselect_b32 s27, -1, 0
	s_cmp_eq_u32 s39, 0
	s_cselect_b32 s27, s27, -1
	s_cmp_lg_u32 s27, 0
	s_cselect_b32 s26, s26, s39
	s_cselect_b32 s37, s40, s37
	s_cmp_ge_u32 s0, s33
	s_cselect_b32 s27, -1, 0
	s_cmp_eq_u32 s36, 0
	s_cselect_b32 s27, s27, -1
	s_cmp_lg_u32 s27, 0
	s_cselect_b32 s27, s26, s36
	s_cselect_b32 s26, s37, s0
	s_cbranch_execnz .LBB95_201
.LBB95_200:                             ;   in Loop: Header=BB95_36 Depth=1
	v_cvt_f32_u32_e32 v4, s33
	s_sub_i32 s0, 0, s33
	v_rcp_iflag_f32_e32 v4, v4
	v_mul_f32_e32 v4, 0x4f7ffffe, v4
	v_cvt_u32_f32_e32 v4, v4
	v_readfirstlane_b32 s26, v4
	s_mul_i32 s0, s0, s26
	s_mul_hi_u32 s0, s26, s0
	s_add_i32 s26, s26, s0
	s_mul_hi_u32 s0, s38, s26
	s_mul_i32 s0, s0, s33
	s_sub_i32 s0, s38, s0
	s_sub_i32 s26, s0, s33
	s_cmp_ge_u32 s0, s33
	s_cselect_b32 s0, s26, s0
	s_sub_i32 s26, s0, s33
	s_cmp_ge_u32 s0, s33
	s_cselect_b32 s74, s26, s0
	s_mov_b64 s[26:27], s[74:75]
.LBB95_201:                             ;   in Loop: Header=BB95_36 Depth=1
	s_sub_u32 s38, s38, s26
	s_subb_u32 s39, s1, s27
	v_cmp_gt_u64_e32 vcc, s[38:39], v[0:1]
	s_mov_b64 s[26:27], 0
	s_mov_b64 s[0:1], 0
                                        ; implicit-def: $vgpr27
	s_and_saveexec_b64 s[36:37], vcc
	s_cbranch_execz .LBB95_212
; %bb.202:                              ;   in Loop: Header=BB95_36 Depth=1
	v_mov_b32_e32 v5, v1
	s_mov_b64 s[54:55], s[44:45]
	v_mov_b32_e32 v6, v13
	v_mov_b32_e32 v4, v0
                                        ; implicit-def: $sgpr40_sgpr41
	s_branch .LBB95_205
.LBB95_203:                             ;   in Loop: Header=BB95_205 Depth=2
	s_or_b64 exec, exec, s[42:43]
	s_waitcnt lgkmcnt(0)
	s_barrier
	ds_read_b64 v[26:27], v10 offset:3072
	s_mov_b64 s[42:43], -1
	s_mov_b64 s[44:45], -1
	s_waitcnt lgkmcnt(0)
	s_barrier
	v_cmp_ne_u32_e32 vcc, 0, v26
	s_cbranch_vccz .LBB95_208
.LBB95_204:                             ;   in Loop: Header=BB95_205 Depth=2
	s_and_b64 s[42:43], exec, s[42:43]
	s_or_b64 s[0:1], s[42:43], s[0:1]
	s_andn2_b64 s[40:41], s[40:41], exec
	s_and_b64 s[42:43], s[44:45], exec
	s_or_b64 s[40:41], s[40:41], s[42:43]
	s_andn2_b64 exec, exec, s[0:1]
	s_cbranch_execz .LBB95_211
.LBB95_205:                             ;   Parent Loop BB95_36 Depth=1
                                        ; =>  This Inner Loop Header: Depth=2
	v_cmp_gt_u64_e32 vcc, s[8:9], v[4:5]
	s_and_saveexec_b64 s[42:43], vcc
	s_cbranch_execz .LBB95_203
; %bb.206:                              ;   in Loop: Header=BB95_205 Depth=2
	ds_read_b32 v26, v6
	s_waitcnt lgkmcnt(0)
	v_xor_b32_e32 v7, 0x80000000, v26
	v_and_b32_e32 v7, v7, v51
	v_cmp_eq_u32_e32 vcc, v7, v48
	s_and_b64 exec, exec, vcc
	s_cbranch_execz .LBB95_203
; %bb.207:                              ;   in Loop: Header=BB95_205 Depth=2
	ds_write_b64 v10, v[25:26] offset:3072
	s_branch .LBB95_203
.LBB95_208:                             ;   in Loop: Header=BB95_205 Depth=2
	v_add_co_u32_e32 v4, vcc, s33, v4
	v_addc_co_u32_e32 v5, vcc, 0, v5, vcc
	v_cmp_le_u64_e32 vcc, s[38:39], v[4:5]
	v_add_u32_e32 v6, s62, v6
	s_mov_b64 s[44:45], 0
	s_orn2_b64 s[42:43], vcc, exec
	s_branch .LBB95_204
.LBB95_209:                             ;   in Loop: Header=BB95_36 Depth=1
                                        ; implicit-def: $sgpr24_sgpr25
	s_branch .LBB95_151
.LBB95_210:                             ;   in Loop: Header=BB95_36 Depth=1
                                        ; implicit-def: $sgpr6_sgpr7
	s_branch .LBB95_170
.LBB95_211:                             ;   in Loop: Header=BB95_36 Depth=1
	s_or_b64 exec, exec, s[0:1]
	s_and_b64 s[0:1], s[40:41], exec
	s_mov_b64 s[44:45], s[54:55]
.LBB95_212:                             ;   in Loop: Header=BB95_36 Depth=1
	s_or_b64 exec, exec, s[36:37]
.LBB95_213:                             ;   in Loop: Header=BB95_36 Depth=1
	s_and_b64 vcc, exec, s[26:27]
	s_cbranch_vccz .LBB95_227
; %bb.214:                              ;   in Loop: Header=BB95_36 Depth=1
	s_mov_b32 s90, s75
	s_cmp_lg_u64 s[90:91], 0
	s_cbranch_scc0 .LBB95_255
; %bb.215:                              ;   in Loop: Header=BB95_36 Depth=1
	v_cvt_f32_u32_e32 v4, s33
	s_sub_u32 s24, 0, s33
	s_subb_u32 s25, 0, 0
	v_mac_f32_e32 v4, 0, v49
	v_rcp_f32_e32 v4, v4
	v_mul_f32_e32 v4, 0x5f7ffffc, v4
	v_mul_f32_e32 v5, 0x2f800000, v4
	v_trunc_f32_e32 v5, v5
	v_mac_f32_e32 v4, 0xcf800000, v5
	v_cvt_u32_f32_e32 v5, v5
	v_cvt_u32_f32_e32 v4, v4
	v_readfirstlane_b32 s26, v5
	v_readfirstlane_b32 s8, v4
	s_mul_i32 s9, s24, s26
	s_mul_hi_u32 s28, s24, s8
	s_mul_i32 s27, s25, s8
	s_add_i32 s9, s28, s9
	s_mul_i32 s29, s24, s8
	s_add_i32 s9, s9, s27
	s_mul_hi_u32 s28, s8, s29
	s_mul_i32 s36, s8, s9
	s_mul_hi_u32 s27, s8, s9
	s_add_u32 s28, s28, s36
	s_addc_u32 s27, 0, s27
	s_mul_hi_u32 s37, s26, s29
	s_mul_i32 s29, s26, s29
	s_add_u32 s28, s28, s29
	s_mul_hi_u32 s36, s26, s9
	s_addc_u32 s27, s27, s37
	s_addc_u32 s28, s36, 0
	s_mul_i32 s9, s26, s9
	s_add_u32 s9, s27, s9
	s_addc_u32 s27, 0, s28
	s_add_u32 s28, s8, s9
	s_cselect_b64 s[8:9], -1, 0
	s_cmp_lg_u64 s[8:9], 0
	s_addc_u32 s26, s26, s27
	s_mul_i32 s8, s24, s26
	s_mul_hi_u32 s9, s24, s28
	s_add_i32 s8, s9, s8
	s_mul_i32 s25, s25, s28
	s_add_i32 s8, s8, s25
	s_mul_i32 s24, s24, s28
	s_mul_hi_u32 s25, s26, s24
	s_mul_i32 s27, s26, s24
	s_mul_i32 s36, s28, s8
	s_mul_hi_u32 s24, s28, s24
	s_mul_hi_u32 s29, s28, s8
	s_add_u32 s24, s24, s36
	s_addc_u32 s29, 0, s29
	s_add_u32 s24, s24, s27
	s_mul_hi_u32 s9, s26, s8
	s_addc_u32 s24, s29, s25
	s_addc_u32 s9, s9, 0
	s_mul_i32 s8, s26, s8
	s_add_u32 s8, s24, s8
	s_addc_u32 s24, 0, s9
	s_add_u32 s25, s28, s8
	s_cselect_b64 s[8:9], -1, 0
	s_cmp_lg_u64 s[8:9], 0
	s_addc_u32 s8, s26, s24
	s_mul_i32 s24, s66, s8
	s_mul_hi_u32 s26, s66, s25
	s_mul_hi_u32 s9, s66, s8
	s_add_u32 s24, s26, s24
	s_addc_u32 s9, 0, s9
	s_mul_hi_u32 s27, s91, s25
	s_mul_i32 s25, s91, s25
	s_add_u32 s24, s24, s25
	s_mul_hi_u32 s26, s91, s8
	s_addc_u32 s9, s9, s27
	s_addc_u32 s24, s26, 0
	s_mul_i32 s8, s91, s8
	s_add_u32 s8, s9, s8
	s_addc_u32 s9, 0, s24
	s_mul_i32 s9, s33, s9
	s_mul_hi_u32 s24, s33, s8
	s_add_i32 s24, s24, s9
	s_mul_i32 s8, s33, s8
	s_sub_u32 s25, s66, s8
	s_cselect_b64 s[8:9], -1, 0
	s_cmp_lg_u64 s[8:9], 0
	s_subb_u32 s24, s91, s24
	s_sub_u32 s26, s25, s33
	s_cselect_b64 s[8:9], -1, 0
	s_cmp_lg_u64 s[8:9], 0
	s_subb_u32 s27, s24, 0
	;; [unrolled: 4-line block ×3, first 2 shown]
	s_cmp_ge_u32 s26, s33
	s_cselect_b32 s9, -1, 0
	s_cmp_eq_u32 s27, 0
	s_cselect_b32 s9, s9, -1
	s_cmp_lg_u32 s9, 0
	s_cselect_b32 s8, s8, s27
	s_cselect_b32 s26, s28, s26
	s_cmp_ge_u32 s25, s33
	s_cselect_b32 s9, -1, 0
	s_cmp_eq_u32 s24, 0
	s_cselect_b32 s9, s9, -1
	s_cmp_lg_u32 s9, 0
	s_cselect_b32 s9, s8, s24
	s_cselect_b32 s8, s26, s25
	s_cbranch_execnz .LBB95_217
.LBB95_216:                             ;   in Loop: Header=BB95_36 Depth=1
	v_cvt_f32_u32_e32 v4, s33
	s_sub_i32 s8, 0, s33
	v_rcp_iflag_f32_e32 v4, v4
	v_mul_f32_e32 v4, 0x4f7ffffe, v4
	v_cvt_u32_f32_e32 v4, v4
	v_readfirstlane_b32 s9, v4
	s_mul_i32 s8, s8, s9
	s_mul_hi_u32 s8, s9, s8
	s_add_i32 s9, s9, s8
	s_mul_hi_u32 s8, s66, s9
	s_mul_i32 s8, s8, s33
	s_sub_i32 s8, s66, s8
	s_sub_i32 s9, s8, s33
	s_cmp_ge_u32 s8, s33
	s_cselect_b32 s8, s9, s8
	s_sub_i32 s9, s8, s33
	s_cmp_ge_u32 s8, s33
	s_cselect_b32 s74, s9, s8
	s_mov_b64 s[8:9], s[74:75]
.LBB95_217:                             ;   in Loop: Header=BB95_36 Depth=1
	s_sub_u32 s24, s66, s8
	s_subb_u32 s25, s91, s9
	v_cmp_gt_u64_e32 vcc, s[24:25], v[0:1]
                                        ; implicit-def: $vgpr27
	s_and_saveexec_b64 s[8:9], vcc
	s_cbranch_execz .LBB95_226
; %bb.218:                              ;   in Loop: Header=BB95_36 Depth=1
	v_mov_b32_e32 v4, v11
	v_mov_b32_e32 v7, v1
	s_mov_b64 s[26:27], 0
	v_mov_b32_e32 v5, v12
	v_mov_b32_e32 v6, v0
                                        ; implicit-def: $sgpr28_sgpr29
	s_branch .LBB95_221
.LBB95_219:                             ;   in Loop: Header=BB95_221 Depth=2
	s_or_b64 exec, exec, s[36:37]
	s_waitcnt lgkmcnt(0)
	s_barrier
	ds_read_b64 v[26:27], v10 offset:3072
	s_mov_b64 s[36:37], -1
	s_mov_b64 s[38:39], -1
	s_waitcnt lgkmcnt(0)
	s_barrier
	v_cmp_eq_u32_e32 vcc, 0, v26
	s_cbranch_vccnz .LBB95_224
.LBB95_220:                             ;   in Loop: Header=BB95_221 Depth=2
	s_and_b64 s[36:37], exec, s[36:37]
	s_or_b64 s[26:27], s[36:37], s[26:27]
	s_andn2_b64 s[28:29], s[28:29], exec
	s_and_b64 s[36:37], s[38:39], exec
	s_or_b64 s[28:29], s[28:29], s[36:37]
	s_andn2_b64 exec, exec, s[26:27]
	s_cbranch_execz .LBB95_225
.LBB95_221:                             ;   Parent Loop BB95_36 Depth=1
                                        ; =>  This Inner Loop Header: Depth=2
	v_cmp_gt_u64_e32 vcc, s[52:53], v[6:7]
	s_and_saveexec_b64 s[36:37], vcc
	s_cbranch_execz .LBB95_219
; %bb.222:                              ;   in Loop: Header=BB95_221 Depth=2
	global_load_dword v26, v[4:5], off
	s_waitcnt vmcnt(0)
	v_xor_b32_e32 v8, 0x80000000, v26
	v_and_b32_e32 v8, v8, v51
	v_cmp_eq_u32_e32 vcc, v8, v48
	s_and_b64 exec, exec, vcc
	s_cbranch_execz .LBB95_219
; %bb.223:                              ;   in Loop: Header=BB95_221 Depth=2
	ds_write_b64 v10, v[25:26] offset:3072
	s_branch .LBB95_219
.LBB95_224:                             ;   in Loop: Header=BB95_221 Depth=2
	v_add_co_u32_e32 v6, vcc, s33, v6
	v_addc_co_u32_e32 v7, vcc, 0, v7, vcc
	v_mov_b32_e32 v8, s51
	v_add_co_u32_e32 v4, vcc, s50, v4
	v_addc_co_u32_e32 v5, vcc, v5, v8, vcc
	v_cmp_le_u64_e32 vcc, s[24:25], v[6:7]
	s_mov_b64 s[38:39], 0
	s_orn2_b64 s[36:37], vcc, exec
	s_branch .LBB95_220
.LBB95_225:                             ;   in Loop: Header=BB95_36 Depth=1
	s_or_b64 exec, exec, s[26:27]
	s_andn2_b64 s[0:1], s[0:1], exec
	s_and_b64 s[24:25], s[28:29], exec
	s_or_b64 s[0:1], s[0:1], s[24:25]
.LBB95_226:                             ;   in Loop: Header=BB95_36 Depth=1
	s_or_b64 exec, exec, s[8:9]
	s_mov_b64 s[24:25], 0
	s_mov_b64 s[28:29], -1
.LBB95_227:                             ;   in Loop: Header=BB95_36 Depth=1
	s_orn2_b64 s[0:1], s[0:1], exec
.LBB95_228:                             ;   in Loop: Header=BB95_36 Depth=1
	s_or_b64 exec, exec, s[30:31]
	s_mov_b64 s[8:9], 0
	s_and_saveexec_b64 s[30:31], s[0:1]
	s_cbranch_execz .LBB95_286
; %bb.229:                              ;   in Loop: Header=BB95_36 Depth=1
	v_mov_b32_e32 v4, 1
	s_xor_b64 s[26:27], s[34:35], -1
	v_mov_b32_e32 v30, 1
	v_mov_b32_e32 v5, 0
	s_and_saveexec_b64 s[0:1], s[26:27]
	s_cbranch_execz .LBB95_238
; %bb.230:                              ;   in Loop: Header=BB95_36 Depth=1
	v_cmp_ge_u64_e32 vcc, s[18:19], v[2:3]
	s_and_saveexec_b64 s[8:9], vcc
	s_xor_b64 s[8:9], exec, s[8:9]
	s_cbranch_execz .LBB95_235
; %bb.231:                              ;   in Loop: Header=BB95_36 Depth=1
	v_and_b32_e32 v4, s46, v48
	v_lshl_or_b32 v48, 2, s5, v4
	ds_read_b64 v[4:5], v10 offset:5120
	v_or_b32_e32 v51, s78, v51
	s_waitcnt lgkmcnt(0)
	v_cmp_ne_u64_e32 vcc, 0, v[4:5]
	s_cbranch_vccnz .LBB95_235
; %bb.232:                              ;   in Loop: Header=BB95_36 Depth=1
	s_mov_b64 s[26:27], exec
	v_readlane_b32 s34, v56, 8
	v_readlane_b32 s35, v56, 9
	s_and_b64 s[34:35], s[26:27], s[34:35]
	s_mov_b64 exec, s[34:35]
; %bb.233:                              ;   in Loop: Header=BB95_36 Depth=1
	v_mov_b32_e32 v4, s18
	v_mov_b32_e32 v5, s19
	ds_write_b64 v10, v[4:5] offset:5128
; %bb.234:                              ;   in Loop: Header=BB95_36 Depth=1
	s_or_b64 exec, exec, s[26:27]
	s_waitcnt lgkmcnt(0)
	s_barrier
.LBB95_235:                             ;   in Loop: Header=BB95_36 Depth=1
	s_or_saveexec_b64 s[8:9], s[8:9]
	s_mov_b64 s[26:27], 0
	v_mov_b32_e32 v30, 8
	s_xor_b64 exec, exec, s[8:9]
; %bb.236:                              ;   in Loop: Header=BB95_36 Depth=1
	v_subrev_co_u32_e32 v2, vcc, s18, v2
	v_mov_b32_e32 v4, s19
	v_subb_co_u32_e32 v3, vcc, v3, v4, vcc
	v_mov_b32_e32 v30, 0
	s_mov_b64 s[26:27], exec
; %bb.237:                              ;   in Loop: Header=BB95_36 Depth=1
	s_or_b64 exec, exec, s[8:9]
	v_mov_b32_e32 v5, v3
	s_and_b64 s[8:9], s[26:27], exec
	v_mov_b32_e32 v4, v2
.LBB95_238:                             ;   in Loop: Header=BB95_36 Depth=1
	s_or_b64 exec, exec, s[0:1]
	s_mov_b64 s[0:1], -1
                                        ; implicit-def: $sgpr40_sgpr41
                                        ; implicit-def: $sgpr38_sgpr39
	s_and_saveexec_b64 s[18:19], s[8:9]
	s_cbranch_execz .LBB95_285
; %bb.239:                              ;   in Loop: Header=BB95_36 Depth=1
	s_cmp_eq_u64 s[10:11], 1
	v_cmp_eq_u64_e32 vcc, 1, v[4:5]
	s_cselect_b64 s[0:1], -1, 0
	s_and_b64 s[34:35], s[0:1], vcc
	s_mov_b64 s[8:9], -1
                                        ; implicit-def: $sgpr40_sgpr41
                                        ; implicit-def: $sgpr38_sgpr39
	s_and_saveexec_b64 s[36:37], s[34:35]
	s_cbranch_execz .LBB95_273
; %bb.240:                              ;   in Loop: Header=BB95_36 Depth=1
	ds_read_b64 v[2:3], v10 offset:5120
	s_waitcnt lgkmcnt(0)
	s_barrier
	v_readfirstlane_b32 s8, v2
	v_readfirstlane_b32 s9, v3
	s_and_saveexec_b64 s[0:1], s[86:87]
; %bb.241:                              ;   in Loop: Header=BB95_36 Depth=1
	ds_write_b32 v41, v10
; %bb.242:                              ;   in Loop: Header=BB95_36 Depth=1
	s_or_b64 exec, exec, s[0:1]
	v_or_b32_e32 v48, s78, v48
	v_or_b32_e32 v51, s78, v51
	s_mov_b64 s[38:39], -1
	s_mov_b64 s[40:41], 0
	s_cmp_eq_u64 s[8:9], 0
	s_mov_b64 s[0:1], 0
	s_mov_b64 s[26:27], -1
	s_waitcnt lgkmcnt(0)
	s_barrier
                                        ; implicit-def: $vgpr27
	s_cbranch_scc1 .LBB95_258
; %bb.243:                              ;   in Loop: Header=BB95_36 Depth=1
	v_readlane_b32 s0, v56, 18
	s_mov_b64 s[58:59], s[44:45]
	s_add_u32 s44, s8, s0
	v_readlane_b32 s0, v56, 19
	s_addc_u32 s1, s9, s0
	s_mov_b32 s0, s75
	s_mov_b64 s[54:55], s[48:49]
	s_cmp_lg_u64 s[0:1], 0
	s_cbranch_scc0 .LBB95_292
; %bb.244:                              ;   in Loop: Header=BB95_36 Depth=1
	v_cvt_f32_u32_e32 v2, s33
	s_sub_u32 s0, 0, s33
	s_subb_u32 s42, 0, 0
	v_mac_f32_e32 v2, 0, v49
	v_rcp_f32_e32 v2, v2
	v_mul_f32_e32 v2, 0x5f7ffffc, v2
	v_mul_f32_e32 v3, 0x2f800000, v2
	v_trunc_f32_e32 v3, v3
	v_mac_f32_e32 v2, 0xcf800000, v3
	v_cvt_u32_f32_e32 v3, v3
	v_cvt_u32_f32_e32 v2, v2
	v_readfirstlane_b32 s43, v3
	v_readfirstlane_b32 s26, v2
	s_mul_i32 s27, s0, s43
	s_mul_hi_u32 s46, s0, s26
	s_mul_i32 s45, s42, s26
	s_add_i32 s27, s46, s27
	s_mul_i32 s47, s0, s26
	s_add_i32 s27, s27, s45
	s_mul_hi_u32 s46, s26, s47
	s_mul_i32 s48, s26, s27
	s_mul_hi_u32 s45, s26, s27
	s_add_u32 s46, s46, s48
	s_addc_u32 s45, 0, s45
	s_mul_hi_u32 s49, s43, s47
	s_mul_i32 s47, s43, s47
	s_add_u32 s46, s46, s47
	s_mul_hi_u32 s48, s43, s27
	s_addc_u32 s45, s45, s49
	s_addc_u32 s46, s48, 0
	s_mul_i32 s27, s43, s27
	s_add_u32 s27, s45, s27
	s_addc_u32 s45, 0, s46
	s_add_u32 s46, s26, s27
	s_cselect_b64 s[26:27], -1, 0
	s_cmp_lg_u64 s[26:27], 0
	s_addc_u32 s43, s43, s45
	s_mul_i32 s26, s0, s43
	s_mul_hi_u32 s27, s0, s46
	s_add_i32 s26, s27, s26
	s_mul_i32 s42, s42, s46
	s_add_i32 s26, s26, s42
	s_mul_i32 s0, s0, s46
	s_mul_hi_u32 s42, s43, s0
	s_mul_i32 s45, s43, s0
	s_mul_i32 s48, s46, s26
	s_mul_hi_u32 s0, s46, s0
	s_mul_hi_u32 s47, s46, s26
	s_add_u32 s0, s0, s48
	s_addc_u32 s47, 0, s47
	s_add_u32 s0, s0, s45
	s_mul_hi_u32 s27, s43, s26
	s_addc_u32 s0, s47, s42
	s_addc_u32 s27, s27, 0
	s_mul_i32 s26, s43, s26
	s_add_u32 s0, s0, s26
	s_addc_u32 s42, 0, s27
	s_add_u32 s0, s46, s0
	s_cselect_b64 s[26:27], -1, 0
	s_cmp_lg_u64 s[26:27], 0
	s_addc_u32 s26, s43, s42
	s_mul_i32 s42, s44, s26
	s_mul_hi_u32 s43, s44, s0
	s_mul_hi_u32 s27, s44, s26
	s_add_u32 s42, s43, s42
	s_addc_u32 s27, 0, s27
	s_mul_hi_u32 s45, s1, s0
	s_mul_i32 s0, s1, s0
	s_add_u32 s0, s42, s0
	s_mul_hi_u32 s43, s1, s26
	s_addc_u32 s0, s27, s45
	s_addc_u32 s27, s43, 0
	s_mul_i32 s26, s1, s26
	s_add_u32 s0, s0, s26
	s_addc_u32 s26, 0, s27
	s_mul_i32 s26, s33, s26
	s_mul_hi_u32 s27, s33, s0
	s_add_i32 s42, s27, s26
	s_mul_i32 s0, s33, s0
	s_sub_u32 s0, s44, s0
	s_cselect_b64 s[26:27], -1, 0
	s_cmp_lg_u64 s[26:27], 0
	s_subb_u32 s42, s1, s42
	s_sub_u32 s43, s0, s33
	s_cselect_b64 s[26:27], -1, 0
	s_cmp_lg_u64 s[26:27], 0
	s_subb_u32 s45, s42, 0
	;; [unrolled: 4-line block ×3, first 2 shown]
	s_cmp_ge_u32 s43, s33
	s_cselect_b32 s27, -1, 0
	s_cmp_eq_u32 s45, 0
	s_cselect_b32 s27, s27, -1
	s_cmp_lg_u32 s27, 0
	s_cselect_b32 s26, s26, s45
	s_cselect_b32 s43, s46, s43
	s_cmp_ge_u32 s0, s33
	s_cselect_b32 s27, -1, 0
	s_cmp_eq_u32 s42, 0
	s_cselect_b32 s27, s27, -1
	s_cmp_lg_u32 s27, 0
	s_cselect_b32 s27, s26, s42
	s_cselect_b32 s26, s43, s0
	s_cbranch_execnz .LBB95_246
.LBB95_245:                             ;   in Loop: Header=BB95_36 Depth=1
	v_cvt_f32_u32_e32 v2, s33
	s_sub_i32 s0, 0, s33
	v_rcp_iflag_f32_e32 v2, v2
	v_mul_f32_e32 v2, 0x4f7ffffe, v2
	v_cvt_u32_f32_e32 v2, v2
	v_readfirstlane_b32 s26, v2
	s_mul_i32 s0, s0, s26
	s_mul_hi_u32 s0, s26, s0
	s_add_i32 s26, s26, s0
	s_mul_hi_u32 s0, s44, s26
	s_mul_i32 s0, s0, s33
	s_sub_i32 s0, s44, s0
	s_sub_i32 s26, s0, s33
	s_cmp_ge_u32 s0, s33
	s_cselect_b32 s0, s26, s0
	s_sub_i32 s26, s0, s33
	s_cmp_ge_u32 s0, s33
	s_cselect_b32 s74, s26, s0
	s_mov_b64 s[26:27], s[74:75]
.LBB95_246:                             ;   in Loop: Header=BB95_36 Depth=1
	s_sub_u32 s44, s44, s26
	s_subb_u32 s45, s1, s27
	v_cmp_gt_u64_e32 vcc, s[44:45], v[0:1]
	s_mov_b64 s[26:27], 0
	s_mov_b64 s[0:1], 0
                                        ; implicit-def: $vgpr27
	s_and_saveexec_b64 s[42:43], vcc
	s_cbranch_execz .LBB95_257
; %bb.247:                              ;   in Loop: Header=BB95_36 Depth=1
	v_mov_b32_e32 v3, v1
	s_mov_b64 s[60:61], s[50:51]
	v_mov_b32_e32 v6, v13
	v_mov_b32_e32 v2, v0
                                        ; implicit-def: $sgpr46_sgpr47
	s_branch .LBB95_250
.LBB95_248:                             ;   in Loop: Header=BB95_250 Depth=2
	s_or_b64 exec, exec, s[48:49]
	s_waitcnt lgkmcnt(0)
	s_barrier
	ds_read_b64 v[26:27], v10 offset:3072
	s_mov_b64 s[48:49], -1
	s_mov_b64 s[50:51], -1
	s_waitcnt lgkmcnt(0)
	s_barrier
	v_cmp_ne_u32_e32 vcc, 0, v26
	s_cbranch_vccz .LBB95_253
.LBB95_249:                             ;   in Loop: Header=BB95_250 Depth=2
	s_and_b64 s[48:49], exec, s[48:49]
	s_or_b64 s[0:1], s[48:49], s[0:1]
	s_andn2_b64 s[46:47], s[46:47], exec
	s_and_b64 s[48:49], s[50:51], exec
	s_or_b64 s[46:47], s[46:47], s[48:49]
	s_andn2_b64 exec, exec, s[0:1]
	s_cbranch_execz .LBB95_256
.LBB95_250:                             ;   Parent Loop BB95_36 Depth=1
                                        ; =>  This Inner Loop Header: Depth=2
	v_cmp_gt_u64_e32 vcc, s[8:9], v[2:3]
	s_and_saveexec_b64 s[48:49], vcc
	s_cbranch_execz .LBB95_248
; %bb.251:                              ;   in Loop: Header=BB95_250 Depth=2
	ds_read_b32 v26, v6
	s_waitcnt lgkmcnt(0)
	v_xor_b32_e32 v7, 0x80000000, v26
	v_and_b32_e32 v7, v7, v51
	v_cmp_eq_u32_e32 vcc, v7, v48
	s_and_b64 exec, exec, vcc
	s_cbranch_execz .LBB95_248
; %bb.252:                              ;   in Loop: Header=BB95_250 Depth=2
	ds_write_b64 v10, v[25:26] offset:3072
	s_branch .LBB95_248
.LBB95_253:                             ;   in Loop: Header=BB95_250 Depth=2
	v_add_co_u32_e32 v2, vcc, s33, v2
	v_addc_co_u32_e32 v3, vcc, 0, v3, vcc
	v_cmp_le_u64_e32 vcc, s[44:45], v[2:3]
	v_add_u32_e32 v6, s62, v6
	s_mov_b64 s[50:51], 0
	s_orn2_b64 s[48:49], vcc, exec
	s_branch .LBB95_249
.LBB95_254:                             ;   in Loop: Header=BB95_36 Depth=1
                                        ; implicit-def: $sgpr26_sgpr27
	s_branch .LBB95_200
.LBB95_255:                             ;   in Loop: Header=BB95_36 Depth=1
                                        ; implicit-def: $sgpr8_sgpr9
	s_branch .LBB95_216
.LBB95_256:                             ;   in Loop: Header=BB95_36 Depth=1
	s_or_b64 exec, exec, s[0:1]
	s_and_b64 s[0:1], s[46:47], exec
	s_mov_b64 s[50:51], s[60:61]
.LBB95_257:                             ;   in Loop: Header=BB95_36 Depth=1
	s_or_b64 exec, exec, s[42:43]
	s_mov_b64 s[48:49], s[54:55]
	s_mov_b64 s[44:45], s[58:59]
.LBB95_258:                             ;   in Loop: Header=BB95_36 Depth=1
	s_and_b64 vcc, exec, s[26:27]
	s_cbranch_vccz .LBB95_272
; %bb.259:                              ;   in Loop: Header=BB95_36 Depth=1
	s_mov_b32 s90, s75
	s_cmp_lg_u64 s[90:91], 0
	s_cbranch_scc0 .LBB95_293
; %bb.260:                              ;   in Loop: Header=BB95_36 Depth=1
	v_cvt_f32_u32_e32 v2, s33
	s_sub_u32 s26, 0, s33
	s_subb_u32 s27, 0, 0
	v_mac_f32_e32 v2, 0, v49
	v_rcp_f32_e32 v2, v2
	v_mul_f32_e32 v2, 0x5f7ffffc, v2
	v_mul_f32_e32 v3, 0x2f800000, v2
	v_trunc_f32_e32 v3, v3
	v_mac_f32_e32 v2, 0xcf800000, v3
	v_cvt_u32_f32_e32 v3, v3
	v_cvt_u32_f32_e32 v2, v2
	v_readfirstlane_b32 s38, v3
	v_readfirstlane_b32 s8, v2
	s_mul_i32 s9, s26, s38
	s_mul_hi_u32 s40, s26, s8
	s_mul_i32 s39, s27, s8
	s_add_i32 s9, s40, s9
	s_mul_i32 s41, s26, s8
	s_add_i32 s9, s9, s39
	s_mul_hi_u32 s40, s8, s41
	s_mul_i32 s42, s8, s9
	s_mul_hi_u32 s39, s8, s9
	s_add_u32 s40, s40, s42
	s_addc_u32 s39, 0, s39
	s_mul_hi_u32 s43, s38, s41
	s_mul_i32 s41, s38, s41
	s_add_u32 s40, s40, s41
	s_mul_hi_u32 s42, s38, s9
	s_addc_u32 s39, s39, s43
	s_addc_u32 s40, s42, 0
	s_mul_i32 s9, s38, s9
	s_add_u32 s9, s39, s9
	s_addc_u32 s39, 0, s40
	s_add_u32 s40, s8, s9
	s_cselect_b64 s[8:9], -1, 0
	s_cmp_lg_u64 s[8:9], 0
	s_addc_u32 s38, s38, s39
	s_mul_i32 s8, s26, s38
	s_mul_hi_u32 s9, s26, s40
	s_add_i32 s8, s9, s8
	s_mul_i32 s27, s27, s40
	s_add_i32 s8, s8, s27
	s_mul_i32 s26, s26, s40
	s_mul_hi_u32 s27, s38, s26
	s_mul_i32 s39, s38, s26
	s_mul_i32 s42, s40, s8
	s_mul_hi_u32 s26, s40, s26
	s_mul_hi_u32 s41, s40, s8
	s_add_u32 s26, s26, s42
	s_addc_u32 s41, 0, s41
	s_add_u32 s26, s26, s39
	s_mul_hi_u32 s9, s38, s8
	s_addc_u32 s26, s41, s27
	s_addc_u32 s9, s9, 0
	s_mul_i32 s8, s38, s8
	s_add_u32 s8, s26, s8
	s_addc_u32 s26, 0, s9
	s_add_u32 s27, s40, s8
	s_cselect_b64 s[8:9], -1, 0
	s_cmp_lg_u64 s[8:9], 0
	s_addc_u32 s8, s38, s26
	s_mul_i32 s26, s66, s8
	s_mul_hi_u32 s38, s66, s27
	s_mul_hi_u32 s9, s66, s8
	s_add_u32 s26, s38, s26
	s_addc_u32 s9, 0, s9
	s_mul_hi_u32 s39, s91, s27
	s_mul_i32 s27, s91, s27
	s_add_u32 s26, s26, s27
	s_mul_hi_u32 s38, s91, s8
	s_addc_u32 s9, s9, s39
	s_addc_u32 s26, s38, 0
	s_mul_i32 s8, s91, s8
	s_add_u32 s8, s9, s8
	s_addc_u32 s9, 0, s26
	s_mul_i32 s9, s33, s9
	s_mul_hi_u32 s26, s33, s8
	s_add_i32 s26, s26, s9
	s_mul_i32 s8, s33, s8
	s_sub_u32 s27, s66, s8
	s_cselect_b64 s[8:9], -1, 0
	s_cmp_lg_u64 s[8:9], 0
	s_subb_u32 s26, s91, s26
	s_sub_u32 s38, s27, s33
	s_cselect_b64 s[8:9], -1, 0
	s_cmp_lg_u64 s[8:9], 0
	s_subb_u32 s39, s26, 0
	;; [unrolled: 4-line block ×3, first 2 shown]
	s_cmp_ge_u32 s38, s33
	s_cselect_b32 s9, -1, 0
	s_cmp_eq_u32 s39, 0
	s_cselect_b32 s9, s9, -1
	s_cmp_lg_u32 s9, 0
	s_cselect_b32 s8, s8, s39
	s_cselect_b32 s38, s40, s38
	s_cmp_ge_u32 s27, s33
	s_cselect_b32 s9, -1, 0
	s_cmp_eq_u32 s26, 0
	s_cselect_b32 s9, s9, -1
	s_cmp_lg_u32 s9, 0
	s_cselect_b32 s9, s8, s26
	s_cselect_b32 s8, s38, s27
	s_cbranch_execnz .LBB95_262
.LBB95_261:                             ;   in Loop: Header=BB95_36 Depth=1
	v_cvt_f32_u32_e32 v2, s33
	s_sub_i32 s8, 0, s33
	v_rcp_iflag_f32_e32 v2, v2
	v_mul_f32_e32 v2, 0x4f7ffffe, v2
	v_cvt_u32_f32_e32 v2, v2
	v_readfirstlane_b32 s9, v2
	s_mul_i32 s8, s8, s9
	s_mul_hi_u32 s8, s9, s8
	s_add_i32 s9, s9, s8
	s_mul_hi_u32 s8, s66, s9
	s_mul_i32 s8, s8, s33
	s_sub_i32 s8, s66, s8
	s_sub_i32 s9, s8, s33
	s_cmp_ge_u32 s8, s33
	s_cselect_b32 s8, s9, s8
	s_sub_i32 s9, s8, s33
	s_cmp_ge_u32 s8, s33
	s_cselect_b32 s74, s9, s8
	s_mov_b64 s[8:9], s[74:75]
.LBB95_262:                             ;   in Loop: Header=BB95_36 Depth=1
	s_sub_u32 s26, s66, s8
	s_subb_u32 s27, s91, s9
	v_cmp_gt_u64_e32 vcc, s[26:27], v[0:1]
                                        ; implicit-def: $vgpr27
	s_and_saveexec_b64 s[8:9], vcc
	s_cbranch_execz .LBB95_271
; %bb.263:                              ;   in Loop: Header=BB95_36 Depth=1
	v_mov_b32_e32 v2, v11
	v_mov_b32_e32 v7, v1
	s_mov_b64 s[46:47], s[44:45]
	s_mov_b64 s[38:39], 0
	v_mov_b32_e32 v3, v12
	v_mov_b32_e32 v6, v0
                                        ; implicit-def: $sgpr40_sgpr41
	s_branch .LBB95_266
.LBB95_264:                             ;   in Loop: Header=BB95_266 Depth=2
	s_or_b64 exec, exec, s[42:43]
	s_waitcnt lgkmcnt(0)
	s_barrier
	ds_read_b64 v[26:27], v10 offset:3072
	s_mov_b64 s[42:43], -1
	s_mov_b64 s[44:45], -1
	s_waitcnt lgkmcnt(0)
	s_barrier
	v_cmp_eq_u32_e32 vcc, 0, v26
	s_cbranch_vccnz .LBB95_269
.LBB95_265:                             ;   in Loop: Header=BB95_266 Depth=2
	s_and_b64 s[42:43], exec, s[42:43]
	s_or_b64 s[38:39], s[42:43], s[38:39]
	s_andn2_b64 s[40:41], s[40:41], exec
	s_and_b64 s[42:43], s[44:45], exec
	s_or_b64 s[40:41], s[40:41], s[42:43]
	s_andn2_b64 exec, exec, s[38:39]
	s_cbranch_execz .LBB95_270
.LBB95_266:                             ;   Parent Loop BB95_36 Depth=1
                                        ; =>  This Inner Loop Header: Depth=2
	v_cmp_gt_u64_e32 vcc, s[52:53], v[6:7]
	s_and_saveexec_b64 s[42:43], vcc
	s_cbranch_execz .LBB95_264
; %bb.267:                              ;   in Loop: Header=BB95_266 Depth=2
	global_load_dword v26, v[2:3], off
	s_waitcnt vmcnt(0)
	v_xor_b32_e32 v8, 0x80000000, v26
	v_and_b32_e32 v8, v8, v51
	v_cmp_eq_u32_e32 vcc, v8, v48
	s_and_b64 exec, exec, vcc
	s_cbranch_execz .LBB95_264
; %bb.268:                              ;   in Loop: Header=BB95_266 Depth=2
	ds_write_b64 v10, v[25:26] offset:3072
	s_branch .LBB95_264
.LBB95_269:                             ;   in Loop: Header=BB95_266 Depth=2
	v_add_co_u32_e32 v6, vcc, s33, v6
	v_addc_co_u32_e32 v7, vcc, 0, v7, vcc
	v_mov_b32_e32 v8, s51
	v_add_co_u32_e32 v2, vcc, s50, v2
	v_addc_co_u32_e32 v3, vcc, v3, v8, vcc
	v_cmp_le_u64_e32 vcc, s[26:27], v[6:7]
	s_mov_b64 s[44:45], 0
	s_orn2_b64 s[42:43], vcc, exec
	s_branch .LBB95_265
.LBB95_270:                             ;   in Loop: Header=BB95_36 Depth=1
	s_or_b64 exec, exec, s[38:39]
	s_andn2_b64 s[0:1], s[0:1], exec
	s_and_b64 s[26:27], s[40:41], exec
	s_or_b64 s[0:1], s[0:1], s[26:27]
	s_mov_b64 s[44:45], s[46:47]
.LBB95_271:                             ;   in Loop: Header=BB95_36 Depth=1
	s_or_b64 exec, exec, s[8:9]
	s_mov_b64 s[38:39], 0
	s_mov_b64 s[40:41], -1
.LBB95_272:                             ;   in Loop: Header=BB95_36 Depth=1
	s_orn2_b64 s[8:9], s[0:1], exec
.LBB95_273:                             ;   in Loop: Header=BB95_36 Depth=1
	s_or_b64 exec, exec, s[36:37]
	s_mov_b64 s[26:27], 0
	s_and_saveexec_b64 s[0:1], s[8:9]
	s_cbranch_execz .LBB95_284
; %bb.274:                              ;   in Loop: Header=BB95_36 Depth=1
	v_mov_b32_e32 v2, 1
	s_xor_b64 s[26:27], s[34:35], -1
	v_mov_b32_e32 v3, 0
	v_mov_b32_e32 v30, 1
	s_and_saveexec_b64 s[8:9], s[26:27]
	s_cbranch_execz .LBB95_283
; %bb.275:                              ;   in Loop: Header=BB95_36 Depth=1
	v_cmp_ge_u64_e32 vcc, s[10:11], v[4:5]
	s_and_saveexec_b64 s[26:27], vcc
	s_xor_b64 s[26:27], exec, s[26:27]
	s_cbranch_execz .LBB95_280
; %bb.276:                              ;   in Loop: Header=BB95_36 Depth=1
	ds_read_b64 v[2:3], v10 offset:5120
	v_or_b32_e32 v48, s78, v48
	v_or_b32_e32 v51, s78, v51
	s_waitcnt lgkmcnt(0)
	v_cmp_ne_u64_e32 vcc, 0, v[2:3]
	s_cbranch_vccnz .LBB95_280
; %bb.277:                              ;   in Loop: Header=BB95_36 Depth=1
	s_mov_b64 s[34:35], exec
	v_readlane_b32 s36, v56, 8
	v_readlane_b32 s37, v56, 9
	s_and_b64 s[36:37], s[34:35], s[36:37]
	s_mov_b64 exec, s[36:37]
; %bb.278:                              ;   in Loop: Header=BB95_36 Depth=1
	v_mov_b32_e32 v2, s10
	v_mov_b32_e32 v3, s11
	ds_write_b64 v10, v[2:3] offset:5128
; %bb.279:                              ;   in Loop: Header=BB95_36 Depth=1
	s_or_b64 exec, exec, s[34:35]
	s_waitcnt lgkmcnt(0)
	s_barrier
.LBB95_280:                             ;   in Loop: Header=BB95_36 Depth=1
	s_andn2_saveexec_b64 s[26:27], s[26:27]
; %bb.281:                              ;   in Loop: Header=BB95_36 Depth=1
	v_mov_b32_e32 v2, s11
	v_subrev_co_u32_e32 v4, vcc, s10, v4
	v_subb_co_u32_e32 v5, vcc, v5, v2, vcc
; %bb.282:                              ;   in Loop: Header=BB95_36 Depth=1
	s_or_b64 exec, exec, s[26:27]
	v_mov_b32_e32 v2, v4
	v_mov_b32_e32 v30, 8
	;; [unrolled: 1-line block ×3, first 2 shown]
.LBB95_283:                             ;   in Loop: Header=BB95_36 Depth=1
	s_or_b64 exec, exec, s[8:9]
	v_mov_b32_e32 v5, v3
	s_mov_b64 s[26:27], exec
	v_mov_b32_e32 v4, v2
.LBB95_284:                             ;   in Loop: Header=BB95_36 Depth=1
	s_or_b64 exec, exec, s[0:1]
	s_orn2_b64 s[0:1], s[26:27], exec
.LBB95_285:                             ;   in Loop: Header=BB95_36 Depth=1
	s_or_b64 exec, exec, s[18:19]
	s_andn2_b64 s[8:9], s[28:29], exec
	s_and_b64 s[10:11], s[40:41], exec
	s_or_b64 s[28:29], s[8:9], s[10:11]
	s_andn2_b64 s[8:9], s[24:25], exec
	s_and_b64 s[10:11], s[38:39], exec
	v_mov_b32_e32 v2, v4
	s_or_b64 s[24:25], s[8:9], s[10:11]
	s_and_b64 s[8:9], s[0:1], exec
	v_mov_b32_e32 v3, v5
.LBB95_286:                             ;   in Loop: Header=BB95_36 Depth=1
	s_or_b64 exec, exec, s[30:31]
	s_orn2_b64 s[0:1], s[8:9], exec
.LBB95_287:                             ;   in Loop: Header=BB95_36 Depth=1
	s_or_b64 exec, exec, s[22:23]
	s_andn2_b64 s[8:9], s[20:21], exec
	s_and_b64 s[10:11], s[28:29], exec
	s_or_b64 s[20:21], s[8:9], s[10:11]
	s_andn2_b64 s[6:7], s[6:7], exec
	s_and_b64 s[8:9], s[24:25], exec
	v_mov_b32_e32 v7, v3
	s_or_b64 s[6:7], s[6:7], s[8:9]
	s_and_b64 s[8:9], s[0:1], exec
	v_mov_b32_e32 v6, v2
.LBB95_288:                             ;   in Loop: Header=BB95_36 Depth=1
	s_or_b64 exec, exec, s[2:3]
	s_orn2_b64 s[0:1], s[8:9], exec
.LBB95_289:                             ;   in Loop: Header=BB95_36 Depth=1
	s_or_b64 exec, exec, s[16:17]
	s_mov_b64 s[2:3], 0
	s_and_saveexec_b64 s[8:9], s[0:1]
	s_xor_b64 s[0:1], exec, s[8:9]
	s_cbranch_execz .LBB95_34
; %bb.290:                              ;   in Loop: Header=BB95_36 Depth=1
	v_and_b32_e32 v2, 7, v30
	v_cmp_eq_u32_e32 vcc, 0, v2
	s_mov_b64 s[8:9], -1
	s_mov_b64 s[2:3], -1
	s_and_saveexec_b64 s[10:11], vcc
	s_cbranch_execz .LBB95_33
; %bb.291:                              ;   in Loop: Header=BB95_36 Depth=1
	s_add_i32 s14, s5, -2
	s_cmp_eq_u32 s5, 0
	s_cselect_b64 s[8:9], -1, 0
	v_xor_b32_e32 v50, 1, v50
	s_xor_b64 s[2:3], exec, -1
	s_orn2_b64 s[8:9], s[8:9], exec
	s_mov_b32 s5, s14
	s_branch .LBB95_33
.LBB95_292:                             ;   in Loop: Header=BB95_36 Depth=1
                                        ; implicit-def: $sgpr26_sgpr27
	s_branch .LBB95_245
.LBB95_293:                             ;   in Loop: Header=BB95_36 Depth=1
                                        ; implicit-def: $sgpr8_sgpr9
	s_branch .LBB95_261
.LBB95_294:
	v_readlane_b32 s0, v56, 31
	v_readlane_b32 s1, v56, 32
	s_or_b64 exec, exec, s[0:1]
	v_readlane_b32 s0, v56, 39
	v_readlane_b32 s1, v56, 40
	s_xor_b64 s[6:7], s[0:1], -1
	s_xor_b64 s[0:1], s[94:95], -1
	;; [unrolled: 1-line block ×3, first 2 shown]
	s_mov_b64 s[2:3], 0
	s_and_saveexec_b64 s[8:9], s[0:1]
	s_xor_b64 s[0:1], exec, s[8:9]
	s_cbranch_execnz .LBB95_299
; %bb.295:
	s_andn2_saveexec_b64 s[0:1], s[0:1]
	s_cbranch_execnz .LBB95_312
.LBB95_296:
	s_or_b64 exec, exec, s[0:1]
	s_and_saveexec_b64 s[0:1], s[2:3]
.LBB95_297:
	; divergent unreachable
.LBB95_298:
	s_endpgm
.LBB95_299:
	s_and_saveexec_b64 s[2:3], s[6:7]
	s_xor_b64 s[2:3], exec, s[2:3]
	s_cbranch_execz .LBB95_310
; %bb.300:
	s_and_saveexec_b64 s[6:7], s[4:5]
	s_xor_b64 s[4:5], exec, s[6:7]
; %bb.301:
	v_xor_b32_e32 v27, 0x80000000, v48
; %bb.302:
	s_or_b64 exec, exec, s[4:5]
	v_readlane_b32 s6, v56, 2
	v_readlane_b32 s7, v56, 3
	;; [unrolled: 1-line block ×4, first 2 shown]
	s_mul_i32 s4, s8, s7
	s_mul_hi_u32 s5, s8, s6
	s_add_i32 s4, s5, s4
	s_mul_i32 s5, s9, s6
	s_add_i32 s5, s4, s5
	s_mul_i32 s4, s8, s6
	s_lshl_b64 s[4:5], s[4:5], 2
	v_readlane_b32 s6, v56, 10
	v_readlane_b32 s7, v56, 11
	s_add_u32 s6, s6, s4
	s_addc_u32 s7, s7, s5
	v_readlane_b32 s4, v56, 0
	v_readlane_b32 s5, v56, 1
	s_lshl_b64 s[4:5], s[4:5], 2
	s_add_u32 s4, s6, s4
	s_addc_u32 s5, s7, s5
	v_mov_b32_e32 v2, 0
	s_nop 0
	global_store_dword v2, v27, s[4:5]
	s_mov_b64 s[4:5], exec
	v_readlane_b32 s6, v56, 14
	v_readlane_b32 s7, v56, 15
	s_and_b64 s[6:7], s[4:5], s[6:7]
	s_mov_b64 exec, s[6:7]
	s_cbranch_execz .LBB95_309
; %bb.303:
	s_mov_b64 s[6:7], 0
                                        ; implicit-def: $sgpr8_sgpr9
                                        ; implicit-def: $sgpr12_sgpr13
                                        ; implicit-def: $sgpr10_sgpr11
	s_branch .LBB95_305
.LBB95_304:                             ;   in Loop: Header=BB95_305 Depth=1
	s_or_b64 exec, exec, s[14:15]
	s_and_b64 s[14:15], exec, s[12:13]
	s_or_b64 s[6:7], s[14:15], s[6:7]
	s_andn2_b64 s[8:9], s[8:9], exec
	s_and_b64 s[14:15], s[10:11], exec
	s_or_b64 s[8:9], s[8:9], s[14:15]
	s_andn2_b64 exec, exec, s[6:7]
	s_cbranch_execz .LBB95_307
.LBB95_305:                             ; =>This Inner Loop Header: Depth=1
	global_load_dword v4, v[11:12], off
	v_mov_b32_e32 v3, v1
	v_mov_b32_e32 v2, v0
	s_or_b64 s[10:11], s[10:11], exec
	s_or_b64 s[12:13], s[12:13], exec
                                        ; implicit-def: $vgpr0_vgpr1
	s_waitcnt vmcnt(0)
	v_cmp_ne_u32_e32 vcc, v4, v27
	s_and_saveexec_b64 s[14:15], vcc
	s_cbranch_execz .LBB95_304
; %bb.306:                              ;   in Loop: Header=BB95_305 Depth=1
	v_add_co_u32_e32 v0, vcc, s33, v2
	v_addc_co_u32_e32 v1, vcc, 0, v3, vcc
	v_mov_b32_e32 v4, s51
	v_add_co_u32_e32 v11, vcc, s50, v11
	v_addc_co_u32_e32 v12, vcc, v12, v4, vcc
	v_cmp_le_u64_e32 vcc, s[52:53], v[0:1]
	s_andn2_b64 s[12:13], s[12:13], exec
	s_and_b64 s[16:17], vcc, exec
	s_andn2_b64 s[10:11], s[10:11], exec
	s_or_b64 s[12:13], s[12:13], s[16:17]
	s_branch .LBB95_304
.LBB95_307:
	s_or_b64 exec, exec, s[6:7]
	s_and_saveexec_b64 s[6:7], s[8:9]
	s_xor_b64 s[6:7], exec, s[6:7]
	s_cbranch_execz .LBB95_309
; %bb.308:
	v_readlane_b32 s8, v56, 6
	v_readlane_b32 s9, v56, 7
	s_mul_i32 s6, s8, s65
	s_mul_hi_u32 s7, s8, s64
	s_add_i32 s6, s7, s6
	s_mul_i32 s7, s9, s64
	s_add_i32 s7, s6, s7
	s_mul_i32 s6, s8, s64
	s_lshl_b64 s[6:7], s[6:7], 3
	v_readlane_b32 s8, v56, 12
	v_readlane_b32 s9, v56, 13
	s_add_u32 s8, s8, s6
	s_addc_u32 s9, s9, s7
	s_lshl_b64 s[6:7], s[44:45], 3
	s_add_u32 s6, s8, s6
	s_addc_u32 s7, s9, s7
	v_mov_b32_e32 v0, 0
	global_store_dwordx2 v0, v[2:3], s[6:7]
.LBB95_309:
	s_or_b64 exec, exec, s[4:5]
.LBB95_310:
	s_or_saveexec_b64 s[2:3], s[2:3]
	s_mov_b64 s[4:5], 0
	s_xor_b64 exec, exec, s[2:3]
	s_cbranch_execnz .LBB95_313
.LBB95_311:
	s_or_b64 exec, exec, s[2:3]
	s_and_b64 s[2:3], s[4:5], exec
	s_andn2_saveexec_b64 s[0:1], s[0:1]
	s_cbranch_execz .LBB95_296
.LBB95_312:
	s_or_b64 s[2:3], s[2:3], exec
	s_trap 2
	s_or_b64 exec, exec, s[0:1]
	s_and_saveexec_b64 s[0:1], s[2:3]
	s_cbranch_execnz .LBB95_297
	s_branch .LBB95_298
.LBB95_313:
	s_mov_b64 s[4:5], exec
	s_trap 2
	s_branch .LBB95_311
	.section	.rodata,"a",@progbits
	.p2align	6, 0x0
	.amdhsa_kernel _ZN2at6native12_GLOBAL__N_112gatherMedianIimLin1EEEvNS_4cuda6detail10TensorInfoIT_T0_EENS5_IlS7_EENS5_IKS6_S7_EES7_S7_S7_b
		.amdhsa_group_segment_fixed_size 5152
		.amdhsa_private_segment_fixed_size 0
		.amdhsa_kernarg_size 1536
		.amdhsa_user_sgpr_count 6
		.amdhsa_user_sgpr_private_segment_buffer 1
		.amdhsa_user_sgpr_dispatch_ptr 0
		.amdhsa_user_sgpr_queue_ptr 0
		.amdhsa_user_sgpr_kernarg_segment_ptr 1
		.amdhsa_user_sgpr_dispatch_id 0
		.amdhsa_user_sgpr_flat_scratch_init 0
		.amdhsa_user_sgpr_private_segment_size 0
		.amdhsa_uses_dynamic_stack 0
		.amdhsa_system_sgpr_private_segment_wavefront_offset 0
		.amdhsa_system_sgpr_workgroup_id_x 1
		.amdhsa_system_sgpr_workgroup_id_y 1
		.amdhsa_system_sgpr_workgroup_id_z 1
		.amdhsa_system_sgpr_workgroup_info 0
		.amdhsa_system_vgpr_workitem_id 0
		.amdhsa_next_free_vgpr 57
		.amdhsa_next_free_sgpr 96
		.amdhsa_reserve_vcc 1
		.amdhsa_reserve_flat_scratch 0
		.amdhsa_float_round_mode_32 0
		.amdhsa_float_round_mode_16_64 0
		.amdhsa_float_denorm_mode_32 3
		.amdhsa_float_denorm_mode_16_64 3
		.amdhsa_dx10_clamp 1
		.amdhsa_ieee_mode 1
		.amdhsa_fp16_overflow 0
		.amdhsa_exception_fp_ieee_invalid_op 0
		.amdhsa_exception_fp_denorm_src 0
		.amdhsa_exception_fp_ieee_div_zero 0
		.amdhsa_exception_fp_ieee_overflow 0
		.amdhsa_exception_fp_ieee_underflow 0
		.amdhsa_exception_fp_ieee_inexact 0
		.amdhsa_exception_int_div_zero 0
	.end_amdhsa_kernel
	.section	.text._ZN2at6native12_GLOBAL__N_112gatherMedianIimLin1EEEvNS_4cuda6detail10TensorInfoIT_T0_EENS5_IlS7_EENS5_IKS6_S7_EES7_S7_S7_b,"axG",@progbits,_ZN2at6native12_GLOBAL__N_112gatherMedianIimLin1EEEvNS_4cuda6detail10TensorInfoIT_T0_EENS5_IlS7_EENS5_IKS6_S7_EES7_S7_S7_b,comdat
.Lfunc_end95:
	.size	_ZN2at6native12_GLOBAL__N_112gatherMedianIimLin1EEEvNS_4cuda6detail10TensorInfoIT_T0_EENS5_IlS7_EENS5_IKS6_S7_EES7_S7_S7_b, .Lfunc_end95-_ZN2at6native12_GLOBAL__N_112gatherMedianIimLin1EEEvNS_4cuda6detail10TensorInfoIT_T0_EENS5_IlS7_EENS5_IKS6_S7_EES7_S7_S7_b
                                        ; -- End function
	.set _ZN2at6native12_GLOBAL__N_112gatherMedianIimLin1EEEvNS_4cuda6detail10TensorInfoIT_T0_EENS5_IlS7_EENS5_IKS6_S7_EES7_S7_S7_b.num_vgpr, 57
	.set _ZN2at6native12_GLOBAL__N_112gatherMedianIimLin1EEEvNS_4cuda6detail10TensorInfoIT_T0_EENS5_IlS7_EENS5_IKS6_S7_EES7_S7_S7_b.num_agpr, 0
	.set _ZN2at6native12_GLOBAL__N_112gatherMedianIimLin1EEEvNS_4cuda6detail10TensorInfoIT_T0_EENS5_IlS7_EENS5_IKS6_S7_EES7_S7_S7_b.numbered_sgpr, 96
	.set _ZN2at6native12_GLOBAL__N_112gatherMedianIimLin1EEEvNS_4cuda6detail10TensorInfoIT_T0_EENS5_IlS7_EENS5_IKS6_S7_EES7_S7_S7_b.num_named_barrier, 0
	.set _ZN2at6native12_GLOBAL__N_112gatherMedianIimLin1EEEvNS_4cuda6detail10TensorInfoIT_T0_EENS5_IlS7_EENS5_IKS6_S7_EES7_S7_S7_b.private_seg_size, 0
	.set _ZN2at6native12_GLOBAL__N_112gatherMedianIimLin1EEEvNS_4cuda6detail10TensorInfoIT_T0_EENS5_IlS7_EENS5_IKS6_S7_EES7_S7_S7_b.uses_vcc, 1
	.set _ZN2at6native12_GLOBAL__N_112gatherMedianIimLin1EEEvNS_4cuda6detail10TensorInfoIT_T0_EENS5_IlS7_EENS5_IKS6_S7_EES7_S7_S7_b.uses_flat_scratch, 0
	.set _ZN2at6native12_GLOBAL__N_112gatherMedianIimLin1EEEvNS_4cuda6detail10TensorInfoIT_T0_EENS5_IlS7_EENS5_IKS6_S7_EES7_S7_S7_b.has_dyn_sized_stack, 0
	.set _ZN2at6native12_GLOBAL__N_112gatherMedianIimLin1EEEvNS_4cuda6detail10TensorInfoIT_T0_EENS5_IlS7_EENS5_IKS6_S7_EES7_S7_S7_b.has_recursion, 0
	.set _ZN2at6native12_GLOBAL__N_112gatherMedianIimLin1EEEvNS_4cuda6detail10TensorInfoIT_T0_EENS5_IlS7_EENS5_IKS6_S7_EES7_S7_S7_b.has_indirect_call, 0
	.section	.AMDGPU.csdata,"",@progbits
; Kernel info:
; codeLenInByte = 17164
; TotalNumSgprs: 100
; NumVgprs: 57
; ScratchSize: 0
; MemoryBound: 0
; FloatMode: 240
; IeeeMode: 1
; LDSByteSize: 5152 bytes/workgroup (compile time only)
; SGPRBlocks: 12
; VGPRBlocks: 14
; NumSGPRsForWavesPerEU: 100
; NumVGPRsForWavesPerEU: 57
; Occupancy: 4
; WaveLimiterHint : 1
; COMPUTE_PGM_RSRC2:SCRATCH_EN: 0
; COMPUTE_PGM_RSRC2:USER_SGPR: 6
; COMPUTE_PGM_RSRC2:TRAP_HANDLER: 0
; COMPUTE_PGM_RSRC2:TGID_X_EN: 1
; COMPUTE_PGM_RSRC2:TGID_Y_EN: 1
; COMPUTE_PGM_RSRC2:TGID_Z_EN: 1
; COMPUTE_PGM_RSRC2:TIDIG_COMP_CNT: 0
	.section	.text._ZN2at6native12_GLOBAL__N_112gatherMedianIljLi1EEEvNS_4cuda6detail10TensorInfoIT_T0_EENS5_IlS7_EENS5_IKS6_S7_EES7_S7_S7_b,"axG",@progbits,_ZN2at6native12_GLOBAL__N_112gatherMedianIljLi1EEEvNS_4cuda6detail10TensorInfoIT_T0_EENS5_IlS7_EENS5_IKS6_S7_EES7_S7_S7_b,comdat
	.globl	_ZN2at6native12_GLOBAL__N_112gatherMedianIljLi1EEEvNS_4cuda6detail10TensorInfoIT_T0_EENS5_IlS7_EENS5_IKS6_S7_EES7_S7_S7_b ; -- Begin function _ZN2at6native12_GLOBAL__N_112gatherMedianIljLi1EEEvNS_4cuda6detail10TensorInfoIT_T0_EENS5_IlS7_EENS5_IKS6_S7_EES7_S7_S7_b
	.p2align	8
	.type	_ZN2at6native12_GLOBAL__N_112gatherMedianIljLi1EEEvNS_4cuda6detail10TensorInfoIT_T0_EENS5_IlS7_EENS5_IKS6_S7_EES7_S7_S7_b,@function
_ZN2at6native12_GLOBAL__N_112gatherMedianIljLi1EEEvNS_4cuda6detail10TensorInfoIT_T0_EENS5_IlS7_EENS5_IKS6_S7_EES7_S7_S7_b: ; @_ZN2at6native12_GLOBAL__N_112gatherMedianIljLi1EEEvNS_4cuda6detail10TensorInfoIT_T0_EENS5_IlS7_EENS5_IKS6_S7_EES7_S7_S7_b
; %bb.0:
	s_load_dwordx2 s[12:13], s[4:5], 0x298
	s_load_dwordx4 s[24:27], s[4:5], 0x288
	s_add_u32 s10, s4, 0x298
	s_addc_u32 s11, s5, 0
	s_waitcnt lgkmcnt(0)
	s_mul_i32 s0, s13, s8
	s_add_i32 s0, s0, s7
	s_mul_i32 s0, s0, s12
	s_add_i32 s92, s0, s6
	s_cmp_ge_u32 s92, s25
	s_cbranch_scc1 .LBB96_236
; %bb.1:
	v_cmp_eq_u32_e64 s[0:1], 0, v0
	s_and_saveexec_b64 s[2:3], s[0:1]
; %bb.2:
	v_mov_b32_e32 v1, 0
	v_mov_b32_e32 v2, v1
	ds_write_b64 v1, v[1:2] offset:4096
; %bb.3:
	s_or_b64 exec, exec, s[2:3]
	v_mov_b32_e32 v1, 0
	s_waitcnt lgkmcnt(0)
	s_barrier
	s_barrier
	ds_read_b64 v[1:2], v1 offset:4096
	s_load_dwordx2 s[2:3], s[4:5], 0x1b0
	s_bitcmp1_b32 s27, 0
	s_cselect_b64 s[16:17], -1, 0
	s_mov_b32 s7, s24
	s_waitcnt lgkmcnt(0)
	v_readfirstlane_b32 s8, v1
	v_readfirstlane_b32 s9, v2
	v_cmp_lt_i64_e64 s[14:15], s[8:9], 1
	s_or_b64 s[14:15], s[16:17], s[14:15]
	s_andn2_b64 vcc, exec, s[14:15]
	s_cbranch_vccnz .LBB96_5
; %bb.4:
	s_not_b64 s[8:9], s[8:9]
	s_add_u32 s7, s8, s24
	s_addc_u32 s9, s9, 0
	s_lshr_b32 s8, s9, 31
	s_add_u32 s8, s7, s8
	s_addc_u32 s9, s9, 0
	s_lshr_b64 s[8:9], s[8:9], 1
	s_add_i32 s7, s8, 1
.LBB96_5:
	s_load_dwordx2 s[94:95], s[4:5], 0xd8
	s_load_dword s13, s[4:5], 0x21c
	s_load_dwordx2 s[8:9], s[4:5], 0x0
                                        ; implicit-def: $vgpr46 : SGPR spill to VGPR lane
	s_waitcnt lgkmcnt(0)
	v_writelane_b32 v46, s8, 0
	v_writelane_b32 v46, s9, 1
	s_and_saveexec_b64 s[8:9], s[0:1]
	s_cbranch_execz .LBB96_7
; %bb.6:
	v_mov_b32_e32 v1, 0
	v_mov_b32_e32 v2, s24
	ds_write_b32 v1, v1 offset:4112
	ds_write_b64 v1, v[1:2] offset:4104
.LBB96_7:
	s_or_b64 exec, exec, s[8:9]
	s_load_dword s93, s[4:5], 0x144
	s_load_dword s8, s[4:5], 0x6c
	s_mul_i32 s46, s13, s92
	s_mov_b32 s47, 0
	s_waitcnt lgkmcnt(0)
	s_barrier
	v_writelane_b32 v46, s8, 2
	s_load_dword s8, s[10:11], 0xc
	v_mul_lo_u32 v10, s26, v0
                                        ; kill: killed $sgpr4 killed $sgpr5
	s_lshl_b64 s[4:5], s[46:47], 3
	s_add_u32 s27, s2, s4
	v_mov_b32_e32 v12, 0
	s_addc_u32 s25, s3, s5
	v_cmp_gt_u32_e64 s[2:3], s24, v0
	v_mbcnt_lo_u32_b32 v1, -1, 0
	v_mov_b32_e32 v11, v12
	v_writelane_b32 v46, s2, 3
	v_mbcnt_hi_u32_b32 v26, -1, v1
	v_lshlrev_b64 v[1:2], 3, v[10:11]
	v_writelane_b32 v46, s3, 4
	s_waitcnt lgkmcnt(0)
	s_and_b32 s46, s8, 0xffff
	s_bfe_u32 s2, s8, 0xa0006
	v_cmp_gt_u32_e32 vcc, 64, v0
	v_cmp_gt_i32_e64 s[8:9], 4, v26
	s_and_b64 s[34:35], vcc, s[8:9]
	v_mov_b32_e32 v3, s25
	v_add_co_u32_e32 v13, vcc, s27, v1
	v_addc_co_u32_e32 v14, vcc, v3, v2, vcc
	v_lshlrev_b64 v[1:2], v26, -1
	s_lshl_b32 s29, s46, 2
	v_not_b32_e32 v31, v1
	v_lshrrev_b32_e32 v1, 2, v0
	s_add_i32 s30, s46, -1
	v_and_b32_e32 v1, 0xf0, v1
	s_add_i32 s3, s30, s24
	v_or_b32_e32 v32, 0xc00, v1
	v_cvt_f32_u32_e32 v1, s29
	s_cmpk_gt_u32 s24, 0x180
	s_cselect_b64 s[36:37], -1, 0
	s_cmp_gt_u32 s46, 63
	s_cselect_b64 s[38:39], -1, 0
	s_cmp_lt_u32 s6, s12
	s_cselect_b32 s6, 12, 18
	v_rcp_iflag_f32_e32 v1, v1
	s_add_u32 s8, s10, s6
	s_addc_u32 s9, s11, 0
	v_writelane_b32 v46, s8, 5
	s_add_i32 s6, s2, -1
	v_writelane_b32 v46, s9, 6
	s_bfe_u32 s8, s46, 0x30006
	s_and_b32 s6, s6, 0xffff
	v_mul_f32_e32 v1, 0x4f7ffffe, v1
	s_cmp_gt_u32 s6, 6
	v_cvt_u32_f32_e32 v1, v1
	s_cselect_b64 s[10:11], -1, 0
	v_writelane_b32 v46, s10, 7
	s_and_b32 s33, s2, 0x3f8
	v_writelane_b32 v46, s11, 8
	s_cmp_lg_u32 s8, 0
	v_writelane_b32 v46, s8, 9
	s_cselect_b64 s[8:9], -1, 0
	s_sub_i32 s2, 0, s29
	v_readfirstlane_b32 s6, v1
	v_cvt_f32_u32_e32 v1, s46
	s_mul_i32 s2, s2, s6
	s_mul_hi_u32 s2, s6, s2
	s_add_i32 s31, s6, s2
	s_mul_hi_u32 s2, s24, s31
	v_rcp_iflag_f32_e32 v4, v1
	s_mul_i32 s2, s2, s29
	s_sub_i32 s2, s24, s2
	s_sub_i32 s6, s2, s29
	s_cmp_ge_u32 s2, s29
	v_mul_f32_e32 v4, 0x4f7ffffe, v4
	s_cselect_b32 s2, s6, s2
	v_cvt_u32_f32_e32 v4, v4
	s_sub_i32 s6, s2, s29
	s_cmp_ge_u32 s2, s29
	s_cselect_b32 s2, s6, s2
	s_sub_i32 s40, s24, s2
	s_sub_i32 s6, 0, s46
	v_readfirstlane_b32 s12, v4
	v_add_u32_e32 v33, s40, v0
	s_mul_i32 s6, s6, s12
	v_mul_lo_u32 v11, v33, s26
	s_mul_hi_u32 s6, s12, s6
	s_add_i32 s41, s12, s6
	s_mul_hi_u32 s6, s3, s41
	s_mul_i32 s6, s6, s46
	v_not_b32_e32 v30, v2
	v_lshlrev_b64 v[1:2], 3, v[11:12]
	s_sub_i32 s6, s3, s6
	v_lshlrev_b32_e32 v25, 2, v0
	s_sub_i32 s12, s6, s46
	v_add_co_u32_e32 v15, vcc, s27, v1
	s_cmp_ge_u32 s6, s46
	v_mul_lo_u32 v1, s26, v25
	s_cselect_b32 s6, s12, s6
	s_sub_i32 s12, s6, s46
	s_cmp_ge_u32 s6, s46
	s_cselect_b32 s6, s12, s6
	v_add_u32_e32 v34, s26, v1
	v_or_b32_e32 v1, 2, v25
	s_sub_i32 s42, s3, s6
	v_mul_lo_u32 v35, s26, v1
	v_or_b32_e32 v1, 3, v25
	s_add_i32 s3, s46, s24
	v_mul_lo_u32 v36, s26, v1
	v_add_u32_e32 v1, s3, v0
	v_subrev_u32_e32 v1, s2, v1
	v_mul_lo_u32 v38, s26, v1
	v_writelane_b32 v46, s8, 10
	v_mov_b32_e32 v5, s25
	v_lshlrev_b32_e32 v27, 3, v0
	v_lshlrev_b32_e32 v3, 2, v26
	v_writelane_b32 v46, s9, 11
	v_addc_co_u32_e32 v16, vcc, v5, v2, vcc
	v_cmp_gt_u32_e64 s[12:13], s42, v0
	s_mul_i32 s28, s26, s46
	v_mov_b32_e32 v17, 0
	v_mov_b32_e32 v19, 0
	v_mov_b32_e32 v4, 0
	v_cmp_eq_u32_e64 s[4:5], 0, v26
	v_cmp_gt_u32_e64 s[20:21], 2, v0
	v_add_u32_e32 v28, 0xc00, v27
	v_and_b32_e32 v29, 0x100, v3
	v_cmp_gt_u32_e64 s[8:9], s40, v25
	v_cmp_gt_u32_e64 s[10:11], s24, v33
	v_writelane_b32 v46, s12, 12
	s_lshl_b32 s43, s28, 2
	v_lshlrev_b32_e32 v37, 2, v10
	v_lshlrev_b32_e32 v39, 5, v0
	s_lshl_b32 s44, s46, 5
	s_lshl_b32 s45, s46, 3
	v_or_b32_e32 v40, 0xc00, v3
	s_mov_b32 s2, 62
	s_mov_b64 s[48:49], 0
	v_mov_b32_e32 v41, s7
	v_mov_b32_e32 v18, 0
	;; [unrolled: 1-line block ×5, first 2 shown]
	v_writelane_b32 v46, s13, 13
                                        ; implicit-def: $sgpr50_sgpr51
                                        ; implicit-def: $sgpr54_sgpr55
                                        ; implicit-def: $sgpr52_sgpr53
                                        ; implicit-def: $sgpr58_sgpr59
                                        ; implicit-def: $sgpr60_sgpr61
                                        ; implicit-def: $sgpr56_sgpr57
	s_branch .LBB96_11
.LBB96_8:                               ;   in Loop: Header=BB96_11 Depth=1
	s_or_b64 exec, exec, s[64:65]
	s_and_b64 s[18:19], s[18:19], exec
	s_andn2_b64 s[62:63], s[62:63], exec
	s_andn2_b64 s[22:23], s[22:23], exec
	s_orn2_b64 s[16:17], s[16:17], exec
.LBB96_9:                               ;   in Loop: Header=BB96_11 Depth=1
	s_or_b64 exec, exec, s[6:7]
	s_andn2_b64 s[2:3], s[56:57], exec
	s_and_b64 s[6:7], s[18:19], exec
	s_or_b64 s[56:57], s[2:3], s[6:7]
	s_andn2_b64 s[2:3], s[60:61], exec
	s_and_b64 s[6:7], s[62:63], exec
	s_or_b64 s[60:61], s[2:3], s[6:7]
	;; [unrolled: 3-line block ×3, first 2 shown]
	s_orn2_b64 s[16:17], s[16:17], exec
.LBB96_10:                              ;   in Loop: Header=BB96_11 Depth=1
	s_or_b64 exec, exec, s[14:15]
	s_and_b64 s[2:3], exec, s[16:17]
	s_or_b64 s[48:49], s[2:3], s[48:49]
	s_andn2_b64 s[2:3], s[52:53], exec
	s_and_b64 s[6:7], s[56:57], exec
	s_or_b64 s[52:53], s[2:3], s[6:7]
	s_andn2_b64 s[2:3], s[54:55], exec
	s_and_b64 s[6:7], s[60:61], exec
	;; [unrolled: 3-line block ×3, first 2 shown]
	s_or_b64 s[50:51], s[2:3], s[6:7]
	s_mov_b32 s47, s13
	s_mov_b32 s2, s12
	v_mov_b32_e32 v41, v7
	s_andn2_b64 exec, exec, s[48:49]
	s_cbranch_execz .LBB96_232
.LBB96_11:                              ; =>This Loop Header: Depth=1
                                        ;     Child Loop BB96_17 Depth 2
                                        ;     Child Loop BB96_30 Depth 2
                                        ;     Child Loop BB96_61 Depth 2
                                        ;     Child Loop BB96_65 Depth 2
                                        ;     Child Loop BB96_50 Depth 2
                                        ;     Child Loop BB96_55 Depth 2
                                        ;     Child Loop BB96_46 Depth 2
                                        ;     Child Loop BB96_71 Depth 2
                                        ;     Child Loop BB96_81 Depth 2
                                        ;     Child Loop BB96_92 Depth 2
                                        ;     Child Loop BB96_118 Depth 2
                                        ;     Child Loop BB96_132 Depth 2
                                        ;     Child Loop BB96_158 Depth 2
                                        ;     Child Loop BB96_169 Depth 2
                                        ;     Child Loop BB96_195 Depth 2
                                        ;     Child Loop BB96_206 Depth 2
	ds_read_b64 v[2:3], v12 offset:4104
	s_waitcnt lgkmcnt(0)
	v_readfirstlane_b32 s3, v2
	s_cmp_lg_u32 s3, 0
	s_cbranch_scc1 .LBB96_38
; %bb.12:                               ;   in Loop: Header=BB96_11 Depth=1
	s_and_b64 vcc, exec, s[36:37]
	s_cbranch_vccz .LBB96_25
; %bb.13:                               ;   in Loop: Header=BB96_11 Depth=1
	s_movk_i32 s3, 0x181
	v_cmp_gt_u32_e32 vcc, s3, v3
	s_mov_b64 s[16:17], 0
	s_mov_b64 s[6:7], 0
	s_cbranch_vccz .LBB96_26
; %bb.14:                               ;   in Loop: Header=BB96_11 Depth=1
	s_mov_b64 s[18:19], exec
	v_readlane_b32 s6, v46, 3
	v_readlane_b32 s7, v46, 4
	s_and_b64 s[6:7], s[18:19], s[6:7]
	s_mov_b64 exec, s[6:7]
	s_cbranch_execz .LBB96_122
; %bb.15:                               ;   in Loop: Header=BB96_11 Depth=1
	v_readlane_b32 s6, v46, 5
	v_readlane_b32 s7, v46, 6
	s_nop 4
	global_load_ushort v8, v12, s[6:7]
	global_load_dwordx2 v[2:3], v[13:14], off
	s_mov_b64 s[22:23], 0
	v_mov_b32_e32 v21, v0
	s_waitcnt vmcnt(1)
	v_add_u32_e32 v6, v0, v8
	v_mul_lo_u32 v11, s26, v6
	v_mul_lo_u32 v9, s26, v8
	s_branch .LBB96_17
.LBB96_16:                              ;   in Loop: Header=BB96_17 Depth=2
	s_or_b64 exec, exec, s[6:7]
	v_mov_b32_e32 v2, v6
	v_add_u32_e32 v11, v11, v9
	v_mov_b32_e32 v3, v7
	s_andn2_b64 exec, exec, s[22:23]
	s_cbranch_execz .LBB96_122
.LBB96_17:                              ;   Parent Loop BB96_11 Depth=1
                                        ; =>  This Inner Loop Header: Depth=2
	v_add_u32_e32 v21, v21, v8
	v_mov_b32_e32 v6, 0
	v_cmp_gt_u32_e64 s[6:7], s24, v21
	v_mov_b32_e32 v7, 0
	v_cmp_le_u32_e32 vcc, s24, v21
	s_and_saveexec_b64 s[14:15], s[6:7]
	s_cbranch_execz .LBB96_19
; %bb.18:                               ;   in Loop: Header=BB96_17 Depth=2
	v_lshlrev_b64 v[6:7], 3, v[11:12]
	s_waitcnt lgkmcnt(0)
	v_mov_b32_e32 v22, s25
	v_add_co_u32_e64 v6, s[6:7], s27, v6
	v_addc_co_u32_e64 v7, s[6:7], v22, v7, s[6:7]
	global_load_dwordx2 v[6:7], v[6:7], off
.LBB96_19:                              ;   in Loop: Header=BB96_17 Depth=2
	s_or_b64 exec, exec, s[14:15]
	s_waitcnt vmcnt(0) lgkmcnt(0)
	v_xor_b32_e32 v22, 0x80000000, v3
	v_and_b32_e32 v23, v22, v20
	v_and_b32_e32 v22, v2, v19
	v_cmp_eq_u64_e64 s[14:15], v[22:23], v[17:18]
	v_mov_b32_e32 v22, 0
	s_cmp_lg_u64 s[14:15], 0
	s_cselect_b64 s[6:7], -1, 0
	s_and_b64 s[6:7], s[4:5], s[6:7]
	s_and_saveexec_b64 s[62:63], s[6:7]
	s_cbranch_execz .LBB96_23
; %bb.20:                               ;   in Loop: Header=BB96_17 Depth=2
	s_mov_b64 s[66:67], exec
	v_mbcnt_lo_u32_b32 v22, s66, 0
	v_mbcnt_hi_u32_b32 v22, s67, v22
	s_bcnt1_i32_b64 s3, s[14:15]
	v_cmp_eq_u32_e64 s[6:7], 0, v22
                                        ; implicit-def: $vgpr23
	s_and_saveexec_b64 s[64:65], s[6:7]
; %bb.21:                               ;   in Loop: Header=BB96_17 Depth=2
	s_bcnt1_i32_b64 s6, s[66:67]
	s_mul_i32 s6, s3, s6
	v_mov_b32_e32 v23, s6
	ds_add_rtn_u32 v23, v12, v23 offset:4112
; %bb.22:                               ;   in Loop: Header=BB96_17 Depth=2
	s_or_b64 exec, exec, s[64:65]
	s_waitcnt lgkmcnt(0)
	v_readfirstlane_b32 s6, v23
	v_mov_b32_e32 v23, s6
	v_mad_u32_u24 v22, s3, v22, v23
.LBB96_23:                              ;   in Loop: Header=BB96_17 Depth=2
	s_or_b64 exec, exec, s[62:63]
	ds_bpermute_b32 v22, v29, v22
	s_and_b64 s[6:7], exec, vcc
	s_or_b64 s[22:23], s[6:7], s[22:23]
	s_and_saveexec_b64 s[6:7], s[14:15]
	s_cbranch_execz .LBB96_16
; %bb.24:                               ;   in Loop: Header=BB96_17 Depth=2
	v_and_b32_e32 v24, s14, v31
	v_and_b32_e32 v23, s15, v30
	v_bcnt_u32_b32 v24, v24, 0
	v_bcnt_u32_b32 v23, v23, v24
	v_lshlrev_b32_e32 v23, 3, v23
	s_waitcnt lgkmcnt(0)
	v_lshl_add_u32 v22, v22, 3, v23
	ds_write_b64 v22, v[2:3]
	s_branch .LBB96_16
.LBB96_25:                              ;   in Loop: Header=BB96_11 Depth=1
	s_mov_b64 s[16:17], -1
	s_mov_b64 s[6:7], 0
.LBB96_26:                              ;   in Loop: Header=BB96_11 Depth=1
	s_and_b64 vcc, exec, s[16:17]
	s_cbranch_vccz .LBB96_36
.LBB96_27:                              ;   in Loop: Header=BB96_11 Depth=1
	s_mov_b64 s[6:7], exec
	v_readlane_b32 s12, v46, 3
	v_readlane_b32 s13, v46, 4
	s_and_b64 s[12:13], s[6:7], s[12:13]
	s_mov_b64 exec, s[12:13]
	s_cbranch_execz .LBB96_33
; %bb.28:                               ;   in Loop: Header=BB96_11 Depth=1
	v_readlane_b32 s12, v46, 5
	v_readlane_b32 s13, v46, 6
	s_nop 4
	global_load_ushort v8, v12, s[12:13]
	global_load_dwordx2 v[2:3], v[13:14], off
	v_mov_b32_e32 v9, v0
	s_waitcnt vmcnt(1)
	v_add_u32_e32 v6, v0, v8
	v_cmp_gt_u32_e32 vcc, s24, v6
	s_and_saveexec_b64 s[14:15], vcc
	s_cbranch_execz .LBB96_32
; %bb.29:                               ;   in Loop: Header=BB96_11 Depth=1
	v_mul_lo_u32 v11, s26, v6
	v_mul_lo_u32 v22, s26, v8
	v_lshlrev_b32_e32 v21, 3, v8
	s_mov_b64 s[16:17], 0
	v_mov_b32_e32 v23, v27
	v_mov_b32_e32 v9, v0
.LBB96_30:                              ;   Parent Loop BB96_11 Depth=1
                                        ; =>  This Inner Loop Header: Depth=2
	v_lshlrev_b64 v[6:7], 3, v[11:12]
	v_mov_b32_e32 v24, s25
	v_add_co_u32_e32 v6, vcc, s27, v6
	v_addc_co_u32_e32 v7, vcc, v24, v7, vcc
	global_load_dwordx2 v[6:7], v[6:7], off
	v_add_u32_e32 v9, v9, v8
	s_waitcnt vmcnt(1)
	ds_write_b64 v23, v[2:3]
	v_add_u32_e32 v2, v8, v9
	v_cmp_le_u32_e32 vcc, s24, v2
	v_add_u32_e32 v23, v23, v21
	v_add_u32_e32 v11, v11, v22
	s_or_b64 s[16:17], vcc, s[16:17]
	s_waitcnt vmcnt(0)
	v_mov_b32_e32 v2, v6
	v_mov_b32_e32 v3, v7
	s_andn2_b64 exec, exec, s[16:17]
	s_cbranch_execnz .LBB96_30
; %bb.31:                               ;   in Loop: Header=BB96_11 Depth=1
	s_or_b64 exec, exec, s[16:17]
	v_mov_b32_e32 v2, v6
	v_mov_b32_e32 v3, v7
.LBB96_32:                              ;   in Loop: Header=BB96_11 Depth=1
	s_or_b64 exec, exec, s[14:15]
	v_lshlrev_b32_e32 v6, 3, v9
	s_waitcnt vmcnt(0)
	ds_write_b64 v6, v[2:3]
.LBB96_33:                              ;   in Loop: Header=BB96_11 Depth=1
	s_or_b64 exec, exec, s[6:7]
	s_waitcnt lgkmcnt(0)
	s_barrier
	s_and_saveexec_b64 s[6:7], s[0:1]
; %bb.34:                               ;   in Loop: Header=BB96_11 Depth=1
	v_mov_b32_e32 v2, s24
	ds_write_b32 v12, v2 offset:4104
; %bb.35:                               ;   in Loop: Header=BB96_11 Depth=1
	s_or_b64 exec, exec, s[6:7]
	s_mov_b64 s[6:7], -1
	s_waitcnt lgkmcnt(0)
	s_barrier
.LBB96_36:                              ;   in Loop: Header=BB96_11 Depth=1
	s_mov_b32 s3, 0
	s_and_b64 vcc, exec, s[6:7]
	s_cbranch_vccz .LBB96_38
; %bb.37:                               ;   in Loop: Header=BB96_11 Depth=1
	ds_read_b32 v2, v12 offset:4104
	s_waitcnt lgkmcnt(0)
	v_readfirstlane_b32 s3, v2
.LBB96_38:                              ;   in Loop: Header=BB96_11 Depth=1
	s_cmp_lt_i32 s3, 1
	s_mov_b64 s[6:7], -1
                                        ; implicit-def: $vgpr6
	s_cbranch_scc1 .LBB96_48
; %bb.39:                               ;   in Loop: Header=BB96_11 Depth=1
	s_and_b64 vcc, exec, s[6:7]
	s_cbranch_vccnz .LBB96_59
.LBB96_40:                              ;   in Loop: Header=BB96_11 Depth=1
	s_lshl_b32 s3, s47, 6
	s_and_saveexec_b64 s[6:7], s[4:5]
.LBB96_41:                              ;   in Loop: Header=BB96_11 Depth=1
	v_lshl_add_u32 v2, s3, 2, v32
	ds_write_b128 v2, v[6:9]
.LBB96_42:                              ;   in Loop: Header=BB96_11 Depth=1
	s_or_b64 exec, exec, s[6:7]
	s_waitcnt lgkmcnt(0)
	s_barrier
	s_and_saveexec_b64 s[6:7], s[34:35]
	s_cbranch_execz .LBB96_73
; %bb.43:                               ;   in Loop: Header=BB96_11 Depth=1
	s_andn2_b64 vcc, exec, s[38:39]
	v_mov_b32_e32 v2, 0
	s_cbranch_vccnz .LBB96_72
; %bb.44:                               ;   in Loop: Header=BB96_11 Depth=1
	v_readlane_b32 s12, v46, 7
	v_readlane_b32 s13, v46, 8
	s_andn2_b64 vcc, exec, s[12:13]
	s_cbranch_vccnz .LBB96_68
; %bb.45:                               ;   in Loop: Header=BB96_11 Depth=1
	v_lshl_add_u32 v3, s47, 8, v40
	s_mov_b32 s12, 0
	v_mov_b32_e32 v2, 0
.LBB96_46:                              ;   Parent Loop BB96_11 Depth=1
                                        ; =>  This Inner Loop Header: Depth=2
	ds_read2_b32 v[6:7], v3 offset1:4
	ds_read2_b32 v[8:9], v3 offset0:8 offset1:12
	ds_read2_b32 v[21:22], v3 offset0:16 offset1:20
	;; [unrolled: 1-line block ×3, first 2 shown]
	s_add_i32 s12, s12, 8
	s_waitcnt lgkmcnt(3)
	v_add3_u32 v2, v6, v2, v7
	s_waitcnt lgkmcnt(2)
	v_add3_u32 v2, v8, v2, v9
	;; [unrolled: 2-line block ×3, first 2 shown]
	v_add_u32_e32 v3, 0x80, v3
	s_cmp_eq_u32 s33, s12
	s_waitcnt lgkmcnt(0)
	v_add3_u32 v2, v23, v2, v24
	s_cbranch_scc0 .LBB96_46
; %bb.47:                               ;   in Loop: Header=BB96_11 Depth=1
	s_mov_b32 s12, s33
	s_branch .LBB96_69
.LBB96_48:                              ;   in Loop: Header=BB96_11 Depth=1
	v_mov_b32_e32 v6, 0
	v_mov_b32_e32 v7, 0
	;; [unrolled: 1-line block ×4, first 2 shown]
	s_and_saveexec_b64 s[22:23], s[8:9]
	s_cbranch_execz .LBB96_52
; %bb.49:                               ;   in Loop: Header=BB96_11 Depth=1
	s_mov_b32 s64, 0
	s_mov_b64 s[62:63], 0
	s_mov_b32 s65, 0
	s_mov_b32 s66, 0
	;; [unrolled: 1-line block ×4, first 2 shown]
	v_mov_b32_e32 v21, v25
.LBB96_50:                              ;   Parent Loop BB96_11 Depth=1
                                        ; =>  This Inner Loop Header: Depth=2
	v_add_u32_e32 v11, s64, v37
	v_lshlrev_b64 v[2:3], 3, v[11:12]
	v_add_u32_e32 v11, s64, v34
	v_add_co_u32_e32 v2, vcc, s27, v2
	v_mov_b32_e32 v24, s25
	v_lshlrev_b64 v[6:7], 3, v[11:12]
	v_addc_co_u32_e32 v3, vcc, v24, v3, vcc
	v_add_co_u32_e32 v6, vcc, s27, v6
	v_addc_co_u32_e32 v7, vcc, v24, v7, vcc
	v_add_u32_e32 v11, s64, v35
	global_load_dwordx2 v[2:3], v[2:3], off
	v_add_u32_e32 v21, s29, v21
	global_load_dwordx2 v[22:23], v[6:7], off
	v_lshlrev_b64 v[6:7], 3, v[11:12]
	v_add_u32_e32 v11, s64, v36
	v_add_co_u32_e32 v6, vcc, s27, v6
	v_addc_co_u32_e32 v7, vcc, v24, v7, vcc
	global_load_dwordx2 v[8:9], v[6:7], off
	v_lshlrev_b64 v[6:7], 3, v[11:12]
	s_add_i32 s64, s64, s43
	v_add_co_u32_e32 v6, vcc, s27, v6
	v_addc_co_u32_e32 v7, vcc, v24, v7, vcc
	global_load_dwordx2 v[6:7], v[6:7], off
	s_waitcnt vmcnt(3)
	v_xor_b32_e32 v3, 0x80000000, v3
	v_and_b32_e32 v43, v3, v20
	v_and_b32_e32 v42, v2, v19
	v_lshrrev_b64 v[2:3], s2, v[2:3]
	s_waitcnt vmcnt(2)
	v_xor_b32_e32 v23, 0x80000000, v23
	v_and_b32_e32 v11, 3, v2
	v_lshrrev_b64 v[2:3], s2, v[22:23]
	v_cmp_eq_u64_e32 vcc, v[42:43], v[17:18]
	v_and_b32_e32 v43, v23, v20
	s_waitcnt vmcnt(1)
	v_xor_b32_e32 v9, 0x80000000, v9
	v_and_b32_e32 v42, v22, v19
	v_cmp_eq_u64_e64 s[6:7], 0, v[11:12]
	v_cmp_eq_u64_e64 s[14:15], v[42:43], v[17:18]
	v_and_b32_e32 v43, v9, v20
	v_and_b32_e32 v42, v8, v19
	;; [unrolled: 1-line block ×3, first 2 shown]
	v_mov_b32_e32 v3, v12
	v_lshrrev_b64 v[8:9], s2, v[8:9]
	s_waitcnt vmcnt(0)
	v_xor_b32_e32 v7, 0x80000000, v7
	s_and_b64 s[12:13], vcc, s[6:7]
	v_cmp_eq_u64_e64 s[6:7], 0, v[2:3]
	v_cmp_eq_u64_e64 s[16:17], v[42:43], v[17:18]
	v_and_b32_e32 v43, v7, v20
	v_and_b32_e32 v42, v6, v19
	;; [unrolled: 1-line block ×3, first 2 shown]
	v_mov_b32_e32 v9, v12
	v_lshrrev_b64 v[6:7], s2, v[6:7]
	s_and_b64 s[70:71], s[14:15], s[6:7]
	v_cmp_eq_u64_e64 s[6:7], 0, v[8:9]
	v_and_b32_e32 v6, 3, v6
	v_mov_b32_e32 v7, v12
	v_cmp_eq_u64_e64 s[18:19], v[42:43], v[17:18]
	s_and_b64 s[72:73], s[16:17], s[6:7]
	v_cmp_eq_u64_e64 s[6:7], 0, v[6:7]
	v_cndmask_b32_e64 v22, 0, 1, s[12:13]
	s_and_b64 s[74:75], s[18:19], s[6:7]
	v_cmp_ne_u32_e64 s[6:7], 0, v22
	v_cndmask_b32_e64 v22, 0, 1, s[70:71]
	s_bcnt1_i32_b64 s12, s[6:7]
	v_cmp_ne_u32_e64 s[6:7], 0, v22
	v_cndmask_b32_e64 v22, 0, 1, s[72:73]
	s_bcnt1_i32_b64 s13, s[6:7]
	;; [unrolled: 3-line block ×3, first 2 shown]
	v_cmp_ne_u32_e64 s[6:7], 0, v22
	s_bcnt1_i32_b64 s6, s[6:7]
	s_add_i32 s7, s68, s12
	s_add_i32 s7, s7, s13
	;; [unrolled: 1-line block ×4, first 2 shown]
	v_cmp_eq_u64_e64 s[6:7], 1, v[11:12]
	s_and_b64 s[12:13], vcc, s[6:7]
	v_cmp_eq_u64_e64 s[6:7], 1, v[2:3]
	v_cndmask_b32_e64 v22, 0, 1, s[12:13]
	s_and_b64 s[70:71], s[14:15], s[6:7]
	v_cmp_eq_u64_e64 s[6:7], 1, v[8:9]
	s_and_b64 s[72:73], s[16:17], s[6:7]
	v_cmp_eq_u64_e64 s[6:7], 1, v[6:7]
	s_and_b64 s[74:75], s[18:19], s[6:7]
	v_cmp_ne_u32_e64 s[6:7], 0, v22
	v_cndmask_b32_e64 v22, 0, 1, s[70:71]
	s_bcnt1_i32_b64 s12, s[6:7]
	v_cmp_ne_u32_e64 s[6:7], 0, v22
	v_cndmask_b32_e64 v22, 0, 1, s[72:73]
	s_bcnt1_i32_b64 s13, s[6:7]
	;; [unrolled: 3-line block ×3, first 2 shown]
	v_cmp_ne_u32_e64 s[6:7], 0, v22
	s_bcnt1_i32_b64 s6, s[6:7]
	s_add_i32 s7, s67, s12
	s_add_i32 s7, s7, s13
	;; [unrolled: 1-line block ×4, first 2 shown]
	v_cmp_eq_u64_e64 s[6:7], 2, v[11:12]
	s_and_b64 s[12:13], vcc, s[6:7]
	v_cmp_eq_u64_e64 s[6:7], 2, v[2:3]
	v_cndmask_b32_e64 v22, 0, 1, s[12:13]
	s_and_b64 s[70:71], s[14:15], s[6:7]
	v_cmp_eq_u64_e64 s[6:7], 2, v[8:9]
	s_and_b64 s[72:73], s[16:17], s[6:7]
	v_cmp_eq_u64_e64 s[6:7], 2, v[6:7]
	s_and_b64 s[74:75], s[18:19], s[6:7]
	v_cmp_ne_u32_e64 s[6:7], 0, v22
	v_cndmask_b32_e64 v22, 0, 1, s[70:71]
	s_bcnt1_i32_b64 s12, s[6:7]
	v_cmp_ne_u32_e64 s[6:7], 0, v22
	v_cndmask_b32_e64 v22, 0, 1, s[72:73]
	s_bcnt1_i32_b64 s13, s[6:7]
	;; [unrolled: 3-line block ×3, first 2 shown]
	v_cmp_ne_u32_e64 s[6:7], 0, v22
	s_bcnt1_i32_b64 s6, s[6:7]
	s_add_i32 s7, s66, s12
	s_add_i32 s7, s7, s13
	s_add_i32 s7, s7, s69
	s_add_i32 s66, s7, s6
	v_cmp_eq_u64_e64 s[6:7], 3, v[11:12]
	s_and_b64 s[6:7], vcc, s[6:7]
	v_cmp_eq_u64_e32 vcc, 3, v[2:3]
	v_cndmask_b32_e64 v2, 0, 1, s[6:7]
	s_and_b64 s[12:13], s[14:15], vcc
	v_cmp_eq_u64_e32 vcc, 3, v[8:9]
	v_mov_b32_e32 v8, s66
	s_and_b64 s[14:15], s[16:17], vcc
	v_cmp_eq_u64_e32 vcc, 3, v[6:7]
	v_mov_b32_e32 v6, s68
	s_and_b64 s[16:17], s[18:19], vcc
	v_cmp_ne_u32_e32 vcc, 0, v2
	v_cndmask_b32_e64 v2, 0, 1, s[12:13]
	s_bcnt1_i32_b64 s6, vcc
	v_cmp_ne_u32_e32 vcc, 0, v2
	v_cndmask_b32_e64 v2, 0, 1, s[14:15]
	s_bcnt1_i32_b64 s7, vcc
	v_cmp_ne_u32_e32 vcc, 0, v2
	v_cndmask_b32_e64 v2, 0, 1, s[16:17]
	s_add_i32 s6, s65, s6
	s_bcnt1_i32_b64 s12, vcc
	v_cmp_ne_u32_e32 vcc, 0, v2
	s_add_i32 s6, s6, s7
	s_bcnt1_i32_b64 s13, vcc
	s_add_i32 s6, s6, s12
	s_add_i32 s65, s6, s13
	v_cmp_le_u32_e32 vcc, s40, v21
	s_or_b64 s[62:63], vcc, s[62:63]
	v_mov_b32_e32 v7, s67
	v_mov_b32_e32 v9, s65
	s_andn2_b64 exec, exec, s[62:63]
	s_cbranch_execnz .LBB96_50
; %bb.51:                               ;   in Loop: Header=BB96_11 Depth=1
	s_or_b64 exec, exec, s[62:63]
.LBB96_52:                              ;   in Loop: Header=BB96_11 Depth=1
	s_or_b64 exec, exec, s[22:23]
	s_and_saveexec_b64 s[14:15], s[10:11]
	s_cbranch_execz .LBB96_58
; %bb.53:                               ;   in Loop: Header=BB96_11 Depth=1
	global_load_dwordx2 v[23:24], v[15:16], off
	s_mov_b64 s[16:17], 0
	v_mov_b32_e32 v2, v38
	v_mov_b32_e32 v42, v33
	s_branch .LBB96_55
.LBB96_54:                              ;   in Loop: Header=BB96_55 Depth=2
	s_or_b64 exec, exec, s[18:19]
	s_waitcnt vmcnt(0)
	v_xor_b32_e32 v24, 0x80000000, v24
	v_and_b32_e32 v44, v24, v20
	v_and_b32_e32 v43, v23, v19
	v_lshrrev_b64 v[23:24], s2, v[23:24]
	s_and_b64 s[12:13], exec, vcc
	v_and_b32_e32 v11, 3, v23
	v_cmp_eq_u64_e32 vcc, v[43:44], v[17:18]
	v_cmp_eq_u64_e64 s[6:7], 0, v[11:12]
	s_or_b64 s[16:17], s[12:13], s[16:17]
	s_and_b64 s[6:7], vcc, s[6:7]
	v_cndmask_b32_e64 v3, 0, 1, s[6:7]
	v_cmp_ne_u32_e64 s[6:7], 0, v3
	s_bcnt1_i32_b64 s12, s[6:7]
	v_cmp_eq_u64_e64 s[6:7], 1, v[11:12]
	v_add_u32_e32 v6, s12, v6
	s_and_b64 s[6:7], vcc, s[6:7]
	v_cndmask_b32_e64 v3, 0, 1, s[6:7]
	v_cmp_ne_u32_e64 s[6:7], 0, v3
	s_bcnt1_i32_b64 s12, s[6:7]
	v_cmp_eq_u64_e64 s[6:7], 2, v[11:12]
	v_add_u32_e32 v7, s12, v7
	s_and_b64 s[6:7], vcc, s[6:7]
	v_cndmask_b32_e64 v3, 0, 1, s[6:7]
	v_cmp_ne_u32_e64 s[6:7], 0, v3
	s_bcnt1_i32_b64 s12, s[6:7]
	v_cmp_eq_u64_e64 s[6:7], 3, v[11:12]
	v_mov_b32_e32 v24, v22
	s_and_b64 s[6:7], vcc, s[6:7]
	v_cndmask_b32_e64 v3, 0, 1, s[6:7]
	v_cmp_ne_u32_e32 vcc, 0, v3
	s_bcnt1_i32_b64 s6, vcc
	v_add_u32_e32 v8, s12, v8
	v_add_u32_e32 v9, s6, v9
	;; [unrolled: 1-line block ×3, first 2 shown]
	v_mov_b32_e32 v23, v21
	s_andn2_b64 exec, exec, s[16:17]
	s_cbranch_execz .LBB96_57
.LBB96_55:                              ;   Parent Loop BB96_11 Depth=1
                                        ; =>  This Inner Loop Header: Depth=2
	v_add_u32_e32 v42, s46, v42
	v_mov_b32_e32 v21, 0
	v_cmp_gt_u32_e64 s[6:7], s24, v42
	v_mov_b32_e32 v22, 0
	v_cmp_le_u32_e32 vcc, s24, v42
	s_and_saveexec_b64 s[18:19], s[6:7]
	s_cbranch_execz .LBB96_54
; %bb.56:                               ;   in Loop: Header=BB96_55 Depth=2
	v_mov_b32_e32 v3, v12
	v_lshlrev_b64 v[21:22], 3, v[2:3]
	v_mov_b32_e32 v3, s25
	v_add_co_u32_e64 v21, s[6:7], s27, v21
	v_addc_co_u32_e64 v22, s[6:7], v3, v22, s[6:7]
	global_load_dwordx2 v[21:22], v[21:22], off
	s_branch .LBB96_54
.LBB96_57:                              ;   in Loop: Header=BB96_11 Depth=1
	s_or_b64 exec, exec, s[16:17]
.LBB96_58:                              ;   in Loop: Header=BB96_11 Depth=1
	s_or_b64 exec, exec, s[14:15]
	s_branch .LBB96_40
.LBB96_59:                              ;   in Loop: Header=BB96_11 Depth=1
	s_mul_hi_u32 s6, s3, s31
	s_mul_i32 s6, s6, s29
	s_sub_i32 s6, s3, s6
	s_sub_i32 s7, s6, s29
	s_cmp_ge_u32 s6, s29
	s_cselect_b32 s6, s7, s6
	s_sub_i32 s7, s6, s29
	s_cmp_ge_u32 s6, s29
	s_cselect_b32 s6, s7, s6
	s_sub_i32 s64, s3, s6
	v_cmp_gt_u32_e32 vcc, s64, v25
	v_mov_b32_e32 v6, 0
	v_mov_b32_e32 v7, 0
	;; [unrolled: 1-line block ×4, first 2 shown]
	s_and_saveexec_b64 s[22:23], vcc
	s_cbranch_execz .LBB96_63
; %bb.60:                               ;   in Loop: Header=BB96_11 Depth=1
	s_mov_b32 s65, 0
	s_mov_b64 s[62:63], 0
	v_mov_b32_e32 v21, v39
	s_mov_b32 s66, 0
	s_mov_b32 s67, 0
	;; [unrolled: 1-line block ×3, first 2 shown]
	v_mov_b32_e32 v22, v25
.LBB96_61:                              ;   Parent Loop BB96_11 Depth=1
                                        ; =>  This Inner Loop Header: Depth=2
	ds_read_b128 v[42:45], v21
	ds_read_b128 v[6:9], v21 offset:16
	v_add_u32_e32 v22, s29, v22
	v_add_u32_e32 v21, s44, v21
	s_waitcnt lgkmcnt(1)
	v_xor_b32_e32 v43, 0x80000000, v43
	v_xor_b32_e32 v45, 0x80000000, v45
	v_and_b32_e32 v3, v43, v20
	v_and_b32_e32 v2, v42, v19
	s_waitcnt lgkmcnt(0)
	v_xor_b32_e32 v7, 0x80000000, v7
	v_cmp_eq_u64_e32 vcc, v[2:3], v[17:18]
	v_and_b32_e32 v3, v45, v20
	v_and_b32_e32 v2, v44, v19
	v_xor_b32_e32 v9, 0x80000000, v9
	v_cmp_eq_u64_e64 s[14:15], v[2:3], v[17:18]
	v_and_b32_e32 v3, v7, v20
	v_and_b32_e32 v2, v6, v19
	v_cmp_eq_u64_e64 s[16:17], v[2:3], v[17:18]
	v_and_b32_e32 v3, v9, v20
	v_and_b32_e32 v2, v8, v19
	v_cmp_eq_u64_e64 s[18:19], v[2:3], v[17:18]
	v_lshrrev_b64 v[2:3], s2, v[42:43]
	v_lshrrev_b64 v[6:7], s2, v[6:7]
	v_and_b32_e32 v11, 3, v2
	v_lshrrev_b64 v[2:3], s2, v[44:45]
	v_cmp_eq_u64_e64 s[6:7], 0, v[11:12]
	v_and_b32_e32 v2, 3, v2
	v_mov_b32_e32 v3, v12
	s_and_b64 s[12:13], vcc, s[6:7]
	v_cmp_eq_u64_e64 s[6:7], 0, v[2:3]
	v_and_b32_e32 v6, 3, v6
	v_mov_b32_e32 v7, v12
	v_lshrrev_b64 v[8:9], s2, v[8:9]
	s_and_b64 s[70:71], s[14:15], s[6:7]
	v_cmp_eq_u64_e64 s[6:7], 0, v[6:7]
	v_and_b32_e32 v8, 3, v8
	v_mov_b32_e32 v9, v12
	s_and_b64 s[72:73], s[16:17], s[6:7]
	v_cmp_eq_u64_e64 s[6:7], 0, v[8:9]
	v_cndmask_b32_e64 v23, 0, 1, s[12:13]
	s_and_b64 s[74:75], s[18:19], s[6:7]
	v_cmp_ne_u32_e64 s[6:7], 0, v23
	v_cndmask_b32_e64 v23, 0, 1, s[70:71]
	s_bcnt1_i32_b64 s12, s[6:7]
	v_cmp_ne_u32_e64 s[6:7], 0, v23
	v_cndmask_b32_e64 v23, 0, 1, s[72:73]
	s_bcnt1_i32_b64 s13, s[6:7]
	;; [unrolled: 3-line block ×3, first 2 shown]
	v_cmp_ne_u32_e64 s[6:7], 0, v23
	s_bcnt1_i32_b64 s6, s[6:7]
	s_add_i32 s7, s68, s12
	s_add_i32 s7, s7, s13
	;; [unrolled: 1-line block ×4, first 2 shown]
	v_cmp_eq_u64_e64 s[6:7], 1, v[11:12]
	s_and_b64 s[12:13], vcc, s[6:7]
	v_cmp_eq_u64_e64 s[6:7], 1, v[2:3]
	v_cndmask_b32_e64 v23, 0, 1, s[12:13]
	s_and_b64 s[70:71], s[14:15], s[6:7]
	v_cmp_eq_u64_e64 s[6:7], 1, v[6:7]
	s_and_b64 s[72:73], s[16:17], s[6:7]
	v_cmp_eq_u64_e64 s[6:7], 1, v[8:9]
	s_and_b64 s[74:75], s[18:19], s[6:7]
	v_cmp_ne_u32_e64 s[6:7], 0, v23
	v_cndmask_b32_e64 v23, 0, 1, s[70:71]
	s_bcnt1_i32_b64 s12, s[6:7]
	v_cmp_ne_u32_e64 s[6:7], 0, v23
	v_cndmask_b32_e64 v23, 0, 1, s[72:73]
	s_bcnt1_i32_b64 s13, s[6:7]
	;; [unrolled: 3-line block ×3, first 2 shown]
	v_cmp_ne_u32_e64 s[6:7], 0, v23
	s_bcnt1_i32_b64 s6, s[6:7]
	s_add_i32 s7, s67, s12
	s_add_i32 s7, s7, s13
	;; [unrolled: 1-line block ×4, first 2 shown]
	v_cmp_eq_u64_e64 s[6:7], 2, v[11:12]
	s_and_b64 s[12:13], vcc, s[6:7]
	v_cmp_eq_u64_e64 s[6:7], 2, v[2:3]
	v_cndmask_b32_e64 v23, 0, 1, s[12:13]
	s_and_b64 s[70:71], s[14:15], s[6:7]
	v_cmp_eq_u64_e64 s[6:7], 2, v[6:7]
	s_and_b64 s[72:73], s[16:17], s[6:7]
	v_cmp_eq_u64_e64 s[6:7], 2, v[8:9]
	s_and_b64 s[74:75], s[18:19], s[6:7]
	v_cmp_ne_u32_e64 s[6:7], 0, v23
	v_cndmask_b32_e64 v23, 0, 1, s[70:71]
	s_bcnt1_i32_b64 s12, s[6:7]
	v_cmp_ne_u32_e64 s[6:7], 0, v23
	v_cndmask_b32_e64 v23, 0, 1, s[72:73]
	s_bcnt1_i32_b64 s13, s[6:7]
	;; [unrolled: 3-line block ×3, first 2 shown]
	v_cmp_ne_u32_e64 s[6:7], 0, v23
	s_bcnt1_i32_b64 s6, s[6:7]
	s_add_i32 s7, s66, s12
	s_add_i32 s7, s7, s13
	;; [unrolled: 1-line block ×4, first 2 shown]
	v_cmp_eq_u64_e64 s[6:7], 3, v[11:12]
	s_and_b64 s[6:7], vcc, s[6:7]
	v_cmp_eq_u64_e32 vcc, 3, v[2:3]
	v_cndmask_b32_e64 v2, 0, 1, s[6:7]
	s_and_b64 s[12:13], s[14:15], vcc
	v_cmp_eq_u64_e32 vcc, 3, v[6:7]
	v_mov_b32_e32 v6, s68
	s_and_b64 s[14:15], s[16:17], vcc
	v_cmp_eq_u64_e32 vcc, 3, v[8:9]
	v_mov_b32_e32 v7, s67
	s_and_b64 s[16:17], s[18:19], vcc
	v_cmp_ne_u32_e32 vcc, 0, v2
	v_cndmask_b32_e64 v2, 0, 1, s[12:13]
	s_bcnt1_i32_b64 s6, vcc
	v_cmp_ne_u32_e32 vcc, 0, v2
	v_cndmask_b32_e64 v2, 0, 1, s[14:15]
	s_bcnt1_i32_b64 s7, vcc
	v_cmp_ne_u32_e32 vcc, 0, v2
	v_cndmask_b32_e64 v2, 0, 1, s[16:17]
	s_add_i32 s6, s65, s6
	s_bcnt1_i32_b64 s12, vcc
	v_cmp_ne_u32_e32 vcc, 0, v2
	s_add_i32 s6, s6, s7
	s_bcnt1_i32_b64 s13, vcc
	s_add_i32 s6, s6, s12
	s_add_i32 s65, s6, s13
	v_cmp_le_u32_e32 vcc, s64, v22
	s_or_b64 s[62:63], vcc, s[62:63]
	v_mov_b32_e32 v8, s66
	v_mov_b32_e32 v9, s65
	s_andn2_b64 exec, exec, s[62:63]
	s_cbranch_execnz .LBB96_61
; %bb.62:                               ;   in Loop: Header=BB96_11 Depth=1
	s_or_b64 exec, exec, s[62:63]
.LBB96_63:                              ;   in Loop: Header=BB96_11 Depth=1
	s_or_b64 exec, exec, s[22:23]
	v_add_u32_e32 v2, s64, v0
	v_cmp_gt_u32_e32 vcc, s3, v2
	s_and_saveexec_b64 s[62:63], vcc
	s_cbranch_execz .LBB96_67
; %bb.64:                               ;   in Loop: Header=BB96_11 Depth=1
	v_lshlrev_b32_e32 v3, 3, v2
	s_mov_b64 s[64:65], 0
.LBB96_65:                              ;   Parent Loop BB96_11 Depth=1
                                        ; =>  This Inner Loop Header: Depth=2
	ds_read_b64 v[21:22], v3
	v_add_u32_e32 v2, s46, v2
	v_cmp_le_u32_e32 vcc, s3, v2
	v_add_u32_e32 v3, s45, v3
	s_waitcnt lgkmcnt(0)
	v_xor_b32_e32 v22, 0x80000000, v22
	v_and_b32_e32 v23, v21, v19
	v_and_b32_e32 v24, v22, v20
	v_lshrrev_b64 v[21:22], s2, v[21:22]
	v_cmp_eq_u64_e64 s[6:7], v[23:24], v[17:18]
	v_and_b32_e32 v11, 3, v21
	v_cmp_eq_u64_e64 s[14:15], 0, v[11:12]
	v_cmp_eq_u64_e64 s[16:17], 1, v[11:12]
	;; [unrolled: 1-line block ×4, first 2 shown]
	s_and_b64 s[12:13], s[6:7], s[14:15]
	v_cndmask_b32_e64 v11, 0, 1, s[12:13]
	s_and_b64 s[12:13], s[6:7], s[16:17]
	v_cndmask_b32_e64 v21, 0, 1, s[12:13]
	s_and_b64 s[12:13], s[6:7], s[18:19]
	s_and_b64 s[6:7], s[6:7], s[22:23]
	v_cndmask_b32_e64 v22, 0, 1, s[12:13]
	v_cndmask_b32_e64 v23, 0, 1, s[6:7]
	v_cmp_ne_u32_e64 s[6:7], 0, v11
	v_cmp_ne_u32_e64 s[14:15], 0, v21
	v_cmp_ne_u32_e64 s[16:17], 0, v22
	v_cmp_ne_u32_e64 s[18:19], 0, v23
	s_bcnt1_i32_b64 s6, s[6:7]
	s_bcnt1_i32_b64 s7, s[14:15]
	;; [unrolled: 1-line block ×4, first 2 shown]
	v_add_u32_e32 v6, s6, v6
	v_add_u32_e32 v7, s7, v7
	v_add_u32_e32 v8, s12, v8
	s_or_b64 s[64:65], vcc, s[64:65]
	v_add_u32_e32 v9, s13, v9
	s_andn2_b64 exec, exec, s[64:65]
	s_cbranch_execnz .LBB96_65
; %bb.66:                               ;   in Loop: Header=BB96_11 Depth=1
	s_or_b64 exec, exec, s[64:65]
.LBB96_67:                              ;   in Loop: Header=BB96_11 Depth=1
	s_or_b64 exec, exec, s[62:63]
	s_lshl_b32 s3, s47, 6
	s_and_saveexec_b64 s[6:7], s[4:5]
	s_cbranch_execnz .LBB96_41
	s_branch .LBB96_42
.LBB96_68:                              ;   in Loop: Header=BB96_11 Depth=1
	v_mov_b32_e32 v2, 0
	s_mov_b32 s12, 0
.LBB96_69:                              ;   in Loop: Header=BB96_11 Depth=1
	v_readlane_b32 s14, v46, 10
	v_readlane_b32 s15, v46, 11
	s_andn2_b64 vcc, exec, s[14:15]
	s_cbranch_vccnz .LBB96_72
; %bb.70:                               ;   in Loop: Header=BB96_11 Depth=1
	s_lshl_b32 s13, s47, 8
	s_lshl_b32 s12, s12, 4
	s_add_i32 s13, s13, s12
	v_add_u32_e32 v3, s13, v40
	v_readlane_b32 s12, v46, 9
.LBB96_71:                              ;   Parent Loop BB96_11 Depth=1
                                        ; =>  This Inner Loop Header: Depth=2
	ds_read_b32 v6, v3
	s_add_i32 s12, s12, -1
	v_add_u32_e32 v3, 16, v3
	s_cmp_lg_u32 s12, 0
	s_waitcnt lgkmcnt(0)
	v_add_u32_e32 v2, v6, v2
	s_cbranch_scc1 .LBB96_71
.LBB96_72:                              ;   in Loop: Header=BB96_11 Depth=1
	v_add_lshl_u32 v3, s3, v26, 2
	ds_write_b32 v3, v2 offset:3072
.LBB96_73:                              ;   in Loop: Header=BB96_11 Depth=1
	s_or_b64 exec, exec, s[6:7]
	s_lshl_b32 s3, s3, 2
	v_mov_b32_e32 v2, s3
	s_waitcnt lgkmcnt(0)
	s_barrier
	ds_read_b128 v[6:9], v2 offset:3072
	s_lshl_b64 s[6:7], 3, s2
	s_not_b64 s[64:65], s[6:7]
	v_cmp_eq_u32_e32 vcc, 1, v41
	s_mov_b64 s[16:17], -1
	s_waitcnt lgkmcnt(0)
	v_readfirstlane_b32 s78, v6
	s_cmp_eq_u32 s78, 1
	s_cselect_b64 s[12:13], -1, 0
	v_readfirstlane_b32 s82, v7
	v_readfirstlane_b32 s90, v8
	;; [unrolled: 1-line block ×3, first 2 shown]
	s_and_b64 s[18:19], s[12:13], vcc
	s_mov_b64 s[66:67], -1
                                        ; implicit-def: $sgpr62_sgpr63
                                        ; implicit-def: $sgpr22_sgpr23
	s_and_saveexec_b64 s[14:15], s[18:19]
	s_cbranch_execz .LBB96_99
; %bb.74:                               ;   in Loop: Header=BB96_11 Depth=1
	ds_read_b32 v2, v12 offset:4104
	s_waitcnt lgkmcnt(0)
	s_barrier
	v_readfirstlane_b32 s12, v2
	s_and_saveexec_b64 s[22:23], s[20:21]
; %bb.75:                               ;   in Loop: Header=BB96_11 Depth=1
	v_mov_b32_e32 v11, v12
	ds_write_b64 v28, v[11:12]
; %bb.76:                               ;   in Loop: Header=BB96_11 Depth=1
	s_or_b64 exec, exec, s[22:23]
	v_and_b32_e32 v18, s65, v18
	v_and_b32_e32 v17, s64, v17
	v_or_b32_e32 v20, s7, v20
	v_or_b32_e32 v19, s6, v19
	s_mov_b64 s[22:23], -1
	s_mov_b64 s[62:63], 0
	s_cmp_eq_u32 s12, 0
	s_mov_b64 s[66:67], 0
	s_mov_b64 s[68:69], -1
	s_waitcnt lgkmcnt(0)
	s_barrier
                                        ; implicit-def: $vgpr4_vgpr5
	s_cbranch_scc1 .LBB96_87
; %bb.77:                               ;   in Loop: Header=BB96_11 Depth=1
	s_add_i32 s13, s12, s30
	s_mul_hi_u32 s66, s13, s41
	s_mul_i32 s66, s66, s46
	s_sub_i32 s66, s13, s66
	s_sub_i32 s67, s66, s46
	s_cmp_ge_u32 s66, s46
	s_cselect_b32 s66, s67, s66
	s_sub_i32 s67, s66, s46
	s_cmp_ge_u32 s66, s46
	s_cselect_b32 s66, s67, s66
	s_sub_i32 s13, s13, s66
	v_cmp_gt_u32_e32 vcc, s13, v0
	s_mov_b64 s[68:69], 0
	s_mov_b64 s[66:67], 0
                                        ; implicit-def: $vgpr4_vgpr5
	s_and_saveexec_b64 s[70:71], vcc
	s_cbranch_execz .LBB96_86
; %bb.78:                               ;   in Loop: Header=BB96_11 Depth=1
	v_mov_b32_e32 v6, v27
	v_mov_b32_e32 v7, v0
                                        ; implicit-def: $sgpr72_sgpr73
	s_branch .LBB96_81
.LBB96_79:                              ;   in Loop: Header=BB96_81 Depth=2
	s_or_b64 exec, exec, s[74:75]
	s_waitcnt lgkmcnt(0)
	s_barrier
	ds_read_b128 v[2:5], v12 offset:3072
	s_mov_b64 s[74:75], -1
	s_mov_b64 s[76:77], -1
	s_waitcnt lgkmcnt(0)
	s_barrier
	v_cmp_ne_u64_e32 vcc, 0, v[2:3]
	s_cbranch_vccz .LBB96_84
.LBB96_80:                              ;   in Loop: Header=BB96_81 Depth=2
	s_and_b64 s[74:75], exec, s[74:75]
	s_or_b64 s[66:67], s[74:75], s[66:67]
	s_andn2_b64 s[72:73], s[72:73], exec
	s_and_b64 s[74:75], s[76:77], exec
	s_or_b64 s[72:73], s[72:73], s[74:75]
	s_andn2_b64 exec, exec, s[66:67]
	s_cbranch_execz .LBB96_85
.LBB96_81:                              ;   Parent Loop BB96_11 Depth=1
                                        ; =>  This Inner Loop Header: Depth=2
	v_cmp_gt_u32_e32 vcc, s12, v7
	s_and_saveexec_b64 s[74:75], vcc
	s_cbranch_execz .LBB96_79
; %bb.82:                               ;   in Loop: Header=BB96_81 Depth=2
	ds_read_b64 v[3:4], v6
	s_waitcnt lgkmcnt(0)
	v_xor_b32_e32 v2, 0x80000000, v4
	v_and_b32_e32 v9, v2, v20
	v_and_b32_e32 v8, v3, v19
	v_cmp_eq_u64_e32 vcc, v[8:9], v[17:18]
	s_and_b64 exec, exec, vcc
	s_cbranch_execz .LBB96_79
; %bb.83:                               ;   in Loop: Header=BB96_81 Depth=2
	v_mov_b32_e32 v2, v12
	ds_write_b128 v12, v[1:4] offset:3072
	s_branch .LBB96_79
.LBB96_84:                              ;   in Loop: Header=BB96_81 Depth=2
	v_add_u32_e32 v7, s46, v7
	v_cmp_le_u32_e32 vcc, s13, v7
	v_add_u32_e32 v6, s45, v6
	s_mov_b64 s[76:77], 0
	s_orn2_b64 s[74:75], vcc, exec
	s_branch .LBB96_80
.LBB96_85:                              ;   in Loop: Header=BB96_11 Depth=1
	s_or_b64 exec, exec, s[66:67]
	s_and_b64 s[66:67], s[72:73], exec
.LBB96_86:                              ;   in Loop: Header=BB96_11 Depth=1
	s_or_b64 exec, exec, s[70:71]
.LBB96_87:                              ;   in Loop: Header=BB96_11 Depth=1
	s_and_b64 vcc, exec, s[68:69]
	s_cbranch_vccz .LBB96_98
; %bb.88:                               ;   in Loop: Header=BB96_11 Depth=1
                                        ; implicit-def: $vgpr4_vgpr5
	s_mov_b64 s[22:23], exec
	v_readlane_b32 s12, v46, 12
	v_readlane_b32 s13, v46, 13
	s_and_b64 s[12:13], s[22:23], s[12:13]
	s_mov_b64 exec, s[12:13]
	s_cbranch_execz .LBB96_97
; %bb.89:                               ;   in Loop: Header=BB96_11 Depth=1
	s_mov_b64 s[68:69], 0
	v_mov_b32_e32 v11, v10
	v_mov_b32_e32 v6, v0
                                        ; implicit-def: $sgpr62_sgpr63
	s_branch .LBB96_92
.LBB96_90:                              ;   in Loop: Header=BB96_92 Depth=2
	s_or_b64 exec, exec, s[70:71]
	s_waitcnt lgkmcnt(0)
	s_barrier
	ds_read_b128 v[2:5], v12 offset:3072
	s_mov_b64 s[70:71], -1
	s_mov_b64 s[72:73], -1
	s_waitcnt lgkmcnt(0)
	s_barrier
	v_cmp_ne_u64_e32 vcc, 0, v[2:3]
	s_cbranch_vccz .LBB96_95
.LBB96_91:                              ;   in Loop: Header=BB96_92 Depth=2
	s_and_b64 s[12:13], exec, s[70:71]
	s_or_b64 s[68:69], s[12:13], s[68:69]
	s_andn2_b64 s[12:13], s[62:63], exec
	s_and_b64 s[62:63], s[72:73], exec
	s_or_b64 s[62:63], s[12:13], s[62:63]
	s_andn2_b64 exec, exec, s[68:69]
	s_cbranch_execz .LBB96_96
.LBB96_92:                              ;   Parent Loop BB96_11 Depth=1
                                        ; =>  This Inner Loop Header: Depth=2
	v_cmp_gt_u32_e32 vcc, s24, v6
	s_and_saveexec_b64 s[70:71], vcc
	s_cbranch_execz .LBB96_90
; %bb.93:                               ;   in Loop: Header=BB96_92 Depth=2
	v_lshlrev_b64 v[2:3], 3, v[11:12]
	v_mov_b32_e32 v4, s25
	v_add_co_u32_e32 v2, vcc, s27, v2
	v_addc_co_u32_e32 v3, vcc, v4, v3, vcc
	global_load_dwordx2 v[3:4], v[2:3], off
	s_waitcnt vmcnt(0)
	v_xor_b32_e32 v2, 0x80000000, v4
	v_and_b32_e32 v8, v2, v20
	v_and_b32_e32 v7, v3, v19
	v_cmp_eq_u64_e32 vcc, v[7:8], v[17:18]
	s_and_b64 exec, exec, vcc
	s_cbranch_execz .LBB96_90
; %bb.94:                               ;   in Loop: Header=BB96_92 Depth=2
	v_mov_b32_e32 v2, v12
	ds_write_b128 v12, v[1:4] offset:3072
	s_branch .LBB96_90
.LBB96_95:                              ;   in Loop: Header=BB96_92 Depth=2
	v_add_u32_e32 v6, s46, v6
	v_cmp_le_u32_e32 vcc, s42, v6
	v_add_u32_e32 v11, s28, v11
	s_mov_b64 s[72:73], 0
	s_orn2_b64 s[70:71], vcc, exec
	s_branch .LBB96_91
.LBB96_96:                              ;   in Loop: Header=BB96_11 Depth=1
	s_or_b64 exec, exec, s[68:69]
	s_andn2_b64 s[12:13], s[66:67], exec
	s_and_b64 s[62:63], s[62:63], exec
	s_or_b64 s[66:67], s[12:13], s[62:63]
.LBB96_97:                              ;   in Loop: Header=BB96_11 Depth=1
	s_or_b64 exec, exec, s[22:23]
	s_mov_b64 s[22:23], 0
	s_mov_b64 s[62:63], -1
.LBB96_98:                              ;   in Loop: Header=BB96_11 Depth=1
	s_orn2_b64 s[66:67], s[66:67], exec
.LBB96_99:                              ;   in Loop: Header=BB96_11 Depth=1
	s_or_b64 exec, exec, s[14:15]
	s_andn2_b64 s[14:15], s[60:61], exec
	s_and_b64 s[60:61], s[62:63], exec
	s_or_b64 s[60:61], s[14:15], s[60:61]
	s_andn2_b64 s[14:15], s[58:59], exec
	s_and_b64 s[22:23], s[22:23], exec
	v_readfirstlane_b32 s12, v0
	v_readfirstlane_b32 s13, v0
	s_andn2_b64 s[56:57], s[56:57], exec
	s_or_b64 s[58:59], s[14:15], s[22:23]
                                        ; implicit-def: $vgpr7
	s_and_saveexec_b64 s[14:15], s[66:67]
	s_cbranch_execz .LBB96_10
; %bb.100:                              ;   in Loop: Header=BB96_11 Depth=1
	s_xor_b64 s[12:13], s[18:19], -1
	s_mov_b64 s[18:19], 0
	v_mov_b32_e32 v7, 1
	v_mov_b32_e32 v6, 1
	s_and_saveexec_b64 s[16:17], s[12:13]
	s_cbranch_execz .LBB96_109
; %bb.101:                              ;   in Loop: Header=BB96_11 Depth=1
	v_cmp_ge_u32_e32 vcc, s78, v41
	s_and_saveexec_b64 s[12:13], vcc
	s_xor_b64 s[18:19], exec, s[12:13]
	s_cbranch_execz .LBB96_106
; %bb.102:                              ;   in Loop: Header=BB96_11 Depth=1
	ds_read_b32 v2, v12 offset:4104
	v_and_b32_e32 v18, s65, v18
	v_and_b32_e32 v17, s64, v17
	v_or_b32_e32 v20, s7, v20
	v_or_b32_e32 v19, s6, v19
	s_waitcnt lgkmcnt(0)
	v_cmp_ne_u32_e32 vcc, 0, v2
	s_cbranch_vccnz .LBB96_106
; %bb.103:                              ;   in Loop: Header=BB96_11 Depth=1
	s_and_saveexec_b64 s[22:23], s[0:1]
; %bb.104:                              ;   in Loop: Header=BB96_11 Depth=1
	v_mov_b32_e32 v2, s78
	ds_write_b32 v12, v2 offset:4108
; %bb.105:                              ;   in Loop: Header=BB96_11 Depth=1
	s_or_b64 exec, exec, s[22:23]
	s_waitcnt lgkmcnt(0)
	s_barrier
.LBB96_106:                             ;   in Loop: Header=BB96_11 Depth=1
	s_or_saveexec_b64 s[18:19], s[18:19]
	s_mov_b64 s[22:23], 0
	v_mov_b32_e32 v6, 8
	s_xor_b64 exec, exec, s[18:19]
; %bb.107:                              ;   in Loop: Header=BB96_11 Depth=1
	s_mov_b64 s[22:23], exec
	v_subrev_u32_e32 v41, s78, v41
	v_mov_b32_e32 v6, 0
; %bb.108:                              ;   in Loop: Header=BB96_11 Depth=1
	s_or_b64 exec, exec, s[18:19]
	s_and_b64 s[18:19], s[22:23], exec
	v_mov_b32_e32 v7, v41
.LBB96_109:                             ;   in Loop: Header=BB96_11 Depth=1
	s_or_b64 exec, exec, s[16:17]
	s_mov_b64 s[16:17], -1
	s_mov_b64 s[66:67], -1
                                        ; implicit-def: $sgpr22_sgpr23
                                        ; implicit-def: $sgpr62_sgpr63
	s_and_saveexec_b64 s[12:13], s[18:19]
	s_xor_b64 s[18:19], exec, s[12:13]
	s_cbranch_execz .LBB96_229
; %bb.110:                              ;   in Loop: Header=BB96_11 Depth=1
	s_cmp_eq_u32 s82, 1
	s_cselect_b64 s[12:13], -1, 0
	v_cmp_eq_u32_e32 vcc, 1, v7
	s_and_b64 s[68:69], s[12:13], vcc
	s_mov_b64 s[70:71], -1
                                        ; implicit-def: $sgpr62_sgpr63
                                        ; implicit-def: $sgpr22_sgpr23
	s_and_saveexec_b64 s[66:67], s[68:69]
	s_cbranch_execz .LBB96_139
; %bb.111:                              ;   in Loop: Header=BB96_11 Depth=1
	ds_read_b32 v2, v12 offset:4104
	s_waitcnt lgkmcnt(0)
	s_barrier
	v_readfirstlane_b32 s83, v2
	s_and_saveexec_b64 s[22:23], s[20:21]
; %bb.112:                              ;   in Loop: Header=BB96_11 Depth=1
	v_mov_b32_e32 v11, v12
	ds_write_b64 v28, v[11:12]
; %bb.113:                              ;   in Loop: Header=BB96_11 Depth=1
	s_or_b64 exec, exec, s[22:23]
	s_lshl_b64 s[12:13], 1, s2
	v_and_b32_e32 v2, s65, v18
	v_and_b32_e32 v3, s64, v17
	v_or_b32_e32 v18, s13, v2
	v_or_b32_e32 v17, s12, v3
	;; [unrolled: 1-line block ×4, first 2 shown]
	s_mov_b64 s[22:23], -1
	s_mov_b64 s[62:63], 0
	s_cmp_eq_u32 s83, 0
	s_mov_b64 s[70:71], 0
	s_mov_b64 s[72:73], -1
	s_waitcnt lgkmcnt(0)
	s_barrier
                                        ; implicit-def: $vgpr4_vgpr5
	s_cbranch_scc1 .LBB96_127
; %bb.114:                              ;   in Loop: Header=BB96_11 Depth=1
	s_add_i32 s12, s83, s30
	s_mul_hi_u32 s13, s12, s41
	s_mul_i32 s13, s13, s46
	s_sub_i32 s13, s12, s13
	s_sub_i32 s70, s13, s46
	s_cmp_ge_u32 s13, s46
	s_cselect_b32 s13, s70, s13
	s_sub_i32 s70, s13, s46
	s_cmp_ge_u32 s13, s46
	s_cselect_b32 s13, s70, s13
	s_sub_i32 s12, s12, s13
	v_cmp_gt_u32_e32 vcc, s12, v0
	s_mov_b64 s[72:73], 0
	s_mov_b64 s[70:71], 0
                                        ; implicit-def: $vgpr4_vgpr5
	s_and_saveexec_b64 s[74:75], vcc
	s_cbranch_execz .LBB96_126
; %bb.115:                              ;   in Loop: Header=BB96_11 Depth=1
	v_mov_b32_e32 v8, v27
	v_mov_b32_e32 v9, v0
                                        ; implicit-def: $sgpr76_sgpr77
	s_branch .LBB96_118
.LBB96_116:                             ;   in Loop: Header=BB96_118 Depth=2
	s_or_b64 exec, exec, s[78:79]
	s_waitcnt lgkmcnt(0)
	s_barrier
	ds_read_b128 v[2:5], v12 offset:3072
	s_mov_b64 s[78:79], -1
	s_mov_b64 s[80:81], -1
	s_waitcnt lgkmcnt(0)
	s_barrier
	v_cmp_ne_u64_e32 vcc, 0, v[2:3]
	s_cbranch_vccz .LBB96_121
.LBB96_117:                             ;   in Loop: Header=BB96_118 Depth=2
	s_and_b64 s[78:79], exec, s[78:79]
	s_or_b64 s[70:71], s[78:79], s[70:71]
	s_andn2_b64 s[76:77], s[76:77], exec
	s_and_b64 s[78:79], s[80:81], exec
	s_or_b64 s[76:77], s[76:77], s[78:79]
	s_andn2_b64 exec, exec, s[70:71]
	s_cbranch_execz .LBB96_125
.LBB96_118:                             ;   Parent Loop BB96_11 Depth=1
                                        ; =>  This Inner Loop Header: Depth=2
	v_cmp_gt_u32_e32 vcc, s83, v9
	s_and_saveexec_b64 s[78:79], vcc
	s_cbranch_execz .LBB96_116
; %bb.119:                              ;   in Loop: Header=BB96_118 Depth=2
	ds_read_b64 v[3:4], v8
	s_waitcnt lgkmcnt(0)
	v_xor_b32_e32 v2, 0x80000000, v4
	v_and_b32_e32 v22, v2, v20
	v_and_b32_e32 v21, v3, v19
	v_cmp_eq_u64_e32 vcc, v[21:22], v[17:18]
	s_and_b64 exec, exec, vcc
	s_cbranch_execz .LBB96_116
; %bb.120:                              ;   in Loop: Header=BB96_118 Depth=2
	v_mov_b32_e32 v2, v12
	ds_write_b128 v12, v[1:4] offset:3072
	s_branch .LBB96_116
.LBB96_121:                             ;   in Loop: Header=BB96_118 Depth=2
	v_add_u32_e32 v9, s46, v9
	v_cmp_le_u32_e32 vcc, s12, v9
	v_add_u32_e32 v8, s45, v8
	s_mov_b64 s[80:81], 0
	s_orn2_b64 s[78:79], vcc, exec
	s_branch .LBB96_117
.LBB96_122:                             ;   in Loop: Header=BB96_11 Depth=1
	s_or_b64 exec, exec, s[18:19]
	s_waitcnt lgkmcnt(0)
	s_barrier
	s_and_saveexec_b64 s[6:7], s[0:1]
	s_cbranch_execz .LBB96_124
; %bb.123:                              ;   in Loop: Header=BB96_11 Depth=1
	ds_read_b32 v2, v12 offset:4112
	s_waitcnt lgkmcnt(0)
	ds_write_b32 v12, v2 offset:4104
.LBB96_124:                             ;   in Loop: Header=BB96_11 Depth=1
	s_or_b64 exec, exec, s[6:7]
	s_waitcnt lgkmcnt(0)
	s_barrier
	s_mov_b64 s[6:7], -1
	s_and_b64 vcc, exec, s[16:17]
	s_cbranch_vccnz .LBB96_27
	s_branch .LBB96_36
.LBB96_125:                             ;   in Loop: Header=BB96_11 Depth=1
	s_or_b64 exec, exec, s[70:71]
	s_and_b64 s[70:71], s[76:77], exec
.LBB96_126:                             ;   in Loop: Header=BB96_11 Depth=1
	s_or_b64 exec, exec, s[74:75]
.LBB96_127:                             ;   in Loop: Header=BB96_11 Depth=1
	s_and_b64 vcc, exec, s[72:73]
	s_cbranch_vccz .LBB96_138
; %bb.128:                              ;   in Loop: Header=BB96_11 Depth=1
                                        ; implicit-def: $vgpr4_vgpr5
	s_mov_b64 s[22:23], exec
	v_readlane_b32 s12, v46, 12
	v_readlane_b32 s13, v46, 13
	s_and_b64 s[12:13], s[22:23], s[12:13]
	s_mov_b64 exec, s[12:13]
	s_cbranch_execz .LBB96_137
; %bb.129:                              ;   in Loop: Header=BB96_11 Depth=1
	s_mov_b64 s[62:63], 0
	v_mov_b32_e32 v11, v10
	v_mov_b32_e32 v8, v0
                                        ; implicit-def: $sgpr72_sgpr73
	s_branch .LBB96_132
.LBB96_130:                             ;   in Loop: Header=BB96_132 Depth=2
	s_or_b64 exec, exec, s[74:75]
	s_waitcnt lgkmcnt(0)
	s_barrier
	ds_read_b128 v[2:5], v12 offset:3072
	s_mov_b64 s[74:75], -1
	s_mov_b64 s[76:77], -1
	s_waitcnt lgkmcnt(0)
	s_barrier
	v_cmp_eq_u64_e32 vcc, 0, v[2:3]
	s_cbranch_vccnz .LBB96_135
.LBB96_131:                             ;   in Loop: Header=BB96_132 Depth=2
	s_and_b64 s[12:13], exec, s[74:75]
	s_or_b64 s[62:63], s[12:13], s[62:63]
	s_andn2_b64 s[12:13], s[72:73], exec
	s_and_b64 s[72:73], s[76:77], exec
	s_or_b64 s[72:73], s[12:13], s[72:73]
	s_andn2_b64 exec, exec, s[62:63]
	s_cbranch_execz .LBB96_136
.LBB96_132:                             ;   Parent Loop BB96_11 Depth=1
                                        ; =>  This Inner Loop Header: Depth=2
	v_cmp_gt_u32_e32 vcc, s24, v8
	s_and_saveexec_b64 s[74:75], vcc
	s_cbranch_execz .LBB96_130
; %bb.133:                              ;   in Loop: Header=BB96_132 Depth=2
	v_lshlrev_b64 v[2:3], 3, v[11:12]
	v_mov_b32_e32 v4, s25
	v_add_co_u32_e32 v2, vcc, s27, v2
	v_addc_co_u32_e32 v3, vcc, v4, v3, vcc
	global_load_dwordx2 v[3:4], v[2:3], off
	s_waitcnt vmcnt(0)
	v_xor_b32_e32 v2, 0x80000000, v4
	v_and_b32_e32 v22, v2, v20
	v_and_b32_e32 v21, v3, v19
	v_cmp_eq_u64_e32 vcc, v[21:22], v[17:18]
	s_and_b64 exec, exec, vcc
	s_cbranch_execz .LBB96_130
; %bb.134:                              ;   in Loop: Header=BB96_132 Depth=2
	v_mov_b32_e32 v2, v12
	ds_write_b128 v12, v[1:4] offset:3072
	s_branch .LBB96_130
.LBB96_135:                             ;   in Loop: Header=BB96_132 Depth=2
	v_add_u32_e32 v8, s46, v8
	v_cmp_le_u32_e32 vcc, s42, v8
	v_add_u32_e32 v11, s28, v11
	s_mov_b64 s[76:77], 0
	s_orn2_b64 s[74:75], vcc, exec
	s_branch .LBB96_131
.LBB96_136:                             ;   in Loop: Header=BB96_11 Depth=1
	s_or_b64 exec, exec, s[62:63]
	s_andn2_b64 s[12:13], s[70:71], exec
	s_and_b64 s[62:63], s[72:73], exec
	s_or_b64 s[70:71], s[12:13], s[62:63]
.LBB96_137:                             ;   in Loop: Header=BB96_11 Depth=1
	s_or_b64 exec, exec, s[22:23]
	s_mov_b64 s[22:23], 0
	s_mov_b64 s[62:63], -1
.LBB96_138:                             ;   in Loop: Header=BB96_11 Depth=1
	s_orn2_b64 s[70:71], s[70:71], exec
.LBB96_139:                             ;   in Loop: Header=BB96_11 Depth=1
	s_or_b64 exec, exec, s[66:67]
	s_mov_b64 s[72:73], 0
	s_and_saveexec_b64 s[66:67], s[70:71]
	s_cbranch_execz .LBB96_228
; %bb.140:                              ;   in Loop: Header=BB96_11 Depth=1
	s_xor_b64 s[12:13], s[68:69], -1
	s_mov_b64 s[76:77], 0
	v_mov_b32_e32 v8, 1
	v_mov_b32_e32 v6, 1
	s_and_saveexec_b64 s[68:69], s[12:13]
	s_cbranch_execz .LBB96_149
; %bb.141:                              ;   in Loop: Header=BB96_11 Depth=1
	v_cmp_ge_u32_e32 vcc, s82, v7
	s_and_saveexec_b64 s[12:13], vcc
	s_xor_b64 s[70:71], exec, s[12:13]
	s_cbranch_execz .LBB96_146
; %bb.142:                              ;   in Loop: Header=BB96_11 Depth=1
	ds_read_b32 v3, v12 offset:4104
	s_lshl_b64 s[12:13], 1, s2
	v_and_b32_e32 v2, s65, v18
	v_and_b32_e32 v6, s64, v17
	v_or_b32_e32 v18, s13, v2
	s_waitcnt lgkmcnt(0)
	v_cmp_ne_u32_e32 vcc, 0, v3
	v_or_b32_e32 v17, s12, v6
	v_or_b32_e32 v20, s7, v20
	;; [unrolled: 1-line block ×3, first 2 shown]
	s_cbranch_vccnz .LBB96_146
; %bb.143:                              ;   in Loop: Header=BB96_11 Depth=1
	s_and_saveexec_b64 s[72:73], s[0:1]
; %bb.144:                              ;   in Loop: Header=BB96_11 Depth=1
	v_mov_b32_e32 v2, s82
	ds_write_b32 v12, v2 offset:4108
; %bb.145:                              ;   in Loop: Header=BB96_11 Depth=1
	s_or_b64 exec, exec, s[72:73]
	s_waitcnt lgkmcnt(0)
	s_barrier
.LBB96_146:                             ;   in Loop: Header=BB96_11 Depth=1
	s_or_saveexec_b64 s[70:71], s[70:71]
	s_mov_b64 s[72:73], 0
	v_mov_b32_e32 v6, 8
	s_xor_b64 exec, exec, s[70:71]
; %bb.147:                              ;   in Loop: Header=BB96_11 Depth=1
	s_mov_b64 s[72:73], exec
	v_subrev_u32_e32 v7, s82, v7
	v_mov_b32_e32 v6, 0
; %bb.148:                              ;   in Loop: Header=BB96_11 Depth=1
	s_or_b64 exec, exec, s[70:71]
	s_and_b64 s[76:77], s[72:73], exec
	v_mov_b32_e32 v8, v7
.LBB96_149:                             ;   in Loop: Header=BB96_11 Depth=1
	s_or_b64 exec, exec, s[68:69]
	s_mov_b64 s[74:75], -1
                                        ; implicit-def: $sgpr70_sgpr71
                                        ; implicit-def: $sgpr72_sgpr73
	s_and_saveexec_b64 s[68:69], s[76:77]
	s_cbranch_execz .LBB96_227
; %bb.150:                              ;   in Loop: Header=BB96_11 Depth=1
	s_cmp_eq_u32 s90, 1
	s_cselect_b64 s[12:13], -1, 0
	v_cmp_eq_u32_e32 vcc, 1, v8
	s_and_b64 s[76:77], s[12:13], vcc
	s_mov_b64 s[78:79], -1
                                        ; implicit-def: $sgpr72_sgpr73
                                        ; implicit-def: $sgpr70_sgpr71
	s_and_saveexec_b64 s[74:75], s[76:77]
	s_cbranch_execz .LBB96_176
; %bb.151:                              ;   in Loop: Header=BB96_11 Depth=1
	ds_read_b32 v2, v12 offset:4104
	s_waitcnt lgkmcnt(0)
	s_barrier
	v_readfirstlane_b32 s91, v2
	s_and_saveexec_b64 s[70:71], s[20:21]
; %bb.152:                              ;   in Loop: Header=BB96_11 Depth=1
	v_mov_b32_e32 v11, v12
	ds_write_b64 v28, v[11:12]
; %bb.153:                              ;   in Loop: Header=BB96_11 Depth=1
	s_or_b64 exec, exec, s[70:71]
	s_lshl_b64 s[12:13], 2, s2
	v_and_b32_e32 v2, s65, v18
	v_and_b32_e32 v3, s64, v17
	v_or_b32_e32 v18, s13, v2
	v_or_b32_e32 v17, s12, v3
	;; [unrolled: 1-line block ×4, first 2 shown]
	s_mov_b64 s[70:71], -1
	s_mov_b64 s[72:73], 0
	s_cmp_eq_u32 s91, 0
	s_mov_b64 s[78:79], 0
	s_mov_b64 s[80:81], -1
	s_waitcnt lgkmcnt(0)
	s_barrier
                                        ; implicit-def: $vgpr4_vgpr5
	s_cbranch_scc1 .LBB96_164
; %bb.154:                              ;   in Loop: Header=BB96_11 Depth=1
	s_add_i32 s12, s91, s30
	s_mul_hi_u32 s13, s12, s41
	s_mul_i32 s13, s13, s46
	s_sub_i32 s13, s12, s13
	s_sub_i32 s78, s13, s46
	s_cmp_ge_u32 s13, s46
	s_cselect_b32 s13, s78, s13
	s_sub_i32 s78, s13, s46
	s_cmp_ge_u32 s13, s46
	s_cselect_b32 s13, s78, s13
	s_sub_i32 s12, s12, s13
	v_cmp_gt_u32_e32 vcc, s12, v0
	s_mov_b64 s[80:81], 0
	s_mov_b64 s[78:79], 0
                                        ; implicit-def: $vgpr4_vgpr5
	s_and_saveexec_b64 s[82:83], vcc
	s_cbranch_execz .LBB96_163
; %bb.155:                              ;   in Loop: Header=BB96_11 Depth=1
	v_mov_b32_e32 v7, v27
	v_mov_b32_e32 v9, v0
                                        ; implicit-def: $sgpr84_sgpr85
	s_branch .LBB96_158
.LBB96_156:                             ;   in Loop: Header=BB96_158 Depth=2
	s_or_b64 exec, exec, s[86:87]
	s_waitcnt lgkmcnt(0)
	s_barrier
	ds_read_b128 v[2:5], v12 offset:3072
	s_mov_b64 s[86:87], -1
	s_mov_b64 s[88:89], -1
	s_waitcnt lgkmcnt(0)
	s_barrier
	v_cmp_ne_u64_e32 vcc, 0, v[2:3]
	s_cbranch_vccz .LBB96_161
.LBB96_157:                             ;   in Loop: Header=BB96_158 Depth=2
	s_and_b64 s[86:87], exec, s[86:87]
	s_or_b64 s[78:79], s[86:87], s[78:79]
	s_andn2_b64 s[84:85], s[84:85], exec
	s_and_b64 s[86:87], s[88:89], exec
	s_or_b64 s[84:85], s[84:85], s[86:87]
	s_andn2_b64 exec, exec, s[78:79]
	s_cbranch_execz .LBB96_162
.LBB96_158:                             ;   Parent Loop BB96_11 Depth=1
                                        ; =>  This Inner Loop Header: Depth=2
	v_cmp_gt_u32_e32 vcc, s91, v9
	s_and_saveexec_b64 s[86:87], vcc
	s_cbranch_execz .LBB96_156
; %bb.159:                              ;   in Loop: Header=BB96_158 Depth=2
	ds_read_b64 v[3:4], v7
	s_waitcnt lgkmcnt(0)
	v_xor_b32_e32 v2, 0x80000000, v4
	v_and_b32_e32 v22, v2, v20
	v_and_b32_e32 v21, v3, v19
	v_cmp_eq_u64_e32 vcc, v[21:22], v[17:18]
	s_and_b64 exec, exec, vcc
	s_cbranch_execz .LBB96_156
; %bb.160:                              ;   in Loop: Header=BB96_158 Depth=2
	v_mov_b32_e32 v2, v12
	ds_write_b128 v12, v[1:4] offset:3072
	s_branch .LBB96_156
.LBB96_161:                             ;   in Loop: Header=BB96_158 Depth=2
	v_add_u32_e32 v9, s46, v9
	v_cmp_le_u32_e32 vcc, s12, v9
	v_add_u32_e32 v7, s45, v7
	s_mov_b64 s[88:89], 0
	s_orn2_b64 s[86:87], vcc, exec
	s_branch .LBB96_157
.LBB96_162:                             ;   in Loop: Header=BB96_11 Depth=1
	s_or_b64 exec, exec, s[78:79]
	s_and_b64 s[78:79], s[84:85], exec
.LBB96_163:                             ;   in Loop: Header=BB96_11 Depth=1
	s_or_b64 exec, exec, s[82:83]
.LBB96_164:                             ;   in Loop: Header=BB96_11 Depth=1
	s_and_b64 vcc, exec, s[80:81]
	s_cbranch_vccz .LBB96_175
; %bb.165:                              ;   in Loop: Header=BB96_11 Depth=1
                                        ; implicit-def: $vgpr4_vgpr5
	s_mov_b64 s[70:71], exec
	v_readlane_b32 s12, v46, 12
	v_readlane_b32 s13, v46, 13
	s_and_b64 s[12:13], s[70:71], s[12:13]
	s_mov_b64 exec, s[12:13]
	s_cbranch_execz .LBB96_174
; %bb.166:                              ;   in Loop: Header=BB96_11 Depth=1
	s_mov_b64 s[72:73], 0
	v_mov_b32_e32 v11, v10
	v_mov_b32_e32 v7, v0
                                        ; implicit-def: $sgpr80_sgpr81
	s_branch .LBB96_169
.LBB96_167:                             ;   in Loop: Header=BB96_169 Depth=2
	s_or_b64 exec, exec, s[82:83]
	s_waitcnt lgkmcnt(0)
	s_barrier
	ds_read_b128 v[2:5], v12 offset:3072
	s_mov_b64 s[82:83], -1
	s_mov_b64 s[84:85], -1
	s_waitcnt lgkmcnt(0)
	s_barrier
	v_cmp_eq_u64_e32 vcc, 0, v[2:3]
	s_cbranch_vccnz .LBB96_172
.LBB96_168:                             ;   in Loop: Header=BB96_169 Depth=2
	s_and_b64 s[12:13], exec, s[82:83]
	s_or_b64 s[72:73], s[12:13], s[72:73]
	s_andn2_b64 s[12:13], s[80:81], exec
	s_and_b64 s[80:81], s[84:85], exec
	s_or_b64 s[80:81], s[12:13], s[80:81]
	s_andn2_b64 exec, exec, s[72:73]
	s_cbranch_execz .LBB96_173
.LBB96_169:                             ;   Parent Loop BB96_11 Depth=1
                                        ; =>  This Inner Loop Header: Depth=2
	v_cmp_gt_u32_e32 vcc, s24, v7
	s_and_saveexec_b64 s[82:83], vcc
	s_cbranch_execz .LBB96_167
; %bb.170:                              ;   in Loop: Header=BB96_169 Depth=2
	v_lshlrev_b64 v[2:3], 3, v[11:12]
	v_mov_b32_e32 v4, s25
	v_add_co_u32_e32 v2, vcc, s27, v2
	v_addc_co_u32_e32 v3, vcc, v4, v3, vcc
	global_load_dwordx2 v[3:4], v[2:3], off
	s_waitcnt vmcnt(0)
	v_xor_b32_e32 v2, 0x80000000, v4
	v_and_b32_e32 v22, v2, v20
	v_and_b32_e32 v21, v3, v19
	v_cmp_eq_u64_e32 vcc, v[21:22], v[17:18]
	s_and_b64 exec, exec, vcc
	s_cbranch_execz .LBB96_167
; %bb.171:                              ;   in Loop: Header=BB96_169 Depth=2
	v_mov_b32_e32 v2, v12
	ds_write_b128 v12, v[1:4] offset:3072
	s_branch .LBB96_167
.LBB96_172:                             ;   in Loop: Header=BB96_169 Depth=2
	v_add_u32_e32 v7, s46, v7
	v_cmp_le_u32_e32 vcc, s42, v7
	v_add_u32_e32 v11, s28, v11
	s_mov_b64 s[84:85], 0
	s_orn2_b64 s[82:83], vcc, exec
	s_branch .LBB96_168
.LBB96_173:                             ;   in Loop: Header=BB96_11 Depth=1
	s_or_b64 exec, exec, s[72:73]
	s_andn2_b64 s[12:13], s[78:79], exec
	s_and_b64 s[72:73], s[80:81], exec
	s_or_b64 s[78:79], s[12:13], s[72:73]
.LBB96_174:                             ;   in Loop: Header=BB96_11 Depth=1
	s_or_b64 exec, exec, s[70:71]
	s_mov_b64 s[70:71], 0
	s_mov_b64 s[72:73], -1
.LBB96_175:                             ;   in Loop: Header=BB96_11 Depth=1
	s_orn2_b64 s[78:79], s[78:79], exec
.LBB96_176:                             ;   in Loop: Header=BB96_11 Depth=1
	s_or_b64 exec, exec, s[74:75]
	s_mov_b64 s[80:81], 0
	s_and_saveexec_b64 s[74:75], s[78:79]
	s_cbranch_execz .LBB96_226
; %bb.177:                              ;   in Loop: Header=BB96_11 Depth=1
	s_xor_b64 s[12:13], s[76:77], -1
	s_mov_b64 s[82:83], 0
	v_mov_b32_e32 v7, 1
	v_mov_b32_e32 v6, 1
	s_and_saveexec_b64 s[76:77], s[12:13]
	s_cbranch_execz .LBB96_186
; %bb.178:                              ;   in Loop: Header=BB96_11 Depth=1
	v_cmp_ge_u32_e32 vcc, s90, v8
	s_and_saveexec_b64 s[12:13], vcc
	s_xor_b64 s[78:79], exec, s[12:13]
	s_cbranch_execz .LBB96_183
; %bb.179:                              ;   in Loop: Header=BB96_11 Depth=1
	ds_read_b32 v3, v12 offset:4104
	s_lshl_b64 s[12:13], 2, s2
	v_and_b32_e32 v2, s65, v18
	v_and_b32_e32 v6, s64, v17
	v_or_b32_e32 v18, s13, v2
	s_waitcnt lgkmcnt(0)
	v_cmp_ne_u32_e32 vcc, 0, v3
	v_or_b32_e32 v17, s12, v6
	v_or_b32_e32 v20, s7, v20
	v_or_b32_e32 v19, s6, v19
	s_cbranch_vccnz .LBB96_183
; %bb.180:                              ;   in Loop: Header=BB96_11 Depth=1
	s_and_saveexec_b64 s[64:65], s[0:1]
; %bb.181:                              ;   in Loop: Header=BB96_11 Depth=1
	v_mov_b32_e32 v2, s90
	ds_write_b32 v12, v2 offset:4108
; %bb.182:                              ;   in Loop: Header=BB96_11 Depth=1
	s_or_b64 exec, exec, s[64:65]
	s_waitcnt lgkmcnt(0)
	s_barrier
.LBB96_183:                             ;   in Loop: Header=BB96_11 Depth=1
	s_or_saveexec_b64 s[64:65], s[78:79]
	s_mov_b64 s[78:79], 0
	v_mov_b32_e32 v6, 8
	s_xor_b64 exec, exec, s[64:65]
; %bb.184:                              ;   in Loop: Header=BB96_11 Depth=1
	s_mov_b64 s[78:79], exec
	v_subrev_u32_e32 v8, s90, v8
	v_mov_b32_e32 v6, 0
; %bb.185:                              ;   in Loop: Header=BB96_11 Depth=1
	s_or_b64 exec, exec, s[64:65]
	s_and_b64 s[82:83], s[78:79], exec
	v_mov_b32_e32 v7, v8
.LBB96_186:                             ;   in Loop: Header=BB96_11 Depth=1
	s_or_b64 exec, exec, s[76:77]
	s_mov_b64 s[80:81], -1
                                        ; implicit-def: $sgpr78_sgpr79
                                        ; implicit-def: $sgpr76_sgpr77
	s_and_saveexec_b64 s[64:65], s[82:83]
	s_cbranch_execz .LBB96_225
; %bb.187:                              ;   in Loop: Header=BB96_11 Depth=1
	s_cmp_eq_u32 s3, 1
	s_cselect_b64 s[12:13], -1, 0
	v_cmp_eq_u32_e32 vcc, 1, v7
	s_and_b64 s[80:81], s[12:13], vcc
	s_mov_b64 s[84:85], -1
                                        ; implicit-def: $sgpr78_sgpr79
                                        ; implicit-def: $sgpr76_sgpr77
	s_and_saveexec_b64 s[82:83], s[80:81]
	s_cbranch_execz .LBB96_213
; %bb.188:                              ;   in Loop: Header=BB96_11 Depth=1
	ds_read_b32 v2, v12 offset:4104
	s_waitcnt lgkmcnt(0)
	s_barrier
	v_readfirstlane_b32 s12, v2
	s_and_saveexec_b64 s[76:77], s[20:21]
; %bb.189:                              ;   in Loop: Header=BB96_11 Depth=1
	v_mov_b32_e32 v11, v12
	ds_write_b64 v28, v[11:12]
; %bb.190:                              ;   in Loop: Header=BB96_11 Depth=1
	s_or_b64 exec, exec, s[76:77]
	v_or_b32_e32 v18, s7, v18
	v_or_b32_e32 v17, s6, v17
	;; [unrolled: 1-line block ×4, first 2 shown]
	s_mov_b64 s[76:77], -1
	s_mov_b64 s[78:79], 0
	s_cmp_eq_u32 s12, 0
	s_mov_b64 s[84:85], 0
	s_mov_b64 s[86:87], -1
	s_waitcnt lgkmcnt(0)
	s_barrier
                                        ; implicit-def: $vgpr4_vgpr5
	s_cbranch_scc1 .LBB96_201
; %bb.191:                              ;   in Loop: Header=BB96_11 Depth=1
	s_add_i32 s13, s12, s30
	s_mul_hi_u32 s84, s13, s41
	s_mul_i32 s84, s84, s46
	s_sub_i32 s84, s13, s84
	s_sub_i32 s85, s84, s46
	s_cmp_ge_u32 s84, s46
	s_cselect_b32 s84, s85, s84
	s_sub_i32 s85, s84, s46
	s_cmp_ge_u32 s84, s46
	s_cselect_b32 s84, s85, s84
	s_sub_i32 s13, s13, s84
	v_cmp_gt_u32_e32 vcc, s13, v0
	s_mov_b64 s[86:87], 0
	s_mov_b64 s[84:85], 0
                                        ; implicit-def: $vgpr4_vgpr5
	s_and_saveexec_b64 s[88:89], vcc
	s_cbranch_execz .LBB96_200
; %bb.192:                              ;   in Loop: Header=BB96_11 Depth=1
	v_writelane_b32 v46, s93, 14
	v_writelane_b32 v46, s94, 15
	;; [unrolled: 1-line block ×3, first 2 shown]
	v_mov_b32_e32 v8, v27
	v_mov_b32_e32 v9, v0
	v_writelane_b32 v46, s92, 17
                                        ; implicit-def: $sgpr90_sgpr91
	s_branch .LBB96_195
.LBB96_193:                             ;   in Loop: Header=BB96_195 Depth=2
	s_or_b64 exec, exec, s[92:93]
	s_waitcnt lgkmcnt(0)
	s_barrier
	ds_read_b128 v[2:5], v12 offset:3072
	s_mov_b64 s[92:93], -1
	s_mov_b64 s[94:95], -1
	s_waitcnt lgkmcnt(0)
	s_barrier
	v_cmp_ne_u64_e32 vcc, 0, v[2:3]
	s_cbranch_vccz .LBB96_198
.LBB96_194:                             ;   in Loop: Header=BB96_195 Depth=2
	s_and_b64 s[92:93], exec, s[92:93]
	s_or_b64 s[84:85], s[92:93], s[84:85]
	s_andn2_b64 s[90:91], s[90:91], exec
	s_and_b64 s[92:93], s[94:95], exec
	s_or_b64 s[90:91], s[90:91], s[92:93]
	s_andn2_b64 exec, exec, s[84:85]
	s_cbranch_execz .LBB96_199
.LBB96_195:                             ;   Parent Loop BB96_11 Depth=1
                                        ; =>  This Inner Loop Header: Depth=2
	v_cmp_gt_u32_e32 vcc, s12, v9
	s_and_saveexec_b64 s[92:93], vcc
	s_cbranch_execz .LBB96_193
; %bb.196:                              ;   in Loop: Header=BB96_195 Depth=2
	ds_read_b64 v[3:4], v8
	s_waitcnt lgkmcnt(0)
	v_xor_b32_e32 v2, 0x80000000, v4
	v_and_b32_e32 v22, v2, v20
	v_and_b32_e32 v21, v3, v19
	v_cmp_eq_u64_e32 vcc, v[21:22], v[17:18]
	s_and_b64 exec, exec, vcc
	s_cbranch_execz .LBB96_193
; %bb.197:                              ;   in Loop: Header=BB96_195 Depth=2
	v_mov_b32_e32 v2, v12
	ds_write_b128 v12, v[1:4] offset:3072
	s_branch .LBB96_193
.LBB96_198:                             ;   in Loop: Header=BB96_195 Depth=2
	v_add_u32_e32 v9, s46, v9
	v_cmp_le_u32_e32 vcc, s13, v9
	v_add_u32_e32 v8, s45, v8
	s_mov_b64 s[94:95], 0
	s_orn2_b64 s[92:93], vcc, exec
	s_branch .LBB96_194
.LBB96_199:                             ;   in Loop: Header=BB96_11 Depth=1
	s_or_b64 exec, exec, s[84:85]
	v_readlane_b32 s94, v46, 15
	s_and_b64 s[84:85], s[90:91], exec
	v_readlane_b32 s92, v46, 17
	v_readlane_b32 s95, v46, 16
	;; [unrolled: 1-line block ×3, first 2 shown]
.LBB96_200:                             ;   in Loop: Header=BB96_11 Depth=1
	s_or_b64 exec, exec, s[88:89]
.LBB96_201:                             ;   in Loop: Header=BB96_11 Depth=1
	s_and_b64 vcc, exec, s[86:87]
	s_cbranch_vccz .LBB96_212
; %bb.202:                              ;   in Loop: Header=BB96_11 Depth=1
                                        ; implicit-def: $vgpr4_vgpr5
	s_mov_b64 s[76:77], exec
	v_readlane_b32 s12, v46, 12
	v_readlane_b32 s13, v46, 13
	s_and_b64 s[12:13], s[76:77], s[12:13]
	s_mov_b64 exec, s[12:13]
	s_cbranch_execz .LBB96_211
; %bb.203:                              ;   in Loop: Header=BB96_11 Depth=1
	s_mov_b64 s[78:79], 0
	v_mov_b32_e32 v11, v10
	v_mov_b32_e32 v8, v0
                                        ; implicit-def: $sgpr86_sgpr87
	s_branch .LBB96_206
.LBB96_204:                             ;   in Loop: Header=BB96_206 Depth=2
	s_or_b64 exec, exec, s[88:89]
	s_waitcnt lgkmcnt(0)
	s_barrier
	ds_read_b128 v[2:5], v12 offset:3072
	s_mov_b64 s[88:89], -1
	s_mov_b64 s[90:91], -1
	s_waitcnt lgkmcnt(0)
	s_barrier
	v_cmp_eq_u64_e32 vcc, 0, v[2:3]
	s_cbranch_vccnz .LBB96_209
.LBB96_205:                             ;   in Loop: Header=BB96_206 Depth=2
	s_and_b64 s[12:13], exec, s[88:89]
	s_or_b64 s[78:79], s[12:13], s[78:79]
	s_andn2_b64 s[12:13], s[86:87], exec
	s_and_b64 s[86:87], s[90:91], exec
	s_or_b64 s[86:87], s[12:13], s[86:87]
	s_andn2_b64 exec, exec, s[78:79]
	s_cbranch_execz .LBB96_210
.LBB96_206:                             ;   Parent Loop BB96_11 Depth=1
                                        ; =>  This Inner Loop Header: Depth=2
	v_cmp_gt_u32_e32 vcc, s24, v8
	s_and_saveexec_b64 s[88:89], vcc
	s_cbranch_execz .LBB96_204
; %bb.207:                              ;   in Loop: Header=BB96_206 Depth=2
	v_lshlrev_b64 v[2:3], 3, v[11:12]
	v_mov_b32_e32 v4, s25
	v_add_co_u32_e32 v2, vcc, s27, v2
	v_addc_co_u32_e32 v3, vcc, v4, v3, vcc
	global_load_dwordx2 v[3:4], v[2:3], off
	s_waitcnt vmcnt(0)
	v_xor_b32_e32 v2, 0x80000000, v4
	v_and_b32_e32 v22, v2, v20
	v_and_b32_e32 v21, v3, v19
	v_cmp_eq_u64_e32 vcc, v[21:22], v[17:18]
	s_and_b64 exec, exec, vcc
	s_cbranch_execz .LBB96_204
; %bb.208:                              ;   in Loop: Header=BB96_206 Depth=2
	v_mov_b32_e32 v2, v12
	ds_write_b128 v12, v[1:4] offset:3072
	s_branch .LBB96_204
.LBB96_209:                             ;   in Loop: Header=BB96_206 Depth=2
	v_add_u32_e32 v8, s46, v8
	v_cmp_le_u32_e32 vcc, s42, v8
	v_add_u32_e32 v11, s28, v11
	s_mov_b64 s[90:91], 0
	s_orn2_b64 s[88:89], vcc, exec
	s_branch .LBB96_205
.LBB96_210:                             ;   in Loop: Header=BB96_11 Depth=1
	s_or_b64 exec, exec, s[78:79]
	s_andn2_b64 s[12:13], s[84:85], exec
	s_and_b64 s[78:79], s[86:87], exec
	s_or_b64 s[84:85], s[12:13], s[78:79]
.LBB96_211:                             ;   in Loop: Header=BB96_11 Depth=1
	s_or_b64 exec, exec, s[76:77]
	s_mov_b64 s[76:77], 0
	s_mov_b64 s[78:79], -1
.LBB96_212:                             ;   in Loop: Header=BB96_11 Depth=1
	s_orn2_b64 s[84:85], s[84:85], exec
.LBB96_213:                             ;   in Loop: Header=BB96_11 Depth=1
	s_or_b64 exec, exec, s[82:83]
	s_mov_b64 s[86:87], 0
	s_and_saveexec_b64 s[82:83], s[84:85]
	s_cbranch_execz .LBB96_224
; %bb.214:                              ;   in Loop: Header=BB96_11 Depth=1
	s_xor_b64 s[12:13], s[80:81], -1
	v_mov_b32_e32 v6, 1
	v_mov_b32_e32 v2, 1
	s_and_saveexec_b64 s[80:81], s[12:13]
	s_cbranch_execz .LBB96_223
; %bb.215:                              ;   in Loop: Header=BB96_11 Depth=1
	v_cmp_ge_u32_e32 vcc, s3, v7
	s_and_saveexec_b64 s[12:13], vcc
	s_xor_b64 s[84:85], exec, s[12:13]
	s_cbranch_execz .LBB96_220
; %bb.216:                              ;   in Loop: Header=BB96_11 Depth=1
	ds_read_b32 v2, v12 offset:4104
	v_or_b32_e32 v18, s7, v18
	v_or_b32_e32 v17, s6, v17
	;; [unrolled: 1-line block ×4, first 2 shown]
	s_waitcnt lgkmcnt(0)
	v_cmp_ne_u32_e32 vcc, 0, v2
	s_cbranch_vccnz .LBB96_220
; %bb.217:                              ;   in Loop: Header=BB96_11 Depth=1
	s_and_saveexec_b64 s[6:7], s[0:1]
; %bb.218:                              ;   in Loop: Header=BB96_11 Depth=1
	v_mov_b32_e32 v2, s3
	ds_write_b32 v12, v2 offset:4108
; %bb.219:                              ;   in Loop: Header=BB96_11 Depth=1
	s_or_b64 exec, exec, s[6:7]
	s_waitcnt lgkmcnt(0)
	s_barrier
.LBB96_220:                             ;   in Loop: Header=BB96_11 Depth=1
	s_andn2_saveexec_b64 s[6:7], s[84:85]
; %bb.221:                              ;   in Loop: Header=BB96_11 Depth=1
	v_subrev_u32_e32 v7, s3, v7
; %bb.222:                              ;   in Loop: Header=BB96_11 Depth=1
	s_or_b64 exec, exec, s[6:7]
	v_mov_b32_e32 v6, 8
	v_mov_b32_e32 v2, v7
.LBB96_223:                             ;   in Loop: Header=BB96_11 Depth=1
	s_or_b64 exec, exec, s[80:81]
	s_mov_b64 s[86:87], exec
	v_mov_b32_e32 v7, v2
.LBB96_224:                             ;   in Loop: Header=BB96_11 Depth=1
	s_or_b64 exec, exec, s[82:83]
	s_orn2_b64 s[80:81], s[86:87], exec
.LBB96_225:                             ;   in Loop: Header=BB96_11 Depth=1
	s_or_b64 exec, exec, s[64:65]
	s_andn2_b64 s[6:7], s[72:73], exec
	s_and_b64 s[12:13], s[78:79], exec
	s_or_b64 s[72:73], s[6:7], s[12:13]
	s_andn2_b64 s[6:7], s[70:71], exec
	s_and_b64 s[12:13], s[76:77], exec
	s_or_b64 s[70:71], s[6:7], s[12:13]
	s_and_b64 s[80:81], s[80:81], exec
	v_mov_b32_e32 v8, v7
.LBB96_226:                             ;   in Loop: Header=BB96_11 Depth=1
	s_or_b64 exec, exec, s[74:75]
	s_orn2_b64 s[74:75], s[80:81], exec
.LBB96_227:                             ;   in Loop: Header=BB96_11 Depth=1
	s_or_b64 exec, exec, s[68:69]
	s_andn2_b64 s[6:7], s[62:63], exec
	s_and_b64 s[12:13], s[72:73], exec
	s_or_b64 s[62:63], s[6:7], s[12:13]
	s_andn2_b64 s[6:7], s[22:23], exec
	s_and_b64 s[12:13], s[70:71], exec
	s_or_b64 s[22:23], s[6:7], s[12:13]
	s_and_b64 s[72:73], s[74:75], exec
	v_mov_b32_e32 v7, v8
.LBB96_228:                             ;   in Loop: Header=BB96_11 Depth=1
	s_or_b64 exec, exec, s[66:67]
	s_orn2_b64 s[66:67], s[72:73], exec
.LBB96_229:                             ;   in Loop: Header=BB96_11 Depth=1
	s_or_b64 exec, exec, s[18:19]
	s_mov_b64 s[18:19], 0
                                        ; implicit-def: $sgpr12
                                        ; implicit-def: $sgpr13
	s_and_saveexec_b64 s[6:7], s[66:67]
	s_xor_b64 s[6:7], exec, s[6:7]
	s_cbranch_execz .LBB96_9
; %bb.230:                              ;   in Loop: Header=BB96_11 Depth=1
	v_and_b32_e32 v2, 7, v6
	v_cmp_eq_u32_e32 vcc, 0, v2
	s_mov_b64 s[16:17], -1
	s_mov_b64 s[18:19], -1
                                        ; implicit-def: $sgpr12
                                        ; implicit-def: $sgpr13
	s_and_saveexec_b64 s[64:65], vcc
	s_cbranch_execz .LBB96_8
; %bb.231:                              ;   in Loop: Header=BB96_11 Depth=1
	s_xor_b32 s13, s47, 1
	s_add_i32 s12, s2, -2
	s_cmp_eq_u32 s2, 0
	s_cselect_b64 s[2:3], -1, 0
	s_xor_b64 s[18:19], exec, -1
	s_orn2_b64 s[16:17], s[2:3], exec
	s_branch .LBB96_8
.LBB96_232:
	s_or_b64 exec, exec, s[48:49]
	s_xor_b64 s[8:9], s[54:55], -1
	s_xor_b64 s[0:1], s[50:51], -1
	;; [unrolled: 1-line block ×3, first 2 shown]
	s_mov_b64 s[4:5], 0
	s_and_saveexec_b64 s[2:3], s[0:1]
	s_xor_b64 s[0:1], exec, s[2:3]
	s_cbranch_execnz .LBB96_237
; %bb.233:
	s_andn2_saveexec_b64 s[0:1], s[0:1]
	s_cbranch_execnz .LBB96_250
.LBB96_234:
	s_or_b64 exec, exec, s[0:1]
	s_and_saveexec_b64 s[0:1], s[4:5]
.LBB96_235:
	; divergent unreachable
.LBB96_236:
	s_endpgm
.LBB96_237:
	s_and_saveexec_b64 s[2:3], s[8:9]
	s_xor_b64 s[4:5], exec, s[2:3]
	s_cbranch_execz .LBB96_248
; %bb.238:
	s_and_saveexec_b64 s[2:3], s[6:7]
	s_xor_b64 s[6:7], exec, s[2:3]
; %bb.239:
	v_xor_b32_e32 v18, 0x80000000, v18
	v_mov_b32_e32 v4, v17
	v_mov_b32_e32 v5, v18
; %bb.240:
	s_or_b64 exec, exec, s[6:7]
	v_readlane_b32 s2, v46, 2
	s_mul_i32 s2, s2, s92
	s_mov_b32 s3, 0
	s_lshl_b64 s[2:3], s[2:3], 3
	v_readlane_b32 s6, v46, 0
	v_readlane_b32 s7, v46, 1
	s_add_u32 s2, s6, s2
	s_addc_u32 s3, s7, s3
	v_mov_b32_e32 v11, 0
	global_store_dwordx2 v11, v[4:5], s[2:3]
	s_mov_b64 s[6:7], exec
	v_readlane_b32 s2, v46, 3
	v_readlane_b32 s3, v46, 4
	s_and_b64 s[2:3], s[6:7], s[2:3]
	s_mov_b64 exec, s[2:3]
	s_cbranch_execz .LBB96_247
; %bb.241:
	s_mov_b64 s[2:3], 0
	v_mov_b32_e32 v2, s25
                                        ; implicit-def: $sgpr8_sgpr9
                                        ; implicit-def: $sgpr12_sgpr13
                                        ; implicit-def: $sgpr10_sgpr11
	s_branch .LBB96_243
.LBB96_242:                             ;   in Loop: Header=BB96_243 Depth=1
	s_or_b64 exec, exec, s[14:15]
	s_and_b64 s[14:15], exec, s[12:13]
	s_or_b64 s[2:3], s[14:15], s[2:3]
	s_andn2_b64 s[8:9], s[8:9], exec
	s_and_b64 s[14:15], s[10:11], exec
	s_or_b64 s[8:9], s[8:9], s[14:15]
	s_andn2_b64 exec, exec, s[2:3]
	s_cbranch_execz .LBB96_245
.LBB96_243:                             ; =>This Inner Loop Header: Depth=1
	v_lshlrev_b64 v[6:7], 3, v[10:11]
	v_mov_b32_e32 v1, v0
	v_add_co_u32_e32 v6, vcc, s27, v6
	v_addc_co_u32_e32 v7, vcc, v2, v7, vcc
	global_load_dwordx2 v[6:7], v[6:7], off
	s_or_b64 s[10:11], s[10:11], exec
	s_or_b64 s[12:13], s[12:13], exec
                                        ; implicit-def: $vgpr0
	s_waitcnt vmcnt(0)
	v_cmp_ne_u64_e32 vcc, v[6:7], v[4:5]
	s_and_saveexec_b64 s[14:15], vcc
	s_cbranch_execz .LBB96_242
; %bb.244:                              ;   in Loop: Header=BB96_243 Depth=1
	v_add_u32_e32 v0, s46, v1
	v_cmp_le_u32_e32 vcc, s24, v0
	s_andn2_b64 s[12:13], s[12:13], exec
	s_and_b64 s[16:17], vcc, exec
	v_add_u32_e32 v10, s28, v10
	s_andn2_b64 s[10:11], s[10:11], exec
	s_or_b64 s[12:13], s[12:13], s[16:17]
	s_branch .LBB96_242
.LBB96_245:
	s_or_b64 exec, exec, s[2:3]
	s_and_saveexec_b64 s[2:3], s[8:9]
	s_xor_b64 s[2:3], exec, s[2:3]
	s_cbranch_execz .LBB96_247
; %bb.246:
	s_mul_i32 s2, s93, s92
	s_mov_b32 s3, 0
	s_lshl_b64 s[2:3], s[2:3], 3
	s_add_u32 s2, s94, s2
	s_addc_u32 s3, s95, s3
	v_mov_b32_e32 v2, 0
	global_store_dwordx2 v2, v[1:2], s[2:3]
.LBB96_247:
	s_or_b64 exec, exec, s[6:7]
.LBB96_248:
	s_or_saveexec_b64 s[2:3], s[4:5]
	s_mov_b64 s[4:5], 0
	s_xor_b64 exec, exec, s[2:3]
	s_cbranch_execnz .LBB96_251
.LBB96_249:
	s_or_b64 exec, exec, s[2:3]
	s_and_b64 s[4:5], s[4:5], exec
	s_andn2_saveexec_b64 s[0:1], s[0:1]
	s_cbranch_execz .LBB96_234
.LBB96_250:
	s_or_b64 s[4:5], s[4:5], exec
	s_trap 2
	s_or_b64 exec, exec, s[0:1]
	s_and_saveexec_b64 s[0:1], s[4:5]
	s_cbranch_execnz .LBB96_235
	s_branch .LBB96_236
.LBB96_251:
	s_mov_b64 s[4:5], exec
	s_trap 2
	s_branch .LBB96_249
	.section	.rodata,"a",@progbits
	.p2align	6, 0x0
	.amdhsa_kernel _ZN2at6native12_GLOBAL__N_112gatherMedianIljLi1EEEvNS_4cuda6detail10TensorInfoIT_T0_EENS5_IlS7_EENS5_IKS6_S7_EES7_S7_S7_b
		.amdhsa_group_segment_fixed_size 4120
		.amdhsa_private_segment_fixed_size 0
		.amdhsa_kernarg_size 920
		.amdhsa_user_sgpr_count 6
		.amdhsa_user_sgpr_private_segment_buffer 1
		.amdhsa_user_sgpr_dispatch_ptr 0
		.amdhsa_user_sgpr_queue_ptr 0
		.amdhsa_user_sgpr_kernarg_segment_ptr 1
		.amdhsa_user_sgpr_dispatch_id 0
		.amdhsa_user_sgpr_flat_scratch_init 0
		.amdhsa_user_sgpr_private_segment_size 0
		.amdhsa_uses_dynamic_stack 0
		.amdhsa_system_sgpr_private_segment_wavefront_offset 0
		.amdhsa_system_sgpr_workgroup_id_x 1
		.amdhsa_system_sgpr_workgroup_id_y 1
		.amdhsa_system_sgpr_workgroup_id_z 1
		.amdhsa_system_sgpr_workgroup_info 0
		.amdhsa_system_vgpr_workitem_id 0
		.amdhsa_next_free_vgpr 47
		.amdhsa_next_free_sgpr 96
		.amdhsa_reserve_vcc 1
		.amdhsa_reserve_flat_scratch 0
		.amdhsa_float_round_mode_32 0
		.amdhsa_float_round_mode_16_64 0
		.amdhsa_float_denorm_mode_32 3
		.amdhsa_float_denorm_mode_16_64 3
		.amdhsa_dx10_clamp 1
		.amdhsa_ieee_mode 1
		.amdhsa_fp16_overflow 0
		.amdhsa_exception_fp_ieee_invalid_op 0
		.amdhsa_exception_fp_denorm_src 0
		.amdhsa_exception_fp_ieee_div_zero 0
		.amdhsa_exception_fp_ieee_overflow 0
		.amdhsa_exception_fp_ieee_underflow 0
		.amdhsa_exception_fp_ieee_inexact 0
		.amdhsa_exception_int_div_zero 0
	.end_amdhsa_kernel
	.section	.text._ZN2at6native12_GLOBAL__N_112gatherMedianIljLi1EEEvNS_4cuda6detail10TensorInfoIT_T0_EENS5_IlS7_EENS5_IKS6_S7_EES7_S7_S7_b,"axG",@progbits,_ZN2at6native12_GLOBAL__N_112gatherMedianIljLi1EEEvNS_4cuda6detail10TensorInfoIT_T0_EENS5_IlS7_EENS5_IKS6_S7_EES7_S7_S7_b,comdat
.Lfunc_end96:
	.size	_ZN2at6native12_GLOBAL__N_112gatherMedianIljLi1EEEvNS_4cuda6detail10TensorInfoIT_T0_EENS5_IlS7_EENS5_IKS6_S7_EES7_S7_S7_b, .Lfunc_end96-_ZN2at6native12_GLOBAL__N_112gatherMedianIljLi1EEEvNS_4cuda6detail10TensorInfoIT_T0_EENS5_IlS7_EENS5_IKS6_S7_EES7_S7_S7_b
                                        ; -- End function
	.set _ZN2at6native12_GLOBAL__N_112gatherMedianIljLi1EEEvNS_4cuda6detail10TensorInfoIT_T0_EENS5_IlS7_EENS5_IKS6_S7_EES7_S7_S7_b.num_vgpr, 47
	.set _ZN2at6native12_GLOBAL__N_112gatherMedianIljLi1EEEvNS_4cuda6detail10TensorInfoIT_T0_EENS5_IlS7_EENS5_IKS6_S7_EES7_S7_S7_b.num_agpr, 0
	.set _ZN2at6native12_GLOBAL__N_112gatherMedianIljLi1EEEvNS_4cuda6detail10TensorInfoIT_T0_EENS5_IlS7_EENS5_IKS6_S7_EES7_S7_S7_b.numbered_sgpr, 96
	.set _ZN2at6native12_GLOBAL__N_112gatherMedianIljLi1EEEvNS_4cuda6detail10TensorInfoIT_T0_EENS5_IlS7_EENS5_IKS6_S7_EES7_S7_S7_b.num_named_barrier, 0
	.set _ZN2at6native12_GLOBAL__N_112gatherMedianIljLi1EEEvNS_4cuda6detail10TensorInfoIT_T0_EENS5_IlS7_EENS5_IKS6_S7_EES7_S7_S7_b.private_seg_size, 0
	.set _ZN2at6native12_GLOBAL__N_112gatherMedianIljLi1EEEvNS_4cuda6detail10TensorInfoIT_T0_EENS5_IlS7_EENS5_IKS6_S7_EES7_S7_S7_b.uses_vcc, 1
	.set _ZN2at6native12_GLOBAL__N_112gatherMedianIljLi1EEEvNS_4cuda6detail10TensorInfoIT_T0_EENS5_IlS7_EENS5_IKS6_S7_EES7_S7_S7_b.uses_flat_scratch, 0
	.set _ZN2at6native12_GLOBAL__N_112gatherMedianIljLi1EEEvNS_4cuda6detail10TensorInfoIT_T0_EENS5_IlS7_EENS5_IKS6_S7_EES7_S7_S7_b.has_dyn_sized_stack, 0
	.set _ZN2at6native12_GLOBAL__N_112gatherMedianIljLi1EEEvNS_4cuda6detail10TensorInfoIT_T0_EENS5_IlS7_EENS5_IKS6_S7_EES7_S7_S7_b.has_recursion, 0
	.set _ZN2at6native12_GLOBAL__N_112gatherMedianIljLi1EEEvNS_4cuda6detail10TensorInfoIT_T0_EENS5_IlS7_EENS5_IKS6_S7_EES7_S7_S7_b.has_indirect_call, 0
	.section	.AMDGPU.csdata,"",@progbits
; Kernel info:
; codeLenInByte = 8796
; TotalNumSgprs: 100
; NumVgprs: 47
; ScratchSize: 0
; MemoryBound: 0
; FloatMode: 240
; IeeeMode: 1
; LDSByteSize: 4120 bytes/workgroup (compile time only)
; SGPRBlocks: 12
; VGPRBlocks: 11
; NumSGPRsForWavesPerEU: 100
; NumVGPRsForWavesPerEU: 47
; Occupancy: 5
; WaveLimiterHint : 1
; COMPUTE_PGM_RSRC2:SCRATCH_EN: 0
; COMPUTE_PGM_RSRC2:USER_SGPR: 6
; COMPUTE_PGM_RSRC2:TRAP_HANDLER: 0
; COMPUTE_PGM_RSRC2:TGID_X_EN: 1
; COMPUTE_PGM_RSRC2:TGID_Y_EN: 1
; COMPUTE_PGM_RSRC2:TGID_Z_EN: 1
; COMPUTE_PGM_RSRC2:TIDIG_COMP_CNT: 0
	.section	.text._ZN2at6native12_GLOBAL__N_112gatherMedianIljLi2EEEvNS_4cuda6detail10TensorInfoIT_T0_EENS5_IlS7_EENS5_IKS6_S7_EES7_S7_S7_b,"axG",@progbits,_ZN2at6native12_GLOBAL__N_112gatherMedianIljLi2EEEvNS_4cuda6detail10TensorInfoIT_T0_EENS5_IlS7_EENS5_IKS6_S7_EES7_S7_S7_b,comdat
	.globl	_ZN2at6native12_GLOBAL__N_112gatherMedianIljLi2EEEvNS_4cuda6detail10TensorInfoIT_T0_EENS5_IlS7_EENS5_IKS6_S7_EES7_S7_S7_b ; -- Begin function _ZN2at6native12_GLOBAL__N_112gatherMedianIljLi2EEEvNS_4cuda6detail10TensorInfoIT_T0_EENS5_IlS7_EENS5_IKS6_S7_EES7_S7_S7_b
	.p2align	8
	.type	_ZN2at6native12_GLOBAL__N_112gatherMedianIljLi2EEEvNS_4cuda6detail10TensorInfoIT_T0_EENS5_IlS7_EENS5_IKS6_S7_EES7_S7_S7_b,@function
_ZN2at6native12_GLOBAL__N_112gatherMedianIljLi2EEEvNS_4cuda6detail10TensorInfoIT_T0_EENS5_IlS7_EENS5_IKS6_S7_EES7_S7_S7_b: ; @_ZN2at6native12_GLOBAL__N_112gatherMedianIljLi2EEEvNS_4cuda6detail10TensorInfoIT_T0_EENS5_IlS7_EENS5_IKS6_S7_EES7_S7_S7_b
; %bb.0:
	s_load_dwordx2 s[12:13], s[4:5], 0x298
	s_load_dwordx4 s[24:27], s[4:5], 0x288
	s_add_u32 s10, s4, 0x298
	s_addc_u32 s11, s5, 0
	s_waitcnt lgkmcnt(0)
	s_mul_i32 s0, s13, s8
	s_add_i32 s0, s0, s7
	s_mul_i32 s0, s0, s12
	s_add_i32 s19, s0, s6
	s_cmp_ge_u32 s19, s25
	s_cbranch_scc1 .LBB97_236
; %bb.1:
	s_load_dword s0, s[4:5], 0xc
	s_load_dword s1, s[4:5], 0xe4
	;; [unrolled: 1-line block ×3, first 2 shown]
                                        ; implicit-def: $vgpr46 : SGPR spill to VGPR lane
	s_waitcnt lgkmcnt(0)
	v_cvt_f32_u32_e32 v1, s0
	v_cvt_f32_u32_e32 v2, s1
	;; [unrolled: 1-line block ×3, first 2 shown]
	v_writelane_b32 v46, s0, 0
	v_rcp_iflag_f32_e32 v1, v1
	v_rcp_iflag_f32_e32 v2, v2
	;; [unrolled: 1-line block ×3, first 2 shown]
	s_sub_i32 s0, 0, s0
	v_mul_f32_e32 v1, 0x4f7ffffe, v1
	v_cvt_u32_f32_e32 v1, v1
	v_mul_f32_e32 v3, 0x4f7ffffe, v3
	v_mul_f32_e32 v2, 0x4f7ffffe, v2
	v_cvt_u32_f32_e32 v3, v3
	v_cvt_u32_f32_e32 v2, v2
	v_readfirstlane_b32 s17, v1
	s_mul_i32 s0, s0, s17
	s_mul_hi_u32 s8, s17, s0
	s_sub_i32 s0, 0, s13
	v_readfirstlane_b32 s7, v3
	v_writelane_b32 v46, s1, 1
	s_sub_i32 s1, 0, s1
	v_readfirstlane_b32 s18, v2
	s_mul_i32 s0, s0, s7
	s_mul_i32 s1, s1, s18
	s_mul_hi_u32 s0, s7, s0
	s_mul_hi_u32 s9, s18, s1
	s_add_i32 s7, s7, s0
	v_cmp_eq_u32_e64 s[0:1], 0, v0
	s_and_saveexec_b64 s[2:3], s[0:1]
; %bb.2:
	v_mov_b32_e32 v1, 0
	v_mov_b32_e32 v2, v1
	ds_write_b64 v1, v[1:2] offset:4096
; %bb.3:
	s_or_b64 exec, exec, s[2:3]
	v_mov_b32_e32 v1, 0
	s_waitcnt lgkmcnt(0)
	s_barrier
	s_barrier
	ds_read_b64 v[1:2], v1 offset:4096
	s_add_i32 s17, s17, s8
	s_add_i32 s18, s18, s9
	s_load_dwordx2 s[8:9], s[4:5], 0x21c
	s_load_dwordx2 s[2:3], s[4:5], 0x1b0
	s_bitcmp1_b32 s27, 0
	s_waitcnt lgkmcnt(0)
	v_readfirstlane_b32 s14, v1
	v_readfirstlane_b32 s15, v2
	v_cmp_lt_i64_e64 s[20:21], s[14:15], 1
	s_cselect_b64 s[22:23], -1, 0
	s_or_b64 s[20:21], s[22:23], s[20:21]
	s_mul_hi_u32 s16, s19, s7
	s_andn2_b64 vcc, exec, s[20:21]
	s_mov_b32 s7, s24
	s_cbranch_vccnz .LBB97_5
; %bb.4:
	s_not_b64 s[14:15], s[14:15]
	s_add_u32 s7, s14, s24
	s_addc_u32 s15, s15, 0
	s_lshr_b32 s14, s15, 31
	s_add_u32 s14, s7, s14
	s_addc_u32 s15, s15, 0
	s_lshr_b64 s[14:15], s[14:15], 1
	s_add_i32 s7, s14, 1
.LBB97_5:
	s_load_dwordx2 s[14:15], s[4:5], 0x144
                                        ; kill: killed $sgpr4 killed $sgpr5
	s_waitcnt lgkmcnt(0)
	v_writelane_b32 v46, s14, 2
	v_writelane_b32 v46, s15, 3
	s_load_dwordx2 s[14:15], s[4:5], 0xd8
	s_waitcnt lgkmcnt(0)
	v_writelane_b32 v46, s14, 4
	v_writelane_b32 v46, s15, 5
	s_load_dwordx2 s[14:15], s[4:5], 0x6c
	;; [unrolled: 4-line block ×3, first 2 shown]
	s_mul_hi_u32 s4, s19, s17
	s_waitcnt lgkmcnt(0)
	v_writelane_b32 v46, s14, 8
	v_writelane_b32 v46, s15, 9
	v_writelane_b32 v46, s4, 10
	s_mul_hi_u32 s4, s19, s18
	v_writelane_b32 v46, s4, 11
	s_and_saveexec_b64 s[4:5], s[0:1]
	s_cbranch_execz .LBB97_7
; %bb.6:
	v_mov_b32_e32 v1, 0
	v_mov_b32_e32 v2, s24
	ds_write_b32 v1, v1 offset:4112
	ds_write_b64 v1, v[1:2] offset:4104
.LBB97_7:
	s_or_b64 exec, exec, s[4:5]
	s_mul_i32 s4, s16, s13
	s_sub_i32 s4, s19, s4
	s_add_i32 s5, s16, 1
	s_sub_i32 s14, s4, s13
	s_cmp_ge_u32 s4, s13
	s_cselect_b32 s5, s5, s16
	s_cselect_b32 s4, s14, s4
	s_add_i32 s14, s5, 1
	s_cmp_ge_u32 s4, s13
	s_cselect_b32 s4, s14, s5
	s_mul_i32 s5, s4, s13
	s_sub_i32 s5, s19, s5
	s_mul_i32 s5, s5, s9
	s_mul_i32 s4, s4, s8
	s_add_i32 s50, s4, s5
	s_mov_b32 s51, 0
	s_waitcnt lgkmcnt(0)
	s_barrier
	s_load_dword s8, s[10:11], 0xc
	v_mul_lo_u32 v10, s26, v0
	s_lshl_b64 s[4:5], s[50:51], 3
	s_add_u32 s35, s2, s4
	v_mov_b32_e32 v12, 0
	v_writelane_b32 v46, s19, 12
	s_addc_u32 s36, s3, s5
	v_cmp_gt_u32_e64 s[2:3], s24, v0
	v_mbcnt_lo_u32_b32 v1, -1, 0
	v_mov_b32_e32 v11, v12
	v_writelane_b32 v46, s2, 13
	v_mbcnt_hi_u32_b32 v26, -1, v1
	v_lshlrev_b64 v[1:2], 3, v[10:11]
	v_writelane_b32 v46, s3, 14
	s_waitcnt lgkmcnt(0)
	s_and_b32 s50, s8, 0xffff
	s_bfe_u32 s2, s8, 0xa0006
	v_cmp_gt_u32_e32 vcc, 64, v0
	v_cmp_gt_i32_e64 s[8:9], 4, v26
	s_and_b64 s[38:39], vcc, s[8:9]
	v_mov_b32_e32 v3, s36
	v_add_co_u32_e32 v13, vcc, s35, v1
	v_addc_co_u32_e32 v14, vcc, v3, v2, vcc
	v_lshlrev_b64 v[1:2], v26, -1
	s_lshl_b32 s27, s50, 2
	v_not_b32_e32 v31, v1
	v_lshrrev_b32_e32 v1, 2, v0
	s_add_i32 s25, s50, -1
	v_and_b32_e32 v1, 0xf0, v1
	s_add_i32 s3, s25, s24
	v_or_b32_e32 v32, 0xc00, v1
	v_cvt_f32_u32_e32 v1, s27
	s_cmpk_gt_u32 s24, 0x180
	s_cselect_b64 s[40:41], -1, 0
	s_cmp_gt_u32 s50, 63
	s_cselect_b64 s[42:43], -1, 0
	s_cmp_lt_u32 s6, s12
	s_cselect_b32 s6, 12, 18
	v_rcp_iflag_f32_e32 v1, v1
	s_add_u32 s8, s10, s6
	s_addc_u32 s9, s11, 0
	v_writelane_b32 v46, s8, 15
	s_add_i32 s6, s2, -1
	v_writelane_b32 v46, s9, 16
	s_bfe_u32 s8, s50, 0x30006
	s_and_b32 s6, s6, 0xffff
	v_mul_f32_e32 v1, 0x4f7ffffe, v1
	s_cmp_gt_u32 s6, 6
	v_cvt_u32_f32_e32 v1, v1
	s_cselect_b64 s[10:11], -1, 0
	v_writelane_b32 v46, s10, 17
	s_and_b32 s34, s2, 0x3f8
	v_writelane_b32 v46, s11, 18
	s_cmp_lg_u32 s8, 0
	v_writelane_b32 v46, s8, 19
	s_cselect_b64 s[8:9], -1, 0
	s_sub_i32 s2, 0, s27
	v_readfirstlane_b32 s6, v1
	v_cvt_f32_u32_e32 v1, s50
	s_mul_i32 s2, s2, s6
	s_mul_hi_u32 s2, s6, s2
	s_add_i32 s44, s6, s2
	s_mul_hi_u32 s2, s24, s44
	v_rcp_iflag_f32_e32 v4, v1
	s_mul_i32 s2, s2, s27
	s_sub_i32 s2, s24, s2
	s_sub_i32 s6, s2, s27
	s_cmp_ge_u32 s2, s27
	v_mul_f32_e32 v4, 0x4f7ffffe, v4
	s_cselect_b32 s2, s6, s2
	v_cvt_u32_f32_e32 v4, v4
	s_sub_i32 s6, s2, s27
	s_cmp_ge_u32 s2, s27
	s_cselect_b32 s2, s6, s2
	s_sub_i32 s45, s24, s2
	s_sub_i32 s6, 0, s50
	v_readfirstlane_b32 s12, v4
	v_add_u32_e32 v33, s45, v0
	s_mul_i32 s6, s6, s12
	v_mul_lo_u32 v11, v33, s26
	s_mul_hi_u32 s6, s12, s6
	s_add_i32 s46, s12, s6
	s_mul_hi_u32 s6, s3, s46
	s_mul_i32 s6, s6, s50
	v_not_b32_e32 v30, v2
	v_lshlrev_b64 v[1:2], 3, v[11:12]
	s_sub_i32 s6, s3, s6
	v_lshlrev_b32_e32 v25, 2, v0
	s_sub_i32 s12, s6, s50
	v_add_co_u32_e32 v15, vcc, s35, v1
	s_cmp_ge_u32 s6, s50
	v_mul_lo_u32 v1, s26, v25
	s_cselect_b32 s6, s12, s6
	s_sub_i32 s12, s6, s50
	s_cmp_ge_u32 s6, s50
	s_cselect_b32 s6, s12, s6
	v_add_u32_e32 v34, s26, v1
	v_or_b32_e32 v1, 2, v25
	s_sub_i32 s47, s3, s6
	v_mul_lo_u32 v35, s26, v1
	v_or_b32_e32 v1, 3, v25
	s_add_i32 s3, s50, s24
	v_mul_lo_u32 v36, s26, v1
	v_add_u32_e32 v1, s3, v0
	v_subrev_u32_e32 v1, s2, v1
	v_mul_lo_u32 v38, s26, v1
	v_writelane_b32 v46, s8, 20
	v_mov_b32_e32 v5, s36
	v_lshlrev_b32_e32 v27, 3, v0
	v_lshlrev_b32_e32 v3, 2, v26
	v_writelane_b32 v46, s9, 21
	v_addc_co_u32_e32 v16, vcc, v5, v2, vcc
	v_cmp_gt_u32_e64 s[12:13], s47, v0
	s_mul_i32 s37, s26, s50
	v_mov_b32_e32 v17, 0
	v_mov_b32_e32 v19, 0
	;; [unrolled: 1-line block ×3, first 2 shown]
	v_cmp_eq_u32_e64 s[4:5], 0, v26
	v_cmp_gt_u32_e64 s[20:21], 2, v0
	v_add_u32_e32 v28, 0xc00, v27
	v_and_b32_e32 v29, 0x100, v3
	v_cmp_gt_u32_e64 s[8:9], s45, v25
	v_cmp_gt_u32_e64 s[10:11], s24, v33
	v_writelane_b32 v46, s12, 22
	s_lshl_b32 s48, s37, 2
	v_lshlrev_b32_e32 v37, 2, v10
	v_lshlrev_b32_e32 v39, 5, v0
	s_lshl_b32 s49, s50, 5
	s_lshl_b32 s33, s50, 3
	v_or_b32_e32 v40, 0xc00, v3
	s_mov_b32 s2, 62
	s_mov_b64 s[52:53], 0
	v_mov_b32_e32 v41, s7
	v_mov_b32_e32 v18, 0
	;; [unrolled: 1-line block ×5, first 2 shown]
	v_writelane_b32 v46, s13, 23
                                        ; implicit-def: $sgpr54_sgpr55
                                        ; implicit-def: $sgpr58_sgpr59
                                        ; implicit-def: $sgpr56_sgpr57
                                        ; implicit-def: $sgpr62_sgpr63
                                        ; implicit-def: $sgpr64_sgpr65
                                        ; implicit-def: $sgpr60_sgpr61
	s_branch .LBB97_11
.LBB97_8:                               ;   in Loop: Header=BB97_11 Depth=1
	s_or_b64 exec, exec, s[28:29]
	s_and_b64 s[18:19], s[18:19], exec
	s_andn2_b64 s[66:67], s[66:67], exec
	s_andn2_b64 s[22:23], s[22:23], exec
	s_orn2_b64 s[16:17], s[16:17], exec
.LBB97_9:                               ;   in Loop: Header=BB97_11 Depth=1
	s_or_b64 exec, exec, s[6:7]
	s_andn2_b64 s[2:3], s[60:61], exec
	s_and_b64 s[6:7], s[18:19], exec
	s_or_b64 s[60:61], s[2:3], s[6:7]
	s_andn2_b64 s[2:3], s[64:65], exec
	s_and_b64 s[6:7], s[66:67], exec
	s_or_b64 s[64:65], s[2:3], s[6:7]
	s_andn2_b64 s[2:3], s[62:63], exec
	s_and_b64 s[6:7], s[22:23], exec
	s_or_b64 s[62:63], s[2:3], s[6:7]
	s_orn2_b64 s[16:17], s[16:17], exec
.LBB97_10:                              ;   in Loop: Header=BB97_11 Depth=1
	s_or_b64 exec, exec, s[14:15]
	s_and_b64 s[2:3], exec, s[16:17]
	s_or_b64 s[52:53], s[2:3], s[52:53]
	s_andn2_b64 s[2:3], s[56:57], exec
	s_and_b64 s[6:7], s[60:61], exec
	s_or_b64 s[56:57], s[2:3], s[6:7]
	s_andn2_b64 s[2:3], s[58:59], exec
	s_and_b64 s[6:7], s[64:65], exec
	;; [unrolled: 3-line block ×3, first 2 shown]
	s_or_b64 s[54:55], s[2:3], s[6:7]
	s_mov_b32 s51, s13
	s_mov_b32 s2, s12
	v_mov_b32_e32 v41, v7
	s_andn2_b64 exec, exec, s[52:53]
	s_cbranch_execz .LBB97_232
.LBB97_11:                              ; =>This Loop Header: Depth=1
                                        ;     Child Loop BB97_17 Depth 2
                                        ;     Child Loop BB97_30 Depth 2
	;; [unrolled: 1-line block ×16, first 2 shown]
	ds_read_b64 v[2:3], v12 offset:4104
	s_waitcnt lgkmcnt(0)
	v_readfirstlane_b32 s3, v2
	s_cmp_lg_u32 s3, 0
	s_cbranch_scc1 .LBB97_38
; %bb.12:                               ;   in Loop: Header=BB97_11 Depth=1
	s_and_b64 vcc, exec, s[40:41]
	s_cbranch_vccz .LBB97_25
; %bb.13:                               ;   in Loop: Header=BB97_11 Depth=1
	s_movk_i32 s3, 0x181
	v_cmp_gt_u32_e32 vcc, s3, v3
	s_mov_b64 s[16:17], 0
	s_mov_b64 s[6:7], 0
	s_cbranch_vccz .LBB97_26
; %bb.14:                               ;   in Loop: Header=BB97_11 Depth=1
	s_mov_b64 s[18:19], exec
	v_readlane_b32 s6, v46, 13
	v_readlane_b32 s7, v46, 14
	s_and_b64 s[6:7], s[18:19], s[6:7]
	s_mov_b64 exec, s[6:7]
	s_cbranch_execz .LBB97_122
; %bb.15:                               ;   in Loop: Header=BB97_11 Depth=1
	v_readlane_b32 s6, v46, 15
	v_readlane_b32 s7, v46, 16
	s_nop 4
	global_load_ushort v8, v12, s[6:7]
	global_load_dwordx2 v[2:3], v[13:14], off
	s_mov_b64 s[22:23], 0
	v_mov_b32_e32 v21, v0
	s_waitcnt vmcnt(1)
	v_add_u32_e32 v6, v0, v8
	v_mul_lo_u32 v11, s26, v6
	v_mul_lo_u32 v9, s26, v8
	s_branch .LBB97_17
.LBB97_16:                              ;   in Loop: Header=BB97_17 Depth=2
	s_or_b64 exec, exec, s[6:7]
	v_mov_b32_e32 v2, v6
	v_add_u32_e32 v11, v11, v9
	v_mov_b32_e32 v3, v7
	s_andn2_b64 exec, exec, s[22:23]
	s_cbranch_execz .LBB97_122
.LBB97_17:                              ;   Parent Loop BB97_11 Depth=1
                                        ; =>  This Inner Loop Header: Depth=2
	v_add_u32_e32 v21, v21, v8
	v_mov_b32_e32 v6, 0
	v_cmp_gt_u32_e64 s[6:7], s24, v21
	v_mov_b32_e32 v7, 0
	v_cmp_le_u32_e32 vcc, s24, v21
	s_and_saveexec_b64 s[14:15], s[6:7]
	s_cbranch_execz .LBB97_19
; %bb.18:                               ;   in Loop: Header=BB97_17 Depth=2
	v_lshlrev_b64 v[6:7], 3, v[11:12]
	s_waitcnt lgkmcnt(0)
	v_mov_b32_e32 v22, s36
	v_add_co_u32_e64 v6, s[6:7], s35, v6
	v_addc_co_u32_e64 v7, s[6:7], v22, v7, s[6:7]
	global_load_dwordx2 v[6:7], v[6:7], off
.LBB97_19:                              ;   in Loop: Header=BB97_17 Depth=2
	s_or_b64 exec, exec, s[14:15]
	s_waitcnt vmcnt(0) lgkmcnt(0)
	v_xor_b32_e32 v22, 0x80000000, v3
	v_and_b32_e32 v23, v22, v20
	v_and_b32_e32 v22, v2, v19
	v_cmp_eq_u64_e64 s[14:15], v[22:23], v[17:18]
	v_mov_b32_e32 v22, 0
	s_cmp_lg_u64 s[14:15], 0
	s_cselect_b64 s[6:7], -1, 0
	s_and_b64 s[6:7], s[4:5], s[6:7]
	s_and_saveexec_b64 s[66:67], s[6:7]
	s_cbranch_execz .LBB97_23
; %bb.20:                               ;   in Loop: Header=BB97_17 Depth=2
	s_mov_b64 s[30:31], exec
	v_mbcnt_lo_u32_b32 v22, s30, 0
	v_mbcnt_hi_u32_b32 v22, s31, v22
	s_bcnt1_i32_b64 s3, s[14:15]
	v_cmp_eq_u32_e64 s[6:7], 0, v22
                                        ; implicit-def: $vgpr23
	s_and_saveexec_b64 s[28:29], s[6:7]
; %bb.21:                               ;   in Loop: Header=BB97_17 Depth=2
	s_bcnt1_i32_b64 s6, s[30:31]
	s_mul_i32 s6, s3, s6
	v_mov_b32_e32 v23, s6
	ds_add_rtn_u32 v23, v12, v23 offset:4112
; %bb.22:                               ;   in Loop: Header=BB97_17 Depth=2
	s_or_b64 exec, exec, s[28:29]
	s_waitcnt lgkmcnt(0)
	v_readfirstlane_b32 s6, v23
	v_mov_b32_e32 v23, s6
	v_mad_u32_u24 v22, s3, v22, v23
.LBB97_23:                              ;   in Loop: Header=BB97_17 Depth=2
	s_or_b64 exec, exec, s[66:67]
	ds_bpermute_b32 v22, v29, v22
	s_and_b64 s[6:7], exec, vcc
	s_or_b64 s[22:23], s[6:7], s[22:23]
	s_and_saveexec_b64 s[6:7], s[14:15]
	s_cbranch_execz .LBB97_16
; %bb.24:                               ;   in Loop: Header=BB97_17 Depth=2
	v_and_b32_e32 v24, s14, v31
	v_and_b32_e32 v23, s15, v30
	v_bcnt_u32_b32 v24, v24, 0
	v_bcnt_u32_b32 v23, v23, v24
	v_lshlrev_b32_e32 v23, 3, v23
	s_waitcnt lgkmcnt(0)
	v_lshl_add_u32 v22, v22, 3, v23
	ds_write_b64 v22, v[2:3]
	s_branch .LBB97_16
.LBB97_25:                              ;   in Loop: Header=BB97_11 Depth=1
	s_mov_b64 s[16:17], -1
	s_mov_b64 s[6:7], 0
.LBB97_26:                              ;   in Loop: Header=BB97_11 Depth=1
	s_and_b64 vcc, exec, s[16:17]
	s_cbranch_vccz .LBB97_36
.LBB97_27:                              ;   in Loop: Header=BB97_11 Depth=1
	s_mov_b64 s[6:7], exec
	v_readlane_b32 s12, v46, 13
	v_readlane_b32 s13, v46, 14
	s_and_b64 s[12:13], s[6:7], s[12:13]
	s_mov_b64 exec, s[12:13]
	s_cbranch_execz .LBB97_33
; %bb.28:                               ;   in Loop: Header=BB97_11 Depth=1
	v_readlane_b32 s12, v46, 15
	v_readlane_b32 s13, v46, 16
	s_nop 4
	global_load_ushort v8, v12, s[12:13]
	global_load_dwordx2 v[2:3], v[13:14], off
	v_mov_b32_e32 v9, v0
	s_waitcnt vmcnt(1)
	v_add_u32_e32 v6, v0, v8
	v_cmp_gt_u32_e32 vcc, s24, v6
	s_and_saveexec_b64 s[14:15], vcc
	s_cbranch_execz .LBB97_32
; %bb.29:                               ;   in Loop: Header=BB97_11 Depth=1
	v_mul_lo_u32 v11, s26, v6
	v_mul_lo_u32 v22, s26, v8
	v_lshlrev_b32_e32 v21, 3, v8
	s_mov_b64 s[16:17], 0
	v_mov_b32_e32 v23, v27
	v_mov_b32_e32 v9, v0
.LBB97_30:                              ;   Parent Loop BB97_11 Depth=1
                                        ; =>  This Inner Loop Header: Depth=2
	v_lshlrev_b64 v[6:7], 3, v[11:12]
	v_mov_b32_e32 v24, s36
	v_add_co_u32_e32 v6, vcc, s35, v6
	v_addc_co_u32_e32 v7, vcc, v24, v7, vcc
	global_load_dwordx2 v[6:7], v[6:7], off
	v_add_u32_e32 v9, v9, v8
	s_waitcnt vmcnt(1)
	ds_write_b64 v23, v[2:3]
	v_add_u32_e32 v2, v8, v9
	v_cmp_le_u32_e32 vcc, s24, v2
	v_add_u32_e32 v23, v23, v21
	v_add_u32_e32 v11, v11, v22
	s_or_b64 s[16:17], vcc, s[16:17]
	s_waitcnt vmcnt(0)
	v_mov_b32_e32 v2, v6
	v_mov_b32_e32 v3, v7
	s_andn2_b64 exec, exec, s[16:17]
	s_cbranch_execnz .LBB97_30
; %bb.31:                               ;   in Loop: Header=BB97_11 Depth=1
	s_or_b64 exec, exec, s[16:17]
	v_mov_b32_e32 v2, v6
	v_mov_b32_e32 v3, v7
.LBB97_32:                              ;   in Loop: Header=BB97_11 Depth=1
	s_or_b64 exec, exec, s[14:15]
	v_lshlrev_b32_e32 v6, 3, v9
	s_waitcnt vmcnt(0)
	ds_write_b64 v6, v[2:3]
.LBB97_33:                              ;   in Loop: Header=BB97_11 Depth=1
	s_or_b64 exec, exec, s[6:7]
	s_waitcnt lgkmcnt(0)
	s_barrier
	s_and_saveexec_b64 s[6:7], s[0:1]
; %bb.34:                               ;   in Loop: Header=BB97_11 Depth=1
	v_mov_b32_e32 v2, s24
	ds_write_b32 v12, v2 offset:4104
; %bb.35:                               ;   in Loop: Header=BB97_11 Depth=1
	s_or_b64 exec, exec, s[6:7]
	s_mov_b64 s[6:7], -1
	s_waitcnt lgkmcnt(0)
	s_barrier
.LBB97_36:                              ;   in Loop: Header=BB97_11 Depth=1
	s_mov_b32 s3, 0
	s_and_b64 vcc, exec, s[6:7]
	s_cbranch_vccz .LBB97_38
; %bb.37:                               ;   in Loop: Header=BB97_11 Depth=1
	ds_read_b32 v2, v12 offset:4104
	s_waitcnt lgkmcnt(0)
	v_readfirstlane_b32 s3, v2
.LBB97_38:                              ;   in Loop: Header=BB97_11 Depth=1
	s_cmp_lt_i32 s3, 1
	s_mov_b64 s[6:7], -1
                                        ; implicit-def: $vgpr6
	s_cbranch_scc1 .LBB97_48
; %bb.39:                               ;   in Loop: Header=BB97_11 Depth=1
	s_and_b64 vcc, exec, s[6:7]
	s_cbranch_vccnz .LBB97_59
.LBB97_40:                              ;   in Loop: Header=BB97_11 Depth=1
	s_lshl_b32 s3, s51, 6
	s_and_saveexec_b64 s[6:7], s[4:5]
.LBB97_41:                              ;   in Loop: Header=BB97_11 Depth=1
	v_lshl_add_u32 v2, s3, 2, v32
	ds_write_b128 v2, v[6:9]
.LBB97_42:                              ;   in Loop: Header=BB97_11 Depth=1
	s_or_b64 exec, exec, s[6:7]
	s_waitcnt lgkmcnt(0)
	s_barrier
	s_and_saveexec_b64 s[6:7], s[38:39]
	s_cbranch_execz .LBB97_73
; %bb.43:                               ;   in Loop: Header=BB97_11 Depth=1
	s_andn2_b64 vcc, exec, s[42:43]
	v_mov_b32_e32 v2, 0
	s_cbranch_vccnz .LBB97_72
; %bb.44:                               ;   in Loop: Header=BB97_11 Depth=1
	v_readlane_b32 s12, v46, 17
	v_readlane_b32 s13, v46, 18
	s_andn2_b64 vcc, exec, s[12:13]
	s_cbranch_vccnz .LBB97_68
; %bb.45:                               ;   in Loop: Header=BB97_11 Depth=1
	v_lshl_add_u32 v3, s51, 8, v40
	s_mov_b32 s12, 0
	v_mov_b32_e32 v2, 0
.LBB97_46:                              ;   Parent Loop BB97_11 Depth=1
                                        ; =>  This Inner Loop Header: Depth=2
	ds_read2_b32 v[6:7], v3 offset1:4
	ds_read2_b32 v[8:9], v3 offset0:8 offset1:12
	ds_read2_b32 v[21:22], v3 offset0:16 offset1:20
	;; [unrolled: 1-line block ×3, first 2 shown]
	s_add_i32 s12, s12, 8
	s_waitcnt lgkmcnt(3)
	v_add3_u32 v2, v6, v2, v7
	s_waitcnt lgkmcnt(2)
	v_add3_u32 v2, v8, v2, v9
	;; [unrolled: 2-line block ×3, first 2 shown]
	v_add_u32_e32 v3, 0x80, v3
	s_cmp_eq_u32 s34, s12
	s_waitcnt lgkmcnt(0)
	v_add3_u32 v2, v23, v2, v24
	s_cbranch_scc0 .LBB97_46
; %bb.47:                               ;   in Loop: Header=BB97_11 Depth=1
	s_mov_b32 s12, s34
	s_branch .LBB97_69
.LBB97_48:                              ;   in Loop: Header=BB97_11 Depth=1
	v_mov_b32_e32 v6, 0
	v_mov_b32_e32 v7, 0
	;; [unrolled: 1-line block ×4, first 2 shown]
	s_and_saveexec_b64 s[22:23], s[8:9]
	s_cbranch_execz .LBB97_52
; %bb.49:                               ;   in Loop: Header=BB97_11 Depth=1
	s_mov_b32 s28, 0
	s_mov_b64 s[66:67], 0
	s_mov_b32 s29, 0
	s_mov_b32 s30, 0
	s_mov_b32 s31, 0
	s_mov_b32 s68, 0
	v_mov_b32_e32 v21, v25
.LBB97_50:                              ;   Parent Loop BB97_11 Depth=1
                                        ; =>  This Inner Loop Header: Depth=2
	v_add_u32_e32 v11, s28, v37
	v_lshlrev_b64 v[2:3], 3, v[11:12]
	v_add_u32_e32 v11, s28, v34
	v_add_co_u32_e32 v2, vcc, s35, v2
	v_mov_b32_e32 v24, s36
	v_lshlrev_b64 v[6:7], 3, v[11:12]
	v_addc_co_u32_e32 v3, vcc, v24, v3, vcc
	v_add_co_u32_e32 v6, vcc, s35, v6
	v_addc_co_u32_e32 v7, vcc, v24, v7, vcc
	v_add_u32_e32 v11, s28, v35
	global_load_dwordx2 v[2:3], v[2:3], off
	v_add_u32_e32 v21, s27, v21
	global_load_dwordx2 v[22:23], v[6:7], off
	v_lshlrev_b64 v[6:7], 3, v[11:12]
	v_add_u32_e32 v11, s28, v36
	v_add_co_u32_e32 v6, vcc, s35, v6
	v_addc_co_u32_e32 v7, vcc, v24, v7, vcc
	global_load_dwordx2 v[8:9], v[6:7], off
	v_lshlrev_b64 v[6:7], 3, v[11:12]
	s_add_i32 s28, s28, s48
	v_add_co_u32_e32 v6, vcc, s35, v6
	v_addc_co_u32_e32 v7, vcc, v24, v7, vcc
	global_load_dwordx2 v[6:7], v[6:7], off
	s_waitcnt vmcnt(3)
	v_xor_b32_e32 v3, 0x80000000, v3
	v_and_b32_e32 v43, v3, v20
	v_and_b32_e32 v42, v2, v19
	v_lshrrev_b64 v[2:3], s2, v[2:3]
	s_waitcnt vmcnt(2)
	v_xor_b32_e32 v23, 0x80000000, v23
	v_and_b32_e32 v11, 3, v2
	v_lshrrev_b64 v[2:3], s2, v[22:23]
	v_cmp_eq_u64_e32 vcc, v[42:43], v[17:18]
	v_and_b32_e32 v43, v23, v20
	s_waitcnt vmcnt(1)
	v_xor_b32_e32 v9, 0x80000000, v9
	v_and_b32_e32 v42, v22, v19
	v_cmp_eq_u64_e64 s[6:7], 0, v[11:12]
	v_cmp_eq_u64_e64 s[14:15], v[42:43], v[17:18]
	v_and_b32_e32 v43, v9, v20
	v_and_b32_e32 v42, v8, v19
	;; [unrolled: 1-line block ×3, first 2 shown]
	v_mov_b32_e32 v3, v12
	v_lshrrev_b64 v[8:9], s2, v[8:9]
	s_waitcnt vmcnt(0)
	v_xor_b32_e32 v7, 0x80000000, v7
	s_and_b64 s[12:13], vcc, s[6:7]
	v_cmp_eq_u64_e64 s[6:7], 0, v[2:3]
	v_cmp_eq_u64_e64 s[16:17], v[42:43], v[17:18]
	v_and_b32_e32 v43, v7, v20
	v_and_b32_e32 v42, v6, v19
	;; [unrolled: 1-line block ×3, first 2 shown]
	v_mov_b32_e32 v9, v12
	v_lshrrev_b64 v[6:7], s2, v[6:7]
	s_and_b64 s[70:71], s[14:15], s[6:7]
	v_cmp_eq_u64_e64 s[6:7], 0, v[8:9]
	v_and_b32_e32 v6, 3, v6
	v_mov_b32_e32 v7, v12
	v_cmp_eq_u64_e64 s[18:19], v[42:43], v[17:18]
	s_and_b64 s[72:73], s[16:17], s[6:7]
	v_cmp_eq_u64_e64 s[6:7], 0, v[6:7]
	v_cndmask_b32_e64 v22, 0, 1, s[12:13]
	s_and_b64 s[74:75], s[18:19], s[6:7]
	v_cmp_ne_u32_e64 s[6:7], 0, v22
	v_cndmask_b32_e64 v22, 0, 1, s[70:71]
	s_bcnt1_i32_b64 s12, s[6:7]
	v_cmp_ne_u32_e64 s[6:7], 0, v22
	v_cndmask_b32_e64 v22, 0, 1, s[72:73]
	s_bcnt1_i32_b64 s13, s[6:7]
	;; [unrolled: 3-line block ×3, first 2 shown]
	v_cmp_ne_u32_e64 s[6:7], 0, v22
	s_bcnt1_i32_b64 s6, s[6:7]
	s_add_i32 s7, s68, s12
	s_add_i32 s7, s7, s13
	;; [unrolled: 1-line block ×4, first 2 shown]
	v_cmp_eq_u64_e64 s[6:7], 1, v[11:12]
	s_and_b64 s[12:13], vcc, s[6:7]
	v_cmp_eq_u64_e64 s[6:7], 1, v[2:3]
	v_cndmask_b32_e64 v22, 0, 1, s[12:13]
	s_and_b64 s[70:71], s[14:15], s[6:7]
	v_cmp_eq_u64_e64 s[6:7], 1, v[8:9]
	s_and_b64 s[72:73], s[16:17], s[6:7]
	v_cmp_eq_u64_e64 s[6:7], 1, v[6:7]
	s_and_b64 s[74:75], s[18:19], s[6:7]
	v_cmp_ne_u32_e64 s[6:7], 0, v22
	v_cndmask_b32_e64 v22, 0, 1, s[70:71]
	s_bcnt1_i32_b64 s12, s[6:7]
	v_cmp_ne_u32_e64 s[6:7], 0, v22
	v_cndmask_b32_e64 v22, 0, 1, s[72:73]
	s_bcnt1_i32_b64 s13, s[6:7]
	;; [unrolled: 3-line block ×3, first 2 shown]
	v_cmp_ne_u32_e64 s[6:7], 0, v22
	s_bcnt1_i32_b64 s6, s[6:7]
	s_add_i32 s7, s31, s12
	s_add_i32 s7, s7, s13
	;; [unrolled: 1-line block ×4, first 2 shown]
	v_cmp_eq_u64_e64 s[6:7], 2, v[11:12]
	s_and_b64 s[12:13], vcc, s[6:7]
	v_cmp_eq_u64_e64 s[6:7], 2, v[2:3]
	v_cndmask_b32_e64 v22, 0, 1, s[12:13]
	s_and_b64 s[70:71], s[14:15], s[6:7]
	v_cmp_eq_u64_e64 s[6:7], 2, v[8:9]
	s_and_b64 s[72:73], s[16:17], s[6:7]
	v_cmp_eq_u64_e64 s[6:7], 2, v[6:7]
	s_and_b64 s[74:75], s[18:19], s[6:7]
	v_cmp_ne_u32_e64 s[6:7], 0, v22
	v_cndmask_b32_e64 v22, 0, 1, s[70:71]
	s_bcnt1_i32_b64 s12, s[6:7]
	v_cmp_ne_u32_e64 s[6:7], 0, v22
	v_cndmask_b32_e64 v22, 0, 1, s[72:73]
	s_bcnt1_i32_b64 s13, s[6:7]
	;; [unrolled: 3-line block ×3, first 2 shown]
	v_cmp_ne_u32_e64 s[6:7], 0, v22
	s_bcnt1_i32_b64 s6, s[6:7]
	s_add_i32 s7, s30, s12
	s_add_i32 s7, s7, s13
	;; [unrolled: 1-line block ×4, first 2 shown]
	v_cmp_eq_u64_e64 s[6:7], 3, v[11:12]
	s_and_b64 s[6:7], vcc, s[6:7]
	v_cmp_eq_u64_e32 vcc, 3, v[2:3]
	v_cndmask_b32_e64 v2, 0, 1, s[6:7]
	s_and_b64 s[12:13], s[14:15], vcc
	v_cmp_eq_u64_e32 vcc, 3, v[8:9]
	v_mov_b32_e32 v8, s30
	s_and_b64 s[14:15], s[16:17], vcc
	v_cmp_eq_u64_e32 vcc, 3, v[6:7]
	v_mov_b32_e32 v6, s68
	s_and_b64 s[16:17], s[18:19], vcc
	v_cmp_ne_u32_e32 vcc, 0, v2
	v_cndmask_b32_e64 v2, 0, 1, s[12:13]
	s_bcnt1_i32_b64 s6, vcc
	v_cmp_ne_u32_e32 vcc, 0, v2
	v_cndmask_b32_e64 v2, 0, 1, s[14:15]
	s_bcnt1_i32_b64 s7, vcc
	v_cmp_ne_u32_e32 vcc, 0, v2
	v_cndmask_b32_e64 v2, 0, 1, s[16:17]
	s_add_i32 s6, s29, s6
	s_bcnt1_i32_b64 s12, vcc
	v_cmp_ne_u32_e32 vcc, 0, v2
	s_add_i32 s6, s6, s7
	s_bcnt1_i32_b64 s13, vcc
	s_add_i32 s6, s6, s12
	s_add_i32 s29, s6, s13
	v_cmp_le_u32_e32 vcc, s45, v21
	s_or_b64 s[66:67], vcc, s[66:67]
	v_mov_b32_e32 v7, s31
	v_mov_b32_e32 v9, s29
	s_andn2_b64 exec, exec, s[66:67]
	s_cbranch_execnz .LBB97_50
; %bb.51:                               ;   in Loop: Header=BB97_11 Depth=1
	s_or_b64 exec, exec, s[66:67]
.LBB97_52:                              ;   in Loop: Header=BB97_11 Depth=1
	s_or_b64 exec, exec, s[22:23]
	s_and_saveexec_b64 s[14:15], s[10:11]
	s_cbranch_execz .LBB97_58
; %bb.53:                               ;   in Loop: Header=BB97_11 Depth=1
	global_load_dwordx2 v[23:24], v[15:16], off
	s_mov_b64 s[16:17], 0
	v_mov_b32_e32 v2, v38
	v_mov_b32_e32 v42, v33
	s_branch .LBB97_55
.LBB97_54:                              ;   in Loop: Header=BB97_55 Depth=2
	s_or_b64 exec, exec, s[18:19]
	s_waitcnt vmcnt(0)
	v_xor_b32_e32 v24, 0x80000000, v24
	v_and_b32_e32 v44, v24, v20
	v_and_b32_e32 v43, v23, v19
	v_lshrrev_b64 v[23:24], s2, v[23:24]
	s_and_b64 s[12:13], exec, vcc
	v_and_b32_e32 v11, 3, v23
	v_cmp_eq_u64_e32 vcc, v[43:44], v[17:18]
	v_cmp_eq_u64_e64 s[6:7], 0, v[11:12]
	s_or_b64 s[16:17], s[12:13], s[16:17]
	s_and_b64 s[6:7], vcc, s[6:7]
	v_cndmask_b32_e64 v3, 0, 1, s[6:7]
	v_cmp_ne_u32_e64 s[6:7], 0, v3
	s_bcnt1_i32_b64 s12, s[6:7]
	v_cmp_eq_u64_e64 s[6:7], 1, v[11:12]
	v_add_u32_e32 v6, s12, v6
	s_and_b64 s[6:7], vcc, s[6:7]
	v_cndmask_b32_e64 v3, 0, 1, s[6:7]
	v_cmp_ne_u32_e64 s[6:7], 0, v3
	s_bcnt1_i32_b64 s12, s[6:7]
	v_cmp_eq_u64_e64 s[6:7], 2, v[11:12]
	v_add_u32_e32 v7, s12, v7
	s_and_b64 s[6:7], vcc, s[6:7]
	v_cndmask_b32_e64 v3, 0, 1, s[6:7]
	v_cmp_ne_u32_e64 s[6:7], 0, v3
	s_bcnt1_i32_b64 s12, s[6:7]
	v_cmp_eq_u64_e64 s[6:7], 3, v[11:12]
	v_mov_b32_e32 v24, v22
	s_and_b64 s[6:7], vcc, s[6:7]
	v_cndmask_b32_e64 v3, 0, 1, s[6:7]
	v_cmp_ne_u32_e32 vcc, 0, v3
	s_bcnt1_i32_b64 s6, vcc
	v_add_u32_e32 v8, s12, v8
	v_add_u32_e32 v9, s6, v9
	;; [unrolled: 1-line block ×3, first 2 shown]
	v_mov_b32_e32 v23, v21
	s_andn2_b64 exec, exec, s[16:17]
	s_cbranch_execz .LBB97_57
.LBB97_55:                              ;   Parent Loop BB97_11 Depth=1
                                        ; =>  This Inner Loop Header: Depth=2
	v_add_u32_e32 v42, s50, v42
	v_mov_b32_e32 v21, 0
	v_cmp_gt_u32_e64 s[6:7], s24, v42
	v_mov_b32_e32 v22, 0
	v_cmp_le_u32_e32 vcc, s24, v42
	s_and_saveexec_b64 s[18:19], s[6:7]
	s_cbranch_execz .LBB97_54
; %bb.56:                               ;   in Loop: Header=BB97_55 Depth=2
	v_mov_b32_e32 v3, v12
	v_lshlrev_b64 v[21:22], 3, v[2:3]
	v_mov_b32_e32 v3, s36
	v_add_co_u32_e64 v21, s[6:7], s35, v21
	v_addc_co_u32_e64 v22, s[6:7], v3, v22, s[6:7]
	global_load_dwordx2 v[21:22], v[21:22], off
	s_branch .LBB97_54
.LBB97_57:                              ;   in Loop: Header=BB97_11 Depth=1
	s_or_b64 exec, exec, s[16:17]
.LBB97_58:                              ;   in Loop: Header=BB97_11 Depth=1
	s_or_b64 exec, exec, s[14:15]
	s_branch .LBB97_40
.LBB97_59:                              ;   in Loop: Header=BB97_11 Depth=1
	s_mul_hi_u32 s6, s3, s44
	s_mul_i32 s6, s6, s27
	s_sub_i32 s6, s3, s6
	s_sub_i32 s7, s6, s27
	s_cmp_ge_u32 s6, s27
	s_cselect_b32 s6, s7, s6
	s_sub_i32 s7, s6, s27
	s_cmp_ge_u32 s6, s27
	s_cselect_b32 s6, s7, s6
	s_sub_i32 s28, s3, s6
	v_cmp_gt_u32_e32 vcc, s28, v25
	v_mov_b32_e32 v6, 0
	v_mov_b32_e32 v7, 0
	;; [unrolled: 1-line block ×4, first 2 shown]
	s_and_saveexec_b64 s[22:23], vcc
	s_cbranch_execz .LBB97_63
; %bb.60:                               ;   in Loop: Header=BB97_11 Depth=1
	s_mov_b32 s29, 0
	s_mov_b64 s[66:67], 0
	v_mov_b32_e32 v21, v39
	s_mov_b32 s30, 0
	s_mov_b32 s31, 0
	;; [unrolled: 1-line block ×3, first 2 shown]
	v_mov_b32_e32 v22, v25
.LBB97_61:                              ;   Parent Loop BB97_11 Depth=1
                                        ; =>  This Inner Loop Header: Depth=2
	ds_read_b128 v[42:45], v21
	ds_read_b128 v[6:9], v21 offset:16
	v_add_u32_e32 v22, s27, v22
	v_add_u32_e32 v21, s49, v21
	s_waitcnt lgkmcnt(1)
	v_xor_b32_e32 v43, 0x80000000, v43
	v_xor_b32_e32 v45, 0x80000000, v45
	v_and_b32_e32 v3, v43, v20
	v_and_b32_e32 v2, v42, v19
	s_waitcnt lgkmcnt(0)
	v_xor_b32_e32 v7, 0x80000000, v7
	v_cmp_eq_u64_e32 vcc, v[2:3], v[17:18]
	v_and_b32_e32 v3, v45, v20
	v_and_b32_e32 v2, v44, v19
	v_xor_b32_e32 v9, 0x80000000, v9
	v_cmp_eq_u64_e64 s[14:15], v[2:3], v[17:18]
	v_and_b32_e32 v3, v7, v20
	v_and_b32_e32 v2, v6, v19
	v_cmp_eq_u64_e64 s[16:17], v[2:3], v[17:18]
	v_and_b32_e32 v3, v9, v20
	v_and_b32_e32 v2, v8, v19
	v_cmp_eq_u64_e64 s[18:19], v[2:3], v[17:18]
	v_lshrrev_b64 v[2:3], s2, v[42:43]
	v_lshrrev_b64 v[6:7], s2, v[6:7]
	v_and_b32_e32 v11, 3, v2
	v_lshrrev_b64 v[2:3], s2, v[44:45]
	v_cmp_eq_u64_e64 s[6:7], 0, v[11:12]
	v_and_b32_e32 v2, 3, v2
	v_mov_b32_e32 v3, v12
	s_and_b64 s[12:13], vcc, s[6:7]
	v_cmp_eq_u64_e64 s[6:7], 0, v[2:3]
	v_and_b32_e32 v6, 3, v6
	v_mov_b32_e32 v7, v12
	v_lshrrev_b64 v[8:9], s2, v[8:9]
	s_and_b64 s[70:71], s[14:15], s[6:7]
	v_cmp_eq_u64_e64 s[6:7], 0, v[6:7]
	v_and_b32_e32 v8, 3, v8
	v_mov_b32_e32 v9, v12
	s_and_b64 s[72:73], s[16:17], s[6:7]
	v_cmp_eq_u64_e64 s[6:7], 0, v[8:9]
	v_cndmask_b32_e64 v23, 0, 1, s[12:13]
	s_and_b64 s[74:75], s[18:19], s[6:7]
	v_cmp_ne_u32_e64 s[6:7], 0, v23
	v_cndmask_b32_e64 v23, 0, 1, s[70:71]
	s_bcnt1_i32_b64 s12, s[6:7]
	v_cmp_ne_u32_e64 s[6:7], 0, v23
	v_cndmask_b32_e64 v23, 0, 1, s[72:73]
	s_bcnt1_i32_b64 s13, s[6:7]
	;; [unrolled: 3-line block ×3, first 2 shown]
	v_cmp_ne_u32_e64 s[6:7], 0, v23
	s_bcnt1_i32_b64 s6, s[6:7]
	s_add_i32 s7, s68, s12
	s_add_i32 s7, s7, s13
	;; [unrolled: 1-line block ×4, first 2 shown]
	v_cmp_eq_u64_e64 s[6:7], 1, v[11:12]
	s_and_b64 s[12:13], vcc, s[6:7]
	v_cmp_eq_u64_e64 s[6:7], 1, v[2:3]
	v_cndmask_b32_e64 v23, 0, 1, s[12:13]
	s_and_b64 s[70:71], s[14:15], s[6:7]
	v_cmp_eq_u64_e64 s[6:7], 1, v[6:7]
	s_and_b64 s[72:73], s[16:17], s[6:7]
	v_cmp_eq_u64_e64 s[6:7], 1, v[8:9]
	s_and_b64 s[74:75], s[18:19], s[6:7]
	v_cmp_ne_u32_e64 s[6:7], 0, v23
	v_cndmask_b32_e64 v23, 0, 1, s[70:71]
	s_bcnt1_i32_b64 s12, s[6:7]
	v_cmp_ne_u32_e64 s[6:7], 0, v23
	v_cndmask_b32_e64 v23, 0, 1, s[72:73]
	s_bcnt1_i32_b64 s13, s[6:7]
	;; [unrolled: 3-line block ×3, first 2 shown]
	v_cmp_ne_u32_e64 s[6:7], 0, v23
	s_bcnt1_i32_b64 s6, s[6:7]
	s_add_i32 s7, s31, s12
	s_add_i32 s7, s7, s13
	;; [unrolled: 1-line block ×4, first 2 shown]
	v_cmp_eq_u64_e64 s[6:7], 2, v[11:12]
	s_and_b64 s[12:13], vcc, s[6:7]
	v_cmp_eq_u64_e64 s[6:7], 2, v[2:3]
	v_cndmask_b32_e64 v23, 0, 1, s[12:13]
	s_and_b64 s[70:71], s[14:15], s[6:7]
	v_cmp_eq_u64_e64 s[6:7], 2, v[6:7]
	s_and_b64 s[72:73], s[16:17], s[6:7]
	v_cmp_eq_u64_e64 s[6:7], 2, v[8:9]
	s_and_b64 s[74:75], s[18:19], s[6:7]
	v_cmp_ne_u32_e64 s[6:7], 0, v23
	v_cndmask_b32_e64 v23, 0, 1, s[70:71]
	s_bcnt1_i32_b64 s12, s[6:7]
	v_cmp_ne_u32_e64 s[6:7], 0, v23
	v_cndmask_b32_e64 v23, 0, 1, s[72:73]
	s_bcnt1_i32_b64 s13, s[6:7]
	;; [unrolled: 3-line block ×3, first 2 shown]
	v_cmp_ne_u32_e64 s[6:7], 0, v23
	s_bcnt1_i32_b64 s6, s[6:7]
	s_add_i32 s7, s30, s12
	s_add_i32 s7, s7, s13
	;; [unrolled: 1-line block ×4, first 2 shown]
	v_cmp_eq_u64_e64 s[6:7], 3, v[11:12]
	s_and_b64 s[6:7], vcc, s[6:7]
	v_cmp_eq_u64_e32 vcc, 3, v[2:3]
	v_cndmask_b32_e64 v2, 0, 1, s[6:7]
	s_and_b64 s[12:13], s[14:15], vcc
	v_cmp_eq_u64_e32 vcc, 3, v[6:7]
	v_mov_b32_e32 v6, s68
	s_and_b64 s[14:15], s[16:17], vcc
	v_cmp_eq_u64_e32 vcc, 3, v[8:9]
	v_mov_b32_e32 v7, s31
	s_and_b64 s[16:17], s[18:19], vcc
	v_cmp_ne_u32_e32 vcc, 0, v2
	v_cndmask_b32_e64 v2, 0, 1, s[12:13]
	s_bcnt1_i32_b64 s6, vcc
	v_cmp_ne_u32_e32 vcc, 0, v2
	v_cndmask_b32_e64 v2, 0, 1, s[14:15]
	s_bcnt1_i32_b64 s7, vcc
	v_cmp_ne_u32_e32 vcc, 0, v2
	v_cndmask_b32_e64 v2, 0, 1, s[16:17]
	s_add_i32 s6, s29, s6
	s_bcnt1_i32_b64 s12, vcc
	v_cmp_ne_u32_e32 vcc, 0, v2
	s_add_i32 s6, s6, s7
	s_bcnt1_i32_b64 s13, vcc
	s_add_i32 s6, s6, s12
	s_add_i32 s29, s6, s13
	v_cmp_le_u32_e32 vcc, s28, v22
	s_or_b64 s[66:67], vcc, s[66:67]
	v_mov_b32_e32 v8, s30
	v_mov_b32_e32 v9, s29
	s_andn2_b64 exec, exec, s[66:67]
	s_cbranch_execnz .LBB97_61
; %bb.62:                               ;   in Loop: Header=BB97_11 Depth=1
	s_or_b64 exec, exec, s[66:67]
.LBB97_63:                              ;   in Loop: Header=BB97_11 Depth=1
	s_or_b64 exec, exec, s[22:23]
	v_add_u32_e32 v2, s28, v0
	v_cmp_gt_u32_e32 vcc, s3, v2
	s_and_saveexec_b64 s[66:67], vcc
	s_cbranch_execz .LBB97_67
; %bb.64:                               ;   in Loop: Header=BB97_11 Depth=1
	v_lshlrev_b32_e32 v3, 3, v2
	s_mov_b64 s[68:69], 0
.LBB97_65:                              ;   Parent Loop BB97_11 Depth=1
                                        ; =>  This Inner Loop Header: Depth=2
	ds_read_b64 v[21:22], v3
	v_add_u32_e32 v2, s50, v2
	v_cmp_le_u32_e32 vcc, s3, v2
	v_add_u32_e32 v3, s33, v3
	s_waitcnt lgkmcnt(0)
	v_xor_b32_e32 v22, 0x80000000, v22
	v_and_b32_e32 v23, v21, v19
	v_and_b32_e32 v24, v22, v20
	v_lshrrev_b64 v[21:22], s2, v[21:22]
	v_cmp_eq_u64_e64 s[6:7], v[23:24], v[17:18]
	v_and_b32_e32 v11, 3, v21
	v_cmp_eq_u64_e64 s[14:15], 0, v[11:12]
	v_cmp_eq_u64_e64 s[16:17], 1, v[11:12]
	;; [unrolled: 1-line block ×4, first 2 shown]
	s_and_b64 s[12:13], s[6:7], s[14:15]
	v_cndmask_b32_e64 v11, 0, 1, s[12:13]
	s_and_b64 s[12:13], s[6:7], s[16:17]
	v_cndmask_b32_e64 v21, 0, 1, s[12:13]
	s_and_b64 s[12:13], s[6:7], s[18:19]
	s_and_b64 s[6:7], s[6:7], s[22:23]
	v_cndmask_b32_e64 v22, 0, 1, s[12:13]
	v_cndmask_b32_e64 v23, 0, 1, s[6:7]
	v_cmp_ne_u32_e64 s[6:7], 0, v11
	v_cmp_ne_u32_e64 s[14:15], 0, v21
	;; [unrolled: 1-line block ×4, first 2 shown]
	s_bcnt1_i32_b64 s6, s[6:7]
	s_bcnt1_i32_b64 s7, s[14:15]
	;; [unrolled: 1-line block ×4, first 2 shown]
	v_add_u32_e32 v6, s6, v6
	v_add_u32_e32 v7, s7, v7
	;; [unrolled: 1-line block ×3, first 2 shown]
	s_or_b64 s[68:69], vcc, s[68:69]
	v_add_u32_e32 v9, s13, v9
	s_andn2_b64 exec, exec, s[68:69]
	s_cbranch_execnz .LBB97_65
; %bb.66:                               ;   in Loop: Header=BB97_11 Depth=1
	s_or_b64 exec, exec, s[68:69]
.LBB97_67:                              ;   in Loop: Header=BB97_11 Depth=1
	s_or_b64 exec, exec, s[66:67]
	s_lshl_b32 s3, s51, 6
	s_and_saveexec_b64 s[6:7], s[4:5]
	s_cbranch_execnz .LBB97_41
	s_branch .LBB97_42
.LBB97_68:                              ;   in Loop: Header=BB97_11 Depth=1
	v_mov_b32_e32 v2, 0
	s_mov_b32 s12, 0
.LBB97_69:                              ;   in Loop: Header=BB97_11 Depth=1
	v_readlane_b32 s14, v46, 20
	v_readlane_b32 s15, v46, 21
	s_andn2_b64 vcc, exec, s[14:15]
	s_cbranch_vccnz .LBB97_72
; %bb.70:                               ;   in Loop: Header=BB97_11 Depth=1
	s_lshl_b32 s13, s51, 8
	s_lshl_b32 s12, s12, 4
	s_add_i32 s13, s13, s12
	v_add_u32_e32 v3, s13, v40
	v_readlane_b32 s12, v46, 19
.LBB97_71:                              ;   Parent Loop BB97_11 Depth=1
                                        ; =>  This Inner Loop Header: Depth=2
	ds_read_b32 v6, v3
	s_add_i32 s12, s12, -1
	v_add_u32_e32 v3, 16, v3
	s_cmp_lg_u32 s12, 0
	s_waitcnt lgkmcnt(0)
	v_add_u32_e32 v2, v6, v2
	s_cbranch_scc1 .LBB97_71
.LBB97_72:                              ;   in Loop: Header=BB97_11 Depth=1
	v_add_lshl_u32 v3, s3, v26, 2
	ds_write_b32 v3, v2 offset:3072
.LBB97_73:                              ;   in Loop: Header=BB97_11 Depth=1
	s_or_b64 exec, exec, s[6:7]
	s_lshl_b32 s3, s3, 2
	v_mov_b32_e32 v2, s3
	s_waitcnt lgkmcnt(0)
	s_barrier
	ds_read_b128 v[6:9], v2 offset:3072
	s_lshl_b64 s[6:7], 3, s2
	s_not_b64 s[68:69], s[6:7]
	v_cmp_eq_u32_e32 vcc, 1, v41
	s_mov_b64 s[16:17], -1
	s_waitcnt lgkmcnt(0)
	v_readfirstlane_b32 s80, v6
	s_cmp_eq_u32 s80, 1
	s_cselect_b64 s[12:13], -1, 0
	v_readfirstlane_b32 s31, v7
	v_readfirstlane_b32 s30, v8
	;; [unrolled: 1-line block ×3, first 2 shown]
	s_and_b64 s[18:19], s[12:13], vcc
	s_mov_b64 s[70:71], -1
                                        ; implicit-def: $sgpr66_sgpr67
                                        ; implicit-def: $sgpr22_sgpr23
	s_and_saveexec_b64 s[14:15], s[18:19]
	s_cbranch_execz .LBB97_99
; %bb.74:                               ;   in Loop: Header=BB97_11 Depth=1
	ds_read_b32 v2, v12 offset:4104
	s_waitcnt lgkmcnt(0)
	s_barrier
	v_readfirstlane_b32 s12, v2
	s_and_saveexec_b64 s[22:23], s[20:21]
; %bb.75:                               ;   in Loop: Header=BB97_11 Depth=1
	v_mov_b32_e32 v11, v12
	ds_write_b64 v28, v[11:12]
; %bb.76:                               ;   in Loop: Header=BB97_11 Depth=1
	s_or_b64 exec, exec, s[22:23]
	v_and_b32_e32 v18, s69, v18
	v_and_b32_e32 v17, s68, v17
	v_or_b32_e32 v20, s7, v20
	v_or_b32_e32 v19, s6, v19
	s_mov_b64 s[22:23], -1
	s_mov_b64 s[66:67], 0
	s_cmp_eq_u32 s12, 0
	s_mov_b64 s[70:71], 0
	s_mov_b64 s[72:73], -1
	s_waitcnt lgkmcnt(0)
	s_barrier
                                        ; implicit-def: $vgpr4_vgpr5
	s_cbranch_scc1 .LBB97_87
; %bb.77:                               ;   in Loop: Header=BB97_11 Depth=1
	s_add_i32 s13, s12, s25
	s_mul_hi_u32 s28, s13, s46
	s_mul_i32 s28, s28, s50
	s_sub_i32 s28, s13, s28
	s_sub_i32 s29, s28, s50
	s_cmp_ge_u32 s28, s50
	s_cselect_b32 s28, s29, s28
	s_sub_i32 s29, s28, s50
	s_cmp_ge_u32 s28, s50
	s_cselect_b32 s28, s29, s28
	s_sub_i32 s13, s13, s28
	v_cmp_gt_u32_e32 vcc, s13, v0
	s_mov_b64 s[72:73], 0
                                        ; implicit-def: $vgpr4_vgpr5
	s_and_saveexec_b64 s[74:75], vcc
	s_cbranch_execz .LBB97_86
; %bb.78:                               ;   in Loop: Header=BB97_11 Depth=1
	v_mov_b32_e32 v6, v27
	v_mov_b32_e32 v7, v0
                                        ; implicit-def: $sgpr76_sgpr77
	s_branch .LBB97_81
.LBB97_79:                              ;   in Loop: Header=BB97_81 Depth=2
	s_or_b64 exec, exec, s[28:29]
	s_waitcnt lgkmcnt(0)
	s_barrier
	ds_read_b128 v[2:5], v12 offset:3072
	s_mov_b64 s[28:29], -1
	s_mov_b64 s[78:79], -1
	s_waitcnt lgkmcnt(0)
	s_barrier
	v_cmp_ne_u64_e32 vcc, 0, v[2:3]
	s_cbranch_vccz .LBB97_84
.LBB97_80:                              ;   in Loop: Header=BB97_81 Depth=2
	s_and_b64 s[28:29], exec, s[28:29]
	s_or_b64 s[70:71], s[28:29], s[70:71]
	s_andn2_b64 s[28:29], s[76:77], exec
	s_and_b64 s[76:77], s[78:79], exec
	s_or_b64 s[76:77], s[28:29], s[76:77]
	s_andn2_b64 exec, exec, s[70:71]
	s_cbranch_execz .LBB97_85
.LBB97_81:                              ;   Parent Loop BB97_11 Depth=1
                                        ; =>  This Inner Loop Header: Depth=2
	v_cmp_gt_u32_e32 vcc, s12, v7
	s_and_saveexec_b64 s[28:29], vcc
	s_cbranch_execz .LBB97_79
; %bb.82:                               ;   in Loop: Header=BB97_81 Depth=2
	ds_read_b64 v[3:4], v6
	s_waitcnt lgkmcnt(0)
	v_xor_b32_e32 v2, 0x80000000, v4
	v_and_b32_e32 v9, v2, v20
	v_and_b32_e32 v8, v3, v19
	v_cmp_eq_u64_e32 vcc, v[8:9], v[17:18]
	s_and_b64 exec, exec, vcc
	s_cbranch_execz .LBB97_79
; %bb.83:                               ;   in Loop: Header=BB97_81 Depth=2
	v_mov_b32_e32 v2, v12
	ds_write_b128 v12, v[1:4] offset:3072
	s_branch .LBB97_79
.LBB97_84:                              ;   in Loop: Header=BB97_81 Depth=2
	v_add_u32_e32 v7, s50, v7
	v_cmp_le_u32_e32 vcc, s13, v7
	v_add_u32_e32 v6, s33, v6
	s_mov_b64 s[78:79], 0
	s_orn2_b64 s[28:29], vcc, exec
	s_branch .LBB97_80
.LBB97_85:                              ;   in Loop: Header=BB97_11 Depth=1
	s_or_b64 exec, exec, s[70:71]
	s_and_b64 s[70:71], s[76:77], exec
.LBB97_86:                              ;   in Loop: Header=BB97_11 Depth=1
	s_or_b64 exec, exec, s[74:75]
.LBB97_87:                              ;   in Loop: Header=BB97_11 Depth=1
	s_and_b64 vcc, exec, s[72:73]
	s_cbranch_vccz .LBB97_98
; %bb.88:                               ;   in Loop: Header=BB97_11 Depth=1
                                        ; implicit-def: $vgpr4_vgpr5
	s_mov_b64 s[22:23], exec
	v_readlane_b32 s12, v46, 22
	v_readlane_b32 s13, v46, 23
	s_and_b64 s[12:13], s[22:23], s[12:13]
	s_mov_b64 exec, s[12:13]
	s_cbranch_execz .LBB97_97
; %bb.89:                               ;   in Loop: Header=BB97_11 Depth=1
	s_mov_b64 s[72:73], 0
	v_mov_b32_e32 v11, v10
	v_mov_b32_e32 v6, v0
                                        ; implicit-def: $sgpr66_sgpr67
	s_branch .LBB97_92
.LBB97_90:                              ;   in Loop: Header=BB97_92 Depth=2
	s_or_b64 exec, exec, s[74:75]
	s_waitcnt lgkmcnt(0)
	s_barrier
	ds_read_b128 v[2:5], v12 offset:3072
	s_mov_b64 s[28:29], -1
	s_mov_b64 s[74:75], -1
	s_waitcnt lgkmcnt(0)
	s_barrier
	v_cmp_ne_u64_e32 vcc, 0, v[2:3]
	s_cbranch_vccz .LBB97_95
.LBB97_91:                              ;   in Loop: Header=BB97_92 Depth=2
	s_and_b64 s[12:13], exec, s[28:29]
	s_or_b64 s[72:73], s[12:13], s[72:73]
	s_andn2_b64 s[12:13], s[66:67], exec
	s_and_b64 s[28:29], s[74:75], exec
	s_or_b64 s[66:67], s[12:13], s[28:29]
	s_andn2_b64 exec, exec, s[72:73]
	s_cbranch_execz .LBB97_96
.LBB97_92:                              ;   Parent Loop BB97_11 Depth=1
                                        ; =>  This Inner Loop Header: Depth=2
	v_cmp_gt_u32_e32 vcc, s24, v6
	s_and_saveexec_b64 s[74:75], vcc
	s_cbranch_execz .LBB97_90
; %bb.93:                               ;   in Loop: Header=BB97_92 Depth=2
	v_lshlrev_b64 v[2:3], 3, v[11:12]
	v_mov_b32_e32 v4, s36
	v_add_co_u32_e32 v2, vcc, s35, v2
	v_addc_co_u32_e32 v3, vcc, v4, v3, vcc
	global_load_dwordx2 v[3:4], v[2:3], off
	s_waitcnt vmcnt(0)
	v_xor_b32_e32 v2, 0x80000000, v4
	v_and_b32_e32 v8, v2, v20
	v_and_b32_e32 v7, v3, v19
	v_cmp_eq_u64_e32 vcc, v[7:8], v[17:18]
	s_and_b64 exec, exec, vcc
	s_cbranch_execz .LBB97_90
; %bb.94:                               ;   in Loop: Header=BB97_92 Depth=2
	v_mov_b32_e32 v2, v12
	ds_write_b128 v12, v[1:4] offset:3072
	s_branch .LBB97_90
.LBB97_95:                              ;   in Loop: Header=BB97_92 Depth=2
	v_add_u32_e32 v6, s50, v6
	v_cmp_le_u32_e32 vcc, s47, v6
	v_add_u32_e32 v11, s37, v11
	s_mov_b64 s[74:75], 0
	s_orn2_b64 s[28:29], vcc, exec
	s_branch .LBB97_91
.LBB97_96:                              ;   in Loop: Header=BB97_11 Depth=1
	s_or_b64 exec, exec, s[72:73]
	s_andn2_b64 s[12:13], s[70:71], exec
	s_and_b64 s[28:29], s[66:67], exec
	s_or_b64 s[70:71], s[12:13], s[28:29]
.LBB97_97:                              ;   in Loop: Header=BB97_11 Depth=1
	s_or_b64 exec, exec, s[22:23]
	s_mov_b64 s[22:23], 0
	s_mov_b64 s[66:67], -1
.LBB97_98:                              ;   in Loop: Header=BB97_11 Depth=1
	s_orn2_b64 s[70:71], s[70:71], exec
.LBB97_99:                              ;   in Loop: Header=BB97_11 Depth=1
	s_or_b64 exec, exec, s[14:15]
	s_andn2_b64 s[14:15], s[64:65], exec
	s_and_b64 s[28:29], s[66:67], exec
	s_or_b64 s[64:65], s[14:15], s[28:29]
	s_andn2_b64 s[14:15], s[62:63], exec
	s_and_b64 s[22:23], s[22:23], exec
	v_readfirstlane_b32 s12, v0
	v_readfirstlane_b32 s13, v0
	s_andn2_b64 s[60:61], s[60:61], exec
	s_or_b64 s[62:63], s[14:15], s[22:23]
                                        ; implicit-def: $vgpr7
	s_and_saveexec_b64 s[14:15], s[70:71]
	s_cbranch_execz .LBB97_10
; %bb.100:                              ;   in Loop: Header=BB97_11 Depth=1
	s_xor_b64 s[12:13], s[18:19], -1
	s_mov_b64 s[18:19], 0
	v_mov_b32_e32 v7, 1
	v_mov_b32_e32 v6, 1
	s_and_saveexec_b64 s[16:17], s[12:13]
	s_cbranch_execz .LBB97_109
; %bb.101:                              ;   in Loop: Header=BB97_11 Depth=1
	v_cmp_ge_u32_e32 vcc, s80, v41
	s_and_saveexec_b64 s[12:13], vcc
	s_xor_b64 s[18:19], exec, s[12:13]
	s_cbranch_execz .LBB97_106
; %bb.102:                              ;   in Loop: Header=BB97_11 Depth=1
	ds_read_b32 v2, v12 offset:4104
	v_and_b32_e32 v18, s69, v18
	v_and_b32_e32 v17, s68, v17
	v_or_b32_e32 v20, s7, v20
	v_or_b32_e32 v19, s6, v19
	s_waitcnt lgkmcnt(0)
	v_cmp_ne_u32_e32 vcc, 0, v2
	s_cbranch_vccnz .LBB97_106
; %bb.103:                              ;   in Loop: Header=BB97_11 Depth=1
	s_and_saveexec_b64 s[22:23], s[0:1]
; %bb.104:                              ;   in Loop: Header=BB97_11 Depth=1
	v_mov_b32_e32 v2, s80
	ds_write_b32 v12, v2 offset:4108
; %bb.105:                              ;   in Loop: Header=BB97_11 Depth=1
	s_or_b64 exec, exec, s[22:23]
	s_waitcnt lgkmcnt(0)
	s_barrier
.LBB97_106:                             ;   in Loop: Header=BB97_11 Depth=1
	s_or_saveexec_b64 s[18:19], s[18:19]
	s_mov_b64 s[22:23], 0
	v_mov_b32_e32 v6, 8
	s_xor_b64 exec, exec, s[18:19]
; %bb.107:                              ;   in Loop: Header=BB97_11 Depth=1
	s_mov_b64 s[22:23], exec
	v_subrev_u32_e32 v41, s80, v41
	v_mov_b32_e32 v6, 0
; %bb.108:                              ;   in Loop: Header=BB97_11 Depth=1
	s_or_b64 exec, exec, s[18:19]
	s_and_b64 s[18:19], s[22:23], exec
	v_mov_b32_e32 v7, v41
.LBB97_109:                             ;   in Loop: Header=BB97_11 Depth=1
	s_or_b64 exec, exec, s[16:17]
	s_mov_b64 s[16:17], -1
	s_mov_b64 s[70:71], -1
                                        ; implicit-def: $sgpr22_sgpr23
                                        ; implicit-def: $sgpr66_sgpr67
	s_and_saveexec_b64 s[12:13], s[18:19]
	s_xor_b64 s[18:19], exec, s[12:13]
	s_cbranch_execz .LBB97_229
; %bb.110:                              ;   in Loop: Header=BB97_11 Depth=1
	s_cmp_eq_u32 s31, 1
	s_cselect_b64 s[12:13], -1, 0
	v_cmp_eq_u32_e32 vcc, 1, v7
	s_and_b64 s[72:73], s[12:13], vcc
	s_mov_b64 s[74:75], -1
                                        ; implicit-def: $sgpr66_sgpr67
                                        ; implicit-def: $sgpr22_sgpr23
	s_and_saveexec_b64 s[70:71], s[72:73]
	s_cbranch_execz .LBB97_139
; %bb.111:                              ;   in Loop: Header=BB97_11 Depth=1
	ds_read_b32 v2, v12 offset:4104
	s_waitcnt lgkmcnt(0)
	s_barrier
	v_readfirstlane_b32 s84, v2
	s_and_saveexec_b64 s[22:23], s[20:21]
; %bb.112:                              ;   in Loop: Header=BB97_11 Depth=1
	v_mov_b32_e32 v11, v12
	ds_write_b64 v28, v[11:12]
; %bb.113:                              ;   in Loop: Header=BB97_11 Depth=1
	s_or_b64 exec, exec, s[22:23]
	s_lshl_b64 s[12:13], 1, s2
	v_and_b32_e32 v2, s69, v18
	v_and_b32_e32 v3, s68, v17
	v_or_b32_e32 v18, s13, v2
	v_or_b32_e32 v17, s12, v3
	;; [unrolled: 1-line block ×4, first 2 shown]
	s_mov_b64 s[22:23], -1
	s_mov_b64 s[66:67], 0
	s_cmp_eq_u32 s84, 0
	s_mov_b64 s[74:75], 0
	s_mov_b64 s[76:77], -1
	s_waitcnt lgkmcnt(0)
	s_barrier
                                        ; implicit-def: $vgpr4_vgpr5
	s_cbranch_scc1 .LBB97_127
; %bb.114:                              ;   in Loop: Header=BB97_11 Depth=1
	s_add_i32 s12, s84, s25
	s_mul_hi_u32 s13, s12, s46
	s_mul_i32 s13, s13, s50
	s_sub_i32 s13, s12, s13
	s_sub_i32 s28, s13, s50
	s_cmp_ge_u32 s13, s50
	s_cselect_b32 s13, s28, s13
	s_sub_i32 s28, s13, s50
	s_cmp_ge_u32 s13, s50
	s_cselect_b32 s13, s28, s13
	s_sub_i32 s12, s12, s13
	v_cmp_gt_u32_e32 vcc, s12, v0
	s_mov_b64 s[76:77], 0
                                        ; implicit-def: $vgpr4_vgpr5
	s_and_saveexec_b64 s[78:79], vcc
	s_cbranch_execz .LBB97_126
; %bb.115:                              ;   in Loop: Header=BB97_11 Depth=1
	v_mov_b32_e32 v8, v27
	v_mov_b32_e32 v9, v0
                                        ; implicit-def: $sgpr80_sgpr81
	s_branch .LBB97_118
.LBB97_116:                             ;   in Loop: Header=BB97_118 Depth=2
	s_or_b64 exec, exec, s[82:83]
	s_waitcnt lgkmcnt(0)
	s_barrier
	ds_read_b128 v[2:5], v12 offset:3072
	s_mov_b64 s[28:29], -1
	s_mov_b64 s[82:83], -1
	s_waitcnt lgkmcnt(0)
	s_barrier
	v_cmp_ne_u64_e32 vcc, 0, v[2:3]
	s_cbranch_vccz .LBB97_121
.LBB97_117:                             ;   in Loop: Header=BB97_118 Depth=2
	s_and_b64 s[28:29], exec, s[28:29]
	s_or_b64 s[74:75], s[28:29], s[74:75]
	s_andn2_b64 s[28:29], s[80:81], exec
	s_and_b64 s[80:81], s[82:83], exec
	s_or_b64 s[80:81], s[28:29], s[80:81]
	s_andn2_b64 exec, exec, s[74:75]
	s_cbranch_execz .LBB97_125
.LBB97_118:                             ;   Parent Loop BB97_11 Depth=1
                                        ; =>  This Inner Loop Header: Depth=2
	v_cmp_gt_u32_e32 vcc, s84, v9
	s_and_saveexec_b64 s[82:83], vcc
	s_cbranch_execz .LBB97_116
; %bb.119:                              ;   in Loop: Header=BB97_118 Depth=2
	ds_read_b64 v[3:4], v8
	s_waitcnt lgkmcnt(0)
	v_xor_b32_e32 v2, 0x80000000, v4
	v_and_b32_e32 v22, v2, v20
	v_and_b32_e32 v21, v3, v19
	v_cmp_eq_u64_e32 vcc, v[21:22], v[17:18]
	s_and_b64 exec, exec, vcc
	s_cbranch_execz .LBB97_116
; %bb.120:                              ;   in Loop: Header=BB97_118 Depth=2
	v_mov_b32_e32 v2, v12
	ds_write_b128 v12, v[1:4] offset:3072
	s_branch .LBB97_116
.LBB97_121:                             ;   in Loop: Header=BB97_118 Depth=2
	v_add_u32_e32 v9, s50, v9
	v_cmp_le_u32_e32 vcc, s12, v9
	v_add_u32_e32 v8, s33, v8
	s_mov_b64 s[82:83], 0
	s_orn2_b64 s[28:29], vcc, exec
	s_branch .LBB97_117
.LBB97_122:                             ;   in Loop: Header=BB97_11 Depth=1
	s_or_b64 exec, exec, s[18:19]
	s_waitcnt lgkmcnt(0)
	s_barrier
	s_and_saveexec_b64 s[6:7], s[0:1]
	s_cbranch_execz .LBB97_124
; %bb.123:                              ;   in Loop: Header=BB97_11 Depth=1
	ds_read_b32 v2, v12 offset:4112
	s_waitcnt lgkmcnt(0)
	ds_write_b32 v12, v2 offset:4104
.LBB97_124:                             ;   in Loop: Header=BB97_11 Depth=1
	s_or_b64 exec, exec, s[6:7]
	s_waitcnt lgkmcnt(0)
	s_barrier
	s_mov_b64 s[6:7], -1
	s_and_b64 vcc, exec, s[16:17]
	s_cbranch_vccnz .LBB97_27
	s_branch .LBB97_36
.LBB97_125:                             ;   in Loop: Header=BB97_11 Depth=1
	s_or_b64 exec, exec, s[74:75]
	s_and_b64 s[74:75], s[80:81], exec
.LBB97_126:                             ;   in Loop: Header=BB97_11 Depth=1
	s_or_b64 exec, exec, s[78:79]
.LBB97_127:                             ;   in Loop: Header=BB97_11 Depth=1
	s_and_b64 vcc, exec, s[76:77]
	s_cbranch_vccz .LBB97_138
; %bb.128:                              ;   in Loop: Header=BB97_11 Depth=1
                                        ; implicit-def: $vgpr4_vgpr5
	s_mov_b64 s[22:23], exec
	v_readlane_b32 s12, v46, 22
	v_readlane_b32 s13, v46, 23
	s_and_b64 s[12:13], s[22:23], s[12:13]
	s_mov_b64 exec, s[12:13]
	s_cbranch_execz .LBB97_137
; %bb.129:                              ;   in Loop: Header=BB97_11 Depth=1
	s_mov_b64 s[66:67], 0
	v_mov_b32_e32 v11, v10
	v_mov_b32_e32 v8, v0
                                        ; implicit-def: $sgpr76_sgpr77
	s_branch .LBB97_132
.LBB97_130:                             ;   in Loop: Header=BB97_132 Depth=2
	s_or_b64 exec, exec, s[78:79]
	s_waitcnt lgkmcnt(0)
	s_barrier
	ds_read_b128 v[2:5], v12 offset:3072
	s_mov_b64 s[28:29], -1
	s_mov_b64 s[78:79], -1
	s_waitcnt lgkmcnt(0)
	s_barrier
	v_cmp_eq_u64_e32 vcc, 0, v[2:3]
	s_cbranch_vccnz .LBB97_135
.LBB97_131:                             ;   in Loop: Header=BB97_132 Depth=2
	s_and_b64 s[12:13], exec, s[28:29]
	s_or_b64 s[66:67], s[12:13], s[66:67]
	s_andn2_b64 s[12:13], s[76:77], exec
	s_and_b64 s[28:29], s[78:79], exec
	s_or_b64 s[76:77], s[12:13], s[28:29]
	s_andn2_b64 exec, exec, s[66:67]
	s_cbranch_execz .LBB97_136
.LBB97_132:                             ;   Parent Loop BB97_11 Depth=1
                                        ; =>  This Inner Loop Header: Depth=2
	v_cmp_gt_u32_e32 vcc, s24, v8
	s_and_saveexec_b64 s[78:79], vcc
	s_cbranch_execz .LBB97_130
; %bb.133:                              ;   in Loop: Header=BB97_132 Depth=2
	v_lshlrev_b64 v[2:3], 3, v[11:12]
	v_mov_b32_e32 v4, s36
	v_add_co_u32_e32 v2, vcc, s35, v2
	v_addc_co_u32_e32 v3, vcc, v4, v3, vcc
	global_load_dwordx2 v[3:4], v[2:3], off
	s_waitcnt vmcnt(0)
	v_xor_b32_e32 v2, 0x80000000, v4
	v_and_b32_e32 v22, v2, v20
	v_and_b32_e32 v21, v3, v19
	v_cmp_eq_u64_e32 vcc, v[21:22], v[17:18]
	s_and_b64 exec, exec, vcc
	s_cbranch_execz .LBB97_130
; %bb.134:                              ;   in Loop: Header=BB97_132 Depth=2
	v_mov_b32_e32 v2, v12
	ds_write_b128 v12, v[1:4] offset:3072
	s_branch .LBB97_130
.LBB97_135:                             ;   in Loop: Header=BB97_132 Depth=2
	v_add_u32_e32 v8, s50, v8
	v_cmp_le_u32_e32 vcc, s47, v8
	v_add_u32_e32 v11, s37, v11
	s_mov_b64 s[78:79], 0
	s_orn2_b64 s[28:29], vcc, exec
	s_branch .LBB97_131
.LBB97_136:                             ;   in Loop: Header=BB97_11 Depth=1
	s_or_b64 exec, exec, s[66:67]
	s_andn2_b64 s[12:13], s[74:75], exec
	s_and_b64 s[28:29], s[76:77], exec
	s_or_b64 s[74:75], s[12:13], s[28:29]
.LBB97_137:                             ;   in Loop: Header=BB97_11 Depth=1
	s_or_b64 exec, exec, s[22:23]
	s_mov_b64 s[22:23], 0
	s_mov_b64 s[66:67], -1
.LBB97_138:                             ;   in Loop: Header=BB97_11 Depth=1
	s_orn2_b64 s[74:75], s[74:75], exec
.LBB97_139:                             ;   in Loop: Header=BB97_11 Depth=1
	s_or_b64 exec, exec, s[70:71]
	s_mov_b64 s[76:77], 0
	s_and_saveexec_b64 s[70:71], s[74:75]
	s_cbranch_execz .LBB97_228
; %bb.140:                              ;   in Loop: Header=BB97_11 Depth=1
	s_xor_b64 s[12:13], s[72:73], -1
	s_mov_b64 s[80:81], 0
	v_mov_b32_e32 v8, 1
	v_mov_b32_e32 v6, 1
	s_and_saveexec_b64 s[72:73], s[12:13]
	s_cbranch_execz .LBB97_146
; %bb.141:                              ;   in Loop: Header=BB97_11 Depth=1
	v_cmp_ge_u32_e32 vcc, s31, v7
	s_and_saveexec_b64 s[12:13], vcc
	s_xor_b64 s[74:75], exec, s[12:13]
	s_cbranch_execz .LBB97_143
; %bb.142:                              ;   in Loop: Header=BB97_11 Depth=1
	ds_read_b32 v3, v12 offset:4104
	s_lshl_b64 s[12:13], 1, s2
	v_and_b32_e32 v2, s69, v18
	v_and_b32_e32 v6, s68, v17
	v_or_b32_e32 v18, s13, v2
	s_waitcnt lgkmcnt(0)
	v_cmp_ne_u32_e32 vcc, 0, v3
	v_or_b32_e32 v17, s12, v6
	v_or_b32_e32 v20, s7, v20
	;; [unrolled: 1-line block ×3, first 2 shown]
	s_cbranch_vccz .LBB97_159
.LBB97_143:                             ;   in Loop: Header=BB97_11 Depth=1
	s_or_saveexec_b64 s[74:75], s[74:75]
	v_mov_b32_e32 v6, 8
	s_xor_b64 exec, exec, s[74:75]
.LBB97_144:                             ;   in Loop: Header=BB97_11 Depth=1
	s_mov_b64 s[76:77], exec
	v_subrev_u32_e32 v7, s31, v7
	v_mov_b32_e32 v6, 0
.LBB97_145:                             ;   in Loop: Header=BB97_11 Depth=1
	s_or_b64 exec, exec, s[74:75]
	s_and_b64 s[80:81], s[76:77], exec
	v_mov_b32_e32 v8, v7
.LBB97_146:                             ;   in Loop: Header=BB97_11 Depth=1
	s_or_b64 exec, exec, s[72:73]
	s_mov_b64 s[78:79], -1
                                        ; implicit-def: $sgpr74_sgpr75
                                        ; implicit-def: $sgpr76_sgpr77
	s_and_saveexec_b64 s[72:73], s[80:81]
	s_cbranch_execz .LBB97_227
; %bb.147:                              ;   in Loop: Header=BB97_11 Depth=1
	s_cmp_eq_u32 s30, 1
	s_cselect_b64 s[12:13], -1, 0
	v_cmp_eq_u32_e32 vcc, 1, v8
	s_and_b64 s[80:81], s[12:13], vcc
	s_mov_b64 s[82:83], -1
                                        ; implicit-def: $sgpr76_sgpr77
                                        ; implicit-def: $sgpr74_sgpr75
	s_and_saveexec_b64 s[78:79], s[80:81]
	s_cbranch_execz .LBB97_176
; %bb.148:                              ;   in Loop: Header=BB97_11 Depth=1
	ds_read_b32 v2, v12 offset:4104
	s_waitcnt lgkmcnt(0)
	s_barrier
	v_readfirstlane_b32 s31, v2
	s_and_saveexec_b64 s[28:29], s[20:21]
; %bb.149:                              ;   in Loop: Header=BB97_11 Depth=1
	v_mov_b32_e32 v11, v12
	ds_write_b64 v28, v[11:12]
; %bb.150:                              ;   in Loop: Header=BB97_11 Depth=1
	s_or_b64 exec, exec, s[28:29]
	s_lshl_b64 s[12:13], 2, s2
	v_and_b32_e32 v2, s69, v18
	v_and_b32_e32 v3, s68, v17
	v_or_b32_e32 v18, s13, v2
	v_or_b32_e32 v17, s12, v3
	;; [unrolled: 1-line block ×4, first 2 shown]
	s_mov_b64 s[74:75], -1
	s_mov_b64 s[76:77], 0
	s_cmp_eq_u32 s31, 0
	s_mov_b64 s[82:83], 0
	s_mov_b64 s[84:85], -1
	s_waitcnt lgkmcnt(0)
	s_barrier
                                        ; implicit-def: $vgpr4_vgpr5
	s_cbranch_scc1 .LBB97_164
; %bb.151:                              ;   in Loop: Header=BB97_11 Depth=1
	s_add_i32 s12, s31, s25
	s_mul_hi_u32 s13, s12, s46
	s_mul_i32 s13, s13, s50
	s_sub_i32 s13, s12, s13
	s_sub_i32 s28, s13, s50
	s_cmp_ge_u32 s13, s50
	s_cselect_b32 s13, s28, s13
	s_sub_i32 s28, s13, s50
	s_cmp_ge_u32 s13, s50
	s_cselect_b32 s13, s28, s13
	s_sub_i32 s12, s12, s13
	v_cmp_gt_u32_e32 vcc, s12, v0
	s_mov_b64 s[84:85], 0
                                        ; implicit-def: $vgpr4_vgpr5
	s_and_saveexec_b64 s[86:87], vcc
	s_cbranch_execz .LBB97_163
; %bb.152:                              ;   in Loop: Header=BB97_11 Depth=1
	v_mov_b32_e32 v7, v27
	v_mov_b32_e32 v9, v0
                                        ; implicit-def: $sgpr88_sgpr89
	s_branch .LBB97_155
.LBB97_153:                             ;   in Loop: Header=BB97_155 Depth=2
	s_or_b64 exec, exec, s[90:91]
	s_waitcnt lgkmcnt(0)
	s_barrier
	ds_read_b128 v[2:5], v12 offset:3072
	s_mov_b64 s[28:29], -1
	s_mov_b64 s[90:91], -1
	s_waitcnt lgkmcnt(0)
	s_barrier
	v_cmp_ne_u64_e32 vcc, 0, v[2:3]
	s_cbranch_vccz .LBB97_158
.LBB97_154:                             ;   in Loop: Header=BB97_155 Depth=2
	s_and_b64 s[28:29], exec, s[28:29]
	s_or_b64 s[82:83], s[28:29], s[82:83]
	s_andn2_b64 s[28:29], s[88:89], exec
	s_and_b64 s[88:89], s[90:91], exec
	s_or_b64 s[88:89], s[28:29], s[88:89]
	s_andn2_b64 exec, exec, s[82:83]
	s_cbranch_execz .LBB97_162
.LBB97_155:                             ;   Parent Loop BB97_11 Depth=1
                                        ; =>  This Inner Loop Header: Depth=2
	v_cmp_gt_u32_e32 vcc, s31, v9
	s_and_saveexec_b64 s[90:91], vcc
	s_cbranch_execz .LBB97_153
; %bb.156:                              ;   in Loop: Header=BB97_155 Depth=2
	ds_read_b64 v[3:4], v7
	s_waitcnt lgkmcnt(0)
	v_xor_b32_e32 v2, 0x80000000, v4
	v_and_b32_e32 v22, v2, v20
	v_and_b32_e32 v21, v3, v19
	v_cmp_eq_u64_e32 vcc, v[21:22], v[17:18]
	s_and_b64 exec, exec, vcc
	s_cbranch_execz .LBB97_153
; %bb.157:                              ;   in Loop: Header=BB97_155 Depth=2
	v_mov_b32_e32 v2, v12
	ds_write_b128 v12, v[1:4] offset:3072
	s_branch .LBB97_153
.LBB97_158:                             ;   in Loop: Header=BB97_155 Depth=2
	v_add_u32_e32 v9, s50, v9
	v_cmp_le_u32_e32 vcc, s12, v9
	v_add_u32_e32 v7, s33, v7
	s_mov_b64 s[90:91], 0
	s_orn2_b64 s[28:29], vcc, exec
	s_branch .LBB97_154
.LBB97_159:                             ;   in Loop: Header=BB97_11 Depth=1
	s_and_saveexec_b64 s[28:29], s[0:1]
; %bb.160:                              ;   in Loop: Header=BB97_11 Depth=1
	v_mov_b32_e32 v2, s31
	ds_write_b32 v12, v2 offset:4108
; %bb.161:                              ;   in Loop: Header=BB97_11 Depth=1
	s_or_b64 exec, exec, s[28:29]
	s_waitcnt lgkmcnt(0)
	s_barrier
	s_or_saveexec_b64 s[74:75], s[74:75]
	v_mov_b32_e32 v6, 8
	s_xor_b64 exec, exec, s[74:75]
	s_cbranch_execnz .LBB97_144
	s_branch .LBB97_145
.LBB97_162:                             ;   in Loop: Header=BB97_11 Depth=1
	s_or_b64 exec, exec, s[82:83]
	s_and_b64 s[82:83], s[88:89], exec
.LBB97_163:                             ;   in Loop: Header=BB97_11 Depth=1
	s_or_b64 exec, exec, s[86:87]
.LBB97_164:                             ;   in Loop: Header=BB97_11 Depth=1
	s_and_b64 vcc, exec, s[84:85]
	s_cbranch_vccz .LBB97_175
; %bb.165:                              ;   in Loop: Header=BB97_11 Depth=1
                                        ; implicit-def: $vgpr4_vgpr5
	s_mov_b64 s[74:75], exec
	v_readlane_b32 s12, v46, 22
	v_readlane_b32 s13, v46, 23
	s_and_b64 s[12:13], s[74:75], s[12:13]
	s_mov_b64 exec, s[12:13]
	s_cbranch_execz .LBB97_174
; %bb.166:                              ;   in Loop: Header=BB97_11 Depth=1
	s_mov_b64 s[76:77], 0
	v_mov_b32_e32 v11, v10
	v_mov_b32_e32 v7, v0
                                        ; implicit-def: $sgpr84_sgpr85
	s_branch .LBB97_169
.LBB97_167:                             ;   in Loop: Header=BB97_169 Depth=2
	s_or_b64 exec, exec, s[86:87]
	s_waitcnt lgkmcnt(0)
	s_barrier
	ds_read_b128 v[2:5], v12 offset:3072
	s_mov_b64 s[28:29], -1
	s_mov_b64 s[86:87], -1
	s_waitcnt lgkmcnt(0)
	s_barrier
	v_cmp_eq_u64_e32 vcc, 0, v[2:3]
	s_cbranch_vccnz .LBB97_172
.LBB97_168:                             ;   in Loop: Header=BB97_169 Depth=2
	s_and_b64 s[12:13], exec, s[28:29]
	s_or_b64 s[76:77], s[12:13], s[76:77]
	s_andn2_b64 s[12:13], s[84:85], exec
	s_and_b64 s[28:29], s[86:87], exec
	s_or_b64 s[84:85], s[12:13], s[28:29]
	s_andn2_b64 exec, exec, s[76:77]
	s_cbranch_execz .LBB97_173
.LBB97_169:                             ;   Parent Loop BB97_11 Depth=1
                                        ; =>  This Inner Loop Header: Depth=2
	v_cmp_gt_u32_e32 vcc, s24, v7
	s_and_saveexec_b64 s[86:87], vcc
	s_cbranch_execz .LBB97_167
; %bb.170:                              ;   in Loop: Header=BB97_169 Depth=2
	v_lshlrev_b64 v[2:3], 3, v[11:12]
	v_mov_b32_e32 v4, s36
	v_add_co_u32_e32 v2, vcc, s35, v2
	v_addc_co_u32_e32 v3, vcc, v4, v3, vcc
	global_load_dwordx2 v[3:4], v[2:3], off
	s_waitcnt vmcnt(0)
	v_xor_b32_e32 v2, 0x80000000, v4
	v_and_b32_e32 v22, v2, v20
	v_and_b32_e32 v21, v3, v19
	v_cmp_eq_u64_e32 vcc, v[21:22], v[17:18]
	s_and_b64 exec, exec, vcc
	s_cbranch_execz .LBB97_167
; %bb.171:                              ;   in Loop: Header=BB97_169 Depth=2
	v_mov_b32_e32 v2, v12
	ds_write_b128 v12, v[1:4] offset:3072
	s_branch .LBB97_167
.LBB97_172:                             ;   in Loop: Header=BB97_169 Depth=2
	v_add_u32_e32 v7, s50, v7
	v_cmp_le_u32_e32 vcc, s47, v7
	v_add_u32_e32 v11, s37, v11
	s_mov_b64 s[86:87], 0
	s_orn2_b64 s[28:29], vcc, exec
	s_branch .LBB97_168
.LBB97_173:                             ;   in Loop: Header=BB97_11 Depth=1
	s_or_b64 exec, exec, s[76:77]
	s_andn2_b64 s[12:13], s[82:83], exec
	s_and_b64 s[28:29], s[84:85], exec
	s_or_b64 s[82:83], s[12:13], s[28:29]
.LBB97_174:                             ;   in Loop: Header=BB97_11 Depth=1
	s_or_b64 exec, exec, s[74:75]
	s_mov_b64 s[74:75], 0
	s_mov_b64 s[76:77], -1
.LBB97_175:                             ;   in Loop: Header=BB97_11 Depth=1
	s_orn2_b64 s[82:83], s[82:83], exec
.LBB97_176:                             ;   in Loop: Header=BB97_11 Depth=1
	s_or_b64 exec, exec, s[78:79]
	s_mov_b64 s[84:85], 0
	s_and_saveexec_b64 s[78:79], s[82:83]
	s_cbranch_execz .LBB97_226
; %bb.177:                              ;   in Loop: Header=BB97_11 Depth=1
	s_xor_b64 s[12:13], s[80:81], -1
	s_mov_b64 s[86:87], 0
	v_mov_b32_e32 v7, 1
	v_mov_b32_e32 v6, 1
	s_and_saveexec_b64 s[80:81], s[12:13]
	s_cbranch_execz .LBB97_186
; %bb.178:                              ;   in Loop: Header=BB97_11 Depth=1
	v_cmp_ge_u32_e32 vcc, s30, v8
	s_and_saveexec_b64 s[12:13], vcc
	s_xor_b64 s[82:83], exec, s[12:13]
	s_cbranch_execz .LBB97_183
; %bb.179:                              ;   in Loop: Header=BB97_11 Depth=1
	s_lshl_b64 s[12:13], 2, s2
	v_and_b32_e32 v2, s69, v18
	v_or_b32_e32 v18, s13, v2
	ds_read_b32 v2, v12 offset:4104
	v_and_b32_e32 v3, s68, v17
	v_or_b32_e32 v17, s12, v3
	v_or_b32_e32 v20, s7, v20
	;; [unrolled: 1-line block ×3, first 2 shown]
	s_waitcnt lgkmcnt(0)
	v_cmp_ne_u32_e32 vcc, 0, v2
	s_cbranch_vccnz .LBB97_183
; %bb.180:                              ;   in Loop: Header=BB97_11 Depth=1
	s_and_saveexec_b64 s[28:29], s[0:1]
; %bb.181:                              ;   in Loop: Header=BB97_11 Depth=1
	v_mov_b32_e32 v2, s30
	ds_write_b32 v12, v2 offset:4108
; %bb.182:                              ;   in Loop: Header=BB97_11 Depth=1
	s_or_b64 exec, exec, s[28:29]
	s_waitcnt lgkmcnt(0)
	s_barrier
.LBB97_183:                             ;   in Loop: Header=BB97_11 Depth=1
	s_or_saveexec_b64 s[68:69], s[82:83]
	s_mov_b64 s[82:83], 0
	v_mov_b32_e32 v6, 8
	s_xor_b64 exec, exec, s[68:69]
; %bb.184:                              ;   in Loop: Header=BB97_11 Depth=1
	v_subrev_u32_e32 v8, s30, v8
	v_mov_b32_e32 v6, 0
	s_mov_b64 s[82:83], exec
; %bb.185:                              ;   in Loop: Header=BB97_11 Depth=1
	s_or_b64 exec, exec, s[68:69]
	s_and_b64 s[86:87], s[82:83], exec
	v_mov_b32_e32 v7, v8
.LBB97_186:                             ;   in Loop: Header=BB97_11 Depth=1
	s_or_b64 exec, exec, s[80:81]
	s_mov_b64 s[84:85], -1
                                        ; implicit-def: $sgpr82_sgpr83
                                        ; implicit-def: $sgpr80_sgpr81
	s_and_saveexec_b64 s[68:69], s[86:87]
	s_cbranch_execz .LBB97_225
; %bb.187:                              ;   in Loop: Header=BB97_11 Depth=1
	s_cmp_eq_u32 s3, 1
	s_cselect_b64 s[12:13], -1, 0
	v_cmp_eq_u32_e32 vcc, 1, v7
	s_and_b64 s[84:85], s[12:13], vcc
	s_mov_b64 s[88:89], -1
                                        ; implicit-def: $sgpr82_sgpr83
                                        ; implicit-def: $sgpr80_sgpr81
	s_and_saveexec_b64 s[86:87], s[84:85]
	s_cbranch_execz .LBB97_213
; %bb.188:                              ;   in Loop: Header=BB97_11 Depth=1
	ds_read_b32 v2, v12 offset:4104
	s_waitcnt lgkmcnt(0)
	s_barrier
	v_readfirstlane_b32 s12, v2
	s_and_saveexec_b64 s[28:29], s[20:21]
; %bb.189:                              ;   in Loop: Header=BB97_11 Depth=1
	v_mov_b32_e32 v11, v12
	ds_write_b64 v28, v[11:12]
; %bb.190:                              ;   in Loop: Header=BB97_11 Depth=1
	s_or_b64 exec, exec, s[28:29]
	v_or_b32_e32 v18, s7, v18
	v_or_b32_e32 v17, s6, v17
	;; [unrolled: 1-line block ×4, first 2 shown]
	s_mov_b64 s[80:81], -1
	s_mov_b64 s[82:83], 0
	s_cmp_eq_u32 s12, 0
	s_mov_b64 s[88:89], 0
	s_mov_b64 s[90:91], -1
	s_waitcnt lgkmcnt(0)
	s_barrier
                                        ; implicit-def: $vgpr4_vgpr5
	s_cbranch_scc1 .LBB97_201
; %bb.191:                              ;   in Loop: Header=BB97_11 Depth=1
	s_add_i32 s13, s12, s25
	s_mul_hi_u32 s28, s13, s46
	s_mul_i32 s28, s28, s50
	s_sub_i32 s28, s13, s28
	s_sub_i32 s29, s28, s50
	s_cmp_ge_u32 s28, s50
	s_cselect_b32 s28, s29, s28
	s_sub_i32 s29, s28, s50
	s_cmp_ge_u32 s28, s50
	s_cselect_b32 s28, s29, s28
	s_sub_i32 s13, s13, s28
	v_cmp_gt_u32_e32 vcc, s13, v0
	s_mov_b64 s[90:91], 0
                                        ; implicit-def: $vgpr4_vgpr5
	s_and_saveexec_b64 s[92:93], vcc
	s_cbranch_execz .LBB97_200
; %bb.192:                              ;   in Loop: Header=BB97_11 Depth=1
	v_mov_b32_e32 v8, v27
	v_mov_b32_e32 v9, v0
                                        ; implicit-def: $sgpr94_sgpr95
	s_branch .LBB97_195
.LBB97_193:                             ;   in Loop: Header=BB97_195 Depth=2
	s_or_b64 exec, exec, s[28:29]
	s_waitcnt lgkmcnt(0)
	s_barrier
	ds_read_b128 v[2:5], v12 offset:3072
	s_mov_b64 s[28:29], -1
	s_mov_b64 s[30:31], -1
	s_waitcnt lgkmcnt(0)
	s_barrier
	v_cmp_ne_u64_e32 vcc, 0, v[2:3]
	s_cbranch_vccz .LBB97_198
.LBB97_194:                             ;   in Loop: Header=BB97_195 Depth=2
	s_and_b64 s[28:29], exec, s[28:29]
	s_or_b64 s[88:89], s[28:29], s[88:89]
	s_andn2_b64 s[28:29], s[94:95], exec
	s_and_b64 s[30:31], s[30:31], exec
	s_or_b64 s[94:95], s[28:29], s[30:31]
	s_andn2_b64 exec, exec, s[88:89]
	s_cbranch_execz .LBB97_199
.LBB97_195:                             ;   Parent Loop BB97_11 Depth=1
                                        ; =>  This Inner Loop Header: Depth=2
	v_cmp_gt_u32_e32 vcc, s12, v9
	s_and_saveexec_b64 s[28:29], vcc
	s_cbranch_execz .LBB97_193
; %bb.196:                              ;   in Loop: Header=BB97_195 Depth=2
	ds_read_b64 v[3:4], v8
	s_waitcnt lgkmcnt(0)
	v_xor_b32_e32 v2, 0x80000000, v4
	v_and_b32_e32 v22, v2, v20
	v_and_b32_e32 v21, v3, v19
	v_cmp_eq_u64_e32 vcc, v[21:22], v[17:18]
	s_and_b64 exec, exec, vcc
	s_cbranch_execz .LBB97_193
; %bb.197:                              ;   in Loop: Header=BB97_195 Depth=2
	v_mov_b32_e32 v2, v12
	ds_write_b128 v12, v[1:4] offset:3072
	s_branch .LBB97_193
.LBB97_198:                             ;   in Loop: Header=BB97_195 Depth=2
	v_add_u32_e32 v9, s50, v9
	v_cmp_le_u32_e32 vcc, s13, v9
	v_add_u32_e32 v8, s33, v8
	s_mov_b64 s[30:31], 0
	s_orn2_b64 s[28:29], vcc, exec
	s_branch .LBB97_194
.LBB97_199:                             ;   in Loop: Header=BB97_11 Depth=1
	s_or_b64 exec, exec, s[88:89]
	s_and_b64 s[88:89], s[94:95], exec
.LBB97_200:                             ;   in Loop: Header=BB97_11 Depth=1
	s_or_b64 exec, exec, s[92:93]
.LBB97_201:                             ;   in Loop: Header=BB97_11 Depth=1
	s_and_b64 vcc, exec, s[90:91]
	s_cbranch_vccz .LBB97_212
; %bb.202:                              ;   in Loop: Header=BB97_11 Depth=1
                                        ; implicit-def: $vgpr4_vgpr5
	s_mov_b64 s[80:81], exec
	v_readlane_b32 s12, v46, 22
	v_readlane_b32 s13, v46, 23
	s_and_b64 s[12:13], s[80:81], s[12:13]
	s_mov_b64 exec, s[12:13]
	s_cbranch_execz .LBB97_211
; %bb.203:                              ;   in Loop: Header=BB97_11 Depth=1
	s_mov_b64 s[82:83], 0
	v_mov_b32_e32 v11, v10
	v_mov_b32_e32 v8, v0
                                        ; implicit-def: $sgpr90_sgpr91
	s_branch .LBB97_206
.LBB97_204:                             ;   in Loop: Header=BB97_206 Depth=2
	s_or_b64 exec, exec, s[92:93]
	s_waitcnt lgkmcnt(0)
	s_barrier
	ds_read_b128 v[2:5], v12 offset:3072
	s_mov_b64 s[28:29], -1
	s_mov_b64 s[30:31], -1
	s_waitcnt lgkmcnt(0)
	s_barrier
	v_cmp_eq_u64_e32 vcc, 0, v[2:3]
	s_cbranch_vccnz .LBB97_209
.LBB97_205:                             ;   in Loop: Header=BB97_206 Depth=2
	s_and_b64 s[12:13], exec, s[28:29]
	s_or_b64 s[82:83], s[12:13], s[82:83]
	s_andn2_b64 s[12:13], s[90:91], exec
	s_and_b64 s[28:29], s[30:31], exec
	s_or_b64 s[90:91], s[12:13], s[28:29]
	s_andn2_b64 exec, exec, s[82:83]
	s_cbranch_execz .LBB97_210
.LBB97_206:                             ;   Parent Loop BB97_11 Depth=1
                                        ; =>  This Inner Loop Header: Depth=2
	v_cmp_gt_u32_e32 vcc, s24, v8
	s_and_saveexec_b64 s[92:93], vcc
	s_cbranch_execz .LBB97_204
; %bb.207:                              ;   in Loop: Header=BB97_206 Depth=2
	v_lshlrev_b64 v[2:3], 3, v[11:12]
	v_mov_b32_e32 v4, s36
	v_add_co_u32_e32 v2, vcc, s35, v2
	v_addc_co_u32_e32 v3, vcc, v4, v3, vcc
	global_load_dwordx2 v[3:4], v[2:3], off
	s_waitcnt vmcnt(0)
	v_xor_b32_e32 v2, 0x80000000, v4
	v_and_b32_e32 v22, v2, v20
	v_and_b32_e32 v21, v3, v19
	v_cmp_eq_u64_e32 vcc, v[21:22], v[17:18]
	s_and_b64 exec, exec, vcc
	s_cbranch_execz .LBB97_204
; %bb.208:                              ;   in Loop: Header=BB97_206 Depth=2
	v_mov_b32_e32 v2, v12
	ds_write_b128 v12, v[1:4] offset:3072
	s_branch .LBB97_204
.LBB97_209:                             ;   in Loop: Header=BB97_206 Depth=2
	v_add_u32_e32 v8, s50, v8
	v_cmp_le_u32_e32 vcc, s47, v8
	v_add_u32_e32 v11, s37, v11
	s_mov_b64 s[30:31], 0
	s_orn2_b64 s[28:29], vcc, exec
	s_branch .LBB97_205
.LBB97_210:                             ;   in Loop: Header=BB97_11 Depth=1
	s_or_b64 exec, exec, s[82:83]
	s_andn2_b64 s[12:13], s[88:89], exec
	s_and_b64 s[28:29], s[90:91], exec
	s_or_b64 s[88:89], s[12:13], s[28:29]
.LBB97_211:                             ;   in Loop: Header=BB97_11 Depth=1
	s_or_b64 exec, exec, s[80:81]
	s_mov_b64 s[80:81], 0
	s_mov_b64 s[82:83], -1
.LBB97_212:                             ;   in Loop: Header=BB97_11 Depth=1
	s_orn2_b64 s[88:89], s[88:89], exec
.LBB97_213:                             ;   in Loop: Header=BB97_11 Depth=1
	s_or_b64 exec, exec, s[86:87]
	s_mov_b64 s[28:29], 0
	s_and_saveexec_b64 s[86:87], s[88:89]
	s_cbranch_execz .LBB97_224
; %bb.214:                              ;   in Loop: Header=BB97_11 Depth=1
	s_xor_b64 s[12:13], s[84:85], -1
	v_mov_b32_e32 v6, 1
	v_mov_b32_e32 v2, 1
	s_and_saveexec_b64 s[84:85], s[12:13]
	s_cbranch_execz .LBB97_223
; %bb.215:                              ;   in Loop: Header=BB97_11 Depth=1
	v_cmp_ge_u32_e32 vcc, s3, v7
	s_and_saveexec_b64 s[12:13], vcc
	s_xor_b64 s[88:89], exec, s[12:13]
	s_cbranch_execz .LBB97_220
; %bb.216:                              ;   in Loop: Header=BB97_11 Depth=1
	ds_read_b32 v2, v12 offset:4104
	v_or_b32_e32 v18, s7, v18
	v_or_b32_e32 v17, s6, v17
	;; [unrolled: 1-line block ×4, first 2 shown]
	s_waitcnt lgkmcnt(0)
	v_cmp_ne_u32_e32 vcc, 0, v2
	s_cbranch_vccnz .LBB97_220
; %bb.217:                              ;   in Loop: Header=BB97_11 Depth=1
	s_and_saveexec_b64 s[6:7], s[0:1]
; %bb.218:                              ;   in Loop: Header=BB97_11 Depth=1
	v_mov_b32_e32 v2, s3
	ds_write_b32 v12, v2 offset:4108
; %bb.219:                              ;   in Loop: Header=BB97_11 Depth=1
	s_or_b64 exec, exec, s[6:7]
	s_waitcnt lgkmcnt(0)
	s_barrier
.LBB97_220:                             ;   in Loop: Header=BB97_11 Depth=1
	s_andn2_saveexec_b64 s[6:7], s[88:89]
; %bb.221:                              ;   in Loop: Header=BB97_11 Depth=1
	v_subrev_u32_e32 v7, s3, v7
; %bb.222:                              ;   in Loop: Header=BB97_11 Depth=1
	s_or_b64 exec, exec, s[6:7]
	v_mov_b32_e32 v6, 8
	v_mov_b32_e32 v2, v7
.LBB97_223:                             ;   in Loop: Header=BB97_11 Depth=1
	s_or_b64 exec, exec, s[84:85]
	s_mov_b64 s[28:29], exec
	v_mov_b32_e32 v7, v2
.LBB97_224:                             ;   in Loop: Header=BB97_11 Depth=1
	s_or_b64 exec, exec, s[86:87]
	s_orn2_b64 s[84:85], s[28:29], exec
.LBB97_225:                             ;   in Loop: Header=BB97_11 Depth=1
	s_or_b64 exec, exec, s[68:69]
	s_andn2_b64 s[6:7], s[76:77], exec
	s_and_b64 s[12:13], s[82:83], exec
	s_or_b64 s[76:77], s[6:7], s[12:13]
	s_andn2_b64 s[6:7], s[74:75], exec
	s_and_b64 s[12:13], s[80:81], exec
	s_or_b64 s[74:75], s[6:7], s[12:13]
	s_and_b64 s[84:85], s[84:85], exec
	v_mov_b32_e32 v8, v7
.LBB97_226:                             ;   in Loop: Header=BB97_11 Depth=1
	s_or_b64 exec, exec, s[78:79]
	s_orn2_b64 s[78:79], s[84:85], exec
.LBB97_227:                             ;   in Loop: Header=BB97_11 Depth=1
	s_or_b64 exec, exec, s[72:73]
	s_andn2_b64 s[6:7], s[66:67], exec
	s_and_b64 s[12:13], s[76:77], exec
	s_or_b64 s[66:67], s[6:7], s[12:13]
	s_andn2_b64 s[6:7], s[22:23], exec
	s_and_b64 s[12:13], s[74:75], exec
	s_or_b64 s[22:23], s[6:7], s[12:13]
	s_and_b64 s[76:77], s[78:79], exec
	v_mov_b32_e32 v7, v8
.LBB97_228:                             ;   in Loop: Header=BB97_11 Depth=1
	s_or_b64 exec, exec, s[70:71]
	s_orn2_b64 s[70:71], s[76:77], exec
.LBB97_229:                             ;   in Loop: Header=BB97_11 Depth=1
	s_or_b64 exec, exec, s[18:19]
	s_mov_b64 s[18:19], 0
                                        ; implicit-def: $sgpr12
                                        ; implicit-def: $sgpr13
	s_and_saveexec_b64 s[6:7], s[70:71]
	s_xor_b64 s[6:7], exec, s[6:7]
	s_cbranch_execz .LBB97_9
; %bb.230:                              ;   in Loop: Header=BB97_11 Depth=1
	v_and_b32_e32 v2, 7, v6
	v_cmp_eq_u32_e32 vcc, 0, v2
	s_mov_b64 s[16:17], -1
	s_mov_b64 s[18:19], -1
                                        ; implicit-def: $sgpr12
                                        ; implicit-def: $sgpr13
	s_and_saveexec_b64 s[28:29], vcc
	s_cbranch_execz .LBB97_8
; %bb.231:                              ;   in Loop: Header=BB97_11 Depth=1
	s_xor_b32 s13, s51, 1
	s_add_i32 s12, s2, -2
	s_cmp_eq_u32 s2, 0
	s_cselect_b64 s[2:3], -1, 0
	s_xor_b64 s[18:19], exec, -1
	s_orn2_b64 s[16:17], s[2:3], exec
	s_branch .LBB97_8
.LBB97_232:
	s_or_b64 exec, exec, s[52:53]
	s_xor_b64 s[8:9], s[58:59], -1
	s_xor_b64 s[0:1], s[54:55], -1
	s_xor_b64 s[6:7], s[56:57], -1
	s_mov_b64 s[4:5], 0
	s_and_saveexec_b64 s[2:3], s[0:1]
	s_xor_b64 s[0:1], exec, s[2:3]
	s_cbranch_execnz .LBB97_237
; %bb.233:
	s_andn2_saveexec_b64 s[0:1], s[0:1]
	s_cbranch_execnz .LBB97_250
.LBB97_234:
	s_or_b64 exec, exec, s[0:1]
	s_and_saveexec_b64 s[0:1], s[4:5]
.LBB97_235:
	; divergent unreachable
.LBB97_236:
	s_endpgm
.LBB97_237:
	s_and_saveexec_b64 s[2:3], s[8:9]
	s_xor_b64 s[4:5], exec, s[2:3]
	s_cbranch_execz .LBB97_248
; %bb.238:
	s_and_saveexec_b64 s[2:3], s[6:7]
	s_xor_b64 s[6:7], exec, s[2:3]
; %bb.239:
	v_xor_b32_e32 v18, 0x80000000, v18
	v_mov_b32_e32 v4, v17
	v_mov_b32_e32 v5, v18
; %bb.240:
	s_or_b64 exec, exec, s[6:7]
	v_readlane_b32 s7, v46, 0
	v_readlane_b32 s8, v46, 10
	s_mul_i32 s2, s8, s7
	v_readlane_b32 s18, v46, 12
	s_sub_i32 s2, s18, s2
	s_add_i32 s3, s8, 1
	s_sub_i32 s6, s2, s7
	s_cmp_ge_u32 s2, s7
	s_cselect_b32 s3, s3, s8
	s_cselect_b32 s2, s6, s2
	s_add_i32 s6, s3, 1
	s_cmp_ge_u32 s2, s7
	s_cselect_b32 s2, s6, s3
	s_mul_i32 s3, s2, s7
	v_readlane_b32 s6, v46, 6
	s_sub_i32 s3, s18, s3
	v_readlane_b32 s7, v46, 7
	s_mul_i32 s3, s3, s7
	s_mul_i32 s2, s2, s6
	s_add_i32 s2, s2, s3
	s_mov_b32 s3, 0
	s_lshl_b64 s[2:3], s[2:3], 3
	v_readlane_b32 s6, v46, 8
	v_readlane_b32 s7, v46, 9
	s_add_u32 s2, s6, s2
	s_addc_u32 s3, s7, s3
	v_mov_b32_e32 v11, 0
	global_store_dwordx2 v11, v[4:5], s[2:3]
	s_mov_b64 s[6:7], exec
	v_readlane_b32 s2, v46, 13
	v_readlane_b32 s3, v46, 14
	s_and_b64 s[2:3], s[6:7], s[2:3]
	s_mov_b64 exec, s[2:3]
	s_cbranch_execz .LBB97_247
; %bb.241:
	s_mov_b64 s[2:3], 0
	v_mov_b32_e32 v2, s36
                                        ; implicit-def: $sgpr8_sgpr9
                                        ; implicit-def: $sgpr12_sgpr13
                                        ; implicit-def: $sgpr10_sgpr11
	s_branch .LBB97_243
.LBB97_242:                             ;   in Loop: Header=BB97_243 Depth=1
	s_or_b64 exec, exec, s[14:15]
	s_and_b64 s[14:15], exec, s[12:13]
	s_or_b64 s[2:3], s[14:15], s[2:3]
	s_andn2_b64 s[8:9], s[8:9], exec
	s_and_b64 s[14:15], s[10:11], exec
	s_or_b64 s[8:9], s[8:9], s[14:15]
	s_andn2_b64 exec, exec, s[2:3]
	s_cbranch_execz .LBB97_245
.LBB97_243:                             ; =>This Inner Loop Header: Depth=1
	v_lshlrev_b64 v[6:7], 3, v[10:11]
	v_mov_b32_e32 v1, v0
	v_add_co_u32_e32 v6, vcc, s35, v6
	v_addc_co_u32_e32 v7, vcc, v2, v7, vcc
	global_load_dwordx2 v[6:7], v[6:7], off
	s_or_b64 s[10:11], s[10:11], exec
	s_or_b64 s[12:13], s[12:13], exec
                                        ; implicit-def: $vgpr0
	s_waitcnt vmcnt(0)
	v_cmp_ne_u64_e32 vcc, v[6:7], v[4:5]
	s_and_saveexec_b64 s[14:15], vcc
	s_cbranch_execz .LBB97_242
; %bb.244:                              ;   in Loop: Header=BB97_243 Depth=1
	v_add_u32_e32 v0, s50, v1
	v_cmp_le_u32_e32 vcc, s24, v0
	s_andn2_b64 s[12:13], s[12:13], exec
	s_and_b64 s[16:17], vcc, exec
	v_add_u32_e32 v10, s37, v10
	s_andn2_b64 s[10:11], s[10:11], exec
	s_or_b64 s[12:13], s[12:13], s[16:17]
	s_branch .LBB97_242
.LBB97_245:
	s_or_b64 exec, exec, s[2:3]
	s_and_saveexec_b64 s[2:3], s[8:9]
	s_xor_b64 s[2:3], exec, s[2:3]
	s_cbranch_execz .LBB97_247
; %bb.246:
	v_readlane_b32 s9, v46, 1
	v_readlane_b32 s10, v46, 11
	s_mul_i32 s2, s10, s9
	s_sub_i32 s2, s18, s2
	s_add_i32 s3, s10, 1
	s_sub_i32 s8, s2, s9
	s_cmp_ge_u32 s2, s9
	s_cselect_b32 s3, s3, s10
	s_cselect_b32 s2, s8, s2
	s_add_i32 s8, s3, 1
	s_cmp_ge_u32 s2, s9
	s_cselect_b32 s2, s8, s3
	s_mul_i32 s3, s2, s9
	v_readlane_b32 s8, v46, 2
	s_sub_i32 s3, s18, s3
	v_readlane_b32 s9, v46, 3
	s_mul_i32 s3, s3, s9
	s_mul_i32 s2, s2, s8
	s_add_i32 s2, s2, s3
	s_mov_b32 s3, 0
	s_lshl_b64 s[2:3], s[2:3], 3
	v_readlane_b32 s8, v46, 4
	v_readlane_b32 s9, v46, 5
	s_add_u32 s2, s8, s2
	s_addc_u32 s3, s9, s3
	v_mov_b32_e32 v2, 0
	global_store_dwordx2 v2, v[1:2], s[2:3]
.LBB97_247:
	s_or_b64 exec, exec, s[6:7]
.LBB97_248:
	s_or_saveexec_b64 s[2:3], s[4:5]
	s_mov_b64 s[4:5], 0
	s_xor_b64 exec, exec, s[2:3]
	s_cbranch_execnz .LBB97_251
.LBB97_249:
	s_or_b64 exec, exec, s[2:3]
	s_and_b64 s[4:5], s[4:5], exec
	s_andn2_saveexec_b64 s[0:1], s[0:1]
	s_cbranch_execz .LBB97_234
.LBB97_250:
	s_or_b64 s[4:5], s[4:5], exec
	s_trap 2
	s_or_b64 exec, exec, s[0:1]
	s_and_saveexec_b64 s[0:1], s[4:5]
	s_cbranch_execnz .LBB97_235
	s_branch .LBB97_236
.LBB97_251:
	s_mov_b64 s[4:5], exec
	s_trap 2
	s_branch .LBB97_249
	.section	.rodata,"a",@progbits
	.p2align	6, 0x0
	.amdhsa_kernel _ZN2at6native12_GLOBAL__N_112gatherMedianIljLi2EEEvNS_4cuda6detail10TensorInfoIT_T0_EENS5_IlS7_EENS5_IKS6_S7_EES7_S7_S7_b
		.amdhsa_group_segment_fixed_size 4120
		.amdhsa_private_segment_fixed_size 0
		.amdhsa_kernarg_size 920
		.amdhsa_user_sgpr_count 6
		.amdhsa_user_sgpr_private_segment_buffer 1
		.amdhsa_user_sgpr_dispatch_ptr 0
		.amdhsa_user_sgpr_queue_ptr 0
		.amdhsa_user_sgpr_kernarg_segment_ptr 1
		.amdhsa_user_sgpr_dispatch_id 0
		.amdhsa_user_sgpr_flat_scratch_init 0
		.amdhsa_user_sgpr_private_segment_size 0
		.amdhsa_uses_dynamic_stack 0
		.amdhsa_system_sgpr_private_segment_wavefront_offset 0
		.amdhsa_system_sgpr_workgroup_id_x 1
		.amdhsa_system_sgpr_workgroup_id_y 1
		.amdhsa_system_sgpr_workgroup_id_z 1
		.amdhsa_system_sgpr_workgroup_info 0
		.amdhsa_system_vgpr_workitem_id 0
		.amdhsa_next_free_vgpr 47
		.amdhsa_next_free_sgpr 96
		.amdhsa_reserve_vcc 1
		.amdhsa_reserve_flat_scratch 0
		.amdhsa_float_round_mode_32 0
		.amdhsa_float_round_mode_16_64 0
		.amdhsa_float_denorm_mode_32 3
		.amdhsa_float_denorm_mode_16_64 3
		.amdhsa_dx10_clamp 1
		.amdhsa_ieee_mode 1
		.amdhsa_fp16_overflow 0
		.amdhsa_exception_fp_ieee_invalid_op 0
		.amdhsa_exception_fp_denorm_src 0
		.amdhsa_exception_fp_ieee_div_zero 0
		.amdhsa_exception_fp_ieee_overflow 0
		.amdhsa_exception_fp_ieee_underflow 0
		.amdhsa_exception_fp_ieee_inexact 0
		.amdhsa_exception_int_div_zero 0
	.end_amdhsa_kernel
	.section	.text._ZN2at6native12_GLOBAL__N_112gatherMedianIljLi2EEEvNS_4cuda6detail10TensorInfoIT_T0_EENS5_IlS7_EENS5_IKS6_S7_EES7_S7_S7_b,"axG",@progbits,_ZN2at6native12_GLOBAL__N_112gatherMedianIljLi2EEEvNS_4cuda6detail10TensorInfoIT_T0_EENS5_IlS7_EENS5_IKS6_S7_EES7_S7_S7_b,comdat
.Lfunc_end97:
	.size	_ZN2at6native12_GLOBAL__N_112gatherMedianIljLi2EEEvNS_4cuda6detail10TensorInfoIT_T0_EENS5_IlS7_EENS5_IKS6_S7_EES7_S7_S7_b, .Lfunc_end97-_ZN2at6native12_GLOBAL__N_112gatherMedianIljLi2EEEvNS_4cuda6detail10TensorInfoIT_T0_EENS5_IlS7_EENS5_IKS6_S7_EES7_S7_S7_b
                                        ; -- End function
	.set _ZN2at6native12_GLOBAL__N_112gatherMedianIljLi2EEEvNS_4cuda6detail10TensorInfoIT_T0_EENS5_IlS7_EENS5_IKS6_S7_EES7_S7_S7_b.num_vgpr, 47
	.set _ZN2at6native12_GLOBAL__N_112gatherMedianIljLi2EEEvNS_4cuda6detail10TensorInfoIT_T0_EENS5_IlS7_EENS5_IKS6_S7_EES7_S7_S7_b.num_agpr, 0
	.set _ZN2at6native12_GLOBAL__N_112gatherMedianIljLi2EEEvNS_4cuda6detail10TensorInfoIT_T0_EENS5_IlS7_EENS5_IKS6_S7_EES7_S7_S7_b.numbered_sgpr, 96
	.set _ZN2at6native12_GLOBAL__N_112gatherMedianIljLi2EEEvNS_4cuda6detail10TensorInfoIT_T0_EENS5_IlS7_EENS5_IKS6_S7_EES7_S7_S7_b.num_named_barrier, 0
	.set _ZN2at6native12_GLOBAL__N_112gatherMedianIljLi2EEEvNS_4cuda6detail10TensorInfoIT_T0_EENS5_IlS7_EENS5_IKS6_S7_EES7_S7_S7_b.private_seg_size, 0
	.set _ZN2at6native12_GLOBAL__N_112gatherMedianIljLi2EEEvNS_4cuda6detail10TensorInfoIT_T0_EENS5_IlS7_EENS5_IKS6_S7_EES7_S7_S7_b.uses_vcc, 1
	.set _ZN2at6native12_GLOBAL__N_112gatherMedianIljLi2EEEvNS_4cuda6detail10TensorInfoIT_T0_EENS5_IlS7_EENS5_IKS6_S7_EES7_S7_S7_b.uses_flat_scratch, 0
	.set _ZN2at6native12_GLOBAL__N_112gatherMedianIljLi2EEEvNS_4cuda6detail10TensorInfoIT_T0_EENS5_IlS7_EENS5_IKS6_S7_EES7_S7_S7_b.has_dyn_sized_stack, 0
	.set _ZN2at6native12_GLOBAL__N_112gatherMedianIljLi2EEEvNS_4cuda6detail10TensorInfoIT_T0_EENS5_IlS7_EENS5_IKS6_S7_EES7_S7_S7_b.has_recursion, 0
	.set _ZN2at6native12_GLOBAL__N_112gatherMedianIljLi2EEEvNS_4cuda6detail10TensorInfoIT_T0_EENS5_IlS7_EENS5_IKS6_S7_EES7_S7_S7_b.has_indirect_call, 0
	.section	.AMDGPU.csdata,"",@progbits
; Kernel info:
; codeLenInByte = 9232
; TotalNumSgprs: 100
; NumVgprs: 47
; ScratchSize: 0
; MemoryBound: 0
; FloatMode: 240
; IeeeMode: 1
; LDSByteSize: 4120 bytes/workgroup (compile time only)
; SGPRBlocks: 12
; VGPRBlocks: 11
; NumSGPRsForWavesPerEU: 100
; NumVGPRsForWavesPerEU: 47
; Occupancy: 5
; WaveLimiterHint : 1
; COMPUTE_PGM_RSRC2:SCRATCH_EN: 0
; COMPUTE_PGM_RSRC2:USER_SGPR: 6
; COMPUTE_PGM_RSRC2:TRAP_HANDLER: 0
; COMPUTE_PGM_RSRC2:TGID_X_EN: 1
; COMPUTE_PGM_RSRC2:TGID_Y_EN: 1
; COMPUTE_PGM_RSRC2:TGID_Z_EN: 1
; COMPUTE_PGM_RSRC2:TIDIG_COMP_CNT: 0
	.section	.text._ZN2at6native12_GLOBAL__N_112gatherMedianIljLi3EEEvNS_4cuda6detail10TensorInfoIT_T0_EENS5_IlS7_EENS5_IKS6_S7_EES7_S7_S7_b,"axG",@progbits,_ZN2at6native12_GLOBAL__N_112gatherMedianIljLi3EEEvNS_4cuda6detail10TensorInfoIT_T0_EENS5_IlS7_EENS5_IKS6_S7_EES7_S7_S7_b,comdat
	.globl	_ZN2at6native12_GLOBAL__N_112gatherMedianIljLi3EEEvNS_4cuda6detail10TensorInfoIT_T0_EENS5_IlS7_EENS5_IKS6_S7_EES7_S7_S7_b ; -- Begin function _ZN2at6native12_GLOBAL__N_112gatherMedianIljLi3EEEvNS_4cuda6detail10TensorInfoIT_T0_EENS5_IlS7_EENS5_IKS6_S7_EES7_S7_S7_b
	.p2align	8
	.type	_ZN2at6native12_GLOBAL__N_112gatherMedianIljLi3EEEvNS_4cuda6detail10TensorInfoIT_T0_EENS5_IlS7_EENS5_IKS6_S7_EES7_S7_S7_b,@function
_ZN2at6native12_GLOBAL__N_112gatherMedianIljLi3EEEvNS_4cuda6detail10TensorInfoIT_T0_EENS5_IlS7_EENS5_IKS6_S7_EES7_S7_S7_b: ; @_ZN2at6native12_GLOBAL__N_112gatherMedianIljLi3EEEvNS_4cuda6detail10TensorInfoIT_T0_EENS5_IlS7_EENS5_IKS6_S7_EES7_S7_S7_b
; %bb.0:
	s_load_dwordx2 s[14:15], s[4:5], 0x298
	s_load_dwordx4 s[24:27], s[4:5], 0x288
	s_add_u32 s12, s4, 0x298
	s_addc_u32 s13, s5, 0
	s_waitcnt lgkmcnt(0)
	s_mul_i32 s0, s15, s8
	s_add_i32 s0, s0, s7
	s_mul_i32 s0, s0, s14
	s_add_i32 s30, s0, s6
	s_cmp_ge_u32 s30, s25
	s_cbranch_scc1 .LBB98_236
; %bb.1:
	s_load_dwordx2 s[16:17], s[4:5], 0xc
	s_load_dwordx2 s[2:3], s[4:5], 0x1bc
	;; [unrolled: 1-line block ×3, first 2 shown]
	s_load_dwordx4 s[8:11], s[4:5], 0x21c
                                        ; implicit-def: $vgpr46 : SGPR spill to VGPR lane
	s_waitcnt lgkmcnt(0)
	v_cvt_f32_u32_e32 v3, s19
	v_cvt_f32_u32_e32 v1, s17
	s_sub_i32 s0, 0, s17
	v_cvt_f32_u32_e32 v2, s16
	v_rcp_iflag_f32_e32 v3, v3
	v_rcp_iflag_f32_e32 v1, v1
	v_rcp_iflag_f32_e32 v2, v2
	v_mul_f32_e32 v1, 0x4f7ffffe, v1
	v_cvt_u32_f32_e32 v1, v1
	v_mul_f32_e32 v2, 0x4f7ffffe, v2
	v_cvt_u32_f32_e32 v2, v2
	v_readfirstlane_b32 s1, v1
	s_mul_i32 s0, s0, s1
	s_mul_hi_u32 s0, s1, s0
	s_add_i32 s1, s1, s0
	s_mul_hi_u32 s0, s30, s1
	s_mul_i32 s1, s0, s17
	s_sub_i32 s1, s30, s1
	s_add_i32 s7, s0, 1
	s_sub_i32 s11, s1, s17
	s_cmp_ge_u32 s1, s17
	s_cselect_b32 s0, s7, s0
	s_cselect_b32 s1, s11, s1
	s_add_i32 s7, s0, 1
	s_cmp_ge_u32 s1, s17
	v_mul_f32_e32 v1, 0x4f7ffffe, v3
	s_cselect_b32 s0, s7, s0
	v_cvt_u32_f32_e32 v1, v1
	v_writelane_b32 v46, s0, 0
	v_writelane_b32 v46, s16, 1
	s_sub_i32 s0, 0, s16
	v_readfirstlane_b32 s7, v2
	s_mul_i32 s0, s0, s7
	s_mul_hi_u32 s15, s7, s0
	s_sub_i32 s0, 0, s19
	v_readfirstlane_b32 s1, v1
	s_mul_i32 s0, s0, s1
	s_mul_hi_u32 s0, s1, s0
	v_cvt_f32_u32_e32 v1, s18
	s_add_i32 s1, s1, s0
	s_mul_hi_u32 s0, s30, s1
	s_mul_i32 s1, s0, s19
	s_sub_i32 s1, s30, s1
	v_rcp_iflag_f32_e32 v1, v1
	v_writelane_b32 v46, s17, 2
	s_add_i32 s11, s0, 1
	s_sub_i32 s16, s1, s19
	v_cvt_f32_u32_e32 v2, s3
	s_cmp_ge_u32 s1, s19
	s_cselect_b32 s0, s11, s0
	s_cselect_b32 s1, s16, s1
	s_add_i32 s11, s0, 1
	v_mul_f32_e32 v1, 0x4f7ffffe, v1
	s_cmp_ge_u32 s1, s19
	v_cvt_u32_f32_e32 v1, v1
	v_rcp_iflag_f32_e32 v2, v2
	s_cselect_b32 s0, s11, s0
	v_writelane_b32 v46, s0, 3
	v_writelane_b32 v46, s18, 4
	;; [unrolled: 1-line block ×3, first 2 shown]
	s_sub_i32 s0, 0, s18
	v_readfirstlane_b32 s18, v1
	v_mul_f32_e32 v1, 0x4f7ffffe, v2
	v_cvt_u32_f32_e32 v1, v1
	s_mul_i32 s0, s0, s18
	s_mul_hi_u32 s19, s18, s0
	s_sub_i32 s0, 0, s3
	v_readfirstlane_b32 s1, v1
	v_cvt_f32_u32_e32 v1, s2
	s_mul_i32 s0, s0, s1
	s_mul_hi_u32 s0, s1, s0
	s_add_i32 s1, s1, s0
	v_rcp_iflag_f32_e32 v1, v1
	s_mul_hi_u32 s0, s30, s1
	s_mul_i32 s1, s0, s3
	s_sub_i32 s1, s30, s1
	s_add_i32 s11, s0, 1
	s_sub_i32 s16, s1, s3
	v_mul_f32_e32 v1, 0x4f7ffffe, v1
	s_cmp_ge_u32 s1, s3
	v_cvt_u32_f32_e32 v1, v1
	s_cselect_b32 s0, s11, s0
	s_cselect_b32 s1, s16, s1
	s_add_i32 s11, s0, 1
	s_cmp_ge_u32 s1, s3
	s_cselect_b32 s11, s11, s0
	s_sub_i32 s0, 0, s2
	v_readfirstlane_b32 s22, v1
	s_mul_i32 s0, s0, s22
	s_mul_hi_u32 s0, s22, s0
	s_add_i32 s22, s22, s0
	v_cmp_eq_u32_e64 s[0:1], 0, v0
	s_and_saveexec_b64 s[16:17], s[0:1]
; %bb.2:
	v_mov_b32_e32 v1, 0
	v_mov_b32_e32 v2, v1
	ds_write_b64 v1, v[1:2] offset:4096
; %bb.3:
	s_or_b64 exec, exec, s[16:17]
	s_load_dwordx4 s[36:39], s[4:5], 0x144
	v_mov_b32_e32 v1, 0
	s_waitcnt lgkmcnt(0)
	s_barrier
	v_writelane_b32 v46, s36, 6
	v_writelane_b32 v46, s37, 7
	s_barrier
	ds_read_b64 v[1:2], v1 offset:4096
	v_writelane_b32 v46, s38, 8
	v_writelane_b32 v46, s39, 9
	s_load_dwordx4 s[36:39], s[4:5], 0x6c
	s_load_dwordx2 s[16:17], s[4:5], 0x1b0
	s_add_i32 s20, s7, s15
	s_add_i32 s21, s18, s19
	s_waitcnt lgkmcnt(0)
	v_readfirstlane_b32 s18, v1
	v_readfirstlane_b32 s19, v2
	s_mul_hi_u32 s15, s11, s22
	s_bitcmp1_b32 s27, 0
	v_cmp_lt_i64_e64 s[22:23], s[18:19], 1
	v_writelane_b32 v46, s36, 10
	s_cselect_b64 s[28:29], -1, 0
	v_writelane_b32 v46, s37, 11
	s_or_b64 s[22:23], s[28:29], s[22:23]
	v_writelane_b32 v46, s38, 12
	s_andn2_b64 vcc, exec, s[22:23]
	s_mov_b32 s7, s24
	v_writelane_b32 v46, s39, 13
	s_cbranch_vccnz .LBB98_5
; %bb.4:
	s_not_b64 s[18:19], s[18:19]
	s_add_u32 s7, s18, s24
	s_addc_u32 s19, s19, 0
	s_lshr_b32 s18, s19, 31
	s_add_u32 s18, s7, s18
	s_addc_u32 s19, s19, 0
	s_lshr_b64 s[18:19], s[18:19], 1
	s_add_i32 s7, s18, 1
.LBB98_5:
	s_load_dwordx2 s[18:19], s[4:5], 0xd8
                                        ; kill: killed $sgpr4 killed $sgpr5
	s_waitcnt lgkmcnt(0)
	v_writelane_b32 v46, s18, 14
	v_writelane_b32 v46, s19, 15
	s_load_dwordx2 s[18:19], s[4:5], 0x0
	s_waitcnt lgkmcnt(0)
	v_writelane_b32 v46, s18, 16
	v_writelane_b32 v46, s19, 17
	v_readlane_b32 s4, v46, 0
	s_mul_hi_u32 s4, s4, s20
	v_writelane_b32 v46, s4, 18
	v_readlane_b32 s4, v46, 3
	s_mul_hi_u32 s4, s4, s21
	v_writelane_b32 v46, s4, 19
	s_and_saveexec_b64 s[4:5], s[0:1]
	s_cbranch_execz .LBB98_7
; %bb.6:
	v_mov_b32_e32 v1, 0
	v_mov_b32_e32 v2, s24
	ds_write_b32 v1, v1 offset:4112
	ds_write_b64 v1, v[1:2] offset:4104
.LBB98_7:
	s_or_b64 exec, exec, s[4:5]
	s_mul_i32 s3, s11, s3
	s_mul_i32 s4, s15, s2
	s_sub_i32 s3, s30, s3
	s_sub_i32 s4, s11, s4
	s_mul_i32 s3, s3, s10
	s_add_i32 s5, s15, 1
	s_sub_i32 s10, s4, s2
	s_cmp_ge_u32 s4, s2
	s_cselect_b32 s5, s5, s15
	s_cselect_b32 s4, s10, s4
	s_add_i32 s10, s5, 1
	s_cmp_ge_u32 s4, s2
	s_cselect_b32 s4, s10, s5
	s_mul_i32 s2, s4, s2
	s_sub_i32 s2, s11, s2
	s_mul_i32 s2, s2, s9
	v_mul_lo_u32 v10, s26, v0
	s_add_i32 s2, s2, s3
	s_mul_i32 s4, s4, s8
	s_add_i32 s58, s2, s4
	s_mov_b32 s59, 0
	v_mov_b32_e32 v12, 0
	s_lshl_b64 s[2:3], s[58:59], 3
	v_mbcnt_lo_u32_b32 v1, -1, 0
	v_mov_b32_e32 v11, v12
	s_waitcnt lgkmcnt(0)
	s_barrier
	s_load_dword s4, s[12:13], 0xc
	s_add_u32 s58, s16, s2
	v_mbcnt_hi_u32_b32 v26, -1, v1
	v_lshlrev_b64 v[1:2], 3, v[10:11]
	s_addc_u32 s25, s17, s3
	v_cmp_gt_u32_e32 vcc, 64, v0
	v_cmp_gt_i32_e64 s[8:9], 4, v26
	s_and_b64 s[46:47], vcc, s[8:9]
	v_mov_b32_e32 v3, s25
	v_add_co_u32_e32 v13, vcc, s58, v1
	v_addc_co_u32_e32 v14, vcc, v3, v2, vcc
	v_lshlrev_b64 v[1:2], v26, -1
	v_writelane_b32 v46, s30, 20
	v_cmp_gt_u32_e64 s[2:3], s24, v0
	s_waitcnt lgkmcnt(0)
	s_and_b32 s27, s4, 0xffff
	v_not_b32_e32 v31, v1
	v_lshrrev_b32_e32 v1, 2, v0
	v_writelane_b32 v46, s2, 21
	s_lshl_b32 s53, s27, 2
	s_add_i32 s34, s27, -1
	v_and_b32_e32 v1, 0xf0, v1
	v_writelane_b32 v46, s3, 22
	s_bfe_u32 s2, s4, 0xa0006
	s_add_i32 s3, s34, s24
	v_or_b32_e32 v32, 0xc00, v1
	v_cvt_f32_u32_e32 v1, s53
	s_cmpk_gt_u32 s24, 0x180
	s_cselect_b64 s[48:49], -1, 0
	s_cmp_gt_u32 s27, 63
	s_cselect_b64 s[50:51], -1, 0
	s_cmp_lt_u32 s6, s14
	s_cselect_b32 s6, 12, 18
	v_rcp_iflag_f32_e32 v1, v1
	s_add_u32 s8, s12, s6
	s_addc_u32 s9, s13, 0
	v_writelane_b32 v46, s8, 23
	s_add_i32 s6, s2, -1
	v_writelane_b32 v46, s9, 24
	s_bfe_u32 s8, s27, 0x30006
	s_and_b32 s6, s6, 0xffff
	v_mul_f32_e32 v1, 0x4f7ffffe, v1
	s_cmp_gt_u32 s6, 6
	v_cvt_u32_f32_e32 v1, v1
	s_cselect_b64 s[10:11], -1, 0
	v_writelane_b32 v46, s10, 25
	s_and_b32 s35, s2, 0x3f8
	v_writelane_b32 v46, s11, 26
	s_cmp_lg_u32 s8, 0
	v_writelane_b32 v46, s8, 27
	s_cselect_b64 s[8:9], -1, 0
	s_sub_i32 s2, 0, s53
	v_readfirstlane_b32 s6, v1
	v_cvt_f32_u32_e32 v1, s27
	s_mul_i32 s2, s2, s6
	s_mul_hi_u32 s2, s6, s2
	s_add_i32 s54, s6, s2
	s_mul_hi_u32 s2, s24, s54
	v_rcp_iflag_f32_e32 v4, v1
	s_mul_i32 s2, s2, s53
	s_sub_i32 s2, s24, s2
	s_sub_i32 s6, s2, s53
	s_cmp_ge_u32 s2, s53
	v_mul_f32_e32 v4, 0x4f7ffffe, v4
	s_cselect_b32 s2, s6, s2
	v_cvt_u32_f32_e32 v4, v4
	s_sub_i32 s6, s2, s53
	s_cmp_ge_u32 s2, s53
	s_cselect_b32 s2, s6, s2
	s_sub_i32 s55, s24, s2
	s_sub_i32 s6, 0, s27
	v_readfirstlane_b32 s12, v4
	v_add_u32_e32 v33, s55, v0
	s_mul_i32 s6, s6, s12
	v_mul_lo_u32 v11, v33, s26
	s_mul_hi_u32 s6, s12, s6
	s_add_i32 s56, s12, s6
	s_mul_hi_u32 s6, s3, s56
	s_mul_i32 s6, s6, s27
	v_not_b32_e32 v30, v2
	v_lshlrev_b64 v[1:2], 3, v[11:12]
	s_sub_i32 s6, s3, s6
	v_lshlrev_b32_e32 v25, 2, v0
	s_sub_i32 s12, s6, s27
	v_add_co_u32_e32 v15, vcc, s58, v1
	s_cmp_ge_u32 s6, s27
	v_mul_lo_u32 v1, s26, v25
	s_cselect_b32 s6, s12, s6
	s_sub_i32 s12, s6, s27
	s_cmp_ge_u32 s6, s27
	s_cselect_b32 s6, s12, s6
	v_add_u32_e32 v34, s26, v1
	v_or_b32_e32 v1, 2, v25
	s_sub_i32 s57, s3, s6
	v_mul_lo_u32 v35, s26, v1
	v_or_b32_e32 v1, 3, v25
	s_add_i32 s3, s27, s24
	v_mul_lo_u32 v36, s26, v1
	v_add_u32_e32 v1, s3, v0
	v_subrev_u32_e32 v1, s2, v1
	v_mul_lo_u32 v38, s26, v1
	v_writelane_b32 v46, s8, 28
	v_mov_b32_e32 v5, s25
	v_lshlrev_b32_e32 v27, 3, v0
	v_lshlrev_b32_e32 v3, 2, v26
	v_writelane_b32 v46, s9, 29
	v_addc_co_u32_e32 v16, vcc, v5, v2, vcc
	v_cmp_gt_u32_e64 s[12:13], s57, v0
	s_mul_i32 s52, s26, s27
	v_mov_b32_e32 v17, 0
	v_mov_b32_e32 v19, 0
	;; [unrolled: 1-line block ×3, first 2 shown]
	v_cmp_eq_u32_e64 s[4:5], 0, v26
	v_cmp_gt_u32_e64 s[20:21], 2, v0
	v_add_u32_e32 v28, 0xc00, v27
	v_and_b32_e32 v29, 0x100, v3
	v_cmp_gt_u32_e64 s[8:9], s55, v25
	v_cmp_gt_u32_e64 s[10:11], s24, v33
	v_writelane_b32 v46, s12, 30
	s_lshl_b32 s40, s52, 2
	v_lshlrev_b32_e32 v37, 2, v10
	v_lshlrev_b32_e32 v39, 5, v0
	s_lshl_b32 s41, s27, 5
	s_lshl_b32 s2, s27, 3
	v_or_b32_e32 v40, 0xc00, v3
	s_mov_b32 s3, 62
	s_mov_b64 s[60:61], 0
	v_mov_b32_e32 v41, s7
	v_mov_b32_e32 v18, 0
	;; [unrolled: 1-line block ×5, first 2 shown]
	v_writelane_b32 v46, s13, 31
                                        ; implicit-def: $sgpr62_sgpr63
                                        ; implicit-def: $sgpr66_sgpr67
                                        ; implicit-def: $sgpr64_sgpr65
                                        ; implicit-def: $sgpr70_sgpr71
                                        ; implicit-def: $sgpr72_sgpr73
                                        ; implicit-def: $sgpr68_sgpr69
	s_branch .LBB98_11
.LBB98_8:                               ;   in Loop: Header=BB98_11 Depth=1
	s_or_b64 exec, exec, s[28:29]
	s_and_b64 s[18:19], s[18:19], exec
	s_andn2_b64 s[74:75], s[74:75], exec
	s_andn2_b64 s[22:23], s[22:23], exec
	s_orn2_b64 s[16:17], s[16:17], exec
.LBB98_9:                               ;   in Loop: Header=BB98_11 Depth=1
	s_or_b64 exec, exec, s[6:7]
	s_andn2_b64 s[6:7], s[68:69], exec
	s_and_b64 s[18:19], s[18:19], exec
	s_or_b64 s[68:69], s[6:7], s[18:19]
	s_andn2_b64 s[6:7], s[72:73], exec
	s_and_b64 s[18:19], s[74:75], exec
	s_or_b64 s[72:73], s[6:7], s[18:19]
	;; [unrolled: 3-line block ×3, first 2 shown]
	s_orn2_b64 s[16:17], s[16:17], exec
.LBB98_10:                              ;   in Loop: Header=BB98_11 Depth=1
	s_or_b64 exec, exec, s[14:15]
	s_and_b64 s[6:7], exec, s[16:17]
	s_or_b64 s[60:61], s[6:7], s[60:61]
	s_andn2_b64 s[6:7], s[64:65], exec
	s_and_b64 s[14:15], s[68:69], exec
	s_or_b64 s[64:65], s[6:7], s[14:15]
	s_andn2_b64 s[6:7], s[66:67], exec
	s_and_b64 s[14:15], s[72:73], exec
	s_or_b64 s[66:67], s[6:7], s[14:15]
	s_andn2_b64 s[6:7], s[62:63], exec
	s_and_b64 s[14:15], s[70:71], exec
	s_or_b64 s[62:63], s[6:7], s[14:15]
	s_mov_b32 s59, s13
	s_mov_b32 s3, s12
	v_mov_b32_e32 v41, v7
	s_andn2_b64 exec, exec, s[60:61]
	s_cbranch_execz .LBB98_232
.LBB98_11:                              ; =>This Loop Header: Depth=1
                                        ;     Child Loop BB98_17 Depth 2
                                        ;     Child Loop BB98_30 Depth 2
	;; [unrolled: 1-line block ×16, first 2 shown]
	ds_read_b64 v[2:3], v12 offset:4104
	s_waitcnt lgkmcnt(0)
	v_readfirstlane_b32 s36, v2
	s_cmp_lg_u32 s36, 0
	s_cbranch_scc1 .LBB98_38
; %bb.12:                               ;   in Loop: Header=BB98_11 Depth=1
	s_and_b64 vcc, exec, s[48:49]
	s_cbranch_vccz .LBB98_25
; %bb.13:                               ;   in Loop: Header=BB98_11 Depth=1
	s_movk_i32 s6, 0x181
	v_cmp_gt_u32_e32 vcc, s6, v3
	s_mov_b64 s[16:17], 0
	s_mov_b64 s[6:7], 0
	s_cbranch_vccz .LBB98_26
; %bb.14:                               ;   in Loop: Header=BB98_11 Depth=1
	s_mov_b64 s[18:19], exec
	v_readlane_b32 s6, v46, 21
	v_readlane_b32 s7, v46, 22
	s_and_b64 s[6:7], s[18:19], s[6:7]
	s_mov_b64 exec, s[6:7]
	s_cbranch_execz .LBB98_122
; %bb.15:                               ;   in Loop: Header=BB98_11 Depth=1
	v_readlane_b32 s6, v46, 23
	v_readlane_b32 s7, v46, 24
	s_nop 4
	global_load_ushort v8, v12, s[6:7]
	global_load_dwordx2 v[2:3], v[13:14], off
	s_mov_b64 s[22:23], 0
	v_mov_b32_e32 v21, v0
	s_waitcnt vmcnt(1)
	v_add_u32_e32 v6, v0, v8
	v_mul_lo_u32 v11, s26, v6
	v_mul_lo_u32 v9, s26, v8
	s_branch .LBB98_17
.LBB98_16:                              ;   in Loop: Header=BB98_17 Depth=2
	s_or_b64 exec, exec, s[6:7]
	v_mov_b32_e32 v2, v6
	v_add_u32_e32 v11, v11, v9
	v_mov_b32_e32 v3, v7
	s_andn2_b64 exec, exec, s[22:23]
	s_cbranch_execz .LBB98_122
.LBB98_17:                              ;   Parent Loop BB98_11 Depth=1
                                        ; =>  This Inner Loop Header: Depth=2
	v_add_u32_e32 v21, v21, v8
	v_mov_b32_e32 v6, 0
	v_cmp_gt_u32_e64 s[6:7], s24, v21
	v_mov_b32_e32 v7, 0
	v_cmp_le_u32_e32 vcc, s24, v21
	s_and_saveexec_b64 s[14:15], s[6:7]
	s_cbranch_execz .LBB98_19
; %bb.18:                               ;   in Loop: Header=BB98_17 Depth=2
	v_lshlrev_b64 v[6:7], 3, v[11:12]
	s_waitcnt lgkmcnt(0)
	v_mov_b32_e32 v22, s25
	v_add_co_u32_e64 v6, s[6:7], s58, v6
	v_addc_co_u32_e64 v7, s[6:7], v22, v7, s[6:7]
	global_load_dwordx2 v[6:7], v[6:7], off
.LBB98_19:                              ;   in Loop: Header=BB98_17 Depth=2
	s_or_b64 exec, exec, s[14:15]
	s_waitcnt vmcnt(0) lgkmcnt(0)
	v_xor_b32_e32 v22, 0x80000000, v3
	v_and_b32_e32 v23, v22, v20
	v_and_b32_e32 v22, v2, v19
	v_cmp_eq_u64_e64 s[14:15], v[22:23], v[17:18]
	v_mov_b32_e32 v22, 0
	s_cmp_lg_u64 s[14:15], 0
	s_cselect_b64 s[6:7], -1, 0
	s_and_b64 s[6:7], s[4:5], s[6:7]
	s_and_saveexec_b64 s[28:29], s[6:7]
	s_cbranch_execz .LBB98_23
; %bb.20:                               ;   in Loop: Header=BB98_17 Depth=2
	s_mov_b64 s[36:37], exec
	v_mbcnt_lo_u32_b32 v22, s36, 0
	v_mbcnt_hi_u32_b32 v22, s37, v22
	s_bcnt1_i32_b64 s12, s[14:15]
	v_cmp_eq_u32_e64 s[6:7], 0, v22
                                        ; implicit-def: $vgpr23
	s_and_saveexec_b64 s[30:31], s[6:7]
; %bb.21:                               ;   in Loop: Header=BB98_17 Depth=2
	s_bcnt1_i32_b64 s6, s[36:37]
	s_mul_i32 s6, s12, s6
	v_mov_b32_e32 v23, s6
	ds_add_rtn_u32 v23, v12, v23 offset:4112
; %bb.22:                               ;   in Loop: Header=BB98_17 Depth=2
	s_or_b64 exec, exec, s[30:31]
	s_waitcnt lgkmcnt(0)
	v_readfirstlane_b32 s6, v23
	v_mov_b32_e32 v23, s6
	v_mad_u32_u24 v22, s12, v22, v23
.LBB98_23:                              ;   in Loop: Header=BB98_17 Depth=2
	s_or_b64 exec, exec, s[28:29]
	ds_bpermute_b32 v22, v29, v22
	s_and_b64 s[6:7], exec, vcc
	s_or_b64 s[22:23], s[6:7], s[22:23]
	s_and_saveexec_b64 s[6:7], s[14:15]
	s_cbranch_execz .LBB98_16
; %bb.24:                               ;   in Loop: Header=BB98_17 Depth=2
	v_and_b32_e32 v24, s14, v31
	v_and_b32_e32 v23, s15, v30
	v_bcnt_u32_b32 v24, v24, 0
	v_bcnt_u32_b32 v23, v23, v24
	v_lshlrev_b32_e32 v23, 3, v23
	s_waitcnt lgkmcnt(0)
	v_lshl_add_u32 v22, v22, 3, v23
	ds_write_b64 v22, v[2:3]
	s_branch .LBB98_16
.LBB98_25:                              ;   in Loop: Header=BB98_11 Depth=1
	s_mov_b64 s[16:17], -1
	s_mov_b64 s[6:7], 0
.LBB98_26:                              ;   in Loop: Header=BB98_11 Depth=1
	s_and_b64 vcc, exec, s[16:17]
	s_cbranch_vccz .LBB98_36
.LBB98_27:                              ;   in Loop: Header=BB98_11 Depth=1
	s_mov_b64 s[6:7], exec
	v_readlane_b32 s12, v46, 21
	v_readlane_b32 s13, v46, 22
	s_and_b64 s[12:13], s[6:7], s[12:13]
	s_mov_b64 exec, s[12:13]
	s_cbranch_execz .LBB98_33
; %bb.28:                               ;   in Loop: Header=BB98_11 Depth=1
	v_readlane_b32 s12, v46, 23
	v_readlane_b32 s13, v46, 24
	s_nop 4
	global_load_ushort v8, v12, s[12:13]
	global_load_dwordx2 v[2:3], v[13:14], off
	v_mov_b32_e32 v9, v0
	s_waitcnt vmcnt(1)
	v_add_u32_e32 v6, v0, v8
	v_cmp_gt_u32_e32 vcc, s24, v6
	s_and_saveexec_b64 s[14:15], vcc
	s_cbranch_execz .LBB98_32
; %bb.29:                               ;   in Loop: Header=BB98_11 Depth=1
	v_mul_lo_u32 v11, s26, v6
	v_mul_lo_u32 v22, s26, v8
	v_lshlrev_b32_e32 v21, 3, v8
	s_mov_b64 s[16:17], 0
	v_mov_b32_e32 v23, v27
	v_mov_b32_e32 v9, v0
.LBB98_30:                              ;   Parent Loop BB98_11 Depth=1
                                        ; =>  This Inner Loop Header: Depth=2
	v_lshlrev_b64 v[6:7], 3, v[11:12]
	v_mov_b32_e32 v24, s25
	v_add_co_u32_e32 v6, vcc, s58, v6
	v_addc_co_u32_e32 v7, vcc, v24, v7, vcc
	global_load_dwordx2 v[6:7], v[6:7], off
	v_add_u32_e32 v9, v9, v8
	s_waitcnt vmcnt(1)
	ds_write_b64 v23, v[2:3]
	v_add_u32_e32 v2, v8, v9
	v_cmp_le_u32_e32 vcc, s24, v2
	v_add_u32_e32 v23, v23, v21
	v_add_u32_e32 v11, v11, v22
	s_or_b64 s[16:17], vcc, s[16:17]
	s_waitcnt vmcnt(0)
	v_mov_b32_e32 v2, v6
	v_mov_b32_e32 v3, v7
	s_andn2_b64 exec, exec, s[16:17]
	s_cbranch_execnz .LBB98_30
; %bb.31:                               ;   in Loop: Header=BB98_11 Depth=1
	s_or_b64 exec, exec, s[16:17]
	v_mov_b32_e32 v2, v6
	v_mov_b32_e32 v3, v7
.LBB98_32:                              ;   in Loop: Header=BB98_11 Depth=1
	s_or_b64 exec, exec, s[14:15]
	v_lshlrev_b32_e32 v6, 3, v9
	s_waitcnt vmcnt(0)
	ds_write_b64 v6, v[2:3]
.LBB98_33:                              ;   in Loop: Header=BB98_11 Depth=1
	s_or_b64 exec, exec, s[6:7]
	s_waitcnt lgkmcnt(0)
	s_barrier
	s_and_saveexec_b64 s[6:7], s[0:1]
; %bb.34:                               ;   in Loop: Header=BB98_11 Depth=1
	v_mov_b32_e32 v2, s24
	ds_write_b32 v12, v2 offset:4104
; %bb.35:                               ;   in Loop: Header=BB98_11 Depth=1
	s_or_b64 exec, exec, s[6:7]
	s_mov_b64 s[6:7], -1
	s_waitcnt lgkmcnt(0)
	s_barrier
.LBB98_36:                              ;   in Loop: Header=BB98_11 Depth=1
	s_mov_b32 s36, 0
	s_and_b64 vcc, exec, s[6:7]
	s_cbranch_vccz .LBB98_38
; %bb.37:                               ;   in Loop: Header=BB98_11 Depth=1
	ds_read_b32 v2, v12 offset:4104
	s_waitcnt lgkmcnt(0)
	v_readfirstlane_b32 s36, v2
.LBB98_38:                              ;   in Loop: Header=BB98_11 Depth=1
	s_cmp_lt_i32 s36, 1
	s_mov_b64 s[6:7], -1
                                        ; implicit-def: $vgpr6
	s_cbranch_scc1 .LBB98_48
; %bb.39:                               ;   in Loop: Header=BB98_11 Depth=1
	s_and_b64 vcc, exec, s[6:7]
	s_cbranch_vccnz .LBB98_59
.LBB98_40:                              ;   in Loop: Header=BB98_11 Depth=1
	s_lshl_b32 s12, s59, 6
	s_and_saveexec_b64 s[6:7], s[4:5]
.LBB98_41:                              ;   in Loop: Header=BB98_11 Depth=1
	v_lshl_add_u32 v2, s12, 2, v32
	ds_write_b128 v2, v[6:9]
.LBB98_42:                              ;   in Loop: Header=BB98_11 Depth=1
	s_or_b64 exec, exec, s[6:7]
	s_waitcnt lgkmcnt(0)
	s_barrier
	s_and_saveexec_b64 s[6:7], s[46:47]
	s_cbranch_execz .LBB98_73
; %bb.43:                               ;   in Loop: Header=BB98_11 Depth=1
	s_andn2_b64 vcc, exec, s[50:51]
	v_mov_b32_e32 v2, 0
	s_cbranch_vccnz .LBB98_72
; %bb.44:                               ;   in Loop: Header=BB98_11 Depth=1
	v_readlane_b32 s14, v46, 25
	v_readlane_b32 s15, v46, 26
	s_andn2_b64 vcc, exec, s[14:15]
	s_cbranch_vccnz .LBB98_68
; %bb.45:                               ;   in Loop: Header=BB98_11 Depth=1
	v_lshl_add_u32 v3, s59, 8, v40
	s_mov_b32 s13, 0
	v_mov_b32_e32 v2, 0
.LBB98_46:                              ;   Parent Loop BB98_11 Depth=1
                                        ; =>  This Inner Loop Header: Depth=2
	ds_read2_b32 v[6:7], v3 offset1:4
	ds_read2_b32 v[8:9], v3 offset0:8 offset1:12
	ds_read2_b32 v[21:22], v3 offset0:16 offset1:20
	;; [unrolled: 1-line block ×3, first 2 shown]
	s_add_i32 s13, s13, 8
	s_waitcnt lgkmcnt(3)
	v_add3_u32 v2, v6, v2, v7
	s_waitcnt lgkmcnt(2)
	v_add3_u32 v2, v8, v2, v9
	s_waitcnt lgkmcnt(1)
	v_add3_u32 v2, v21, v2, v22
	v_add_u32_e32 v3, 0x80, v3
	s_cmp_eq_u32 s35, s13
	s_waitcnt lgkmcnt(0)
	v_add3_u32 v2, v23, v2, v24
	s_cbranch_scc0 .LBB98_46
; %bb.47:                               ;   in Loop: Header=BB98_11 Depth=1
	s_mov_b32 s13, s35
	s_branch .LBB98_69
.LBB98_48:                              ;   in Loop: Header=BB98_11 Depth=1
	v_mov_b32_e32 v6, 0
	v_mov_b32_e32 v7, 0
	;; [unrolled: 1-line block ×4, first 2 shown]
	s_and_saveexec_b64 s[22:23], s[8:9]
	s_cbranch_execz .LBB98_52
; %bb.49:                               ;   in Loop: Header=BB98_11 Depth=1
	s_mov_b32 s28, 0
	s_mov_b64 s[74:75], 0
	s_mov_b32 s29, 0
	s_mov_b32 s30, 0
	;; [unrolled: 1-line block ×4, first 2 shown]
	v_mov_b32_e32 v21, v25
.LBB98_50:                              ;   Parent Loop BB98_11 Depth=1
                                        ; =>  This Inner Loop Header: Depth=2
	v_add_u32_e32 v11, s28, v37
	v_lshlrev_b64 v[2:3], 3, v[11:12]
	v_add_u32_e32 v11, s28, v34
	v_add_co_u32_e32 v2, vcc, s58, v2
	v_mov_b32_e32 v24, s25
	v_lshlrev_b64 v[6:7], 3, v[11:12]
	v_addc_co_u32_e32 v3, vcc, v24, v3, vcc
	v_add_co_u32_e32 v6, vcc, s58, v6
	v_addc_co_u32_e32 v7, vcc, v24, v7, vcc
	v_add_u32_e32 v11, s28, v35
	global_load_dwordx2 v[2:3], v[2:3], off
	v_add_u32_e32 v21, s53, v21
	global_load_dwordx2 v[22:23], v[6:7], off
	v_lshlrev_b64 v[6:7], 3, v[11:12]
	v_add_u32_e32 v11, s28, v36
	v_add_co_u32_e32 v6, vcc, s58, v6
	v_addc_co_u32_e32 v7, vcc, v24, v7, vcc
	global_load_dwordx2 v[8:9], v[6:7], off
	v_lshlrev_b64 v[6:7], 3, v[11:12]
	s_add_i32 s28, s28, s40
	v_add_co_u32_e32 v6, vcc, s58, v6
	v_addc_co_u32_e32 v7, vcc, v24, v7, vcc
	global_load_dwordx2 v[6:7], v[6:7], off
	s_waitcnt vmcnt(3)
	v_xor_b32_e32 v3, 0x80000000, v3
	v_and_b32_e32 v43, v3, v20
	v_and_b32_e32 v42, v2, v19
	v_lshrrev_b64 v[2:3], s3, v[2:3]
	s_waitcnt vmcnt(2)
	v_xor_b32_e32 v23, 0x80000000, v23
	v_and_b32_e32 v11, 3, v2
	v_lshrrev_b64 v[2:3], s3, v[22:23]
	v_cmp_eq_u64_e32 vcc, v[42:43], v[17:18]
	v_and_b32_e32 v43, v23, v20
	s_waitcnt vmcnt(1)
	v_xor_b32_e32 v9, 0x80000000, v9
	v_and_b32_e32 v42, v22, v19
	v_cmp_eq_u64_e64 s[6:7], 0, v[11:12]
	v_cmp_eq_u64_e64 s[14:15], v[42:43], v[17:18]
	v_and_b32_e32 v43, v9, v20
	v_and_b32_e32 v42, v8, v19
	;; [unrolled: 1-line block ×3, first 2 shown]
	v_mov_b32_e32 v3, v12
	v_lshrrev_b64 v[8:9], s3, v[8:9]
	s_waitcnt vmcnt(0)
	v_xor_b32_e32 v7, 0x80000000, v7
	s_and_b64 s[12:13], vcc, s[6:7]
	v_cmp_eq_u64_e64 s[6:7], 0, v[2:3]
	v_cmp_eq_u64_e64 s[16:17], v[42:43], v[17:18]
	v_and_b32_e32 v43, v7, v20
	v_and_b32_e32 v42, v6, v19
	v_and_b32_e32 v8, 3, v8
	v_mov_b32_e32 v9, v12
	v_lshrrev_b64 v[6:7], s3, v[6:7]
	s_and_b64 s[38:39], s[14:15], s[6:7]
	v_cmp_eq_u64_e64 s[6:7], 0, v[8:9]
	v_and_b32_e32 v6, 3, v6
	v_mov_b32_e32 v7, v12
	v_cmp_eq_u64_e64 s[18:19], v[42:43], v[17:18]
	s_and_b64 s[42:43], s[16:17], s[6:7]
	v_cmp_eq_u64_e64 s[6:7], 0, v[6:7]
	v_cndmask_b32_e64 v22, 0, 1, s[12:13]
	s_and_b64 s[44:45], s[18:19], s[6:7]
	v_cmp_ne_u32_e64 s[6:7], 0, v22
	v_cndmask_b32_e64 v22, 0, 1, s[38:39]
	s_bcnt1_i32_b64 s12, s[6:7]
	v_cmp_ne_u32_e64 s[6:7], 0, v22
	v_cndmask_b32_e64 v22, 0, 1, s[42:43]
	s_bcnt1_i32_b64 s13, s[6:7]
	;; [unrolled: 3-line block ×3, first 2 shown]
	v_cmp_ne_u32_e64 s[6:7], 0, v22
	s_bcnt1_i32_b64 s6, s[6:7]
	s_add_i32 s7, s33, s12
	s_add_i32 s7, s7, s13
	;; [unrolled: 1-line block ×4, first 2 shown]
	v_cmp_eq_u64_e64 s[6:7], 1, v[11:12]
	s_and_b64 s[12:13], vcc, s[6:7]
	v_cmp_eq_u64_e64 s[6:7], 1, v[2:3]
	v_cndmask_b32_e64 v22, 0, 1, s[12:13]
	s_and_b64 s[38:39], s[14:15], s[6:7]
	v_cmp_eq_u64_e64 s[6:7], 1, v[8:9]
	s_and_b64 s[42:43], s[16:17], s[6:7]
	v_cmp_eq_u64_e64 s[6:7], 1, v[6:7]
	s_and_b64 s[44:45], s[18:19], s[6:7]
	v_cmp_ne_u32_e64 s[6:7], 0, v22
	v_cndmask_b32_e64 v22, 0, 1, s[38:39]
	s_bcnt1_i32_b64 s12, s[6:7]
	v_cmp_ne_u32_e64 s[6:7], 0, v22
	v_cndmask_b32_e64 v22, 0, 1, s[42:43]
	s_bcnt1_i32_b64 s13, s[6:7]
	;; [unrolled: 3-line block ×3, first 2 shown]
	v_cmp_ne_u32_e64 s[6:7], 0, v22
	s_bcnt1_i32_b64 s6, s[6:7]
	s_add_i32 s7, s31, s12
	s_add_i32 s7, s7, s13
	;; [unrolled: 1-line block ×4, first 2 shown]
	v_cmp_eq_u64_e64 s[6:7], 2, v[11:12]
	s_and_b64 s[12:13], vcc, s[6:7]
	v_cmp_eq_u64_e64 s[6:7], 2, v[2:3]
	v_cndmask_b32_e64 v22, 0, 1, s[12:13]
	s_and_b64 s[38:39], s[14:15], s[6:7]
	v_cmp_eq_u64_e64 s[6:7], 2, v[8:9]
	s_and_b64 s[42:43], s[16:17], s[6:7]
	v_cmp_eq_u64_e64 s[6:7], 2, v[6:7]
	s_and_b64 s[44:45], s[18:19], s[6:7]
	v_cmp_ne_u32_e64 s[6:7], 0, v22
	v_cndmask_b32_e64 v22, 0, 1, s[38:39]
	s_bcnt1_i32_b64 s12, s[6:7]
	v_cmp_ne_u32_e64 s[6:7], 0, v22
	v_cndmask_b32_e64 v22, 0, 1, s[42:43]
	s_bcnt1_i32_b64 s13, s[6:7]
	;; [unrolled: 3-line block ×3, first 2 shown]
	v_cmp_ne_u32_e64 s[6:7], 0, v22
	s_bcnt1_i32_b64 s6, s[6:7]
	s_add_i32 s7, s30, s12
	s_add_i32 s7, s7, s13
	;; [unrolled: 1-line block ×4, first 2 shown]
	v_cmp_eq_u64_e64 s[6:7], 3, v[11:12]
	s_and_b64 s[6:7], vcc, s[6:7]
	v_cmp_eq_u64_e32 vcc, 3, v[2:3]
	v_cndmask_b32_e64 v2, 0, 1, s[6:7]
	s_and_b64 s[12:13], s[14:15], vcc
	v_cmp_eq_u64_e32 vcc, 3, v[8:9]
	v_mov_b32_e32 v8, s30
	s_and_b64 s[14:15], s[16:17], vcc
	v_cmp_eq_u64_e32 vcc, 3, v[6:7]
	v_mov_b32_e32 v6, s33
	s_and_b64 s[16:17], s[18:19], vcc
	v_cmp_ne_u32_e32 vcc, 0, v2
	v_cndmask_b32_e64 v2, 0, 1, s[12:13]
	s_bcnt1_i32_b64 s6, vcc
	v_cmp_ne_u32_e32 vcc, 0, v2
	v_cndmask_b32_e64 v2, 0, 1, s[14:15]
	s_bcnt1_i32_b64 s7, vcc
	v_cmp_ne_u32_e32 vcc, 0, v2
	v_cndmask_b32_e64 v2, 0, 1, s[16:17]
	s_add_i32 s6, s29, s6
	s_bcnt1_i32_b64 s12, vcc
	v_cmp_ne_u32_e32 vcc, 0, v2
	s_add_i32 s6, s6, s7
	s_bcnt1_i32_b64 s13, vcc
	s_add_i32 s6, s6, s12
	s_add_i32 s29, s6, s13
	v_cmp_le_u32_e32 vcc, s55, v21
	s_or_b64 s[74:75], vcc, s[74:75]
	v_mov_b32_e32 v7, s31
	v_mov_b32_e32 v9, s29
	s_andn2_b64 exec, exec, s[74:75]
	s_cbranch_execnz .LBB98_50
; %bb.51:                               ;   in Loop: Header=BB98_11 Depth=1
	s_or_b64 exec, exec, s[74:75]
.LBB98_52:                              ;   in Loop: Header=BB98_11 Depth=1
	s_or_b64 exec, exec, s[22:23]
	s_and_saveexec_b64 s[14:15], s[10:11]
	s_cbranch_execz .LBB98_58
; %bb.53:                               ;   in Loop: Header=BB98_11 Depth=1
	global_load_dwordx2 v[23:24], v[15:16], off
	s_mov_b64 s[16:17], 0
	v_mov_b32_e32 v2, v38
	v_mov_b32_e32 v42, v33
	s_branch .LBB98_55
.LBB98_54:                              ;   in Loop: Header=BB98_55 Depth=2
	s_or_b64 exec, exec, s[18:19]
	s_waitcnt vmcnt(0)
	v_xor_b32_e32 v24, 0x80000000, v24
	v_and_b32_e32 v44, v24, v20
	v_and_b32_e32 v43, v23, v19
	v_lshrrev_b64 v[23:24], s3, v[23:24]
	s_and_b64 s[12:13], exec, vcc
	v_and_b32_e32 v11, 3, v23
	v_cmp_eq_u64_e32 vcc, v[43:44], v[17:18]
	v_cmp_eq_u64_e64 s[6:7], 0, v[11:12]
	s_or_b64 s[16:17], s[12:13], s[16:17]
	s_and_b64 s[6:7], vcc, s[6:7]
	v_cndmask_b32_e64 v3, 0, 1, s[6:7]
	v_cmp_ne_u32_e64 s[6:7], 0, v3
	s_bcnt1_i32_b64 s12, s[6:7]
	v_cmp_eq_u64_e64 s[6:7], 1, v[11:12]
	v_add_u32_e32 v6, s12, v6
	s_and_b64 s[6:7], vcc, s[6:7]
	v_cndmask_b32_e64 v3, 0, 1, s[6:7]
	v_cmp_ne_u32_e64 s[6:7], 0, v3
	s_bcnt1_i32_b64 s12, s[6:7]
	v_cmp_eq_u64_e64 s[6:7], 2, v[11:12]
	v_add_u32_e32 v7, s12, v7
	s_and_b64 s[6:7], vcc, s[6:7]
	v_cndmask_b32_e64 v3, 0, 1, s[6:7]
	v_cmp_ne_u32_e64 s[6:7], 0, v3
	s_bcnt1_i32_b64 s12, s[6:7]
	v_cmp_eq_u64_e64 s[6:7], 3, v[11:12]
	v_mov_b32_e32 v24, v22
	s_and_b64 s[6:7], vcc, s[6:7]
	v_cndmask_b32_e64 v3, 0, 1, s[6:7]
	v_cmp_ne_u32_e32 vcc, 0, v3
	s_bcnt1_i32_b64 s6, vcc
	v_add_u32_e32 v8, s12, v8
	v_add_u32_e32 v9, s6, v9
	;; [unrolled: 1-line block ×3, first 2 shown]
	v_mov_b32_e32 v23, v21
	s_andn2_b64 exec, exec, s[16:17]
	s_cbranch_execz .LBB98_57
.LBB98_55:                              ;   Parent Loop BB98_11 Depth=1
                                        ; =>  This Inner Loop Header: Depth=2
	v_add_u32_e32 v42, s27, v42
	v_mov_b32_e32 v21, 0
	v_cmp_gt_u32_e64 s[6:7], s24, v42
	v_mov_b32_e32 v22, 0
	v_cmp_le_u32_e32 vcc, s24, v42
	s_and_saveexec_b64 s[18:19], s[6:7]
	s_cbranch_execz .LBB98_54
; %bb.56:                               ;   in Loop: Header=BB98_55 Depth=2
	v_mov_b32_e32 v3, v12
	v_lshlrev_b64 v[21:22], 3, v[2:3]
	v_mov_b32_e32 v3, s25
	v_add_co_u32_e64 v21, s[6:7], s58, v21
	v_addc_co_u32_e64 v22, s[6:7], v3, v22, s[6:7]
	global_load_dwordx2 v[21:22], v[21:22], off
	s_branch .LBB98_54
.LBB98_57:                              ;   in Loop: Header=BB98_11 Depth=1
	s_or_b64 exec, exec, s[16:17]
.LBB98_58:                              ;   in Loop: Header=BB98_11 Depth=1
	s_or_b64 exec, exec, s[14:15]
	s_branch .LBB98_40
.LBB98_59:                              ;   in Loop: Header=BB98_11 Depth=1
	s_mul_hi_u32 s6, s36, s54
	s_mul_i32 s6, s6, s53
	s_sub_i32 s6, s36, s6
	s_sub_i32 s7, s6, s53
	s_cmp_ge_u32 s6, s53
	s_cselect_b32 s6, s7, s6
	s_sub_i32 s7, s6, s53
	s_cmp_ge_u32 s6, s53
	s_cselect_b32 s6, s7, s6
	s_sub_i32 s28, s36, s6
	v_cmp_gt_u32_e32 vcc, s28, v25
	v_mov_b32_e32 v6, 0
	v_mov_b32_e32 v7, 0
	;; [unrolled: 1-line block ×4, first 2 shown]
	s_and_saveexec_b64 s[22:23], vcc
	s_cbranch_execz .LBB98_63
; %bb.60:                               ;   in Loop: Header=BB98_11 Depth=1
	s_mov_b32 s29, 0
	s_mov_b64 s[74:75], 0
	v_mov_b32_e32 v21, v39
	s_mov_b32 s30, 0
	s_mov_b32 s31, 0
	s_mov_b32 s33, 0
	v_mov_b32_e32 v22, v25
.LBB98_61:                              ;   Parent Loop BB98_11 Depth=1
                                        ; =>  This Inner Loop Header: Depth=2
	ds_read_b128 v[42:45], v21
	ds_read_b128 v[6:9], v21 offset:16
	v_add_u32_e32 v22, s53, v22
	v_add_u32_e32 v21, s41, v21
	s_waitcnt lgkmcnt(1)
	v_xor_b32_e32 v43, 0x80000000, v43
	v_xor_b32_e32 v45, 0x80000000, v45
	v_and_b32_e32 v3, v43, v20
	v_and_b32_e32 v2, v42, v19
	s_waitcnt lgkmcnt(0)
	v_xor_b32_e32 v7, 0x80000000, v7
	v_cmp_eq_u64_e32 vcc, v[2:3], v[17:18]
	v_and_b32_e32 v3, v45, v20
	v_and_b32_e32 v2, v44, v19
	v_xor_b32_e32 v9, 0x80000000, v9
	v_cmp_eq_u64_e64 s[14:15], v[2:3], v[17:18]
	v_and_b32_e32 v3, v7, v20
	v_and_b32_e32 v2, v6, v19
	v_cmp_eq_u64_e64 s[16:17], v[2:3], v[17:18]
	v_and_b32_e32 v3, v9, v20
	v_and_b32_e32 v2, v8, v19
	v_cmp_eq_u64_e64 s[18:19], v[2:3], v[17:18]
	v_lshrrev_b64 v[2:3], s3, v[42:43]
	v_lshrrev_b64 v[6:7], s3, v[6:7]
	v_and_b32_e32 v11, 3, v2
	v_lshrrev_b64 v[2:3], s3, v[44:45]
	v_cmp_eq_u64_e64 s[6:7], 0, v[11:12]
	v_and_b32_e32 v2, 3, v2
	v_mov_b32_e32 v3, v12
	s_and_b64 s[12:13], vcc, s[6:7]
	v_cmp_eq_u64_e64 s[6:7], 0, v[2:3]
	v_and_b32_e32 v6, 3, v6
	v_mov_b32_e32 v7, v12
	v_lshrrev_b64 v[8:9], s3, v[8:9]
	s_and_b64 s[38:39], s[14:15], s[6:7]
	v_cmp_eq_u64_e64 s[6:7], 0, v[6:7]
	v_and_b32_e32 v8, 3, v8
	v_mov_b32_e32 v9, v12
	s_and_b64 s[42:43], s[16:17], s[6:7]
	v_cmp_eq_u64_e64 s[6:7], 0, v[8:9]
	v_cndmask_b32_e64 v23, 0, 1, s[12:13]
	s_and_b64 s[44:45], s[18:19], s[6:7]
	v_cmp_ne_u32_e64 s[6:7], 0, v23
	v_cndmask_b32_e64 v23, 0, 1, s[38:39]
	s_bcnt1_i32_b64 s12, s[6:7]
	v_cmp_ne_u32_e64 s[6:7], 0, v23
	v_cndmask_b32_e64 v23, 0, 1, s[42:43]
	s_bcnt1_i32_b64 s13, s[6:7]
	;; [unrolled: 3-line block ×3, first 2 shown]
	v_cmp_ne_u32_e64 s[6:7], 0, v23
	s_bcnt1_i32_b64 s6, s[6:7]
	s_add_i32 s7, s33, s12
	s_add_i32 s7, s7, s13
	;; [unrolled: 1-line block ×4, first 2 shown]
	v_cmp_eq_u64_e64 s[6:7], 1, v[11:12]
	s_and_b64 s[12:13], vcc, s[6:7]
	v_cmp_eq_u64_e64 s[6:7], 1, v[2:3]
	v_cndmask_b32_e64 v23, 0, 1, s[12:13]
	s_and_b64 s[38:39], s[14:15], s[6:7]
	v_cmp_eq_u64_e64 s[6:7], 1, v[6:7]
	s_and_b64 s[42:43], s[16:17], s[6:7]
	v_cmp_eq_u64_e64 s[6:7], 1, v[8:9]
	s_and_b64 s[44:45], s[18:19], s[6:7]
	v_cmp_ne_u32_e64 s[6:7], 0, v23
	v_cndmask_b32_e64 v23, 0, 1, s[38:39]
	s_bcnt1_i32_b64 s12, s[6:7]
	v_cmp_ne_u32_e64 s[6:7], 0, v23
	v_cndmask_b32_e64 v23, 0, 1, s[42:43]
	s_bcnt1_i32_b64 s13, s[6:7]
	;; [unrolled: 3-line block ×3, first 2 shown]
	v_cmp_ne_u32_e64 s[6:7], 0, v23
	s_bcnt1_i32_b64 s6, s[6:7]
	s_add_i32 s7, s31, s12
	s_add_i32 s7, s7, s13
	;; [unrolled: 1-line block ×4, first 2 shown]
	v_cmp_eq_u64_e64 s[6:7], 2, v[11:12]
	s_and_b64 s[12:13], vcc, s[6:7]
	v_cmp_eq_u64_e64 s[6:7], 2, v[2:3]
	v_cndmask_b32_e64 v23, 0, 1, s[12:13]
	s_and_b64 s[38:39], s[14:15], s[6:7]
	v_cmp_eq_u64_e64 s[6:7], 2, v[6:7]
	s_and_b64 s[42:43], s[16:17], s[6:7]
	v_cmp_eq_u64_e64 s[6:7], 2, v[8:9]
	s_and_b64 s[44:45], s[18:19], s[6:7]
	v_cmp_ne_u32_e64 s[6:7], 0, v23
	v_cndmask_b32_e64 v23, 0, 1, s[38:39]
	s_bcnt1_i32_b64 s12, s[6:7]
	v_cmp_ne_u32_e64 s[6:7], 0, v23
	v_cndmask_b32_e64 v23, 0, 1, s[42:43]
	s_bcnt1_i32_b64 s13, s[6:7]
	;; [unrolled: 3-line block ×3, first 2 shown]
	v_cmp_ne_u32_e64 s[6:7], 0, v23
	s_bcnt1_i32_b64 s6, s[6:7]
	s_add_i32 s7, s30, s12
	s_add_i32 s7, s7, s13
	;; [unrolled: 1-line block ×4, first 2 shown]
	v_cmp_eq_u64_e64 s[6:7], 3, v[11:12]
	s_and_b64 s[6:7], vcc, s[6:7]
	v_cmp_eq_u64_e32 vcc, 3, v[2:3]
	v_cndmask_b32_e64 v2, 0, 1, s[6:7]
	s_and_b64 s[12:13], s[14:15], vcc
	v_cmp_eq_u64_e32 vcc, 3, v[6:7]
	v_mov_b32_e32 v6, s33
	s_and_b64 s[14:15], s[16:17], vcc
	v_cmp_eq_u64_e32 vcc, 3, v[8:9]
	v_mov_b32_e32 v7, s31
	s_and_b64 s[16:17], s[18:19], vcc
	v_cmp_ne_u32_e32 vcc, 0, v2
	v_cndmask_b32_e64 v2, 0, 1, s[12:13]
	s_bcnt1_i32_b64 s6, vcc
	v_cmp_ne_u32_e32 vcc, 0, v2
	v_cndmask_b32_e64 v2, 0, 1, s[14:15]
	s_bcnt1_i32_b64 s7, vcc
	v_cmp_ne_u32_e32 vcc, 0, v2
	v_cndmask_b32_e64 v2, 0, 1, s[16:17]
	s_add_i32 s6, s29, s6
	s_bcnt1_i32_b64 s12, vcc
	v_cmp_ne_u32_e32 vcc, 0, v2
	s_add_i32 s6, s6, s7
	s_bcnt1_i32_b64 s13, vcc
	s_add_i32 s6, s6, s12
	s_add_i32 s29, s6, s13
	v_cmp_le_u32_e32 vcc, s28, v22
	s_or_b64 s[74:75], vcc, s[74:75]
	v_mov_b32_e32 v8, s30
	v_mov_b32_e32 v9, s29
	s_andn2_b64 exec, exec, s[74:75]
	s_cbranch_execnz .LBB98_61
; %bb.62:                               ;   in Loop: Header=BB98_11 Depth=1
	s_or_b64 exec, exec, s[74:75]
.LBB98_63:                              ;   in Loop: Header=BB98_11 Depth=1
	s_or_b64 exec, exec, s[22:23]
	v_add_u32_e32 v2, s28, v0
	v_cmp_gt_u32_e32 vcc, s36, v2
	s_and_saveexec_b64 s[28:29], vcc
	s_cbranch_execz .LBB98_67
; %bb.64:                               ;   in Loop: Header=BB98_11 Depth=1
	v_lshlrev_b32_e32 v3, 3, v2
	s_mov_b64 s[30:31], 0
.LBB98_65:                              ;   Parent Loop BB98_11 Depth=1
                                        ; =>  This Inner Loop Header: Depth=2
	ds_read_b64 v[21:22], v3
	v_add_u32_e32 v2, s27, v2
	v_cmp_le_u32_e32 vcc, s36, v2
	v_add_u32_e32 v3, s2, v3
	s_waitcnt lgkmcnt(0)
	v_xor_b32_e32 v22, 0x80000000, v22
	v_and_b32_e32 v23, v21, v19
	v_and_b32_e32 v24, v22, v20
	v_lshrrev_b64 v[21:22], s3, v[21:22]
	v_cmp_eq_u64_e64 s[6:7], v[23:24], v[17:18]
	v_and_b32_e32 v11, 3, v21
	v_cmp_eq_u64_e64 s[14:15], 0, v[11:12]
	v_cmp_eq_u64_e64 s[16:17], 1, v[11:12]
	;; [unrolled: 1-line block ×4, first 2 shown]
	s_and_b64 s[12:13], s[6:7], s[14:15]
	v_cndmask_b32_e64 v11, 0, 1, s[12:13]
	s_and_b64 s[12:13], s[6:7], s[16:17]
	v_cndmask_b32_e64 v21, 0, 1, s[12:13]
	s_and_b64 s[12:13], s[6:7], s[18:19]
	s_and_b64 s[6:7], s[6:7], s[22:23]
	v_cndmask_b32_e64 v22, 0, 1, s[12:13]
	v_cndmask_b32_e64 v23, 0, 1, s[6:7]
	v_cmp_ne_u32_e64 s[6:7], 0, v11
	v_cmp_ne_u32_e64 s[14:15], 0, v21
	;; [unrolled: 1-line block ×4, first 2 shown]
	s_bcnt1_i32_b64 s6, s[6:7]
	s_bcnt1_i32_b64 s7, s[14:15]
	s_bcnt1_i32_b64 s12, s[16:17]
	s_bcnt1_i32_b64 s13, s[18:19]
	v_add_u32_e32 v6, s6, v6
	v_add_u32_e32 v7, s7, v7
	;; [unrolled: 1-line block ×3, first 2 shown]
	s_or_b64 s[30:31], vcc, s[30:31]
	v_add_u32_e32 v9, s13, v9
	s_andn2_b64 exec, exec, s[30:31]
	s_cbranch_execnz .LBB98_65
; %bb.66:                               ;   in Loop: Header=BB98_11 Depth=1
	s_or_b64 exec, exec, s[30:31]
.LBB98_67:                              ;   in Loop: Header=BB98_11 Depth=1
	s_or_b64 exec, exec, s[28:29]
	s_lshl_b32 s12, s59, 6
	s_and_saveexec_b64 s[6:7], s[4:5]
	s_cbranch_execnz .LBB98_41
	s_branch .LBB98_42
.LBB98_68:                              ;   in Loop: Header=BB98_11 Depth=1
	v_mov_b32_e32 v2, 0
	s_mov_b32 s13, 0
.LBB98_69:                              ;   in Loop: Header=BB98_11 Depth=1
	v_readlane_b32 s14, v46, 28
	v_readlane_b32 s15, v46, 29
	s_andn2_b64 vcc, exec, s[14:15]
	s_cbranch_vccnz .LBB98_72
; %bb.70:                               ;   in Loop: Header=BB98_11 Depth=1
	s_lshl_b32 s14, s59, 8
	s_lshl_b32 s13, s13, 4
	s_add_i32 s14, s14, s13
	v_add_u32_e32 v3, s14, v40
	v_readlane_b32 s13, v46, 27
.LBB98_71:                              ;   Parent Loop BB98_11 Depth=1
                                        ; =>  This Inner Loop Header: Depth=2
	ds_read_b32 v6, v3
	s_add_i32 s13, s13, -1
	v_add_u32_e32 v3, 16, v3
	s_cmp_lg_u32 s13, 0
	s_waitcnt lgkmcnt(0)
	v_add_u32_e32 v2, v6, v2
	s_cbranch_scc1 .LBB98_71
.LBB98_72:                              ;   in Loop: Header=BB98_11 Depth=1
	v_add_lshl_u32 v3, s12, v26, 2
	ds_write_b32 v3, v2 offset:3072
.LBB98_73:                              ;   in Loop: Header=BB98_11 Depth=1
	s_or_b64 exec, exec, s[6:7]
	s_lshl_b32 s6, s12, 2
	v_mov_b32_e32 v2, s6
	s_waitcnt lgkmcnt(0)
	s_barrier
	ds_read_b128 v[6:9], v2 offset:3072
	s_lshl_b64 s[6:7], 3, s3
	s_not_b64 s[76:77], s[6:7]
	v_cmp_eq_u32_e32 vcc, 1, v41
	s_mov_b64 s[16:17], -1
	s_waitcnt lgkmcnt(0)
	v_readfirstlane_b32 s80, v6
	s_cmp_eq_u32 s80, 1
	s_cselect_b64 s[12:13], -1, 0
	v_readfirstlane_b32 s84, v7
	v_readfirstlane_b32 s92, v8
	;; [unrolled: 1-line block ×3, first 2 shown]
	s_and_b64 s[18:19], s[12:13], vcc
	s_mov_b64 s[28:29], -1
                                        ; implicit-def: $sgpr74_sgpr75
                                        ; implicit-def: $sgpr22_sgpr23
	s_and_saveexec_b64 s[14:15], s[18:19]
	s_cbranch_execz .LBB98_99
; %bb.74:                               ;   in Loop: Header=BB98_11 Depth=1
	ds_read_b32 v2, v12 offset:4104
	s_waitcnt lgkmcnt(0)
	s_barrier
	v_readfirstlane_b32 s12, v2
	s_and_saveexec_b64 s[22:23], s[20:21]
; %bb.75:                               ;   in Loop: Header=BB98_11 Depth=1
	v_mov_b32_e32 v11, v12
	ds_write_b64 v28, v[11:12]
; %bb.76:                               ;   in Loop: Header=BB98_11 Depth=1
	s_or_b64 exec, exec, s[22:23]
	v_and_b32_e32 v18, s77, v18
	v_and_b32_e32 v17, s76, v17
	v_or_b32_e32 v20, s7, v20
	v_or_b32_e32 v19, s6, v19
	s_mov_b64 s[22:23], -1
	s_mov_b64 s[74:75], 0
	s_cmp_eq_u32 s12, 0
	s_mov_b64 s[42:43], 0
	s_mov_b64 s[78:79], -1
	s_waitcnt lgkmcnt(0)
	s_barrier
                                        ; implicit-def: $vgpr4_vgpr5
	s_cbranch_scc1 .LBB98_87
; %bb.77:                               ;   in Loop: Header=BB98_11 Depth=1
	s_add_i32 s13, s12, s34
	s_mul_hi_u32 s28, s13, s56
	s_mul_i32 s28, s28, s27
	s_sub_i32 s28, s13, s28
	s_sub_i32 s29, s28, s27
	s_cmp_ge_u32 s28, s27
	s_cselect_b32 s28, s29, s28
	s_sub_i32 s29, s28, s27
	s_cmp_ge_u32 s28, s27
	s_cselect_b32 s28, s29, s28
	s_sub_i32 s13, s13, s28
	v_cmp_gt_u32_e32 vcc, s13, v0
	s_mov_b64 s[78:79], 0
                                        ; implicit-def: $vgpr4_vgpr5
	s_and_saveexec_b64 s[28:29], vcc
	s_cbranch_execz .LBB98_86
; %bb.78:                               ;   in Loop: Header=BB98_11 Depth=1
	s_mov_b64 s[30:31], 0
	v_mov_b32_e32 v6, v27
	v_mov_b32_e32 v7, v0
                                        ; implicit-def: $sgpr42_sgpr43
	s_branch .LBB98_81
.LBB98_79:                              ;   in Loop: Header=BB98_81 Depth=2
	s_or_b64 exec, exec, s[36:37]
	s_waitcnt lgkmcnt(0)
	s_barrier
	ds_read_b128 v[2:5], v12 offset:3072
	s_mov_b64 s[36:37], -1
	s_mov_b64 s[38:39], -1
	s_waitcnt lgkmcnt(0)
	s_barrier
	v_cmp_ne_u64_e32 vcc, 0, v[2:3]
	s_cbranch_vccz .LBB98_84
.LBB98_80:                              ;   in Loop: Header=BB98_81 Depth=2
	s_and_b64 s[36:37], exec, s[36:37]
	s_or_b64 s[30:31], s[36:37], s[30:31]
	s_andn2_b64 s[36:37], s[42:43], exec
	s_and_b64 s[38:39], s[38:39], exec
	s_or_b64 s[42:43], s[36:37], s[38:39]
	s_andn2_b64 exec, exec, s[30:31]
	s_cbranch_execz .LBB98_85
.LBB98_81:                              ;   Parent Loop BB98_11 Depth=1
                                        ; =>  This Inner Loop Header: Depth=2
	v_cmp_gt_u32_e32 vcc, s12, v7
	s_and_saveexec_b64 s[36:37], vcc
	s_cbranch_execz .LBB98_79
; %bb.82:                               ;   in Loop: Header=BB98_81 Depth=2
	ds_read_b64 v[3:4], v6
	s_waitcnt lgkmcnt(0)
	v_xor_b32_e32 v2, 0x80000000, v4
	v_and_b32_e32 v9, v2, v20
	v_and_b32_e32 v8, v3, v19
	v_cmp_eq_u64_e32 vcc, v[8:9], v[17:18]
	s_and_b64 exec, exec, vcc
	s_cbranch_execz .LBB98_79
; %bb.83:                               ;   in Loop: Header=BB98_81 Depth=2
	v_mov_b32_e32 v2, v12
	ds_write_b128 v12, v[1:4] offset:3072
	s_branch .LBB98_79
.LBB98_84:                              ;   in Loop: Header=BB98_81 Depth=2
	v_add_u32_e32 v7, s27, v7
	v_cmp_le_u32_e32 vcc, s13, v7
	v_add_u32_e32 v6, s2, v6
	s_mov_b64 s[38:39], 0
	s_orn2_b64 s[36:37], vcc, exec
	s_branch .LBB98_80
.LBB98_85:                              ;   in Loop: Header=BB98_11 Depth=1
	s_or_b64 exec, exec, s[30:31]
	s_and_b64 s[42:43], s[42:43], exec
.LBB98_86:                              ;   in Loop: Header=BB98_11 Depth=1
	s_or_b64 exec, exec, s[28:29]
.LBB98_87:                              ;   in Loop: Header=BB98_11 Depth=1
	s_and_b64 vcc, exec, s[78:79]
	s_cbranch_vccz .LBB98_98
; %bb.88:                               ;   in Loop: Header=BB98_11 Depth=1
                                        ; implicit-def: $vgpr4_vgpr5
	s_mov_b64 s[22:23], exec
	v_readlane_b32 s12, v46, 30
	v_readlane_b32 s13, v46, 31
	s_and_b64 s[12:13], s[22:23], s[12:13]
	s_mov_b64 exec, s[12:13]
	s_cbranch_execz .LBB98_97
; %bb.89:                               ;   in Loop: Header=BB98_11 Depth=1
	s_mov_b64 s[30:31], 0
	v_mov_b32_e32 v11, v10
	v_mov_b32_e32 v6, v0
                                        ; implicit-def: $sgpr28_sgpr29
	s_branch .LBB98_92
.LBB98_90:                              ;   in Loop: Header=BB98_92 Depth=2
	s_or_b64 exec, exec, s[44:45]
	s_waitcnt lgkmcnt(0)
	s_barrier
	ds_read_b128 v[2:5], v12 offset:3072
	s_mov_b64 s[36:37], -1
	s_mov_b64 s[38:39], -1
	s_waitcnt lgkmcnt(0)
	s_barrier
	v_cmp_ne_u64_e32 vcc, 0, v[2:3]
	s_cbranch_vccz .LBB98_95
.LBB98_91:                              ;   in Loop: Header=BB98_92 Depth=2
	s_and_b64 s[12:13], exec, s[36:37]
	s_or_b64 s[30:31], s[12:13], s[30:31]
	s_andn2_b64 s[12:13], s[28:29], exec
	s_and_b64 s[28:29], s[38:39], exec
	s_or_b64 s[28:29], s[12:13], s[28:29]
	s_andn2_b64 exec, exec, s[30:31]
	s_cbranch_execz .LBB98_96
.LBB98_92:                              ;   Parent Loop BB98_11 Depth=1
                                        ; =>  This Inner Loop Header: Depth=2
	v_cmp_gt_u32_e32 vcc, s24, v6
	s_and_saveexec_b64 s[44:45], vcc
	s_cbranch_execz .LBB98_90
; %bb.93:                               ;   in Loop: Header=BB98_92 Depth=2
	v_lshlrev_b64 v[2:3], 3, v[11:12]
	v_mov_b32_e32 v4, s25
	v_add_co_u32_e32 v2, vcc, s58, v2
	v_addc_co_u32_e32 v3, vcc, v4, v3, vcc
	global_load_dwordx2 v[3:4], v[2:3], off
	s_waitcnt vmcnt(0)
	v_xor_b32_e32 v2, 0x80000000, v4
	v_and_b32_e32 v8, v2, v20
	v_and_b32_e32 v7, v3, v19
	v_cmp_eq_u64_e32 vcc, v[7:8], v[17:18]
	s_and_b64 exec, exec, vcc
	s_cbranch_execz .LBB98_90
; %bb.94:                               ;   in Loop: Header=BB98_92 Depth=2
	v_mov_b32_e32 v2, v12
	ds_write_b128 v12, v[1:4] offset:3072
	s_branch .LBB98_90
.LBB98_95:                              ;   in Loop: Header=BB98_92 Depth=2
	v_add_u32_e32 v6, s27, v6
	v_cmp_le_u32_e32 vcc, s57, v6
	v_add_u32_e32 v11, s52, v11
	s_mov_b64 s[38:39], 0
	s_orn2_b64 s[36:37], vcc, exec
	s_branch .LBB98_91
.LBB98_96:                              ;   in Loop: Header=BB98_11 Depth=1
	s_or_b64 exec, exec, s[30:31]
	s_andn2_b64 s[12:13], s[42:43], exec
	s_and_b64 s[28:29], s[28:29], exec
	s_or_b64 s[42:43], s[12:13], s[28:29]
.LBB98_97:                              ;   in Loop: Header=BB98_11 Depth=1
	s_or_b64 exec, exec, s[22:23]
	s_mov_b64 s[22:23], 0
	s_mov_b64 s[74:75], -1
.LBB98_98:                              ;   in Loop: Header=BB98_11 Depth=1
	s_orn2_b64 s[28:29], s[42:43], exec
.LBB98_99:                              ;   in Loop: Header=BB98_11 Depth=1
	s_or_b64 exec, exec, s[14:15]
	s_andn2_b64 s[14:15], s[72:73], exec
	s_and_b64 s[30:31], s[74:75], exec
	s_or_b64 s[72:73], s[14:15], s[30:31]
	s_andn2_b64 s[14:15], s[70:71], exec
	s_and_b64 s[22:23], s[22:23], exec
	v_readfirstlane_b32 s12, v0
	v_readfirstlane_b32 s13, v0
	s_andn2_b64 s[68:69], s[68:69], exec
	s_or_b64 s[70:71], s[14:15], s[22:23]
                                        ; implicit-def: $vgpr7
	s_and_saveexec_b64 s[14:15], s[28:29]
	s_cbranch_execz .LBB98_10
; %bb.100:                              ;   in Loop: Header=BB98_11 Depth=1
	s_xor_b64 s[12:13], s[18:19], -1
	s_mov_b64 s[18:19], 0
	v_mov_b32_e32 v7, 1
	v_mov_b32_e32 v6, 1
	s_and_saveexec_b64 s[16:17], s[12:13]
	s_cbranch_execz .LBB98_109
; %bb.101:                              ;   in Loop: Header=BB98_11 Depth=1
	v_cmp_ge_u32_e32 vcc, s80, v41
	s_and_saveexec_b64 s[12:13], vcc
	s_xor_b64 s[18:19], exec, s[12:13]
	s_cbranch_execz .LBB98_106
; %bb.102:                              ;   in Loop: Header=BB98_11 Depth=1
	ds_read_b32 v2, v12 offset:4104
	v_and_b32_e32 v18, s77, v18
	v_and_b32_e32 v17, s76, v17
	v_or_b32_e32 v20, s7, v20
	v_or_b32_e32 v19, s6, v19
	s_waitcnt lgkmcnt(0)
	v_cmp_ne_u32_e32 vcc, 0, v2
	s_cbranch_vccnz .LBB98_106
; %bb.103:                              ;   in Loop: Header=BB98_11 Depth=1
	s_and_saveexec_b64 s[22:23], s[0:1]
; %bb.104:                              ;   in Loop: Header=BB98_11 Depth=1
	v_mov_b32_e32 v2, s80
	ds_write_b32 v12, v2 offset:4108
; %bb.105:                              ;   in Loop: Header=BB98_11 Depth=1
	s_or_b64 exec, exec, s[22:23]
	s_waitcnt lgkmcnt(0)
	s_barrier
.LBB98_106:                             ;   in Loop: Header=BB98_11 Depth=1
	s_or_saveexec_b64 s[18:19], s[18:19]
	s_mov_b64 s[22:23], 0
	v_mov_b32_e32 v6, 8
	s_xor_b64 exec, exec, s[18:19]
; %bb.107:                              ;   in Loop: Header=BB98_11 Depth=1
	s_mov_b64 s[22:23], exec
	v_subrev_u32_e32 v41, s80, v41
	v_mov_b32_e32 v6, 0
; %bb.108:                              ;   in Loop: Header=BB98_11 Depth=1
	s_or_b64 exec, exec, s[18:19]
	s_and_b64 s[18:19], s[22:23], exec
	v_mov_b32_e32 v7, v41
.LBB98_109:                             ;   in Loop: Header=BB98_11 Depth=1
	s_or_b64 exec, exec, s[16:17]
	s_mov_b64 s[16:17], -1
	s_mov_b64 s[28:29], -1
                                        ; implicit-def: $sgpr22_sgpr23
                                        ; implicit-def: $sgpr74_sgpr75
	s_and_saveexec_b64 s[12:13], s[18:19]
	s_xor_b64 s[18:19], exec, s[12:13]
	s_cbranch_execz .LBB98_229
; %bb.110:                              ;   in Loop: Header=BB98_11 Depth=1
	s_cmp_eq_u32 s84, 1
	s_cselect_b64 s[12:13], -1, 0
	v_cmp_eq_u32_e32 vcc, 1, v7
	s_and_b64 s[80:81], s[12:13], vcc
                                        ; implicit-def: $sgpr74_sgpr75
                                        ; implicit-def: $sgpr22_sgpr23
	s_and_saveexec_b64 s[78:79], s[80:81]
	s_cbranch_execz .LBB98_139
; %bb.111:                              ;   in Loop: Header=BB98_11 Depth=1
	ds_read_b32 v2, v12 offset:4104
	s_waitcnt lgkmcnt(0)
	s_barrier
	v_readfirstlane_b32 s85, v2
	s_and_saveexec_b64 s[22:23], s[20:21]
; %bb.112:                              ;   in Loop: Header=BB98_11 Depth=1
	v_mov_b32_e32 v11, v12
	ds_write_b64 v28, v[11:12]
; %bb.113:                              ;   in Loop: Header=BB98_11 Depth=1
	s_or_b64 exec, exec, s[22:23]
	s_lshl_b64 s[12:13], 1, s3
	v_and_b32_e32 v2, s77, v18
	v_and_b32_e32 v3, s76, v17
	v_or_b32_e32 v18, s13, v2
	v_or_b32_e32 v17, s12, v3
	;; [unrolled: 1-line block ×4, first 2 shown]
	s_mov_b64 s[22:23], -1
	s_mov_b64 s[74:75], 0
	s_cmp_eq_u32 s85, 0
	s_mov_b64 s[82:83], 0
	s_mov_b64 s[42:43], -1
	s_waitcnt lgkmcnt(0)
	s_barrier
                                        ; implicit-def: $vgpr4_vgpr5
	s_cbranch_scc1 .LBB98_127
; %bb.114:                              ;   in Loop: Header=BB98_11 Depth=1
	s_add_i32 s12, s85, s34
	s_mul_hi_u32 s13, s12, s56
	s_mul_i32 s13, s13, s27
	s_sub_i32 s13, s12, s13
	s_sub_i32 s28, s13, s27
	s_cmp_ge_u32 s13, s27
	s_cselect_b32 s13, s28, s13
	s_sub_i32 s28, s13, s27
	s_cmp_ge_u32 s13, s27
	s_cselect_b32 s13, s28, s13
	s_sub_i32 s12, s12, s13
	v_cmp_gt_u32_e32 vcc, s12, v0
	s_mov_b64 s[42:43], 0
                                        ; implicit-def: $vgpr4_vgpr5
	s_and_saveexec_b64 s[28:29], vcc
	s_cbranch_execz .LBB98_126
; %bb.115:                              ;   in Loop: Header=BB98_11 Depth=1
	s_mov_b64 s[30:31], 0
	v_mov_b32_e32 v8, v27
	v_mov_b32_e32 v9, v0
                                        ; implicit-def: $sgpr82_sgpr83
	s_branch .LBB98_118
.LBB98_116:                             ;   in Loop: Header=BB98_118 Depth=2
	s_or_b64 exec, exec, s[44:45]
	s_waitcnt lgkmcnt(0)
	s_barrier
	ds_read_b128 v[2:5], v12 offset:3072
	s_mov_b64 s[36:37], -1
	s_mov_b64 s[38:39], -1
	s_waitcnt lgkmcnt(0)
	s_barrier
	v_cmp_ne_u64_e32 vcc, 0, v[2:3]
	s_cbranch_vccz .LBB98_121
.LBB98_117:                             ;   in Loop: Header=BB98_118 Depth=2
	s_and_b64 s[36:37], exec, s[36:37]
	s_or_b64 s[30:31], s[36:37], s[30:31]
	s_andn2_b64 s[36:37], s[82:83], exec
	s_and_b64 s[38:39], s[38:39], exec
	s_or_b64 s[82:83], s[36:37], s[38:39]
	s_andn2_b64 exec, exec, s[30:31]
	s_cbranch_execz .LBB98_125
.LBB98_118:                             ;   Parent Loop BB98_11 Depth=1
                                        ; =>  This Inner Loop Header: Depth=2
	v_cmp_gt_u32_e32 vcc, s85, v9
	s_and_saveexec_b64 s[44:45], vcc
	s_cbranch_execz .LBB98_116
; %bb.119:                              ;   in Loop: Header=BB98_118 Depth=2
	ds_read_b64 v[3:4], v8
	s_waitcnt lgkmcnt(0)
	v_xor_b32_e32 v2, 0x80000000, v4
	v_and_b32_e32 v22, v2, v20
	v_and_b32_e32 v21, v3, v19
	v_cmp_eq_u64_e32 vcc, v[21:22], v[17:18]
	s_and_b64 exec, exec, vcc
	s_cbranch_execz .LBB98_116
; %bb.120:                              ;   in Loop: Header=BB98_118 Depth=2
	v_mov_b32_e32 v2, v12
	ds_write_b128 v12, v[1:4] offset:3072
	s_branch .LBB98_116
.LBB98_121:                             ;   in Loop: Header=BB98_118 Depth=2
	v_add_u32_e32 v9, s27, v9
	v_cmp_le_u32_e32 vcc, s12, v9
	v_add_u32_e32 v8, s2, v8
	s_mov_b64 s[38:39], 0
	s_orn2_b64 s[36:37], vcc, exec
	s_branch .LBB98_117
.LBB98_122:                             ;   in Loop: Header=BB98_11 Depth=1
	s_or_b64 exec, exec, s[18:19]
	s_waitcnt lgkmcnt(0)
	s_barrier
	s_and_saveexec_b64 s[6:7], s[0:1]
	s_cbranch_execz .LBB98_124
; %bb.123:                              ;   in Loop: Header=BB98_11 Depth=1
	ds_read_b32 v2, v12 offset:4112
	s_waitcnt lgkmcnt(0)
	ds_write_b32 v12, v2 offset:4104
.LBB98_124:                             ;   in Loop: Header=BB98_11 Depth=1
	s_or_b64 exec, exec, s[6:7]
	s_waitcnt lgkmcnt(0)
	s_barrier
	s_mov_b64 s[6:7], -1
	s_and_b64 vcc, exec, s[16:17]
	s_cbranch_vccnz .LBB98_27
	s_branch .LBB98_36
.LBB98_125:                             ;   in Loop: Header=BB98_11 Depth=1
	s_or_b64 exec, exec, s[30:31]
	s_and_b64 s[82:83], s[82:83], exec
.LBB98_126:                             ;   in Loop: Header=BB98_11 Depth=1
	s_or_b64 exec, exec, s[28:29]
.LBB98_127:                             ;   in Loop: Header=BB98_11 Depth=1
	s_and_b64 vcc, exec, s[42:43]
	s_cbranch_vccz .LBB98_138
; %bb.128:                              ;   in Loop: Header=BB98_11 Depth=1
                                        ; implicit-def: $vgpr4_vgpr5
	s_mov_b64 s[22:23], exec
	v_readlane_b32 s12, v46, 30
	v_readlane_b32 s13, v46, 31
	s_and_b64 s[12:13], s[22:23], s[12:13]
	s_mov_b64 exec, s[12:13]
	s_cbranch_execz .LBB98_137
; %bb.129:                              ;   in Loop: Header=BB98_11 Depth=1
	s_mov_b64 s[28:29], 0
	v_mov_b32_e32 v11, v10
	v_mov_b32_e32 v8, v0
                                        ; implicit-def: $sgpr30_sgpr31
	s_branch .LBB98_132
.LBB98_130:                             ;   in Loop: Header=BB98_132 Depth=2
	s_or_b64 exec, exec, s[42:43]
	s_waitcnt lgkmcnt(0)
	s_barrier
	ds_read_b128 v[2:5], v12 offset:3072
	s_mov_b64 s[36:37], -1
	s_mov_b64 s[38:39], -1
	s_waitcnt lgkmcnt(0)
	s_barrier
	v_cmp_eq_u64_e32 vcc, 0, v[2:3]
	s_cbranch_vccnz .LBB98_135
.LBB98_131:                             ;   in Loop: Header=BB98_132 Depth=2
	s_and_b64 s[12:13], exec, s[36:37]
	s_or_b64 s[28:29], s[12:13], s[28:29]
	s_andn2_b64 s[12:13], s[30:31], exec
	s_and_b64 s[30:31], s[38:39], exec
	s_or_b64 s[30:31], s[12:13], s[30:31]
	s_andn2_b64 exec, exec, s[28:29]
	s_cbranch_execz .LBB98_136
.LBB98_132:                             ;   Parent Loop BB98_11 Depth=1
                                        ; =>  This Inner Loop Header: Depth=2
	v_cmp_gt_u32_e32 vcc, s24, v8
	s_and_saveexec_b64 s[42:43], vcc
	s_cbranch_execz .LBB98_130
; %bb.133:                              ;   in Loop: Header=BB98_132 Depth=2
	v_lshlrev_b64 v[2:3], 3, v[11:12]
	v_mov_b32_e32 v4, s25
	v_add_co_u32_e32 v2, vcc, s58, v2
	v_addc_co_u32_e32 v3, vcc, v4, v3, vcc
	global_load_dwordx2 v[3:4], v[2:3], off
	s_waitcnt vmcnt(0)
	v_xor_b32_e32 v2, 0x80000000, v4
	v_and_b32_e32 v22, v2, v20
	v_and_b32_e32 v21, v3, v19
	v_cmp_eq_u64_e32 vcc, v[21:22], v[17:18]
	s_and_b64 exec, exec, vcc
	s_cbranch_execz .LBB98_130
; %bb.134:                              ;   in Loop: Header=BB98_132 Depth=2
	v_mov_b32_e32 v2, v12
	ds_write_b128 v12, v[1:4] offset:3072
	s_branch .LBB98_130
.LBB98_135:                             ;   in Loop: Header=BB98_132 Depth=2
	v_add_u32_e32 v8, s27, v8
	v_cmp_le_u32_e32 vcc, s57, v8
	v_add_u32_e32 v11, s52, v11
	s_mov_b64 s[38:39], 0
	s_orn2_b64 s[36:37], vcc, exec
	s_branch .LBB98_131
.LBB98_136:                             ;   in Loop: Header=BB98_11 Depth=1
	s_or_b64 exec, exec, s[28:29]
	s_andn2_b64 s[12:13], s[82:83], exec
	s_and_b64 s[28:29], s[30:31], exec
	s_or_b64 s[82:83], s[12:13], s[28:29]
.LBB98_137:                             ;   in Loop: Header=BB98_11 Depth=1
	s_or_b64 exec, exec, s[22:23]
	s_mov_b64 s[22:23], 0
	s_mov_b64 s[74:75], -1
.LBB98_138:                             ;   in Loop: Header=BB98_11 Depth=1
	s_orn2_b64 s[28:29], s[82:83], exec
.LBB98_139:                             ;   in Loop: Header=BB98_11 Depth=1
	s_or_b64 exec, exec, s[78:79]
	s_mov_b64 s[30:31], 0
	s_and_saveexec_b64 s[78:79], s[28:29]
	s_cbranch_execz .LBB98_228
; %bb.140:                              ;   in Loop: Header=BB98_11 Depth=1
	s_xor_b64 s[12:13], s[80:81], -1
	v_mov_b32_e32 v8, 1
	v_mov_b32_e32 v6, 1
	s_and_saveexec_b64 s[42:43], s[12:13]
	s_cbranch_execz .LBB98_149
; %bb.141:                              ;   in Loop: Header=BB98_11 Depth=1
	v_cmp_ge_u32_e32 vcc, s84, v7
	s_and_saveexec_b64 s[12:13], vcc
	s_xor_b64 s[28:29], exec, s[12:13]
	s_cbranch_execz .LBB98_146
; %bb.142:                              ;   in Loop: Header=BB98_11 Depth=1
	s_lshl_b64 s[12:13], 1, s3
	v_and_b32_e32 v2, s77, v18
	v_or_b32_e32 v18, s13, v2
	ds_read_b32 v2, v12 offset:4104
	v_and_b32_e32 v3, s76, v17
	v_or_b32_e32 v17, s12, v3
	v_or_b32_e32 v20, s7, v20
	;; [unrolled: 1-line block ×3, first 2 shown]
	s_waitcnt lgkmcnt(0)
	v_cmp_ne_u32_e32 vcc, 0, v2
	s_cbranch_vccnz .LBB98_146
; %bb.143:                              ;   in Loop: Header=BB98_11 Depth=1
	s_and_saveexec_b64 s[30:31], s[0:1]
; %bb.144:                              ;   in Loop: Header=BB98_11 Depth=1
	v_mov_b32_e32 v2, s84
	ds_write_b32 v12, v2 offset:4108
; %bb.145:                              ;   in Loop: Header=BB98_11 Depth=1
	s_or_b64 exec, exec, s[30:31]
	s_waitcnt lgkmcnt(0)
	s_barrier
.LBB98_146:                             ;   in Loop: Header=BB98_11 Depth=1
	s_or_saveexec_b64 s[28:29], s[28:29]
	s_mov_b64 s[30:31], 0
	v_mov_b32_e32 v6, 8
	s_xor_b64 exec, exec, s[28:29]
; %bb.147:                              ;   in Loop: Header=BB98_11 Depth=1
	v_subrev_u32_e32 v7, s84, v7
	v_mov_b32_e32 v6, 0
	s_mov_b64 s[30:31], exec
; %bb.148:                              ;   in Loop: Header=BB98_11 Depth=1
	s_or_b64 exec, exec, s[28:29]
	s_and_b64 s[30:31], s[30:31], exec
	v_mov_b32_e32 v8, v7
.LBB98_149:                             ;   in Loop: Header=BB98_11 Depth=1
	s_or_b64 exec, exec, s[42:43]
	s_mov_b64 s[28:29], -1
                                        ; implicit-def: $sgpr82_sgpr83
                                        ; implicit-def: $sgpr84_sgpr85
	s_and_saveexec_b64 s[80:81], s[30:31]
	s_cbranch_execz .LBB98_227
; %bb.150:                              ;   in Loop: Header=BB98_11 Depth=1
	s_cmp_eq_u32 s92, 1
	s_cselect_b64 s[12:13], -1, 0
	v_cmp_eq_u32_e32 vcc, 1, v8
	s_and_b64 s[88:89], s[12:13], vcc
                                        ; implicit-def: $sgpr84_sgpr85
                                        ; implicit-def: $sgpr82_sgpr83
	s_and_saveexec_b64 s[86:87], s[88:89]
	s_cbranch_execz .LBB98_176
; %bb.151:                              ;   in Loop: Header=BB98_11 Depth=1
	ds_read_b32 v2, v12 offset:4104
	s_waitcnt lgkmcnt(0)
	s_barrier
	v_readfirstlane_b32 s93, v2
	s_and_saveexec_b64 s[28:29], s[20:21]
; %bb.152:                              ;   in Loop: Header=BB98_11 Depth=1
	v_mov_b32_e32 v11, v12
	ds_write_b64 v28, v[11:12]
; %bb.153:                              ;   in Loop: Header=BB98_11 Depth=1
	s_or_b64 exec, exec, s[28:29]
	s_lshl_b64 s[12:13], 2, s3
	v_and_b32_e32 v2, s77, v18
	v_and_b32_e32 v3, s76, v17
	v_or_b32_e32 v18, s13, v2
	v_or_b32_e32 v17, s12, v3
	;; [unrolled: 1-line block ×4, first 2 shown]
	s_mov_b64 s[82:83], -1
	s_mov_b64 s[84:85], 0
	s_cmp_eq_u32 s93, 0
	s_mov_b64 s[90:91], 0
	s_mov_b64 s[42:43], -1
	s_waitcnt lgkmcnt(0)
	s_barrier
                                        ; implicit-def: $vgpr4_vgpr5
	s_cbranch_scc1 .LBB98_164
; %bb.154:                              ;   in Loop: Header=BB98_11 Depth=1
	s_add_i32 s12, s93, s34
	s_mul_hi_u32 s13, s12, s56
	s_mul_i32 s13, s13, s27
	s_sub_i32 s13, s12, s13
	s_sub_i32 s28, s13, s27
	s_cmp_ge_u32 s13, s27
	s_cselect_b32 s13, s28, s13
	s_sub_i32 s28, s13, s27
	s_cmp_ge_u32 s13, s27
	s_cselect_b32 s13, s28, s13
	s_sub_i32 s12, s12, s13
	v_cmp_gt_u32_e32 vcc, s12, v0
	s_mov_b64 s[42:43], 0
                                        ; implicit-def: $vgpr4_vgpr5
	s_and_saveexec_b64 s[28:29], vcc
	s_cbranch_execz .LBB98_163
; %bb.155:                              ;   in Loop: Header=BB98_11 Depth=1
	s_mov_b64 s[30:31], 0
	v_mov_b32_e32 v7, v27
	v_mov_b32_e32 v9, v0
                                        ; implicit-def: $sgpr90_sgpr91
	s_branch .LBB98_158
.LBB98_156:                             ;   in Loop: Header=BB98_158 Depth=2
	s_or_b64 exec, exec, s[44:45]
	s_waitcnt lgkmcnt(0)
	s_barrier
	ds_read_b128 v[2:5], v12 offset:3072
	s_mov_b64 s[36:37], -1
	s_mov_b64 s[38:39], -1
	s_waitcnt lgkmcnt(0)
	s_barrier
	v_cmp_ne_u64_e32 vcc, 0, v[2:3]
	s_cbranch_vccz .LBB98_161
.LBB98_157:                             ;   in Loop: Header=BB98_158 Depth=2
	s_and_b64 s[36:37], exec, s[36:37]
	s_or_b64 s[30:31], s[36:37], s[30:31]
	s_andn2_b64 s[36:37], s[90:91], exec
	s_and_b64 s[38:39], s[38:39], exec
	s_or_b64 s[90:91], s[36:37], s[38:39]
	s_andn2_b64 exec, exec, s[30:31]
	s_cbranch_execz .LBB98_162
.LBB98_158:                             ;   Parent Loop BB98_11 Depth=1
                                        ; =>  This Inner Loop Header: Depth=2
	v_cmp_gt_u32_e32 vcc, s93, v9
	s_and_saveexec_b64 s[44:45], vcc
	s_cbranch_execz .LBB98_156
; %bb.159:                              ;   in Loop: Header=BB98_158 Depth=2
	ds_read_b64 v[3:4], v7
	s_waitcnt lgkmcnt(0)
	v_xor_b32_e32 v2, 0x80000000, v4
	v_and_b32_e32 v22, v2, v20
	v_and_b32_e32 v21, v3, v19
	v_cmp_eq_u64_e32 vcc, v[21:22], v[17:18]
	s_and_b64 exec, exec, vcc
	s_cbranch_execz .LBB98_156
; %bb.160:                              ;   in Loop: Header=BB98_158 Depth=2
	v_mov_b32_e32 v2, v12
	ds_write_b128 v12, v[1:4] offset:3072
	s_branch .LBB98_156
.LBB98_161:                             ;   in Loop: Header=BB98_158 Depth=2
	v_add_u32_e32 v9, s27, v9
	v_cmp_le_u32_e32 vcc, s12, v9
	v_add_u32_e32 v7, s2, v7
	s_mov_b64 s[38:39], 0
	s_orn2_b64 s[36:37], vcc, exec
	s_branch .LBB98_157
.LBB98_162:                             ;   in Loop: Header=BB98_11 Depth=1
	s_or_b64 exec, exec, s[30:31]
	s_and_b64 s[90:91], s[90:91], exec
.LBB98_163:                             ;   in Loop: Header=BB98_11 Depth=1
	s_or_b64 exec, exec, s[28:29]
.LBB98_164:                             ;   in Loop: Header=BB98_11 Depth=1
	s_and_b64 vcc, exec, s[42:43]
	s_cbranch_vccz .LBB98_175
; %bb.165:                              ;   in Loop: Header=BB98_11 Depth=1
                                        ; implicit-def: $vgpr4_vgpr5
	s_mov_b64 s[28:29], exec
	v_readlane_b32 s12, v46, 30
	v_readlane_b32 s13, v46, 31
	s_and_b64 s[12:13], s[28:29], s[12:13]
	s_mov_b64 exec, s[12:13]
	s_cbranch_execz .LBB98_174
; %bb.166:                              ;   in Loop: Header=BB98_11 Depth=1
	s_mov_b64 s[30:31], 0
	v_mov_b32_e32 v11, v10
	v_mov_b32_e32 v7, v0
                                        ; implicit-def: $sgpr42_sgpr43
	s_branch .LBB98_169
.LBB98_167:                             ;   in Loop: Header=BB98_169 Depth=2
	s_or_b64 exec, exec, s[44:45]
	s_waitcnt lgkmcnt(0)
	s_barrier
	ds_read_b128 v[2:5], v12 offset:3072
	s_mov_b64 s[36:37], -1
	s_mov_b64 s[38:39], -1
	s_waitcnt lgkmcnt(0)
	s_barrier
	v_cmp_eq_u64_e32 vcc, 0, v[2:3]
	s_cbranch_vccnz .LBB98_172
.LBB98_168:                             ;   in Loop: Header=BB98_169 Depth=2
	s_and_b64 s[12:13], exec, s[36:37]
	s_or_b64 s[30:31], s[12:13], s[30:31]
	s_andn2_b64 s[12:13], s[42:43], exec
	s_and_b64 s[36:37], s[38:39], exec
	s_or_b64 s[42:43], s[12:13], s[36:37]
	s_andn2_b64 exec, exec, s[30:31]
	s_cbranch_execz .LBB98_173
.LBB98_169:                             ;   Parent Loop BB98_11 Depth=1
                                        ; =>  This Inner Loop Header: Depth=2
	v_cmp_gt_u32_e32 vcc, s24, v7
	s_and_saveexec_b64 s[44:45], vcc
	s_cbranch_execz .LBB98_167
; %bb.170:                              ;   in Loop: Header=BB98_169 Depth=2
	v_lshlrev_b64 v[2:3], 3, v[11:12]
	v_mov_b32_e32 v4, s25
	v_add_co_u32_e32 v2, vcc, s58, v2
	v_addc_co_u32_e32 v3, vcc, v4, v3, vcc
	global_load_dwordx2 v[3:4], v[2:3], off
	s_waitcnt vmcnt(0)
	v_xor_b32_e32 v2, 0x80000000, v4
	v_and_b32_e32 v22, v2, v20
	v_and_b32_e32 v21, v3, v19
	v_cmp_eq_u64_e32 vcc, v[21:22], v[17:18]
	s_and_b64 exec, exec, vcc
	s_cbranch_execz .LBB98_167
; %bb.171:                              ;   in Loop: Header=BB98_169 Depth=2
	v_mov_b32_e32 v2, v12
	ds_write_b128 v12, v[1:4] offset:3072
	s_branch .LBB98_167
.LBB98_172:                             ;   in Loop: Header=BB98_169 Depth=2
	v_add_u32_e32 v7, s27, v7
	v_cmp_le_u32_e32 vcc, s57, v7
	v_add_u32_e32 v11, s52, v11
	s_mov_b64 s[38:39], 0
	s_orn2_b64 s[36:37], vcc, exec
	s_branch .LBB98_168
.LBB98_173:                             ;   in Loop: Header=BB98_11 Depth=1
	s_or_b64 exec, exec, s[30:31]
	s_andn2_b64 s[12:13], s[90:91], exec
	s_and_b64 s[30:31], s[42:43], exec
	s_or_b64 s[90:91], s[12:13], s[30:31]
.LBB98_174:                             ;   in Loop: Header=BB98_11 Depth=1
	s_or_b64 exec, exec, s[28:29]
	s_mov_b64 s[82:83], 0
	s_mov_b64 s[84:85], -1
.LBB98_175:                             ;   in Loop: Header=BB98_11 Depth=1
	s_orn2_b64 s[28:29], s[90:91], exec
.LBB98_176:                             ;   in Loop: Header=BB98_11 Depth=1
	s_or_b64 exec, exec, s[86:87]
	s_mov_b64 s[30:31], 0
	s_and_saveexec_b64 s[86:87], s[28:29]
	s_cbranch_execz .LBB98_226
; %bb.177:                              ;   in Loop: Header=BB98_11 Depth=1
	s_xor_b64 s[12:13], s[88:89], -1
	v_mov_b32_e32 v7, 1
	v_mov_b32_e32 v6, 1
	s_and_saveexec_b64 s[42:43], s[12:13]
	s_cbranch_execz .LBB98_186
; %bb.178:                              ;   in Loop: Header=BB98_11 Depth=1
	v_cmp_ge_u32_e32 vcc, s92, v8
	s_and_saveexec_b64 s[12:13], vcc
	s_xor_b64 s[28:29], exec, s[12:13]
	s_cbranch_execz .LBB98_183
; %bb.179:                              ;   in Loop: Header=BB98_11 Depth=1
	s_lshl_b64 s[12:13], 2, s3
	v_and_b32_e32 v2, s77, v18
	v_or_b32_e32 v18, s13, v2
	ds_read_b32 v2, v12 offset:4104
	v_and_b32_e32 v3, s76, v17
	v_or_b32_e32 v17, s12, v3
	v_or_b32_e32 v20, s7, v20
	;; [unrolled: 1-line block ×3, first 2 shown]
	s_waitcnt lgkmcnt(0)
	v_cmp_ne_u32_e32 vcc, 0, v2
	s_cbranch_vccnz .LBB98_183
; %bb.180:                              ;   in Loop: Header=BB98_11 Depth=1
	s_and_saveexec_b64 s[30:31], s[0:1]
; %bb.181:                              ;   in Loop: Header=BB98_11 Depth=1
	v_mov_b32_e32 v2, s92
	ds_write_b32 v12, v2 offset:4108
; %bb.182:                              ;   in Loop: Header=BB98_11 Depth=1
	s_or_b64 exec, exec, s[30:31]
	s_waitcnt lgkmcnt(0)
	s_barrier
.LBB98_183:                             ;   in Loop: Header=BB98_11 Depth=1
	s_or_saveexec_b64 s[28:29], s[28:29]
	s_mov_b64 s[30:31], 0
	v_mov_b32_e32 v6, 8
	s_xor_b64 exec, exec, s[28:29]
; %bb.184:                              ;   in Loop: Header=BB98_11 Depth=1
	v_subrev_u32_e32 v8, s92, v8
	v_mov_b32_e32 v6, 0
	s_mov_b64 s[30:31], exec
; %bb.185:                              ;   in Loop: Header=BB98_11 Depth=1
	s_or_b64 exec, exec, s[28:29]
	s_and_b64 s[30:31], s[30:31], exec
	v_mov_b32_e32 v7, v8
.LBB98_186:                             ;   in Loop: Header=BB98_11 Depth=1
	s_or_b64 exec, exec, s[42:43]
	s_mov_b64 s[28:29], -1
                                        ; implicit-def: $sgpr90_sgpr91
                                        ; implicit-def: $sgpr88_sgpr89
	s_and_saveexec_b64 s[76:77], s[30:31]
	s_cbranch_execz .LBB98_225
; %bb.187:                              ;   in Loop: Header=BB98_11 Depth=1
	s_cmp_eq_u32 s33, 1
	s_cselect_b64 s[12:13], -1, 0
	v_cmp_eq_u32_e32 vcc, 1, v7
	s_and_b64 s[92:93], s[12:13], vcc
                                        ; implicit-def: $sgpr90_sgpr91
                                        ; implicit-def: $sgpr88_sgpr89
	s_and_saveexec_b64 s[94:95], s[92:93]
	s_cbranch_execz .LBB98_213
; %bb.188:                              ;   in Loop: Header=BB98_11 Depth=1
	ds_read_b32 v2, v12 offset:4104
	s_waitcnt lgkmcnt(0)
	s_barrier
	v_readfirstlane_b32 s12, v2
	s_and_saveexec_b64 s[28:29], s[20:21]
; %bb.189:                              ;   in Loop: Header=BB98_11 Depth=1
	v_mov_b32_e32 v11, v12
	ds_write_b64 v28, v[11:12]
; %bb.190:                              ;   in Loop: Header=BB98_11 Depth=1
	s_or_b64 exec, exec, s[28:29]
	v_or_b32_e32 v18, s7, v18
	v_or_b32_e32 v17, s6, v17
	;; [unrolled: 1-line block ×4, first 2 shown]
	s_mov_b64 s[88:89], -1
	s_mov_b64 s[90:91], 0
	s_cmp_eq_u32 s12, 0
	s_mov_b64 s[42:43], 0
	s_mov_b64 s[28:29], -1
	s_waitcnt lgkmcnt(0)
	s_barrier
                                        ; implicit-def: $vgpr4_vgpr5
	s_cbranch_scc1 .LBB98_201
; %bb.191:                              ;   in Loop: Header=BB98_11 Depth=1
	s_add_i32 s13, s12, s34
	s_mul_hi_u32 s28, s13, s56
	s_mul_i32 s28, s28, s27
	s_sub_i32 s28, s13, s28
	s_sub_i32 s29, s28, s27
	s_cmp_ge_u32 s28, s27
	s_cselect_b32 s28, s29, s28
	s_sub_i32 s29, s28, s27
	s_cmp_ge_u32 s28, s27
	s_cselect_b32 s28, s29, s28
	s_sub_i32 s13, s13, s28
	v_cmp_gt_u32_e32 vcc, s13, v0
	s_mov_b64 s[28:29], 0
                                        ; implicit-def: $vgpr4_vgpr5
	s_and_saveexec_b64 s[30:31], vcc
	s_cbranch_execz .LBB98_200
; %bb.192:                              ;   in Loop: Header=BB98_11 Depth=1
	v_mov_b32_e32 v8, v27
	v_mov_b32_e32 v9, v0
                                        ; implicit-def: $sgpr44_sgpr45
	s_branch .LBB98_195
.LBB98_193:                             ;   in Loop: Header=BB98_195 Depth=2
	s_or_b64 exec, exec, s[36:37]
	s_waitcnt lgkmcnt(0)
	s_barrier
	ds_read_b128 v[2:5], v12 offset:3072
	s_mov_b64 s[36:37], -1
	s_mov_b64 s[38:39], -1
	s_waitcnt lgkmcnt(0)
	s_barrier
	v_cmp_ne_u64_e32 vcc, 0, v[2:3]
	s_cbranch_vccz .LBB98_198
.LBB98_194:                             ;   in Loop: Header=BB98_195 Depth=2
	s_and_b64 s[36:37], exec, s[36:37]
	s_or_b64 s[42:43], s[36:37], s[42:43]
	s_andn2_b64 s[36:37], s[44:45], exec
	s_and_b64 s[38:39], s[38:39], exec
	s_or_b64 s[44:45], s[36:37], s[38:39]
	s_andn2_b64 exec, exec, s[42:43]
	s_cbranch_execz .LBB98_199
.LBB98_195:                             ;   Parent Loop BB98_11 Depth=1
                                        ; =>  This Inner Loop Header: Depth=2
	v_cmp_gt_u32_e32 vcc, s12, v9
	s_and_saveexec_b64 s[36:37], vcc
	s_cbranch_execz .LBB98_193
; %bb.196:                              ;   in Loop: Header=BB98_195 Depth=2
	ds_read_b64 v[3:4], v8
	s_waitcnt lgkmcnt(0)
	v_xor_b32_e32 v2, 0x80000000, v4
	v_and_b32_e32 v22, v2, v20
	v_and_b32_e32 v21, v3, v19
	v_cmp_eq_u64_e32 vcc, v[21:22], v[17:18]
	s_and_b64 exec, exec, vcc
	s_cbranch_execz .LBB98_193
; %bb.197:                              ;   in Loop: Header=BB98_195 Depth=2
	v_mov_b32_e32 v2, v12
	ds_write_b128 v12, v[1:4] offset:3072
	s_branch .LBB98_193
.LBB98_198:                             ;   in Loop: Header=BB98_195 Depth=2
	v_add_u32_e32 v9, s27, v9
	v_cmp_le_u32_e32 vcc, s13, v9
	v_add_u32_e32 v8, s2, v8
	s_mov_b64 s[38:39], 0
	s_orn2_b64 s[36:37], vcc, exec
	s_branch .LBB98_194
.LBB98_199:                             ;   in Loop: Header=BB98_11 Depth=1
	s_or_b64 exec, exec, s[42:43]
	s_and_b64 s[42:43], s[44:45], exec
.LBB98_200:                             ;   in Loop: Header=BB98_11 Depth=1
	s_or_b64 exec, exec, s[30:31]
.LBB98_201:                             ;   in Loop: Header=BB98_11 Depth=1
	s_and_b64 vcc, exec, s[28:29]
	s_cbranch_vccz .LBB98_212
; %bb.202:                              ;   in Loop: Header=BB98_11 Depth=1
                                        ; implicit-def: $vgpr4_vgpr5
	s_mov_b64 s[28:29], exec
	v_readlane_b32 s12, v46, 30
	v_readlane_b32 s13, v46, 31
	s_and_b64 s[12:13], s[28:29], s[12:13]
	s_mov_b64 exec, s[12:13]
	s_cbranch_execz .LBB98_211
; %bb.203:                              ;   in Loop: Header=BB98_11 Depth=1
	s_mov_b64 s[30:31], 0
	v_mov_b32_e32 v11, v10
	v_mov_b32_e32 v8, v0
                                        ; implicit-def: $sgpr88_sgpr89
	s_branch .LBB98_206
.LBB98_204:                             ;   in Loop: Header=BB98_206 Depth=2
	s_or_b64 exec, exec, s[44:45]
	s_waitcnt lgkmcnt(0)
	s_barrier
	ds_read_b128 v[2:5], v12 offset:3072
	s_mov_b64 s[36:37], -1
	s_mov_b64 s[38:39], -1
	s_waitcnt lgkmcnt(0)
	s_barrier
	v_cmp_eq_u64_e32 vcc, 0, v[2:3]
	s_cbranch_vccnz .LBB98_209
.LBB98_205:                             ;   in Loop: Header=BB98_206 Depth=2
	s_and_b64 s[12:13], exec, s[36:37]
	s_or_b64 s[30:31], s[12:13], s[30:31]
	s_andn2_b64 s[12:13], s[88:89], exec
	s_and_b64 s[36:37], s[38:39], exec
	s_or_b64 s[88:89], s[12:13], s[36:37]
	s_andn2_b64 exec, exec, s[30:31]
	s_cbranch_execz .LBB98_210
.LBB98_206:                             ;   Parent Loop BB98_11 Depth=1
                                        ; =>  This Inner Loop Header: Depth=2
	v_cmp_gt_u32_e32 vcc, s24, v8
	s_and_saveexec_b64 s[44:45], vcc
	s_cbranch_execz .LBB98_204
; %bb.207:                              ;   in Loop: Header=BB98_206 Depth=2
	v_lshlrev_b64 v[2:3], 3, v[11:12]
	v_mov_b32_e32 v4, s25
	v_add_co_u32_e32 v2, vcc, s58, v2
	v_addc_co_u32_e32 v3, vcc, v4, v3, vcc
	global_load_dwordx2 v[3:4], v[2:3], off
	s_waitcnt vmcnt(0)
	v_xor_b32_e32 v2, 0x80000000, v4
	v_and_b32_e32 v22, v2, v20
	v_and_b32_e32 v21, v3, v19
	v_cmp_eq_u64_e32 vcc, v[21:22], v[17:18]
	s_and_b64 exec, exec, vcc
	s_cbranch_execz .LBB98_204
; %bb.208:                              ;   in Loop: Header=BB98_206 Depth=2
	v_mov_b32_e32 v2, v12
	ds_write_b128 v12, v[1:4] offset:3072
	s_branch .LBB98_204
.LBB98_209:                             ;   in Loop: Header=BB98_206 Depth=2
	v_add_u32_e32 v8, s27, v8
	v_cmp_le_u32_e32 vcc, s57, v8
	v_add_u32_e32 v11, s52, v11
	s_mov_b64 s[38:39], 0
	s_orn2_b64 s[36:37], vcc, exec
	s_branch .LBB98_205
.LBB98_210:                             ;   in Loop: Header=BB98_11 Depth=1
	s_or_b64 exec, exec, s[30:31]
	s_andn2_b64 s[12:13], s[42:43], exec
	s_and_b64 s[30:31], s[88:89], exec
	s_or_b64 s[42:43], s[12:13], s[30:31]
.LBB98_211:                             ;   in Loop: Header=BB98_11 Depth=1
	s_or_b64 exec, exec, s[28:29]
	s_mov_b64 s[88:89], 0
	s_mov_b64 s[90:91], -1
.LBB98_212:                             ;   in Loop: Header=BB98_11 Depth=1
	s_orn2_b64 s[28:29], s[42:43], exec
.LBB98_213:                             ;   in Loop: Header=BB98_11 Depth=1
	s_or_b64 exec, exec, s[94:95]
	s_mov_b64 s[30:31], 0
	s_and_saveexec_b64 s[42:43], s[28:29]
	s_cbranch_execz .LBB98_224
; %bb.214:                              ;   in Loop: Header=BB98_11 Depth=1
	s_xor_b64 s[12:13], s[92:93], -1
	v_mov_b32_e32 v6, 1
	v_mov_b32_e32 v2, 1
	s_and_saveexec_b64 s[28:29], s[12:13]
	s_cbranch_execz .LBB98_223
; %bb.215:                              ;   in Loop: Header=BB98_11 Depth=1
	v_cmp_ge_u32_e32 vcc, s33, v7
	s_and_saveexec_b64 s[12:13], vcc
	s_xor_b64 s[30:31], exec, s[12:13]
	s_cbranch_execz .LBB98_220
; %bb.216:                              ;   in Loop: Header=BB98_11 Depth=1
	ds_read_b32 v2, v12 offset:4104
	v_or_b32_e32 v18, s7, v18
	v_or_b32_e32 v17, s6, v17
	;; [unrolled: 1-line block ×4, first 2 shown]
	s_waitcnt lgkmcnt(0)
	v_cmp_ne_u32_e32 vcc, 0, v2
	s_cbranch_vccnz .LBB98_220
; %bb.217:                              ;   in Loop: Header=BB98_11 Depth=1
	s_and_saveexec_b64 s[6:7], s[0:1]
; %bb.218:                              ;   in Loop: Header=BB98_11 Depth=1
	v_mov_b32_e32 v2, s33
	ds_write_b32 v12, v2 offset:4108
; %bb.219:                              ;   in Loop: Header=BB98_11 Depth=1
	s_or_b64 exec, exec, s[6:7]
	s_waitcnt lgkmcnt(0)
	s_barrier
.LBB98_220:                             ;   in Loop: Header=BB98_11 Depth=1
	s_andn2_saveexec_b64 s[6:7], s[30:31]
; %bb.221:                              ;   in Loop: Header=BB98_11 Depth=1
	v_subrev_u32_e32 v7, s33, v7
; %bb.222:                              ;   in Loop: Header=BB98_11 Depth=1
	s_or_b64 exec, exec, s[6:7]
	v_mov_b32_e32 v6, 8
	v_mov_b32_e32 v2, v7
.LBB98_223:                             ;   in Loop: Header=BB98_11 Depth=1
	s_or_b64 exec, exec, s[28:29]
	s_mov_b64 s[30:31], exec
	v_mov_b32_e32 v7, v2
.LBB98_224:                             ;   in Loop: Header=BB98_11 Depth=1
	s_or_b64 exec, exec, s[42:43]
	s_orn2_b64 s[28:29], s[30:31], exec
.LBB98_225:                             ;   in Loop: Header=BB98_11 Depth=1
	s_or_b64 exec, exec, s[76:77]
	s_andn2_b64 s[6:7], s[84:85], exec
	s_and_b64 s[12:13], s[90:91], exec
	s_or_b64 s[84:85], s[6:7], s[12:13]
	s_andn2_b64 s[6:7], s[82:83], exec
	s_and_b64 s[12:13], s[88:89], exec
	s_or_b64 s[82:83], s[6:7], s[12:13]
	s_and_b64 s[30:31], s[28:29], exec
	v_mov_b32_e32 v8, v7
.LBB98_226:                             ;   in Loop: Header=BB98_11 Depth=1
	s_or_b64 exec, exec, s[86:87]
	s_orn2_b64 s[28:29], s[30:31], exec
.LBB98_227:                             ;   in Loop: Header=BB98_11 Depth=1
	s_or_b64 exec, exec, s[80:81]
	s_andn2_b64 s[6:7], s[74:75], exec
	s_and_b64 s[12:13], s[84:85], exec
	s_or_b64 s[74:75], s[6:7], s[12:13]
	s_andn2_b64 s[6:7], s[22:23], exec
	s_and_b64 s[12:13], s[82:83], exec
	s_or_b64 s[22:23], s[6:7], s[12:13]
	s_and_b64 s[30:31], s[28:29], exec
	v_mov_b32_e32 v7, v8
.LBB98_228:                             ;   in Loop: Header=BB98_11 Depth=1
	s_or_b64 exec, exec, s[78:79]
	s_orn2_b64 s[28:29], s[30:31], exec
.LBB98_229:                             ;   in Loop: Header=BB98_11 Depth=1
	s_or_b64 exec, exec, s[18:19]
	s_mov_b64 s[18:19], 0
                                        ; implicit-def: $sgpr12
                                        ; implicit-def: $sgpr13
	s_and_saveexec_b64 s[6:7], s[28:29]
	s_xor_b64 s[6:7], exec, s[6:7]
	s_cbranch_execz .LBB98_9
; %bb.230:                              ;   in Loop: Header=BB98_11 Depth=1
	v_and_b32_e32 v2, 7, v6
	v_cmp_eq_u32_e32 vcc, 0, v2
	s_mov_b64 s[16:17], -1
	s_mov_b64 s[18:19], -1
                                        ; implicit-def: $sgpr12
                                        ; implicit-def: $sgpr13
	s_and_saveexec_b64 s[28:29], vcc
	s_cbranch_execz .LBB98_8
; %bb.231:                              ;   in Loop: Header=BB98_11 Depth=1
	s_xor_b32 s13, s59, 1
	s_add_i32 s12, s3, -2
	s_cmp_eq_u32 s3, 0
	s_cselect_b64 s[16:17], -1, 0
	s_xor_b64 s[18:19], exec, -1
	s_orn2_b64 s[16:17], s[16:17], exec
	s_branch .LBB98_8
.LBB98_232:
	s_or_b64 exec, exec, s[60:61]
	s_xor_b64 s[8:9], s[66:67], -1
	s_xor_b64 s[0:1], s[62:63], -1
	;; [unrolled: 1-line block ×3, first 2 shown]
	s_mov_b64 s[4:5], 0
	s_and_saveexec_b64 s[2:3], s[0:1]
	s_xor_b64 s[0:1], exec, s[2:3]
	s_cbranch_execnz .LBB98_237
; %bb.233:
	s_andn2_saveexec_b64 s[0:1], s[0:1]
	s_cbranch_execnz .LBB98_250
.LBB98_234:
	s_or_b64 exec, exec, s[0:1]
	s_and_saveexec_b64 s[0:1], s[4:5]
.LBB98_235:
	; divergent unreachable
.LBB98_236:
	s_endpgm
.LBB98_237:
	s_and_saveexec_b64 s[2:3], s[8:9]
	s_xor_b64 s[4:5], exec, s[2:3]
	s_cbranch_execz .LBB98_248
; %bb.238:
	s_and_saveexec_b64 s[2:3], s[6:7]
	s_xor_b64 s[6:7], exec, s[2:3]
; %bb.239:
	v_xor_b32_e32 v18, 0x80000000, v18
	v_mov_b32_e32 v4, v17
	v_mov_b32_e32 v5, v18
; %bb.240:
	s_or_b64 exec, exec, s[6:7]
	v_readlane_b32 s8, v46, 1
	v_readlane_b32 s9, v46, 2
	;; [unrolled: 1-line block ×3, first 2 shown]
	s_mul_i32 s2, s10, s9
	v_readlane_b32 s9, v46, 18
	s_mul_i32 s3, s9, s8
	v_readlane_b32 s18, v46, 20
	s_sub_i32 s3, s10, s3
	s_sub_i32 s2, s18, s2
	s_add_i32 s6, s9, 1
	s_sub_i32 s7, s3, s8
	s_cmp_ge_u32 s3, s8
	s_cselect_b32 s6, s6, s9
	s_cselect_b32 s3, s7, s3
	s_add_i32 s7, s6, 1
	s_cmp_ge_u32 s3, s8
	s_cselect_b32 s3, s7, s6
	v_readlane_b32 s12, v46, 10
	s_mul_i32 s6, s3, s8
	v_readlane_b32 s13, v46, 11
	v_readlane_b32 s14, v46, 12
	s_sub_i32 s6, s10, s6
	s_mul_i32 s2, s2, s14
	s_mul_i32 s6, s6, s13
	s_add_i32 s2, s6, s2
	s_mul_i32 s3, s3, s12
	s_add_i32 s2, s2, s3
	s_mov_b32 s3, 0
	s_lshl_b64 s[2:3], s[2:3], 3
	v_readlane_b32 s6, v46, 16
	v_readlane_b32 s7, v46, 17
	s_add_u32 s2, s6, s2
	s_addc_u32 s3, s7, s3
	v_mov_b32_e32 v11, 0
	v_readlane_b32 s15, v46, 13
	global_store_dwordx2 v11, v[4:5], s[2:3]
	s_mov_b64 s[6:7], exec
	v_readlane_b32 s2, v46, 21
	v_readlane_b32 s3, v46, 22
	s_and_b64 s[2:3], s[6:7], s[2:3]
	s_mov_b64 exec, s[2:3]
	s_cbranch_execz .LBB98_247
; %bb.241:
	s_mov_b64 s[2:3], 0
	v_mov_b32_e32 v2, s25
                                        ; implicit-def: $sgpr8_sgpr9
                                        ; implicit-def: $sgpr12_sgpr13
                                        ; implicit-def: $sgpr10_sgpr11
	s_branch .LBB98_243
.LBB98_242:                             ;   in Loop: Header=BB98_243 Depth=1
	s_or_b64 exec, exec, s[14:15]
	s_and_b64 s[14:15], exec, s[12:13]
	s_or_b64 s[2:3], s[14:15], s[2:3]
	s_andn2_b64 s[8:9], s[8:9], exec
	s_and_b64 s[14:15], s[10:11], exec
	s_or_b64 s[8:9], s[8:9], s[14:15]
	s_andn2_b64 exec, exec, s[2:3]
	s_cbranch_execz .LBB98_245
.LBB98_243:                             ; =>This Inner Loop Header: Depth=1
	v_lshlrev_b64 v[6:7], 3, v[10:11]
	v_mov_b32_e32 v1, v0
	v_add_co_u32_e32 v6, vcc, s58, v6
	v_addc_co_u32_e32 v7, vcc, v2, v7, vcc
	global_load_dwordx2 v[6:7], v[6:7], off
	s_or_b64 s[10:11], s[10:11], exec
	s_or_b64 s[12:13], s[12:13], exec
                                        ; implicit-def: $vgpr0
	s_waitcnt vmcnt(0)
	v_cmp_ne_u64_e32 vcc, v[6:7], v[4:5]
	s_and_saveexec_b64 s[14:15], vcc
	s_cbranch_execz .LBB98_242
; %bb.244:                              ;   in Loop: Header=BB98_243 Depth=1
	v_add_u32_e32 v0, s27, v1
	v_cmp_le_u32_e32 vcc, s24, v0
	s_andn2_b64 s[12:13], s[12:13], exec
	s_and_b64 s[16:17], vcc, exec
	v_add_u32_e32 v10, s52, v10
	s_andn2_b64 s[10:11], s[10:11], exec
	s_or_b64 s[12:13], s[12:13], s[16:17]
	s_branch .LBB98_242
.LBB98_245:
	s_or_b64 exec, exec, s[2:3]
	s_and_saveexec_b64 s[2:3], s[8:9]
	s_xor_b64 s[2:3], exec, s[2:3]
	s_cbranch_execz .LBB98_247
; %bb.246:
	v_readlane_b32 s10, v46, 4
	v_readlane_b32 s11, v46, 5
	;; [unrolled: 1-line block ×3, first 2 shown]
	s_mul_i32 s2, s12, s11
	v_readlane_b32 s11, v46, 19
	s_mul_i32 s3, s11, s10
	s_sub_i32 s3, s12, s3
	s_sub_i32 s2, s18, s2
	s_add_i32 s8, s11, 1
	s_sub_i32 s9, s3, s10
	s_cmp_ge_u32 s3, s10
	s_cselect_b32 s8, s8, s11
	s_cselect_b32 s3, s9, s3
	s_add_i32 s9, s8, 1
	s_cmp_ge_u32 s3, s10
	s_cselect_b32 s3, s9, s8
	v_readlane_b32 s16, v46, 6
	s_mul_i32 s8, s3, s10
	v_readlane_b32 s17, v46, 7
	v_readlane_b32 s18, v46, 8
	s_sub_i32 s8, s12, s8
	s_mul_i32 s2, s2, s18
	s_mul_i32 s8, s8, s17
	s_add_i32 s2, s8, s2
	s_mul_i32 s3, s3, s16
	s_add_i32 s2, s2, s3
	s_mov_b32 s3, 0
	s_lshl_b64 s[2:3], s[2:3], 3
	v_readlane_b32 s8, v46, 14
	v_readlane_b32 s9, v46, 15
	s_add_u32 s2, s8, s2
	s_addc_u32 s3, s9, s3
	v_mov_b32_e32 v2, 0
	v_readlane_b32 s19, v46, 9
	global_store_dwordx2 v2, v[1:2], s[2:3]
.LBB98_247:
	s_or_b64 exec, exec, s[6:7]
.LBB98_248:
	s_or_saveexec_b64 s[2:3], s[4:5]
	s_mov_b64 s[4:5], 0
	s_xor_b64 exec, exec, s[2:3]
	s_cbranch_execnz .LBB98_251
.LBB98_249:
	s_or_b64 exec, exec, s[2:3]
	s_and_b64 s[4:5], s[4:5], exec
	s_andn2_saveexec_b64 s[0:1], s[0:1]
	s_cbranch_execz .LBB98_234
.LBB98_250:
	s_or_b64 s[4:5], s[4:5], exec
	s_trap 2
	s_or_b64 exec, exec, s[0:1]
	s_and_saveexec_b64 s[0:1], s[4:5]
	s_cbranch_execnz .LBB98_235
	s_branch .LBB98_236
.LBB98_251:
	s_mov_b64 s[4:5], exec
	s_trap 2
	s_branch .LBB98_249
	.section	.rodata,"a",@progbits
	.p2align	6, 0x0
	.amdhsa_kernel _ZN2at6native12_GLOBAL__N_112gatherMedianIljLi3EEEvNS_4cuda6detail10TensorInfoIT_T0_EENS5_IlS7_EENS5_IKS6_S7_EES7_S7_S7_b
		.amdhsa_group_segment_fixed_size 4120
		.amdhsa_private_segment_fixed_size 0
		.amdhsa_kernarg_size 920
		.amdhsa_user_sgpr_count 6
		.amdhsa_user_sgpr_private_segment_buffer 1
		.amdhsa_user_sgpr_dispatch_ptr 0
		.amdhsa_user_sgpr_queue_ptr 0
		.amdhsa_user_sgpr_kernarg_segment_ptr 1
		.amdhsa_user_sgpr_dispatch_id 0
		.amdhsa_user_sgpr_flat_scratch_init 0
		.amdhsa_user_sgpr_private_segment_size 0
		.amdhsa_uses_dynamic_stack 0
		.amdhsa_system_sgpr_private_segment_wavefront_offset 0
		.amdhsa_system_sgpr_workgroup_id_x 1
		.amdhsa_system_sgpr_workgroup_id_y 1
		.amdhsa_system_sgpr_workgroup_id_z 1
		.amdhsa_system_sgpr_workgroup_info 0
		.amdhsa_system_vgpr_workitem_id 0
		.amdhsa_next_free_vgpr 47
		.amdhsa_next_free_sgpr 96
		.amdhsa_reserve_vcc 1
		.amdhsa_reserve_flat_scratch 0
		.amdhsa_float_round_mode_32 0
		.amdhsa_float_round_mode_16_64 0
		.amdhsa_float_denorm_mode_32 3
		.amdhsa_float_denorm_mode_16_64 3
		.amdhsa_dx10_clamp 1
		.amdhsa_ieee_mode 1
		.amdhsa_fp16_overflow 0
		.amdhsa_exception_fp_ieee_invalid_op 0
		.amdhsa_exception_fp_denorm_src 0
		.amdhsa_exception_fp_ieee_div_zero 0
		.amdhsa_exception_fp_ieee_overflow 0
		.amdhsa_exception_fp_ieee_underflow 0
		.amdhsa_exception_fp_ieee_inexact 0
		.amdhsa_exception_int_div_zero 0
	.end_amdhsa_kernel
	.section	.text._ZN2at6native12_GLOBAL__N_112gatherMedianIljLi3EEEvNS_4cuda6detail10TensorInfoIT_T0_EENS5_IlS7_EENS5_IKS6_S7_EES7_S7_S7_b,"axG",@progbits,_ZN2at6native12_GLOBAL__N_112gatherMedianIljLi3EEEvNS_4cuda6detail10TensorInfoIT_T0_EENS5_IlS7_EENS5_IKS6_S7_EES7_S7_S7_b,comdat
.Lfunc_end98:
	.size	_ZN2at6native12_GLOBAL__N_112gatherMedianIljLi3EEEvNS_4cuda6detail10TensorInfoIT_T0_EENS5_IlS7_EENS5_IKS6_S7_EES7_S7_S7_b, .Lfunc_end98-_ZN2at6native12_GLOBAL__N_112gatherMedianIljLi3EEEvNS_4cuda6detail10TensorInfoIT_T0_EENS5_IlS7_EENS5_IKS6_S7_EES7_S7_S7_b
                                        ; -- End function
	.set _ZN2at6native12_GLOBAL__N_112gatherMedianIljLi3EEEvNS_4cuda6detail10TensorInfoIT_T0_EENS5_IlS7_EENS5_IKS6_S7_EES7_S7_S7_b.num_vgpr, 47
	.set _ZN2at6native12_GLOBAL__N_112gatherMedianIljLi3EEEvNS_4cuda6detail10TensorInfoIT_T0_EENS5_IlS7_EENS5_IKS6_S7_EES7_S7_S7_b.num_agpr, 0
	.set _ZN2at6native12_GLOBAL__N_112gatherMedianIljLi3EEEvNS_4cuda6detail10TensorInfoIT_T0_EENS5_IlS7_EENS5_IKS6_S7_EES7_S7_S7_b.numbered_sgpr, 96
	.set _ZN2at6native12_GLOBAL__N_112gatherMedianIljLi3EEEvNS_4cuda6detail10TensorInfoIT_T0_EENS5_IlS7_EENS5_IKS6_S7_EES7_S7_S7_b.num_named_barrier, 0
	.set _ZN2at6native12_GLOBAL__N_112gatherMedianIljLi3EEEvNS_4cuda6detail10TensorInfoIT_T0_EENS5_IlS7_EENS5_IKS6_S7_EES7_S7_S7_b.private_seg_size, 0
	.set _ZN2at6native12_GLOBAL__N_112gatherMedianIljLi3EEEvNS_4cuda6detail10TensorInfoIT_T0_EENS5_IlS7_EENS5_IKS6_S7_EES7_S7_S7_b.uses_vcc, 1
	.set _ZN2at6native12_GLOBAL__N_112gatherMedianIljLi3EEEvNS_4cuda6detail10TensorInfoIT_T0_EENS5_IlS7_EENS5_IKS6_S7_EES7_S7_S7_b.uses_flat_scratch, 0
	.set _ZN2at6native12_GLOBAL__N_112gatherMedianIljLi3EEEvNS_4cuda6detail10TensorInfoIT_T0_EENS5_IlS7_EENS5_IKS6_S7_EES7_S7_S7_b.has_dyn_sized_stack, 0
	.set _ZN2at6native12_GLOBAL__N_112gatherMedianIljLi3EEEvNS_4cuda6detail10TensorInfoIT_T0_EENS5_IlS7_EENS5_IKS6_S7_EES7_S7_S7_b.has_recursion, 0
	.set _ZN2at6native12_GLOBAL__N_112gatherMedianIljLi3EEEvNS_4cuda6detail10TensorInfoIT_T0_EENS5_IlS7_EENS5_IKS6_S7_EES7_S7_S7_b.has_indirect_call, 0
	.section	.AMDGPU.csdata,"",@progbits
; Kernel info:
; codeLenInByte = 9644
; TotalNumSgprs: 100
; NumVgprs: 47
; ScratchSize: 0
; MemoryBound: 0
; FloatMode: 240
; IeeeMode: 1
; LDSByteSize: 4120 bytes/workgroup (compile time only)
; SGPRBlocks: 12
; VGPRBlocks: 11
; NumSGPRsForWavesPerEU: 100
; NumVGPRsForWavesPerEU: 47
; Occupancy: 5
; WaveLimiterHint : 1
; COMPUTE_PGM_RSRC2:SCRATCH_EN: 0
; COMPUTE_PGM_RSRC2:USER_SGPR: 6
; COMPUTE_PGM_RSRC2:TRAP_HANDLER: 0
; COMPUTE_PGM_RSRC2:TGID_X_EN: 1
; COMPUTE_PGM_RSRC2:TGID_Y_EN: 1
; COMPUTE_PGM_RSRC2:TGID_Z_EN: 1
; COMPUTE_PGM_RSRC2:TIDIG_COMP_CNT: 0
	.section	.text._ZN2at6native12_GLOBAL__N_112gatherMedianIljLin1EEEvNS_4cuda6detail10TensorInfoIT_T0_EENS5_IlS7_EENS5_IKS6_S7_EES7_S7_S7_b,"axG",@progbits,_ZN2at6native12_GLOBAL__N_112gatherMedianIljLin1EEEvNS_4cuda6detail10TensorInfoIT_T0_EENS5_IlS7_EENS5_IKS6_S7_EES7_S7_S7_b,comdat
	.globl	_ZN2at6native12_GLOBAL__N_112gatherMedianIljLin1EEEvNS_4cuda6detail10TensorInfoIT_T0_EENS5_IlS7_EENS5_IKS6_S7_EES7_S7_S7_b ; -- Begin function _ZN2at6native12_GLOBAL__N_112gatherMedianIljLin1EEEvNS_4cuda6detail10TensorInfoIT_T0_EENS5_IlS7_EENS5_IKS6_S7_EES7_S7_S7_b
	.p2align	8
	.type	_ZN2at6native12_GLOBAL__N_112gatherMedianIljLin1EEEvNS_4cuda6detail10TensorInfoIT_T0_EENS5_IlS7_EENS5_IKS6_S7_EES7_S7_S7_b,@function
_ZN2at6native12_GLOBAL__N_112gatherMedianIljLin1EEEvNS_4cuda6detail10TensorInfoIT_T0_EENS5_IlS7_EENS5_IKS6_S7_EES7_S7_S7_b: ; @_ZN2at6native12_GLOBAL__N_112gatherMedianIljLin1EEEvNS_4cuda6detail10TensorInfoIT_T0_EENS5_IlS7_EENS5_IKS6_S7_EES7_S7_S7_b
; %bb.0:
	s_load_dwordx2 s[12:13], s[4:5], 0x298
	s_load_dwordx4 s[24:27], s[4:5], 0x288
	s_add_u32 s10, s4, 0x298
	s_addc_u32 s11, s5, 0
	s_waitcnt lgkmcnt(0)
	s_mul_i32 s0, s13, s8
	s_add_i32 s0, s0, s7
	s_mul_i32 s0, s0, s12
	s_add_i32 s7, s0, s6
	s_cmp_ge_u32 s7, s25
	s_cbranch_scc1 .LBB99_245
; %bb.1:
	s_load_dword s0, s[4:5], 0xd0
	s_mov_b32 s29, 0
	s_mov_b32 s25, s7
	s_waitcnt lgkmcnt(0)
	s_cmp_lt_i32 s0, 2
	s_cbranch_scc1 .LBB99_4
; %bb.2:
	s_add_i32 s28, s0, -1
	s_add_i32 s2, s0, 1
	s_lshl_b64 s[0:1], s[28:29], 2
	s_add_u32 s0, s4, s0
	s_addc_u32 s1, s5, s1
	s_add_u32 s0, s0, 8
	s_addc_u32 s1, s1, 0
	s_mov_b32 s25, s7
.LBB99_3:                               ; =>This Inner Loop Header: Depth=1
	s_load_dword s3, s[0:1], 0x0
	s_load_dword s9, s[0:1], 0x64
	s_mov_b32 s8, s25
	s_waitcnt lgkmcnt(0)
	v_cvt_f32_u32_e32 v1, s3
	s_sub_i32 s13, 0, s3
	v_rcp_iflag_f32_e32 v1, v1
	v_mul_f32_e32 v1, 0x4f7ffffe, v1
	v_cvt_u32_f32_e32 v1, v1
	v_readfirstlane_b32 s14, v1
	s_mul_i32 s13, s13, s14
	s_mul_hi_u32 s13, s14, s13
	s_add_i32 s14, s14, s13
	s_mul_hi_u32 s13, s25, s14
	s_mul_i32 s14, s13, s3
	s_sub_i32 s14, s25, s14
	s_add_i32 s15, s13, 1
	s_sub_i32 s16, s14, s3
	s_cmp_ge_u32 s14, s3
	s_cselect_b32 s13, s15, s13
	s_cselect_b32 s14, s16, s14
	s_add_i32 s15, s13, 1
	s_cmp_ge_u32 s14, s3
	s_cselect_b32 s25, s15, s13
	s_mul_i32 s3, s25, s3
	s_sub_i32 s3, s8, s3
	s_mul_i32 s3, s9, s3
	s_add_i32 s2, s2, -1
	s_add_i32 s29, s3, s29
	s_add_u32 s0, s0, -4
	s_addc_u32 s1, s1, -1
	s_cmp_gt_u32 s2, 2
	s_cbranch_scc1 .LBB99_3
.LBB99_4:
	s_load_dword s2, s[4:5], 0x1a8
	s_add_u32 s0, s4, 0xd8
	s_addc_u32 s1, s5, 0
	s_mov_b32 s31, 0
	s_mov_b32 s28, s7
	s_waitcnt lgkmcnt(0)
	s_cmp_lt_i32 s2, 2
	s_cbranch_scc1 .LBB99_7
; %bb.5:
	s_add_i32 s30, s2, -1
	s_add_i32 s8, s2, 1
	s_lshl_b64 s[2:3], s[30:31], 2
	s_add_u32 s2, s0, s2
	s_addc_u32 s3, s1, s3
	s_add_u32 s2, s2, 8
	s_addc_u32 s3, s3, 0
	s_mov_b32 s28, s7
.LBB99_6:                               ; =>This Inner Loop Header: Depth=1
	s_load_dword s9, s[2:3], 0x0
	s_load_dword s14, s[2:3], 0x64
	s_mov_b32 s13, s28
	s_waitcnt lgkmcnt(0)
	v_cvt_f32_u32_e32 v1, s9
	s_sub_i32 s15, 0, s9
	v_rcp_iflag_f32_e32 v1, v1
	v_mul_f32_e32 v1, 0x4f7ffffe, v1
	v_cvt_u32_f32_e32 v1, v1
	v_readfirstlane_b32 s16, v1
	s_mul_i32 s15, s15, s16
	s_mul_hi_u32 s15, s16, s15
	s_add_i32 s16, s16, s15
	s_mul_hi_u32 s15, s28, s16
	s_mul_i32 s16, s15, s9
	s_sub_i32 s16, s28, s16
	s_add_i32 s17, s15, 1
	s_sub_i32 s18, s16, s9
	s_cmp_ge_u32 s16, s9
	s_cselect_b32 s15, s17, s15
	s_cselect_b32 s16, s18, s16
	s_add_i32 s17, s15, 1
	s_cmp_ge_u32 s16, s9
	s_cselect_b32 s28, s17, s15
	s_mul_i32 s9, s28, s9
	s_sub_i32 s9, s13, s9
	s_mul_i32 s9, s14, s9
	s_add_i32 s8, s8, -1
	s_add_i32 s31, s9, s31
	s_add_u32 s2, s2, -4
	s_addc_u32 s3, s3, -1
	s_cmp_gt_u32 s8, 2
	s_cbranch_scc1 .LBB99_6
.LBB99_7:
	s_load_dword s2, s[4:5], 0x6c
                                        ; implicit-def: $vgpr46 : SGPR spill to VGPR lane
	s_add_u32 s8, s4, 0x1b0
	s_addc_u32 s9, s5, 0
	s_mov_b32 s3, 0
	s_waitcnt lgkmcnt(0)
	v_writelane_b32 v46, s2, 0
	s_load_dword s2, s[4:5], 0x280
	s_waitcnt lgkmcnt(0)
	s_cmp_lt_i32 s2, 2
	s_cbranch_scc1 .LBB99_10
; %bb.8:
	s_add_i32 s13, s2, 1
	s_add_i32 s2, s2, -1
	s_lshl_b64 s[14:15], s[2:3], 2
	s_add_u32 s2, s8, s14
	s_addc_u32 s9, s9, s15
	s_add_u32 s8, s2, 8
	s_addc_u32 s9, s9, 0
.LBB99_9:                               ; =>This Inner Loop Header: Depth=1
	s_load_dword s2, s[8:9], 0x0
	s_load_dword s15, s[8:9], 0x64
	s_mov_b32 s14, s7
	s_waitcnt lgkmcnt(0)
	v_cvt_f32_u32_e32 v1, s2
	s_sub_i32 s7, 0, s2
	v_rcp_iflag_f32_e32 v1, v1
	v_mul_f32_e32 v1, 0x4f7ffffe, v1
	v_cvt_u32_f32_e32 v1, v1
	v_readfirstlane_b32 s16, v1
	s_mul_i32 s7, s7, s16
	s_mul_hi_u32 s7, s16, s7
	s_add_i32 s16, s16, s7
	s_mul_hi_u32 s7, s14, s16
	s_mul_i32 s16, s7, s2
	s_sub_i32 s16, s14, s16
	s_add_i32 s17, s7, 1
	s_sub_i32 s18, s16, s2
	s_cmp_ge_u32 s16, s2
	s_cselect_b32 s7, s17, s7
	s_cselect_b32 s16, s18, s16
	s_add_i32 s17, s7, 1
	s_cmp_ge_u32 s16, s2
	s_cselect_b32 s7, s17, s7
	s_mul_i32 s2, s7, s2
	s_sub_i32 s2, s14, s2
	s_mul_i32 s2, s15, s2
	s_add_i32 s13, s13, -1
	s_add_i32 s3, s2, s3
	s_add_u32 s8, s8, -4
	s_addc_u32 s9, s9, -1
	s_cmp_gt_u32 s13, 2
	s_cbranch_scc1 .LBB99_9
.LBB99_10:
	s_load_dword s0, s[0:1], 0x6c
	s_waitcnt lgkmcnt(0)
	v_writelane_b32 v46, s0, 1
	v_cmp_eq_u32_e64 s[0:1], 0, v0
	s_mov_b64 s[8:9], exec
	v_writelane_b32 v46, s0, 2
	v_writelane_b32 v46, s1, 3
	s_and_b64 s[0:1], s[8:9], s[0:1]
	s_mov_b64 exec, s[0:1]
; %bb.11:
	v_mov_b32_e32 v1, 0
	v_mov_b32_e32 v2, v1
	ds_write_b64 v1, v[1:2] offset:4096
; %bb.12:
	s_or_b64 exec, exec, s[8:9]
	v_mov_b32_e32 v1, 0
	s_waitcnt lgkmcnt(0)
	s_barrier
	s_barrier
	ds_read_b64 v[1:2], v1 offset:4096
	s_load_dwordx2 s[8:9], s[4:5], 0x1b0
	s_bitcmp1_b32 s27, 0
	s_cselect_b64 s[16:17], -1, 0
	s_waitcnt lgkmcnt(0)
	v_readfirstlane_b32 s14, v1
	v_readfirstlane_b32 s15, v2
	v_cmp_lt_i64_e64 s[0:1], s[14:15], 1
	s_or_b64 s[0:1], s[16:17], s[0:1]
	s_andn2_b64 vcc, exec, s[0:1]
	s_mov_b32 s16, s24
	s_cbranch_vccnz .LBB99_14
; %bb.13:
	s_not_b64 s[0:1], s[14:15]
	s_add_u32 s0, s0, s24
	s_addc_u32 s1, s1, 0
	s_lshr_b32 s2, s1, 31
	s_add_u32 s0, s0, s2
	s_addc_u32 s1, s1, 0
	s_lshr_b64 s[0:1], s[0:1], 1
	s_add_i32 s16, s0, 1
.LBB99_14:
	s_load_dwordx2 s[0:1], s[4:5], 0x0
                                        ; kill: killed $sgpr4 killed $sgpr5
	s_waitcnt lgkmcnt(0)
	v_writelane_b32 v46, s0, 4
	v_writelane_b32 v46, s1, 5
	s_load_dwordx2 s[0:1], s[4:5], 0xd8
	s_waitcnt lgkmcnt(0)
	v_writelane_b32 v46, s0, 6
	v_writelane_b32 v46, s1, 7
	s_load_dword s0, s[4:5], 0x21c
	s_mov_b64 s[4:5], exec
	v_readlane_b32 s14, v46, 2
	v_readlane_b32 s15, v46, 3
	s_and_b64 s[14:15], s[4:5], s[14:15]
	s_mov_b64 exec, s[14:15]
	s_cbranch_execz .LBB99_16
; %bb.15:
	v_mov_b32_e32 v1, 0
	v_mov_b32_e32 v2, s24
	ds_write_b32 v1, v1 offset:4112
	ds_write_b64 v1, v[1:2] offset:4104
.LBB99_16:
	s_or_b64 exec, exec, s[4:5]
	v_mul_lo_u32 v10, s26, v0
	s_waitcnt lgkmcnt(0)
	s_mul_i32 s0, s0, s7
	s_barrier
	s_load_dword s2, s[10:11], 0xc
	s_add_i32 s50, s0, s3
	s_mov_b32 s51, 0
	v_mov_b32_e32 v12, 0
	s_lshl_b64 s[0:1], s[50:51], 3
	v_mbcnt_lo_u32_b32 v1, -1, 0
	v_mov_b32_e32 v11, v12
	s_add_u32 s27, s8, s0
	v_mbcnt_hi_u32_b32 v26, -1, v1
	v_lshlrev_b64 v[1:2], 3, v[10:11]
	s_addc_u32 s33, s9, s1
	v_cmp_gt_u32_e32 vcc, 64, v0
	v_cmp_gt_i32_e64 s[8:9], 4, v26
	v_cmp_gt_u32_e64 s[0:1], s24, v0
	s_waitcnt lgkmcnt(0)
	s_and_b32 s50, s2, 0xffff
	s_and_b64 s[38:39], vcc, s[8:9]
	v_mov_b32_e32 v3, s33
	v_add_co_u32_e32 v13, vcc, s27, v1
	v_writelane_b32 v46, s0, 8
	s_add_i32 s45, s50, -1
	v_addc_co_u32_e32 v14, vcc, v3, v2, vcc
	v_lshlrev_b64 v[1:2], v26, -1
	v_writelane_b32 v46, s1, 9
	s_lshl_b32 s30, s50, 2
	s_bfe_u32 s0, s2, 0xa0006
	s_add_i32 s1, s45, s24
	s_cmpk_gt_u32 s24, 0x180
	v_not_b32_e32 v31, v1
	v_lshrrev_b32_e32 v1, 2, v0
	s_cselect_b64 s[2:3], -1, 0
	s_cmp_gt_u32 s50, 63
	v_and_b32_e32 v1, 0xf0, v1
	v_writelane_b32 v46, s2, 10
	s_cselect_b64 s[42:43], -1, 0
	v_or_b32_e32 v32, 0xc00, v1
	s_cmp_lt_u32 s6, s12
	v_cvt_f32_u32_e32 v1, s30
	v_writelane_b32 v46, s3, 11
	s_cselect_b32 s2, 12, 18
	s_add_u32 s2, s10, s2
	s_addc_u32 s3, s11, 0
	v_writelane_b32 v46, s2, 12
	v_rcp_iflag_f32_e32 v1, v1
	v_writelane_b32 v46, s3, 13
	s_add_i32 s2, s0, -1
	s_bfe_u32 s3, s50, 0x30006
	s_and_b32 s2, s2, 0xffff
	s_cmp_gt_u32 s2, 6
	s_cselect_b64 s[6:7], -1, 0
	v_mul_f32_e32 v1, 0x4f7ffffe, v1
	v_writelane_b32 v46, s6, 14
	s_and_b32 s46, s0, 0x3f8
	v_cvt_u32_f32_e32 v1, v1
	v_writelane_b32 v46, s7, 15
	s_cmp_lg_u32 s3, 0
	v_writelane_b32 v46, s3, 16
	s_cselect_b64 s[2:3], -1, 0
	v_writelane_b32 v46, s2, 17
	v_writelane_b32 v46, s3, 18
	s_sub_i32 s0, 0, s30
	v_readfirstlane_b32 s2, v1
	v_cvt_f32_u32_e32 v1, s50
	s_mul_i32 s0, s0, s2
	s_mul_hi_u32 s0, s2, s0
	s_add_i32 s47, s2, s0
	s_mul_hi_u32 s0, s24, s47
	v_rcp_iflag_f32_e32 v4, v1
	s_mul_i32 s0, s0, s30
	s_sub_i32 s0, s24, s0
	s_sub_i32 s2, s0, s30
	s_cmp_ge_u32 s0, s30
	v_mul_f32_e32 v4, 0x4f7ffffe, v4
	s_cselect_b32 s0, s2, s0
	v_cvt_u32_f32_e32 v4, v4
	s_sub_i32 s2, s0, s30
	s_cmp_ge_u32 s0, s30
	s_cselect_b32 s0, s2, s0
	s_sub_i32 s48, s24, s0
	s_sub_i32 s2, 0, s50
	v_readfirstlane_b32 s3, v4
	v_add_u32_e32 v33, s48, v0
	s_mul_i32 s2, s2, s3
	v_mul_lo_u32 v11, v33, s26
	s_mul_hi_u32 s2, s3, s2
	s_add_i32 s49, s3, s2
	s_mul_hi_u32 s2, s1, s49
	s_mul_i32 s2, s2, s50
	v_not_b32_e32 v30, v2
	v_lshlrev_b64 v[1:2], 3, v[11:12]
	s_sub_i32 s2, s1, s2
	v_lshlrev_b32_e32 v25, 2, v0
	s_sub_i32 s3, s2, s50
	v_add_co_u32_e32 v15, vcc, s27, v1
	s_cmp_ge_u32 s2, s50
	v_mul_lo_u32 v1, s26, v25
	s_cselect_b32 s2, s3, s2
	s_sub_i32 s3, s2, s50
	s_cmp_ge_u32 s2, s50
	s_cselect_b32 s2, s3, s2
	v_add_u32_e32 v34, s26, v1
	v_or_b32_e32 v1, 2, v25
	s_sub_i32 s2, s1, s2
	v_mul_lo_u32 v35, s26, v1
	v_or_b32_e32 v1, 3, v25
	s_add_i32 s1, s50, s24
	v_mul_lo_u32 v36, s26, v1
	v_add_u32_e32 v1, s1, v0
	v_subrev_u32_e32 v1, s0, v1
	v_mul_lo_u32 v38, s26, v1
	v_mov_b32_e32 v5, s33
	v_lshlrev_b32_e32 v27, 3, v0
	v_lshlrev_b32_e32 v3, 2, v26
	v_addc_co_u32_e32 v16, vcc, v5, v2, vcc
	v_cmp_gt_u32_e64 s[6:7], s2, v0
	s_mul_i32 s44, s26, s50
	v_mov_b32_e32 v17, 0
	v_mov_b32_e32 v19, 0
	;; [unrolled: 1-line block ×3, first 2 shown]
	v_cmp_eq_u32_e64 s[4:5], 0, v26
	v_cmp_gt_u32_e64 s[20:21], 2, v0
	v_add_u32_e32 v28, 0xc00, v27
	v_and_b32_e32 v29, 0x100, v3
	v_cmp_gt_u32_e64 s[8:9], s48, v25
	v_cmp_gt_u32_e64 s[10:11], s24, v33
	v_writelane_b32 v46, s6, 19
	s_lshl_b32 s3, s44, 2
	v_lshlrev_b32_e32 v37, 2, v10
	v_lshlrev_b32_e32 v39, 5, v0
	s_lshl_b32 s12, s50, 5
	s_lshl_b32 s13, s50, 3
	v_or_b32_e32 v40, 0xc00, v3
	s_mov_b32 s40, 62
	s_mov_b64 s[52:53], 0
	v_mov_b32_e32 v41, s16
	v_mov_b32_e32 v18, 0
	;; [unrolled: 1-line block ×5, first 2 shown]
	v_writelane_b32 v46, s7, 20
                                        ; implicit-def: $sgpr54_sgpr55
                                        ; implicit-def: $sgpr58_sgpr59
                                        ; implicit-def: $sgpr56_sgpr57
                                        ; implicit-def: $sgpr62_sgpr63
                                        ; implicit-def: $sgpr64_sgpr65
                                        ; implicit-def: $sgpr60_sgpr61
	s_branch .LBB99_20
.LBB99_17:                              ;   in Loop: Header=BB99_20 Depth=1
	s_or_b64 exec, exec, s[34:35]
	s_and_b64 s[18:19], s[18:19], exec
	s_andn2_b64 s[66:67], s[66:67], exec
	s_andn2_b64 s[22:23], s[22:23], exec
	s_orn2_b64 s[16:17], s[16:17], exec
.LBB99_18:                              ;   in Loop: Header=BB99_20 Depth=1
	s_or_b64 exec, exec, s[6:7]
	s_andn2_b64 s[6:7], s[60:61], exec
	s_and_b64 s[18:19], s[18:19], exec
	s_or_b64 s[60:61], s[6:7], s[18:19]
	s_andn2_b64 s[6:7], s[64:65], exec
	s_and_b64 s[18:19], s[66:67], exec
	s_or_b64 s[64:65], s[6:7], s[18:19]
	;; [unrolled: 3-line block ×3, first 2 shown]
	s_orn2_b64 s[16:17], s[16:17], exec
.LBB99_19:                              ;   in Loop: Header=BB99_20 Depth=1
	s_or_b64 exec, exec, s[14:15]
	s_and_b64 s[6:7], exec, s[16:17]
	s_or_b64 s[52:53], s[6:7], s[52:53]
	s_andn2_b64 s[6:7], s[56:57], exec
	s_and_b64 s[14:15], s[60:61], exec
	s_or_b64 s[56:57], s[6:7], s[14:15]
	s_andn2_b64 s[6:7], s[58:59], exec
	s_and_b64 s[14:15], s[64:65], exec
	;; [unrolled: 3-line block ×3, first 2 shown]
	s_or_b64 s[54:55], s[6:7], s[14:15]
	s_mov_b32 s51, s1
	s_mov_b32 s40, s0
	v_mov_b32_e32 v41, v7
	s_andn2_b64 exec, exec, s[52:53]
	s_cbranch_execz .LBB99_241
.LBB99_20:                              ; =>This Loop Header: Depth=1
                                        ;     Child Loop BB99_26 Depth 2
                                        ;     Child Loop BB99_39 Depth 2
	;; [unrolled: 1-line block ×16, first 2 shown]
	ds_read_b64 v[2:3], v12 offset:4104
	s_waitcnt lgkmcnt(0)
	v_readfirstlane_b32 s34, v2
	s_cmp_lg_u32 s34, 0
	s_cbranch_scc1 .LBB99_47
; %bb.21:                               ;   in Loop: Header=BB99_20 Depth=1
	v_readlane_b32 s0, v46, 10
	v_readlane_b32 s1, v46, 11
	s_and_b64 vcc, exec, s[0:1]
	s_cbranch_vccz .LBB99_34
; %bb.22:                               ;   in Loop: Header=BB99_20 Depth=1
	s_movk_i32 s0, 0x181
	v_cmp_gt_u32_e32 vcc, s0, v3
	s_mov_b64 s[16:17], 0
	s_mov_b64 s[6:7], 0
	s_cbranch_vccz .LBB99_35
; %bb.23:                               ;   in Loop: Header=BB99_20 Depth=1
	s_mov_b64 s[18:19], exec
	v_readlane_b32 s0, v46, 8
	v_readlane_b32 s1, v46, 9
	s_and_b64 s[0:1], s[18:19], s[0:1]
	s_mov_b64 exec, s[0:1]
	s_cbranch_execz .LBB99_131
; %bb.24:                               ;   in Loop: Header=BB99_20 Depth=1
	v_readlane_b32 s0, v46, 12
	v_readlane_b32 s1, v46, 13
	s_nop 4
	global_load_ushort v8, v12, s[0:1]
	global_load_dwordx2 v[2:3], v[13:14], off
	s_mov_b64 s[22:23], 0
	v_mov_b32_e32 v21, v0
	s_waitcnt vmcnt(1)
	v_add_u32_e32 v6, v0, v8
	v_mul_lo_u32 v11, s26, v6
	v_mul_lo_u32 v9, s26, v8
	s_branch .LBB99_26
.LBB99_25:                              ;   in Loop: Header=BB99_26 Depth=2
	s_or_b64 exec, exec, s[6:7]
	v_mov_b32_e32 v2, v6
	v_add_u32_e32 v11, v11, v9
	v_mov_b32_e32 v3, v7
	s_andn2_b64 exec, exec, s[22:23]
	s_cbranch_execz .LBB99_131
.LBB99_26:                              ;   Parent Loop BB99_20 Depth=1
                                        ; =>  This Inner Loop Header: Depth=2
	v_add_u32_e32 v21, v21, v8
	v_mov_b32_e32 v6, 0
	v_cmp_gt_u32_e64 s[6:7], s24, v21
	v_mov_b32_e32 v7, 0
	v_cmp_le_u32_e32 vcc, s24, v21
	s_and_saveexec_b64 s[14:15], s[6:7]
	s_cbranch_execz .LBB99_28
; %bb.27:                               ;   in Loop: Header=BB99_26 Depth=2
	v_lshlrev_b64 v[6:7], 3, v[11:12]
	s_waitcnt lgkmcnt(0)
	v_mov_b32_e32 v22, s33
	v_add_co_u32_e64 v6, s[6:7], s27, v6
	v_addc_co_u32_e64 v7, s[6:7], v22, v7, s[6:7]
	global_load_dwordx2 v[6:7], v[6:7], off
.LBB99_28:                              ;   in Loop: Header=BB99_26 Depth=2
	s_or_b64 exec, exec, s[14:15]
	s_waitcnt vmcnt(0) lgkmcnt(0)
	v_xor_b32_e32 v22, 0x80000000, v3
	v_and_b32_e32 v23, v22, v20
	v_and_b32_e32 v22, v2, v19
	v_cmp_eq_u64_e64 s[14:15], v[22:23], v[17:18]
	v_mov_b32_e32 v22, 0
	s_cmp_lg_u64 s[14:15], 0
	s_cselect_b64 s[0:1], -1, 0
	s_and_b64 s[0:1], s[4:5], s[0:1]
	s_and_saveexec_b64 s[66:67], s[0:1]
	s_cbranch_execz .LBB99_32
; %bb.29:                               ;   in Loop: Header=BB99_26 Depth=2
	s_mov_b64 s[36:37], exec
	v_mbcnt_lo_u32_b32 v22, s36, 0
	v_mbcnt_hi_u32_b32 v22, s37, v22
	s_bcnt1_i32_b64 s0, s[14:15]
	v_cmp_eq_u32_e64 s[6:7], 0, v22
                                        ; implicit-def: $vgpr23
	s_and_saveexec_b64 s[34:35], s[6:7]
; %bb.30:                               ;   in Loop: Header=BB99_26 Depth=2
	s_bcnt1_i32_b64 s1, s[36:37]
	s_mul_i32 s1, s0, s1
	v_mov_b32_e32 v23, s1
	ds_add_rtn_u32 v23, v12, v23 offset:4112
; %bb.31:                               ;   in Loop: Header=BB99_26 Depth=2
	s_or_b64 exec, exec, s[34:35]
	s_waitcnt lgkmcnt(0)
	v_readfirstlane_b32 s1, v23
	v_mov_b32_e32 v23, s1
	v_mad_u32_u24 v22, s0, v22, v23
.LBB99_32:                              ;   in Loop: Header=BB99_26 Depth=2
	s_or_b64 exec, exec, s[66:67]
	ds_bpermute_b32 v22, v29, v22
	s_and_b64 s[0:1], exec, vcc
	s_or_b64 s[22:23], s[0:1], s[22:23]
	s_and_saveexec_b64 s[6:7], s[14:15]
	s_cbranch_execz .LBB99_25
; %bb.33:                               ;   in Loop: Header=BB99_26 Depth=2
	v_and_b32_e32 v24, s14, v31
	v_and_b32_e32 v23, s15, v30
	v_bcnt_u32_b32 v24, v24, 0
	v_bcnt_u32_b32 v23, v23, v24
	v_lshlrev_b32_e32 v23, 3, v23
	s_waitcnt lgkmcnt(0)
	v_lshl_add_u32 v22, v22, 3, v23
	ds_write_b64 v22, v[2:3]
	s_branch .LBB99_25
.LBB99_34:                              ;   in Loop: Header=BB99_20 Depth=1
	s_mov_b64 s[16:17], -1
	s_mov_b64 s[6:7], 0
.LBB99_35:                              ;   in Loop: Header=BB99_20 Depth=1
	s_and_b64 vcc, exec, s[16:17]
	s_cbranch_vccz .LBB99_45
.LBB99_36:                              ;   in Loop: Header=BB99_20 Depth=1
	s_mov_b64 s[6:7], exec
	v_readlane_b32 s0, v46, 8
	v_readlane_b32 s1, v46, 9
	s_and_b64 s[0:1], s[6:7], s[0:1]
	s_mov_b64 exec, s[0:1]
	s_cbranch_execz .LBB99_42
; %bb.37:                               ;   in Loop: Header=BB99_20 Depth=1
	v_readlane_b32 s0, v46, 12
	v_readlane_b32 s1, v46, 13
	s_nop 4
	global_load_ushort v8, v12, s[0:1]
	global_load_dwordx2 v[2:3], v[13:14], off
	v_mov_b32_e32 v9, v0
	s_waitcnt vmcnt(1)
	v_add_u32_e32 v6, v0, v8
	v_cmp_gt_u32_e32 vcc, s24, v6
	s_and_saveexec_b64 s[14:15], vcc
	s_cbranch_execz .LBB99_41
; %bb.38:                               ;   in Loop: Header=BB99_20 Depth=1
	v_mul_lo_u32 v11, s26, v6
	v_mul_lo_u32 v22, s26, v8
	v_lshlrev_b32_e32 v21, 3, v8
	s_mov_b64 s[16:17], 0
	v_mov_b32_e32 v23, v27
	v_mov_b32_e32 v9, v0
.LBB99_39:                              ;   Parent Loop BB99_20 Depth=1
                                        ; =>  This Inner Loop Header: Depth=2
	v_lshlrev_b64 v[6:7], 3, v[11:12]
	v_mov_b32_e32 v24, s33
	v_add_co_u32_e32 v6, vcc, s27, v6
	v_addc_co_u32_e32 v7, vcc, v24, v7, vcc
	global_load_dwordx2 v[6:7], v[6:7], off
	v_add_u32_e32 v9, v9, v8
	s_waitcnt vmcnt(1)
	ds_write_b64 v23, v[2:3]
	v_add_u32_e32 v2, v8, v9
	v_cmp_le_u32_e32 vcc, s24, v2
	v_add_u32_e32 v23, v23, v21
	v_add_u32_e32 v11, v11, v22
	s_or_b64 s[16:17], vcc, s[16:17]
	s_waitcnt vmcnt(0)
	v_mov_b32_e32 v2, v6
	v_mov_b32_e32 v3, v7
	s_andn2_b64 exec, exec, s[16:17]
	s_cbranch_execnz .LBB99_39
; %bb.40:                               ;   in Loop: Header=BB99_20 Depth=1
	s_or_b64 exec, exec, s[16:17]
	v_mov_b32_e32 v2, v6
	v_mov_b32_e32 v3, v7
.LBB99_41:                              ;   in Loop: Header=BB99_20 Depth=1
	s_or_b64 exec, exec, s[14:15]
	v_lshlrev_b32_e32 v6, 3, v9
	s_waitcnt vmcnt(0)
	ds_write_b64 v6, v[2:3]
.LBB99_42:                              ;   in Loop: Header=BB99_20 Depth=1
	s_or_b64 exec, exec, s[6:7]
	s_waitcnt lgkmcnt(0)
	s_barrier
	s_mov_b64 s[6:7], exec
	v_readlane_b32 s0, v46, 2
	v_readlane_b32 s1, v46, 3
	s_and_b64 s[0:1], s[6:7], s[0:1]
	s_mov_b64 exec, s[0:1]
; %bb.43:                               ;   in Loop: Header=BB99_20 Depth=1
	v_mov_b32_e32 v2, s24
	ds_write_b32 v12, v2 offset:4104
; %bb.44:                               ;   in Loop: Header=BB99_20 Depth=1
	s_or_b64 exec, exec, s[6:7]
	s_mov_b64 s[6:7], -1
	s_waitcnt lgkmcnt(0)
	s_barrier
.LBB99_45:                              ;   in Loop: Header=BB99_20 Depth=1
	s_mov_b32 s34, 0
	s_and_b64 vcc, exec, s[6:7]
	s_cbranch_vccz .LBB99_47
; %bb.46:                               ;   in Loop: Header=BB99_20 Depth=1
	ds_read_b32 v2, v12 offset:4104
	s_waitcnt lgkmcnt(0)
	v_readfirstlane_b32 s34, v2
.LBB99_47:                              ;   in Loop: Header=BB99_20 Depth=1
	s_cmp_lt_i32 s34, 1
	s_mov_b64 s[6:7], -1
                                        ; implicit-def: $vgpr6
	s_cbranch_scc1 .LBB99_57
; %bb.48:                               ;   in Loop: Header=BB99_20 Depth=1
	s_and_b64 vcc, exec, s[6:7]
	s_cbranch_vccnz .LBB99_68
.LBB99_49:                              ;   in Loop: Header=BB99_20 Depth=1
	s_lshl_b32 s0, s51, 6
	s_and_saveexec_b64 s[6:7], s[4:5]
.LBB99_50:                              ;   in Loop: Header=BB99_20 Depth=1
	v_lshl_add_u32 v2, s0, 2, v32
	ds_write_b128 v2, v[6:9]
.LBB99_51:                              ;   in Loop: Header=BB99_20 Depth=1
	s_or_b64 exec, exec, s[6:7]
	s_waitcnt lgkmcnt(0)
	s_barrier
	s_and_saveexec_b64 s[6:7], s[38:39]
	s_cbranch_execz .LBB99_82
; %bb.52:                               ;   in Loop: Header=BB99_20 Depth=1
	s_andn2_b64 vcc, exec, s[42:43]
	v_mov_b32_e32 v2, 0
	s_cbranch_vccnz .LBB99_81
; %bb.53:                               ;   in Loop: Header=BB99_20 Depth=1
	v_readlane_b32 s14, v46, 14
	v_readlane_b32 s15, v46, 15
	s_andn2_b64 vcc, exec, s[14:15]
	s_cbranch_vccnz .LBB99_77
; %bb.54:                               ;   in Loop: Header=BB99_20 Depth=1
	v_lshl_add_u32 v3, s51, 8, v40
	s_mov_b32 s1, 0
	v_mov_b32_e32 v2, 0
.LBB99_55:                              ;   Parent Loop BB99_20 Depth=1
                                        ; =>  This Inner Loop Header: Depth=2
	ds_read2_b32 v[6:7], v3 offset1:4
	ds_read2_b32 v[8:9], v3 offset0:8 offset1:12
	ds_read2_b32 v[21:22], v3 offset0:16 offset1:20
	;; [unrolled: 1-line block ×3, first 2 shown]
	s_add_i32 s1, s1, 8
	s_waitcnt lgkmcnt(3)
	v_add3_u32 v2, v6, v2, v7
	s_waitcnt lgkmcnt(2)
	v_add3_u32 v2, v8, v2, v9
	;; [unrolled: 2-line block ×3, first 2 shown]
	v_add_u32_e32 v3, 0x80, v3
	s_cmp_eq_u32 s46, s1
	s_waitcnt lgkmcnt(0)
	v_add3_u32 v2, v23, v2, v24
	s_cbranch_scc0 .LBB99_55
; %bb.56:                               ;   in Loop: Header=BB99_20 Depth=1
	s_mov_b32 s1, s46
	s_branch .LBB99_78
.LBB99_57:                              ;   in Loop: Header=BB99_20 Depth=1
	v_mov_b32_e32 v6, 0
	v_mov_b32_e32 v7, 0
	;; [unrolled: 1-line block ×4, first 2 shown]
	s_and_saveexec_b64 s[22:23], s[8:9]
	s_cbranch_execz .LBB99_61
; %bb.58:                               ;   in Loop: Header=BB99_20 Depth=1
	s_mov_b32 s35, 0
	s_mov_b64 s[66:67], 0
	s_mov_b32 s36, 0
	s_mov_b32 s37, 0
	;; [unrolled: 1-line block ×4, first 2 shown]
	v_mov_b32_e32 v21, v25
.LBB99_59:                              ;   Parent Loop BB99_20 Depth=1
                                        ; =>  This Inner Loop Header: Depth=2
	v_add_u32_e32 v11, s35, v37
	v_lshlrev_b64 v[2:3], 3, v[11:12]
	v_add_u32_e32 v11, s35, v34
	v_add_co_u32_e32 v2, vcc, s27, v2
	v_mov_b32_e32 v24, s33
	v_lshlrev_b64 v[6:7], 3, v[11:12]
	v_addc_co_u32_e32 v3, vcc, v24, v3, vcc
	v_add_co_u32_e32 v6, vcc, s27, v6
	v_addc_co_u32_e32 v7, vcc, v24, v7, vcc
	v_add_u32_e32 v11, s35, v35
	global_load_dwordx2 v[2:3], v[2:3], off
	v_add_u32_e32 v21, s30, v21
	global_load_dwordx2 v[22:23], v[6:7], off
	v_lshlrev_b64 v[6:7], 3, v[11:12]
	v_add_u32_e32 v11, s35, v36
	v_add_co_u32_e32 v6, vcc, s27, v6
	v_addc_co_u32_e32 v7, vcc, v24, v7, vcc
	global_load_dwordx2 v[8:9], v[6:7], off
	v_lshlrev_b64 v[6:7], 3, v[11:12]
	s_add_i32 s35, s35, s3
	v_add_co_u32_e32 v6, vcc, s27, v6
	v_addc_co_u32_e32 v7, vcc, v24, v7, vcc
	global_load_dwordx2 v[6:7], v[6:7], off
	s_waitcnt vmcnt(3)
	v_xor_b32_e32 v3, 0x80000000, v3
	v_and_b32_e32 v43, v3, v20
	v_and_b32_e32 v42, v2, v19
	v_lshrrev_b64 v[2:3], s40, v[2:3]
	s_waitcnt vmcnt(2)
	v_xor_b32_e32 v23, 0x80000000, v23
	v_and_b32_e32 v11, 3, v2
	v_lshrrev_b64 v[2:3], s40, v[22:23]
	v_cmp_eq_u64_e32 vcc, v[42:43], v[17:18]
	v_and_b32_e32 v43, v23, v20
	s_waitcnt vmcnt(1)
	v_xor_b32_e32 v9, 0x80000000, v9
	v_and_b32_e32 v42, v22, v19
	v_cmp_eq_u64_e64 s[6:7], 0, v[11:12]
	v_cmp_eq_u64_e64 s[14:15], v[42:43], v[17:18]
	v_and_b32_e32 v43, v9, v20
	v_and_b32_e32 v42, v8, v19
	;; [unrolled: 1-line block ×3, first 2 shown]
	v_mov_b32_e32 v3, v12
	v_lshrrev_b64 v[8:9], s40, v[8:9]
	s_waitcnt vmcnt(0)
	v_xor_b32_e32 v7, 0x80000000, v7
	s_and_b64 s[0:1], vcc, s[6:7]
	v_cmp_eq_u64_e64 s[6:7], 0, v[2:3]
	v_cmp_eq_u64_e64 s[16:17], v[42:43], v[17:18]
	v_and_b32_e32 v43, v7, v20
	v_and_b32_e32 v42, v6, v19
	;; [unrolled: 1-line block ×3, first 2 shown]
	v_mov_b32_e32 v9, v12
	v_lshrrev_b64 v[6:7], s40, v[6:7]
	s_and_b64 s[70:71], s[14:15], s[6:7]
	v_cmp_eq_u64_e64 s[6:7], 0, v[8:9]
	v_and_b32_e32 v6, 3, v6
	v_mov_b32_e32 v7, v12
	v_cmp_eq_u64_e64 s[18:19], v[42:43], v[17:18]
	s_and_b64 s[72:73], s[16:17], s[6:7]
	v_cmp_eq_u64_e64 s[6:7], 0, v[6:7]
	v_cndmask_b32_e64 v22, 0, 1, s[0:1]
	s_and_b64 s[74:75], s[18:19], s[6:7]
	v_cmp_ne_u32_e64 s[6:7], 0, v22
	v_cndmask_b32_e64 v22, 0, 1, s[70:71]
	s_bcnt1_i32_b64 s0, s[6:7]
	v_cmp_ne_u32_e64 s[6:7], 0, v22
	v_cndmask_b32_e64 v22, 0, 1, s[72:73]
	s_bcnt1_i32_b64 s1, s[6:7]
	v_cmp_ne_u32_e64 s[6:7], 0, v22
	v_cndmask_b32_e64 v22, 0, 1, s[74:75]
	s_add_i32 s0, s68, s0
	s_bcnt1_i32_b64 s69, s[6:7]
	v_cmp_ne_u32_e64 s[6:7], 0, v22
	s_add_i32 s0, s0, s1
	s_bcnt1_i32_b64 s6, s[6:7]
	s_add_i32 s0, s0, s69
	s_add_i32 s68, s0, s6
	v_cmp_eq_u64_e64 s[6:7], 1, v[11:12]
	s_and_b64 s[0:1], vcc, s[6:7]
	v_cmp_eq_u64_e64 s[6:7], 1, v[2:3]
	v_cndmask_b32_e64 v22, 0, 1, s[0:1]
	s_and_b64 s[70:71], s[14:15], s[6:7]
	v_cmp_eq_u64_e64 s[6:7], 1, v[8:9]
	s_and_b64 s[72:73], s[16:17], s[6:7]
	v_cmp_eq_u64_e64 s[6:7], 1, v[6:7]
	s_and_b64 s[74:75], s[18:19], s[6:7]
	v_cmp_ne_u32_e64 s[6:7], 0, v22
	v_cndmask_b32_e64 v22, 0, 1, s[70:71]
	s_bcnt1_i32_b64 s0, s[6:7]
	v_cmp_ne_u32_e64 s[6:7], 0, v22
	v_cndmask_b32_e64 v22, 0, 1, s[72:73]
	s_bcnt1_i32_b64 s1, s[6:7]
	v_cmp_ne_u32_e64 s[6:7], 0, v22
	v_cndmask_b32_e64 v22, 0, 1, s[74:75]
	s_add_i32 s0, s41, s0
	s_bcnt1_i32_b64 s69, s[6:7]
	v_cmp_ne_u32_e64 s[6:7], 0, v22
	s_add_i32 s0, s0, s1
	s_bcnt1_i32_b64 s6, s[6:7]
	s_add_i32 s0, s0, s69
	s_add_i32 s41, s0, s6
	v_cmp_eq_u64_e64 s[6:7], 2, v[11:12]
	s_and_b64 s[0:1], vcc, s[6:7]
	v_cmp_eq_u64_e64 s[6:7], 2, v[2:3]
	v_cndmask_b32_e64 v22, 0, 1, s[0:1]
	s_and_b64 s[70:71], s[14:15], s[6:7]
	v_cmp_eq_u64_e64 s[6:7], 2, v[8:9]
	s_and_b64 s[72:73], s[16:17], s[6:7]
	v_cmp_eq_u64_e64 s[6:7], 2, v[6:7]
	s_and_b64 s[74:75], s[18:19], s[6:7]
	v_cmp_ne_u32_e64 s[6:7], 0, v22
	v_cndmask_b32_e64 v22, 0, 1, s[70:71]
	s_bcnt1_i32_b64 s0, s[6:7]
	v_cmp_ne_u32_e64 s[6:7], 0, v22
	v_cndmask_b32_e64 v22, 0, 1, s[72:73]
	s_bcnt1_i32_b64 s1, s[6:7]
	v_cmp_ne_u32_e64 s[6:7], 0, v22
	v_cndmask_b32_e64 v22, 0, 1, s[74:75]
	s_add_i32 s0, s37, s0
	s_bcnt1_i32_b64 s69, s[6:7]
	v_cmp_ne_u32_e64 s[6:7], 0, v22
	s_add_i32 s0, s0, s1
	s_bcnt1_i32_b64 s6, s[6:7]
	s_add_i32 s0, s0, s69
	s_add_i32 s37, s0, s6
	v_cmp_eq_u64_e64 s[6:7], 3, v[11:12]
	s_and_b64 s[0:1], vcc, s[6:7]
	v_cmp_eq_u64_e32 vcc, 3, v[2:3]
	v_cndmask_b32_e64 v2, 0, 1, s[0:1]
	s_and_b64 s[6:7], s[14:15], vcc
	v_cmp_eq_u64_e32 vcc, 3, v[8:9]
	v_mov_b32_e32 v8, s37
	s_and_b64 s[14:15], s[16:17], vcc
	v_cmp_eq_u64_e32 vcc, 3, v[6:7]
	v_mov_b32_e32 v6, s68
	s_and_b64 s[16:17], s[18:19], vcc
	v_cmp_ne_u32_e32 vcc, 0, v2
	v_cndmask_b32_e64 v2, 0, 1, s[6:7]
	s_bcnt1_i32_b64 s0, vcc
	v_cmp_ne_u32_e32 vcc, 0, v2
	v_cndmask_b32_e64 v2, 0, 1, s[14:15]
	s_bcnt1_i32_b64 s1, vcc
	v_cmp_ne_u32_e32 vcc, 0, v2
	v_cndmask_b32_e64 v2, 0, 1, s[16:17]
	s_add_i32 s0, s36, s0
	s_bcnt1_i32_b64 s6, vcc
	v_cmp_ne_u32_e32 vcc, 0, v2
	s_add_i32 s0, s0, s1
	s_bcnt1_i32_b64 s7, vcc
	s_add_i32 s0, s0, s6
	s_add_i32 s36, s0, s7
	v_cmp_le_u32_e32 vcc, s48, v21
	s_or_b64 s[66:67], vcc, s[66:67]
	v_mov_b32_e32 v7, s41
	v_mov_b32_e32 v9, s36
	s_andn2_b64 exec, exec, s[66:67]
	s_cbranch_execnz .LBB99_59
; %bb.60:                               ;   in Loop: Header=BB99_20 Depth=1
	s_or_b64 exec, exec, s[66:67]
.LBB99_61:                              ;   in Loop: Header=BB99_20 Depth=1
	s_or_b64 exec, exec, s[22:23]
	s_and_saveexec_b64 s[14:15], s[10:11]
	s_cbranch_execz .LBB99_67
; %bb.62:                               ;   in Loop: Header=BB99_20 Depth=1
	global_load_dwordx2 v[23:24], v[15:16], off
	s_mov_b64 s[16:17], 0
	v_mov_b32_e32 v2, v38
	v_mov_b32_e32 v42, v33
	s_branch .LBB99_64
.LBB99_63:                              ;   in Loop: Header=BB99_64 Depth=2
	s_or_b64 exec, exec, s[18:19]
	s_waitcnt vmcnt(0)
	v_xor_b32_e32 v24, 0x80000000, v24
	v_and_b32_e32 v44, v24, v20
	v_and_b32_e32 v43, v23, v19
	v_lshrrev_b64 v[23:24], s40, v[23:24]
	s_and_b64 s[0:1], exec, vcc
	v_and_b32_e32 v11, 3, v23
	v_cmp_eq_u64_e32 vcc, v[43:44], v[17:18]
	v_cmp_eq_u64_e64 s[6:7], 0, v[11:12]
	s_or_b64 s[16:17], s[0:1], s[16:17]
	s_and_b64 s[0:1], vcc, s[6:7]
	v_cndmask_b32_e64 v3, 0, 1, s[0:1]
	v_cmp_ne_u32_e64 s[6:7], 0, v3
	s_bcnt1_i32_b64 s0, s[6:7]
	v_cmp_eq_u64_e64 s[6:7], 1, v[11:12]
	v_add_u32_e32 v6, s0, v6
	s_and_b64 s[0:1], vcc, s[6:7]
	v_cndmask_b32_e64 v3, 0, 1, s[0:1]
	v_cmp_ne_u32_e64 s[6:7], 0, v3
	s_bcnt1_i32_b64 s0, s[6:7]
	v_cmp_eq_u64_e64 s[6:7], 2, v[11:12]
	v_add_u32_e32 v7, s0, v7
	;; [unrolled: 6-line block ×3, first 2 shown]
	s_and_b64 s[0:1], vcc, s[6:7]
	v_cndmask_b32_e64 v3, 0, 1, s[0:1]
	v_cmp_ne_u32_e32 vcc, 0, v3
	s_bcnt1_i32_b64 s0, vcc
	v_mov_b32_e32 v24, v22
	v_add_u32_e32 v9, s0, v9
	v_add_u32_e32 v2, s44, v2
	v_mov_b32_e32 v23, v21
	s_andn2_b64 exec, exec, s[16:17]
	s_cbranch_execz .LBB99_66
.LBB99_64:                              ;   Parent Loop BB99_20 Depth=1
                                        ; =>  This Inner Loop Header: Depth=2
	v_add_u32_e32 v42, s50, v42
	v_mov_b32_e32 v21, 0
	v_cmp_gt_u32_e64 s[6:7], s24, v42
	v_mov_b32_e32 v22, 0
	v_cmp_le_u32_e32 vcc, s24, v42
	s_and_saveexec_b64 s[18:19], s[6:7]
	s_cbranch_execz .LBB99_63
; %bb.65:                               ;   in Loop: Header=BB99_64 Depth=2
	v_mov_b32_e32 v3, v12
	v_lshlrev_b64 v[21:22], 3, v[2:3]
	v_mov_b32_e32 v3, s33
	v_add_co_u32_e64 v21, s[6:7], s27, v21
	v_addc_co_u32_e64 v22, s[6:7], v3, v22, s[6:7]
	global_load_dwordx2 v[21:22], v[21:22], off
	s_branch .LBB99_63
.LBB99_66:                              ;   in Loop: Header=BB99_20 Depth=1
	s_or_b64 exec, exec, s[16:17]
.LBB99_67:                              ;   in Loop: Header=BB99_20 Depth=1
	s_or_b64 exec, exec, s[14:15]
	s_branch .LBB99_49
.LBB99_68:                              ;   in Loop: Header=BB99_20 Depth=1
	s_mul_hi_u32 s0, s34, s47
	s_mul_i32 s0, s0, s30
	s_sub_i32 s0, s34, s0
	s_sub_i32 s1, s0, s30
	s_cmp_ge_u32 s0, s30
	s_cselect_b32 s0, s1, s0
	s_sub_i32 s1, s0, s30
	s_cmp_ge_u32 s0, s30
	s_cselect_b32 s0, s1, s0
	s_sub_i32 s35, s34, s0
	v_cmp_gt_u32_e32 vcc, s35, v25
	v_mov_b32_e32 v6, 0
	v_mov_b32_e32 v7, 0
	;; [unrolled: 1-line block ×4, first 2 shown]
	s_and_saveexec_b64 s[22:23], vcc
	s_cbranch_execz .LBB99_72
; %bb.69:                               ;   in Loop: Header=BB99_20 Depth=1
	s_mov_b32 s36, 0
	s_mov_b64 s[66:67], 0
	v_mov_b32_e32 v21, v39
	s_mov_b32 s37, 0
	s_mov_b32 s41, 0
	;; [unrolled: 1-line block ×3, first 2 shown]
	v_mov_b32_e32 v22, v25
.LBB99_70:                              ;   Parent Loop BB99_20 Depth=1
                                        ; =>  This Inner Loop Header: Depth=2
	ds_read_b128 v[42:45], v21
	ds_read_b128 v[6:9], v21 offset:16
	v_add_u32_e32 v22, s30, v22
	v_add_u32_e32 v21, s12, v21
	s_waitcnt lgkmcnt(1)
	v_xor_b32_e32 v43, 0x80000000, v43
	v_xor_b32_e32 v45, 0x80000000, v45
	v_and_b32_e32 v3, v43, v20
	v_and_b32_e32 v2, v42, v19
	s_waitcnt lgkmcnt(0)
	v_xor_b32_e32 v7, 0x80000000, v7
	v_cmp_eq_u64_e32 vcc, v[2:3], v[17:18]
	v_and_b32_e32 v3, v45, v20
	v_and_b32_e32 v2, v44, v19
	v_xor_b32_e32 v9, 0x80000000, v9
	v_cmp_eq_u64_e64 s[14:15], v[2:3], v[17:18]
	v_and_b32_e32 v3, v7, v20
	v_and_b32_e32 v2, v6, v19
	v_cmp_eq_u64_e64 s[16:17], v[2:3], v[17:18]
	v_and_b32_e32 v3, v9, v20
	v_and_b32_e32 v2, v8, v19
	v_cmp_eq_u64_e64 s[18:19], v[2:3], v[17:18]
	v_lshrrev_b64 v[2:3], s40, v[42:43]
	v_lshrrev_b64 v[6:7], s40, v[6:7]
	v_and_b32_e32 v11, 3, v2
	v_lshrrev_b64 v[2:3], s40, v[44:45]
	v_cmp_eq_u64_e64 s[6:7], 0, v[11:12]
	v_and_b32_e32 v2, 3, v2
	v_mov_b32_e32 v3, v12
	s_and_b64 s[0:1], vcc, s[6:7]
	v_cmp_eq_u64_e64 s[6:7], 0, v[2:3]
	v_and_b32_e32 v6, 3, v6
	v_mov_b32_e32 v7, v12
	v_lshrrev_b64 v[8:9], s40, v[8:9]
	s_and_b64 s[70:71], s[14:15], s[6:7]
	v_cmp_eq_u64_e64 s[6:7], 0, v[6:7]
	v_and_b32_e32 v8, 3, v8
	v_mov_b32_e32 v9, v12
	s_and_b64 s[72:73], s[16:17], s[6:7]
	v_cmp_eq_u64_e64 s[6:7], 0, v[8:9]
	v_cndmask_b32_e64 v23, 0, 1, s[0:1]
	s_and_b64 s[74:75], s[18:19], s[6:7]
	v_cmp_ne_u32_e64 s[6:7], 0, v23
	v_cndmask_b32_e64 v23, 0, 1, s[70:71]
	s_bcnt1_i32_b64 s0, s[6:7]
	v_cmp_ne_u32_e64 s[6:7], 0, v23
	v_cndmask_b32_e64 v23, 0, 1, s[72:73]
	s_bcnt1_i32_b64 s1, s[6:7]
	v_cmp_ne_u32_e64 s[6:7], 0, v23
	v_cndmask_b32_e64 v23, 0, 1, s[74:75]
	s_add_i32 s0, s68, s0
	s_bcnt1_i32_b64 s69, s[6:7]
	v_cmp_ne_u32_e64 s[6:7], 0, v23
	s_add_i32 s0, s0, s1
	s_bcnt1_i32_b64 s6, s[6:7]
	s_add_i32 s0, s0, s69
	s_add_i32 s68, s0, s6
	v_cmp_eq_u64_e64 s[6:7], 1, v[11:12]
	s_and_b64 s[0:1], vcc, s[6:7]
	v_cmp_eq_u64_e64 s[6:7], 1, v[2:3]
	v_cndmask_b32_e64 v23, 0, 1, s[0:1]
	s_and_b64 s[70:71], s[14:15], s[6:7]
	v_cmp_eq_u64_e64 s[6:7], 1, v[6:7]
	s_and_b64 s[72:73], s[16:17], s[6:7]
	v_cmp_eq_u64_e64 s[6:7], 1, v[8:9]
	s_and_b64 s[74:75], s[18:19], s[6:7]
	v_cmp_ne_u32_e64 s[6:7], 0, v23
	v_cndmask_b32_e64 v23, 0, 1, s[70:71]
	s_bcnt1_i32_b64 s0, s[6:7]
	v_cmp_ne_u32_e64 s[6:7], 0, v23
	v_cndmask_b32_e64 v23, 0, 1, s[72:73]
	s_bcnt1_i32_b64 s1, s[6:7]
	v_cmp_ne_u32_e64 s[6:7], 0, v23
	v_cndmask_b32_e64 v23, 0, 1, s[74:75]
	s_add_i32 s0, s41, s0
	s_bcnt1_i32_b64 s69, s[6:7]
	v_cmp_ne_u32_e64 s[6:7], 0, v23
	s_add_i32 s0, s0, s1
	s_bcnt1_i32_b64 s6, s[6:7]
	s_add_i32 s0, s0, s69
	s_add_i32 s41, s0, s6
	v_cmp_eq_u64_e64 s[6:7], 2, v[11:12]
	s_and_b64 s[0:1], vcc, s[6:7]
	v_cmp_eq_u64_e64 s[6:7], 2, v[2:3]
	v_cndmask_b32_e64 v23, 0, 1, s[0:1]
	s_and_b64 s[70:71], s[14:15], s[6:7]
	v_cmp_eq_u64_e64 s[6:7], 2, v[6:7]
	s_and_b64 s[72:73], s[16:17], s[6:7]
	v_cmp_eq_u64_e64 s[6:7], 2, v[8:9]
	s_and_b64 s[74:75], s[18:19], s[6:7]
	v_cmp_ne_u32_e64 s[6:7], 0, v23
	v_cndmask_b32_e64 v23, 0, 1, s[70:71]
	s_bcnt1_i32_b64 s0, s[6:7]
	v_cmp_ne_u32_e64 s[6:7], 0, v23
	v_cndmask_b32_e64 v23, 0, 1, s[72:73]
	s_bcnt1_i32_b64 s1, s[6:7]
	v_cmp_ne_u32_e64 s[6:7], 0, v23
	v_cndmask_b32_e64 v23, 0, 1, s[74:75]
	s_add_i32 s0, s37, s0
	s_bcnt1_i32_b64 s69, s[6:7]
	v_cmp_ne_u32_e64 s[6:7], 0, v23
	s_add_i32 s0, s0, s1
	s_bcnt1_i32_b64 s6, s[6:7]
	s_add_i32 s0, s0, s69
	s_add_i32 s37, s0, s6
	v_cmp_eq_u64_e64 s[6:7], 3, v[11:12]
	s_and_b64 s[0:1], vcc, s[6:7]
	v_cmp_eq_u64_e32 vcc, 3, v[2:3]
	v_cndmask_b32_e64 v2, 0, 1, s[0:1]
	s_and_b64 s[6:7], s[14:15], vcc
	v_cmp_eq_u64_e32 vcc, 3, v[6:7]
	v_mov_b32_e32 v6, s68
	s_and_b64 s[14:15], s[16:17], vcc
	v_cmp_eq_u64_e32 vcc, 3, v[8:9]
	v_mov_b32_e32 v7, s41
	s_and_b64 s[16:17], s[18:19], vcc
	v_cmp_ne_u32_e32 vcc, 0, v2
	v_cndmask_b32_e64 v2, 0, 1, s[6:7]
	s_bcnt1_i32_b64 s0, vcc
	v_cmp_ne_u32_e32 vcc, 0, v2
	v_cndmask_b32_e64 v2, 0, 1, s[14:15]
	s_bcnt1_i32_b64 s1, vcc
	v_cmp_ne_u32_e32 vcc, 0, v2
	v_cndmask_b32_e64 v2, 0, 1, s[16:17]
	s_add_i32 s0, s36, s0
	s_bcnt1_i32_b64 s6, vcc
	v_cmp_ne_u32_e32 vcc, 0, v2
	s_add_i32 s0, s0, s1
	s_bcnt1_i32_b64 s7, vcc
	s_add_i32 s0, s0, s6
	s_add_i32 s36, s0, s7
	v_cmp_le_u32_e32 vcc, s35, v22
	s_or_b64 s[66:67], vcc, s[66:67]
	v_mov_b32_e32 v8, s37
	v_mov_b32_e32 v9, s36
	s_andn2_b64 exec, exec, s[66:67]
	s_cbranch_execnz .LBB99_70
; %bb.71:                               ;   in Loop: Header=BB99_20 Depth=1
	s_or_b64 exec, exec, s[66:67]
.LBB99_72:                              ;   in Loop: Header=BB99_20 Depth=1
	s_or_b64 exec, exec, s[22:23]
	v_add_u32_e32 v2, s35, v0
	v_cmp_gt_u32_e32 vcc, s34, v2
	s_and_saveexec_b64 s[66:67], vcc
	s_cbranch_execz .LBB99_76
; %bb.73:                               ;   in Loop: Header=BB99_20 Depth=1
	v_lshlrev_b32_e32 v3, 3, v2
	s_mov_b64 s[68:69], 0
.LBB99_74:                              ;   Parent Loop BB99_20 Depth=1
                                        ; =>  This Inner Loop Header: Depth=2
	ds_read_b64 v[21:22], v3
	v_add_u32_e32 v2, s50, v2
	v_cmp_le_u32_e32 vcc, s34, v2
	v_add_u32_e32 v3, s13, v3
	s_waitcnt lgkmcnt(0)
	v_xor_b32_e32 v22, 0x80000000, v22
	v_and_b32_e32 v23, v21, v19
	v_and_b32_e32 v24, v22, v20
	v_lshrrev_b64 v[21:22], s40, v[21:22]
	v_cmp_eq_u64_e64 s[6:7], v[23:24], v[17:18]
	v_and_b32_e32 v11, 3, v21
	v_cmp_eq_u64_e64 s[14:15], 0, v[11:12]
	v_cmp_eq_u64_e64 s[16:17], 1, v[11:12]
	;; [unrolled: 1-line block ×3, first 2 shown]
	s_and_b64 s[0:1], s[6:7], s[14:15]
	v_cmp_eq_u64_e64 s[22:23], 3, v[11:12]
	v_cndmask_b32_e64 v11, 0, 1, s[0:1]
	s_and_b64 s[0:1], s[6:7], s[16:17]
	v_cndmask_b32_e64 v21, 0, 1, s[0:1]
	s_and_b64 s[0:1], s[6:7], s[18:19]
	;; [unrolled: 2-line block ×3, first 2 shown]
	v_cndmask_b32_e64 v23, 0, 1, s[0:1]
	v_cmp_ne_u32_e64 s[6:7], 0, v11
	v_cmp_ne_u32_e64 s[14:15], 0, v21
	;; [unrolled: 1-line block ×4, first 2 shown]
	s_bcnt1_i32_b64 s0, s[6:7]
	s_bcnt1_i32_b64 s1, s[14:15]
	;; [unrolled: 1-line block ×4, first 2 shown]
	v_add_u32_e32 v6, s0, v6
	v_add_u32_e32 v7, s1, v7
	;; [unrolled: 1-line block ×3, first 2 shown]
	s_or_b64 s[68:69], vcc, s[68:69]
	v_add_u32_e32 v9, s7, v9
	s_andn2_b64 exec, exec, s[68:69]
	s_cbranch_execnz .LBB99_74
; %bb.75:                               ;   in Loop: Header=BB99_20 Depth=1
	s_or_b64 exec, exec, s[68:69]
.LBB99_76:                              ;   in Loop: Header=BB99_20 Depth=1
	s_or_b64 exec, exec, s[66:67]
	s_lshl_b32 s0, s51, 6
	s_and_saveexec_b64 s[6:7], s[4:5]
	s_cbranch_execnz .LBB99_50
	s_branch .LBB99_51
.LBB99_77:                              ;   in Loop: Header=BB99_20 Depth=1
	v_mov_b32_e32 v2, 0
	s_mov_b32 s1, 0
.LBB99_78:                              ;   in Loop: Header=BB99_20 Depth=1
	v_readlane_b32 s14, v46, 17
	v_readlane_b32 s15, v46, 18
	s_andn2_b64 vcc, exec, s[14:15]
	s_cbranch_vccnz .LBB99_81
; %bb.79:                               ;   in Loop: Header=BB99_20 Depth=1
	s_lshl_b32 s14, s51, 8
	s_lshl_b32 s1, s1, 4
	s_add_i32 s14, s14, s1
	v_add_u32_e32 v3, s14, v40
	v_readlane_b32 s1, v46, 16
.LBB99_80:                              ;   Parent Loop BB99_20 Depth=1
                                        ; =>  This Inner Loop Header: Depth=2
	ds_read_b32 v6, v3
	s_add_i32 s1, s1, -1
	v_add_u32_e32 v3, 16, v3
	s_cmp_lg_u32 s1, 0
	s_waitcnt lgkmcnt(0)
	v_add_u32_e32 v2, v6, v2
	s_cbranch_scc1 .LBB99_80
.LBB99_81:                              ;   in Loop: Header=BB99_20 Depth=1
	v_add_lshl_u32 v3, s0, v26, 2
	ds_write_b32 v3, v2 offset:3072
.LBB99_82:                              ;   in Loop: Header=BB99_20 Depth=1
	s_or_b64 exec, exec, s[6:7]
	s_lshl_b32 s0, s0, 2
	v_mov_b32_e32 v2, s0
	s_waitcnt lgkmcnt(0)
	s_barrier
	ds_read_b128 v[6:9], v2 offset:3072
	s_lshl_b64 s[6:7], 3, s40
	s_not_b64 s[68:69], s[6:7]
	v_cmp_eq_u32_e32 vcc, 1, v41
	s_mov_b64 s[16:17], -1
	s_waitcnt lgkmcnt(0)
	v_readfirstlane_b32 s80, v6
	s_cmp_eq_u32 s80, 1
	s_cselect_b64 s[0:1], -1, 0
	v_readfirstlane_b32 s37, v7
	v_readfirstlane_b32 s36, v8
	;; [unrolled: 1-line block ×3, first 2 shown]
	s_and_b64 s[18:19], s[0:1], vcc
	s_mov_b64 s[70:71], -1
                                        ; implicit-def: $sgpr66_sgpr67
                                        ; implicit-def: $sgpr22_sgpr23
	s_and_saveexec_b64 s[14:15], s[18:19]
	s_cbranch_execz .LBB99_108
; %bb.83:                               ;   in Loop: Header=BB99_20 Depth=1
	ds_read_b32 v2, v12 offset:4104
	s_waitcnt lgkmcnt(0)
	s_barrier
	v_readfirstlane_b32 s0, v2
	s_and_saveexec_b64 s[22:23], s[20:21]
; %bb.84:                               ;   in Loop: Header=BB99_20 Depth=1
	v_mov_b32_e32 v11, v12
	ds_write_b64 v28, v[11:12]
; %bb.85:                               ;   in Loop: Header=BB99_20 Depth=1
	s_or_b64 exec, exec, s[22:23]
	v_and_b32_e32 v18, s69, v18
	v_and_b32_e32 v17, s68, v17
	v_or_b32_e32 v20, s7, v20
	v_or_b32_e32 v19, s6, v19
	s_mov_b64 s[22:23], -1
	s_mov_b64 s[66:67], 0
	s_cmp_eq_u32 s0, 0
	s_mov_b64 s[70:71], 0
	s_mov_b64 s[72:73], -1
	s_waitcnt lgkmcnt(0)
	s_barrier
                                        ; implicit-def: $vgpr4_vgpr5
	s_cbranch_scc1 .LBB99_96
; %bb.86:                               ;   in Loop: Header=BB99_20 Depth=1
	s_add_i32 s1, s0, s45
	s_mul_hi_u32 s34, s1, s49
	s_mul_i32 s34, s34, s50
	s_sub_i32 s34, s1, s34
	s_sub_i32 s35, s34, s50
	s_cmp_ge_u32 s34, s50
	s_cselect_b32 s34, s35, s34
	s_sub_i32 s35, s34, s50
	s_cmp_ge_u32 s34, s50
	s_cselect_b32 s34, s35, s34
	s_sub_i32 s1, s1, s34
	v_cmp_gt_u32_e32 vcc, s1, v0
	s_mov_b64 s[72:73], 0
                                        ; implicit-def: $vgpr4_vgpr5
	s_and_saveexec_b64 s[74:75], vcc
	s_cbranch_execz .LBB99_95
; %bb.87:                               ;   in Loop: Header=BB99_20 Depth=1
	v_mov_b32_e32 v6, v27
	v_mov_b32_e32 v7, v0
                                        ; implicit-def: $sgpr76_sgpr77
	s_branch .LBB99_90
.LBB99_88:                              ;   in Loop: Header=BB99_90 Depth=2
	s_or_b64 exec, exec, s[34:35]
	s_waitcnt lgkmcnt(0)
	s_barrier
	ds_read_b128 v[2:5], v12 offset:3072
	s_mov_b64 s[34:35], -1
	s_mov_b64 s[78:79], -1
	s_waitcnt lgkmcnt(0)
	s_barrier
	v_cmp_ne_u64_e32 vcc, 0, v[2:3]
	s_cbranch_vccz .LBB99_93
.LBB99_89:                              ;   in Loop: Header=BB99_90 Depth=2
	s_and_b64 s[34:35], exec, s[34:35]
	s_or_b64 s[70:71], s[34:35], s[70:71]
	s_andn2_b64 s[34:35], s[76:77], exec
	s_and_b64 s[76:77], s[78:79], exec
	s_or_b64 s[76:77], s[34:35], s[76:77]
	s_andn2_b64 exec, exec, s[70:71]
	s_cbranch_execz .LBB99_94
.LBB99_90:                              ;   Parent Loop BB99_20 Depth=1
                                        ; =>  This Inner Loop Header: Depth=2
	v_cmp_gt_u32_e32 vcc, s0, v7
	s_and_saveexec_b64 s[34:35], vcc
	s_cbranch_execz .LBB99_88
; %bb.91:                               ;   in Loop: Header=BB99_90 Depth=2
	ds_read_b64 v[3:4], v6
	s_waitcnt lgkmcnt(0)
	v_xor_b32_e32 v2, 0x80000000, v4
	v_and_b32_e32 v9, v2, v20
	v_and_b32_e32 v8, v3, v19
	v_cmp_eq_u64_e32 vcc, v[8:9], v[17:18]
	s_and_b64 exec, exec, vcc
	s_cbranch_execz .LBB99_88
; %bb.92:                               ;   in Loop: Header=BB99_90 Depth=2
	v_mov_b32_e32 v2, v12
	ds_write_b128 v12, v[1:4] offset:3072
	s_branch .LBB99_88
.LBB99_93:                              ;   in Loop: Header=BB99_90 Depth=2
	v_add_u32_e32 v7, s50, v7
	v_cmp_le_u32_e32 vcc, s1, v7
	v_add_u32_e32 v6, s13, v6
	s_mov_b64 s[78:79], 0
	s_orn2_b64 s[34:35], vcc, exec
	s_branch .LBB99_89
.LBB99_94:                              ;   in Loop: Header=BB99_20 Depth=1
	s_or_b64 exec, exec, s[70:71]
	s_and_b64 s[70:71], s[76:77], exec
.LBB99_95:                              ;   in Loop: Header=BB99_20 Depth=1
	s_or_b64 exec, exec, s[74:75]
.LBB99_96:                              ;   in Loop: Header=BB99_20 Depth=1
	s_and_b64 vcc, exec, s[72:73]
	s_cbranch_vccz .LBB99_107
; %bb.97:                               ;   in Loop: Header=BB99_20 Depth=1
                                        ; implicit-def: $vgpr4_vgpr5
	s_mov_b64 s[22:23], exec
	v_readlane_b32 s0, v46, 19
	v_readlane_b32 s1, v46, 20
	s_and_b64 s[0:1], s[22:23], s[0:1]
	s_mov_b64 exec, s[0:1]
	s_cbranch_execz .LBB99_106
; %bb.98:                               ;   in Loop: Header=BB99_20 Depth=1
	s_mov_b64 s[72:73], 0
	v_mov_b32_e32 v11, v10
	v_mov_b32_e32 v6, v0
                                        ; implicit-def: $sgpr66_sgpr67
	s_branch .LBB99_101
.LBB99_99:                              ;   in Loop: Header=BB99_101 Depth=2
	s_or_b64 exec, exec, s[74:75]
	s_waitcnt lgkmcnt(0)
	s_barrier
	ds_read_b128 v[2:5], v12 offset:3072
	s_mov_b64 s[34:35], -1
	s_mov_b64 s[74:75], -1
	s_waitcnt lgkmcnt(0)
	s_barrier
	v_cmp_ne_u64_e32 vcc, 0, v[2:3]
	s_cbranch_vccz .LBB99_104
.LBB99_100:                             ;   in Loop: Header=BB99_101 Depth=2
	s_and_b64 s[0:1], exec, s[34:35]
	s_or_b64 s[72:73], s[0:1], s[72:73]
	s_andn2_b64 s[0:1], s[66:67], exec
	s_and_b64 s[34:35], s[74:75], exec
	s_or_b64 s[66:67], s[0:1], s[34:35]
	s_andn2_b64 exec, exec, s[72:73]
	s_cbranch_execz .LBB99_105
.LBB99_101:                             ;   Parent Loop BB99_20 Depth=1
                                        ; =>  This Inner Loop Header: Depth=2
	v_cmp_gt_u32_e32 vcc, s24, v6
	s_and_saveexec_b64 s[74:75], vcc
	s_cbranch_execz .LBB99_99
; %bb.102:                              ;   in Loop: Header=BB99_101 Depth=2
	v_lshlrev_b64 v[2:3], 3, v[11:12]
	v_mov_b32_e32 v4, s33
	v_add_co_u32_e32 v2, vcc, s27, v2
	v_addc_co_u32_e32 v3, vcc, v4, v3, vcc
	global_load_dwordx2 v[3:4], v[2:3], off
	s_waitcnt vmcnt(0)
	v_xor_b32_e32 v2, 0x80000000, v4
	v_and_b32_e32 v8, v2, v20
	v_and_b32_e32 v7, v3, v19
	v_cmp_eq_u64_e32 vcc, v[7:8], v[17:18]
	s_and_b64 exec, exec, vcc
	s_cbranch_execz .LBB99_99
; %bb.103:                              ;   in Loop: Header=BB99_101 Depth=2
	v_mov_b32_e32 v2, v12
	ds_write_b128 v12, v[1:4] offset:3072
	s_branch .LBB99_99
.LBB99_104:                             ;   in Loop: Header=BB99_101 Depth=2
	v_add_u32_e32 v6, s50, v6
	v_cmp_le_u32_e32 vcc, s2, v6
	v_add_u32_e32 v11, s44, v11
	s_mov_b64 s[74:75], 0
	s_orn2_b64 s[34:35], vcc, exec
	s_branch .LBB99_100
.LBB99_105:                             ;   in Loop: Header=BB99_20 Depth=1
	s_or_b64 exec, exec, s[72:73]
	s_andn2_b64 s[0:1], s[70:71], exec
	s_and_b64 s[34:35], s[66:67], exec
	s_or_b64 s[70:71], s[0:1], s[34:35]
.LBB99_106:                             ;   in Loop: Header=BB99_20 Depth=1
	s_or_b64 exec, exec, s[22:23]
	s_mov_b64 s[22:23], 0
	s_mov_b64 s[66:67], -1
.LBB99_107:                             ;   in Loop: Header=BB99_20 Depth=1
	s_orn2_b64 s[70:71], s[70:71], exec
.LBB99_108:                             ;   in Loop: Header=BB99_20 Depth=1
	s_or_b64 exec, exec, s[14:15]
	s_andn2_b64 s[14:15], s[64:65], exec
	s_and_b64 s[34:35], s[66:67], exec
	s_or_b64 s[64:65], s[14:15], s[34:35]
	s_andn2_b64 s[14:15], s[62:63], exec
	s_and_b64 s[22:23], s[22:23], exec
	v_readfirstlane_b32 s0, v0
	v_readfirstlane_b32 s1, v0
	s_andn2_b64 s[60:61], s[60:61], exec
	s_or_b64 s[62:63], s[14:15], s[22:23]
                                        ; implicit-def: $vgpr7
	s_and_saveexec_b64 s[14:15], s[70:71]
	s_cbranch_execz .LBB99_19
; %bb.109:                              ;   in Loop: Header=BB99_20 Depth=1
	s_xor_b64 s[0:1], s[18:19], -1
	s_mov_b64 s[18:19], 0
	v_mov_b32_e32 v7, 1
	v_mov_b32_e32 v6, 1
	s_and_saveexec_b64 s[16:17], s[0:1]
	s_cbranch_execz .LBB99_118
; %bb.110:                              ;   in Loop: Header=BB99_20 Depth=1
	v_cmp_ge_u32_e32 vcc, s80, v41
	s_and_saveexec_b64 s[0:1], vcc
	s_xor_b64 s[18:19], exec, s[0:1]
	s_cbranch_execz .LBB99_115
; %bb.111:                              ;   in Loop: Header=BB99_20 Depth=1
	ds_read_b32 v2, v12 offset:4104
	v_and_b32_e32 v18, s69, v18
	v_and_b32_e32 v17, s68, v17
	v_or_b32_e32 v20, s7, v20
	v_or_b32_e32 v19, s6, v19
	s_waitcnt lgkmcnt(0)
	v_cmp_ne_u32_e32 vcc, 0, v2
	s_cbranch_vccnz .LBB99_115
; %bb.112:                              ;   in Loop: Header=BB99_20 Depth=1
	s_mov_b64 s[22:23], exec
	v_readlane_b32 s0, v46, 2
	v_readlane_b32 s1, v46, 3
	s_and_b64 s[0:1], s[22:23], s[0:1]
	s_mov_b64 exec, s[0:1]
; %bb.113:                              ;   in Loop: Header=BB99_20 Depth=1
	v_mov_b32_e32 v2, s80
	ds_write_b32 v12, v2 offset:4108
; %bb.114:                              ;   in Loop: Header=BB99_20 Depth=1
	s_or_b64 exec, exec, s[22:23]
	s_waitcnt lgkmcnt(0)
	s_barrier
.LBB99_115:                             ;   in Loop: Header=BB99_20 Depth=1
	s_or_saveexec_b64 s[18:19], s[18:19]
	s_mov_b64 s[22:23], 0
	v_mov_b32_e32 v6, 8
	s_xor_b64 exec, exec, s[18:19]
; %bb.116:                              ;   in Loop: Header=BB99_20 Depth=1
	s_mov_b64 s[22:23], exec
	v_subrev_u32_e32 v41, s80, v41
	v_mov_b32_e32 v6, 0
; %bb.117:                              ;   in Loop: Header=BB99_20 Depth=1
	s_or_b64 exec, exec, s[18:19]
	s_and_b64 s[18:19], s[22:23], exec
	v_mov_b32_e32 v7, v41
.LBB99_118:                             ;   in Loop: Header=BB99_20 Depth=1
	s_or_b64 exec, exec, s[16:17]
	s_mov_b64 s[16:17], -1
	s_mov_b64 s[70:71], -1
                                        ; implicit-def: $sgpr22_sgpr23
                                        ; implicit-def: $sgpr66_sgpr67
	s_and_saveexec_b64 s[0:1], s[18:19]
	s_xor_b64 s[18:19], exec, s[0:1]
	s_cbranch_execz .LBB99_238
; %bb.119:                              ;   in Loop: Header=BB99_20 Depth=1
	s_cmp_eq_u32 s37, 1
	s_cselect_b64 s[0:1], -1, 0
	v_cmp_eq_u32_e32 vcc, 1, v7
	s_and_b64 s[72:73], s[0:1], vcc
	s_mov_b64 s[74:75], -1
                                        ; implicit-def: $sgpr66_sgpr67
                                        ; implicit-def: $sgpr22_sgpr23
	s_and_saveexec_b64 s[70:71], s[72:73]
	s_cbranch_execz .LBB99_148
; %bb.120:                              ;   in Loop: Header=BB99_20 Depth=1
	ds_read_b32 v2, v12 offset:4104
	s_waitcnt lgkmcnt(0)
	s_barrier
	v_readfirstlane_b32 s84, v2
	s_and_saveexec_b64 s[22:23], s[20:21]
; %bb.121:                              ;   in Loop: Header=BB99_20 Depth=1
	v_mov_b32_e32 v11, v12
	ds_write_b64 v28, v[11:12]
; %bb.122:                              ;   in Loop: Header=BB99_20 Depth=1
	s_or_b64 exec, exec, s[22:23]
	s_lshl_b64 s[0:1], 1, s40
	v_and_b32_e32 v2, s69, v18
	v_and_b32_e32 v3, s68, v17
	v_or_b32_e32 v18, s1, v2
	v_or_b32_e32 v17, s0, v3
	;; [unrolled: 1-line block ×4, first 2 shown]
	s_mov_b64 s[22:23], -1
	s_mov_b64 s[66:67], 0
	s_cmp_eq_u32 s84, 0
	s_mov_b64 s[74:75], 0
	s_mov_b64 s[76:77], -1
	s_waitcnt lgkmcnt(0)
	s_barrier
                                        ; implicit-def: $vgpr4_vgpr5
	s_cbranch_scc1 .LBB99_136
; %bb.123:                              ;   in Loop: Header=BB99_20 Depth=1
	s_add_i32 s0, s84, s45
	s_mul_hi_u32 s1, s0, s49
	s_mul_i32 s1, s1, s50
	s_sub_i32 s1, s0, s1
	s_sub_i32 s34, s1, s50
	s_cmp_ge_u32 s1, s50
	s_cselect_b32 s1, s34, s1
	s_sub_i32 s34, s1, s50
	s_cmp_ge_u32 s1, s50
	s_cselect_b32 s1, s34, s1
	s_sub_i32 s0, s0, s1
	v_cmp_gt_u32_e32 vcc, s0, v0
	s_mov_b64 s[76:77], 0
                                        ; implicit-def: $vgpr4_vgpr5
	s_and_saveexec_b64 s[78:79], vcc
	s_cbranch_execz .LBB99_135
; %bb.124:                              ;   in Loop: Header=BB99_20 Depth=1
	v_mov_b32_e32 v8, v27
	v_mov_b32_e32 v9, v0
                                        ; implicit-def: $sgpr80_sgpr81
	s_branch .LBB99_127
.LBB99_125:                             ;   in Loop: Header=BB99_127 Depth=2
	s_or_b64 exec, exec, s[82:83]
	s_waitcnt lgkmcnt(0)
	s_barrier
	ds_read_b128 v[2:5], v12 offset:3072
	s_mov_b64 s[34:35], -1
	s_mov_b64 s[82:83], -1
	s_waitcnt lgkmcnt(0)
	s_barrier
	v_cmp_ne_u64_e32 vcc, 0, v[2:3]
	s_cbranch_vccz .LBB99_130
.LBB99_126:                             ;   in Loop: Header=BB99_127 Depth=2
	s_and_b64 s[34:35], exec, s[34:35]
	s_or_b64 s[74:75], s[34:35], s[74:75]
	s_andn2_b64 s[34:35], s[80:81], exec
	s_and_b64 s[80:81], s[82:83], exec
	s_or_b64 s[80:81], s[34:35], s[80:81]
	s_andn2_b64 exec, exec, s[74:75]
	s_cbranch_execz .LBB99_134
.LBB99_127:                             ;   Parent Loop BB99_20 Depth=1
                                        ; =>  This Inner Loop Header: Depth=2
	v_cmp_gt_u32_e32 vcc, s84, v9
	s_and_saveexec_b64 s[82:83], vcc
	s_cbranch_execz .LBB99_125
; %bb.128:                              ;   in Loop: Header=BB99_127 Depth=2
	ds_read_b64 v[3:4], v8
	s_waitcnt lgkmcnt(0)
	v_xor_b32_e32 v2, 0x80000000, v4
	v_and_b32_e32 v22, v2, v20
	v_and_b32_e32 v21, v3, v19
	v_cmp_eq_u64_e32 vcc, v[21:22], v[17:18]
	s_and_b64 exec, exec, vcc
	s_cbranch_execz .LBB99_125
; %bb.129:                              ;   in Loop: Header=BB99_127 Depth=2
	v_mov_b32_e32 v2, v12
	ds_write_b128 v12, v[1:4] offset:3072
	s_branch .LBB99_125
.LBB99_130:                             ;   in Loop: Header=BB99_127 Depth=2
	v_add_u32_e32 v9, s50, v9
	v_cmp_le_u32_e32 vcc, s0, v9
	v_add_u32_e32 v8, s13, v8
	s_mov_b64 s[82:83], 0
	s_orn2_b64 s[34:35], vcc, exec
	s_branch .LBB99_126
.LBB99_131:                             ;   in Loop: Header=BB99_20 Depth=1
	s_or_b64 exec, exec, s[18:19]
	s_waitcnt lgkmcnt(0)
	s_barrier
	s_mov_b64 s[6:7], exec
	v_readlane_b32 s0, v46, 2
	v_readlane_b32 s1, v46, 3
	s_and_b64 s[0:1], s[6:7], s[0:1]
	s_mov_b64 exec, s[0:1]
	s_cbranch_execz .LBB99_133
; %bb.132:                              ;   in Loop: Header=BB99_20 Depth=1
	ds_read_b32 v2, v12 offset:4112
	s_waitcnt lgkmcnt(0)
	ds_write_b32 v12, v2 offset:4104
.LBB99_133:                             ;   in Loop: Header=BB99_20 Depth=1
	s_or_b64 exec, exec, s[6:7]
	s_waitcnt lgkmcnt(0)
	s_barrier
	s_mov_b64 s[6:7], -1
	s_and_b64 vcc, exec, s[16:17]
	s_cbranch_vccnz .LBB99_36
	s_branch .LBB99_45
.LBB99_134:                             ;   in Loop: Header=BB99_20 Depth=1
	s_or_b64 exec, exec, s[74:75]
	s_and_b64 s[74:75], s[80:81], exec
.LBB99_135:                             ;   in Loop: Header=BB99_20 Depth=1
	s_or_b64 exec, exec, s[78:79]
.LBB99_136:                             ;   in Loop: Header=BB99_20 Depth=1
	s_and_b64 vcc, exec, s[76:77]
	s_cbranch_vccz .LBB99_147
; %bb.137:                              ;   in Loop: Header=BB99_20 Depth=1
                                        ; implicit-def: $vgpr4_vgpr5
	s_mov_b64 s[22:23], exec
	v_readlane_b32 s0, v46, 19
	v_readlane_b32 s1, v46, 20
	s_and_b64 s[0:1], s[22:23], s[0:1]
	s_mov_b64 exec, s[0:1]
	s_cbranch_execz .LBB99_146
; %bb.138:                              ;   in Loop: Header=BB99_20 Depth=1
	s_mov_b64 s[66:67], 0
	v_mov_b32_e32 v11, v10
	v_mov_b32_e32 v8, v0
                                        ; implicit-def: $sgpr76_sgpr77
	s_branch .LBB99_141
.LBB99_139:                             ;   in Loop: Header=BB99_141 Depth=2
	s_or_b64 exec, exec, s[78:79]
	s_waitcnt lgkmcnt(0)
	s_barrier
	ds_read_b128 v[2:5], v12 offset:3072
	s_mov_b64 s[34:35], -1
	s_mov_b64 s[78:79], -1
	s_waitcnt lgkmcnt(0)
	s_barrier
	v_cmp_eq_u64_e32 vcc, 0, v[2:3]
	s_cbranch_vccnz .LBB99_144
.LBB99_140:                             ;   in Loop: Header=BB99_141 Depth=2
	s_and_b64 s[0:1], exec, s[34:35]
	s_or_b64 s[66:67], s[0:1], s[66:67]
	s_andn2_b64 s[0:1], s[76:77], exec
	s_and_b64 s[34:35], s[78:79], exec
	s_or_b64 s[76:77], s[0:1], s[34:35]
	s_andn2_b64 exec, exec, s[66:67]
	s_cbranch_execz .LBB99_145
.LBB99_141:                             ;   Parent Loop BB99_20 Depth=1
                                        ; =>  This Inner Loop Header: Depth=2
	v_cmp_gt_u32_e32 vcc, s24, v8
	s_and_saveexec_b64 s[78:79], vcc
	s_cbranch_execz .LBB99_139
; %bb.142:                              ;   in Loop: Header=BB99_141 Depth=2
	v_lshlrev_b64 v[2:3], 3, v[11:12]
	v_mov_b32_e32 v4, s33
	v_add_co_u32_e32 v2, vcc, s27, v2
	v_addc_co_u32_e32 v3, vcc, v4, v3, vcc
	global_load_dwordx2 v[3:4], v[2:3], off
	s_waitcnt vmcnt(0)
	v_xor_b32_e32 v2, 0x80000000, v4
	v_and_b32_e32 v22, v2, v20
	v_and_b32_e32 v21, v3, v19
	v_cmp_eq_u64_e32 vcc, v[21:22], v[17:18]
	s_and_b64 exec, exec, vcc
	s_cbranch_execz .LBB99_139
; %bb.143:                              ;   in Loop: Header=BB99_141 Depth=2
	v_mov_b32_e32 v2, v12
	ds_write_b128 v12, v[1:4] offset:3072
	s_branch .LBB99_139
.LBB99_144:                             ;   in Loop: Header=BB99_141 Depth=2
	v_add_u32_e32 v8, s50, v8
	v_cmp_le_u32_e32 vcc, s2, v8
	v_add_u32_e32 v11, s44, v11
	s_mov_b64 s[78:79], 0
	s_orn2_b64 s[34:35], vcc, exec
	s_branch .LBB99_140
.LBB99_145:                             ;   in Loop: Header=BB99_20 Depth=1
	s_or_b64 exec, exec, s[66:67]
	s_andn2_b64 s[0:1], s[74:75], exec
	s_and_b64 s[34:35], s[76:77], exec
	s_or_b64 s[74:75], s[0:1], s[34:35]
.LBB99_146:                             ;   in Loop: Header=BB99_20 Depth=1
	s_or_b64 exec, exec, s[22:23]
	s_mov_b64 s[22:23], 0
	s_mov_b64 s[66:67], -1
.LBB99_147:                             ;   in Loop: Header=BB99_20 Depth=1
	s_orn2_b64 s[74:75], s[74:75], exec
.LBB99_148:                             ;   in Loop: Header=BB99_20 Depth=1
	s_or_b64 exec, exec, s[70:71]
	s_mov_b64 s[76:77], 0
	s_and_saveexec_b64 s[70:71], s[74:75]
	s_cbranch_execz .LBB99_237
; %bb.149:                              ;   in Loop: Header=BB99_20 Depth=1
	s_xor_b64 s[0:1], s[72:73], -1
	s_mov_b64 s[80:81], 0
	v_mov_b32_e32 v8, 1
	v_mov_b32_e32 v6, 1
	s_and_saveexec_b64 s[72:73], s[0:1]
	s_cbranch_execz .LBB99_155
; %bb.150:                              ;   in Loop: Header=BB99_20 Depth=1
	v_cmp_ge_u32_e32 vcc, s37, v7
	s_and_saveexec_b64 s[0:1], vcc
	s_xor_b64 s[74:75], exec, s[0:1]
	s_cbranch_execz .LBB99_152
; %bb.151:                              ;   in Loop: Header=BB99_20 Depth=1
	ds_read_b32 v3, v12 offset:4104
	s_lshl_b64 s[0:1], 1, s40
	v_and_b32_e32 v2, s69, v18
	v_and_b32_e32 v6, s68, v17
	v_or_b32_e32 v18, s1, v2
	s_waitcnt lgkmcnt(0)
	v_cmp_ne_u32_e32 vcc, 0, v3
	v_or_b32_e32 v17, s0, v6
	v_or_b32_e32 v20, s7, v20
	;; [unrolled: 1-line block ×3, first 2 shown]
	s_cbranch_vccz .LBB99_168
.LBB99_152:                             ;   in Loop: Header=BB99_20 Depth=1
	s_or_saveexec_b64 s[74:75], s[74:75]
	v_mov_b32_e32 v6, 8
	s_xor_b64 exec, exec, s[74:75]
.LBB99_153:                             ;   in Loop: Header=BB99_20 Depth=1
	s_mov_b64 s[76:77], exec
	v_subrev_u32_e32 v7, s37, v7
	v_mov_b32_e32 v6, 0
.LBB99_154:                             ;   in Loop: Header=BB99_20 Depth=1
	s_or_b64 exec, exec, s[74:75]
	s_and_b64 s[80:81], s[76:77], exec
	v_mov_b32_e32 v8, v7
.LBB99_155:                             ;   in Loop: Header=BB99_20 Depth=1
	s_or_b64 exec, exec, s[72:73]
	s_mov_b64 s[78:79], -1
                                        ; implicit-def: $sgpr74_sgpr75
                                        ; implicit-def: $sgpr76_sgpr77
	s_and_saveexec_b64 s[72:73], s[80:81]
	s_cbranch_execz .LBB99_236
; %bb.156:                              ;   in Loop: Header=BB99_20 Depth=1
	s_cmp_eq_u32 s36, 1
	s_cselect_b64 s[0:1], -1, 0
	v_cmp_eq_u32_e32 vcc, 1, v8
	s_and_b64 s[80:81], s[0:1], vcc
	s_mov_b64 s[82:83], -1
                                        ; implicit-def: $sgpr76_sgpr77
                                        ; implicit-def: $sgpr74_sgpr75
	s_and_saveexec_b64 s[78:79], s[80:81]
	s_cbranch_execz .LBB99_185
; %bb.157:                              ;   in Loop: Header=BB99_20 Depth=1
	ds_read_b32 v2, v12 offset:4104
	s_waitcnt lgkmcnt(0)
	s_barrier
	v_readfirstlane_b32 s37, v2
	s_and_saveexec_b64 s[34:35], s[20:21]
; %bb.158:                              ;   in Loop: Header=BB99_20 Depth=1
	v_mov_b32_e32 v11, v12
	ds_write_b64 v28, v[11:12]
; %bb.159:                              ;   in Loop: Header=BB99_20 Depth=1
	s_or_b64 exec, exec, s[34:35]
	s_lshl_b64 s[0:1], 2, s40
	v_and_b32_e32 v2, s69, v18
	v_and_b32_e32 v3, s68, v17
	v_or_b32_e32 v18, s1, v2
	v_or_b32_e32 v17, s0, v3
	;; [unrolled: 1-line block ×4, first 2 shown]
	s_mov_b64 s[74:75], -1
	s_mov_b64 s[76:77], 0
	s_cmp_eq_u32 s37, 0
	s_mov_b64 s[82:83], 0
	s_mov_b64 s[84:85], -1
	s_waitcnt lgkmcnt(0)
	s_barrier
                                        ; implicit-def: $vgpr4_vgpr5
	s_cbranch_scc1 .LBB99_173
; %bb.160:                              ;   in Loop: Header=BB99_20 Depth=1
	s_add_i32 s0, s37, s45
	s_mul_hi_u32 s1, s0, s49
	s_mul_i32 s1, s1, s50
	s_sub_i32 s1, s0, s1
	s_sub_i32 s34, s1, s50
	s_cmp_ge_u32 s1, s50
	s_cselect_b32 s1, s34, s1
	s_sub_i32 s34, s1, s50
	s_cmp_ge_u32 s1, s50
	s_cselect_b32 s1, s34, s1
	s_sub_i32 s0, s0, s1
	v_cmp_gt_u32_e32 vcc, s0, v0
	s_mov_b64 s[84:85], 0
                                        ; implicit-def: $vgpr4_vgpr5
	s_and_saveexec_b64 s[86:87], vcc
	s_cbranch_execz .LBB99_172
; %bb.161:                              ;   in Loop: Header=BB99_20 Depth=1
	v_mov_b32_e32 v7, v27
	v_mov_b32_e32 v9, v0
                                        ; implicit-def: $sgpr88_sgpr89
	s_branch .LBB99_164
.LBB99_162:                             ;   in Loop: Header=BB99_164 Depth=2
	s_or_b64 exec, exec, s[90:91]
	s_waitcnt lgkmcnt(0)
	s_barrier
	ds_read_b128 v[2:5], v12 offset:3072
	s_mov_b64 s[34:35], -1
	s_mov_b64 s[90:91], -1
	s_waitcnt lgkmcnt(0)
	s_barrier
	v_cmp_ne_u64_e32 vcc, 0, v[2:3]
	s_cbranch_vccz .LBB99_167
.LBB99_163:                             ;   in Loop: Header=BB99_164 Depth=2
	s_and_b64 s[34:35], exec, s[34:35]
	s_or_b64 s[82:83], s[34:35], s[82:83]
	s_andn2_b64 s[34:35], s[88:89], exec
	s_and_b64 s[88:89], s[90:91], exec
	s_or_b64 s[88:89], s[34:35], s[88:89]
	s_andn2_b64 exec, exec, s[82:83]
	s_cbranch_execz .LBB99_171
.LBB99_164:                             ;   Parent Loop BB99_20 Depth=1
                                        ; =>  This Inner Loop Header: Depth=2
	v_cmp_gt_u32_e32 vcc, s37, v9
	s_and_saveexec_b64 s[90:91], vcc
	s_cbranch_execz .LBB99_162
; %bb.165:                              ;   in Loop: Header=BB99_164 Depth=2
	ds_read_b64 v[3:4], v7
	s_waitcnt lgkmcnt(0)
	v_xor_b32_e32 v2, 0x80000000, v4
	v_and_b32_e32 v22, v2, v20
	v_and_b32_e32 v21, v3, v19
	v_cmp_eq_u64_e32 vcc, v[21:22], v[17:18]
	s_and_b64 exec, exec, vcc
	s_cbranch_execz .LBB99_162
; %bb.166:                              ;   in Loop: Header=BB99_164 Depth=2
	v_mov_b32_e32 v2, v12
	ds_write_b128 v12, v[1:4] offset:3072
	s_branch .LBB99_162
.LBB99_167:                             ;   in Loop: Header=BB99_164 Depth=2
	v_add_u32_e32 v9, s50, v9
	v_cmp_le_u32_e32 vcc, s0, v9
	v_add_u32_e32 v7, s13, v7
	s_mov_b64 s[90:91], 0
	s_orn2_b64 s[34:35], vcc, exec
	s_branch .LBB99_163
.LBB99_168:                             ;   in Loop: Header=BB99_20 Depth=1
	s_mov_b64 s[34:35], exec
	v_readlane_b32 s0, v46, 2
	v_readlane_b32 s1, v46, 3
	s_and_b64 s[0:1], s[34:35], s[0:1]
	s_mov_b64 exec, s[0:1]
; %bb.169:                              ;   in Loop: Header=BB99_20 Depth=1
	v_mov_b32_e32 v2, s37
	ds_write_b32 v12, v2 offset:4108
; %bb.170:                              ;   in Loop: Header=BB99_20 Depth=1
	s_or_b64 exec, exec, s[34:35]
	s_waitcnt lgkmcnt(0)
	s_barrier
	s_or_saveexec_b64 s[74:75], s[74:75]
	v_mov_b32_e32 v6, 8
	s_xor_b64 exec, exec, s[74:75]
	s_cbranch_execnz .LBB99_153
	s_branch .LBB99_154
.LBB99_171:                             ;   in Loop: Header=BB99_20 Depth=1
	s_or_b64 exec, exec, s[82:83]
	s_and_b64 s[82:83], s[88:89], exec
.LBB99_172:                             ;   in Loop: Header=BB99_20 Depth=1
	s_or_b64 exec, exec, s[86:87]
.LBB99_173:                             ;   in Loop: Header=BB99_20 Depth=1
	s_and_b64 vcc, exec, s[84:85]
	s_cbranch_vccz .LBB99_184
; %bb.174:                              ;   in Loop: Header=BB99_20 Depth=1
                                        ; implicit-def: $vgpr4_vgpr5
	s_mov_b64 s[74:75], exec
	v_readlane_b32 s0, v46, 19
	v_readlane_b32 s1, v46, 20
	s_and_b64 s[0:1], s[74:75], s[0:1]
	s_mov_b64 exec, s[0:1]
	s_cbranch_execz .LBB99_183
; %bb.175:                              ;   in Loop: Header=BB99_20 Depth=1
	s_mov_b64 s[76:77], 0
	v_mov_b32_e32 v11, v10
	v_mov_b32_e32 v7, v0
                                        ; implicit-def: $sgpr84_sgpr85
	s_branch .LBB99_178
.LBB99_176:                             ;   in Loop: Header=BB99_178 Depth=2
	s_or_b64 exec, exec, s[86:87]
	s_waitcnt lgkmcnt(0)
	s_barrier
	ds_read_b128 v[2:5], v12 offset:3072
	s_mov_b64 s[34:35], -1
	s_mov_b64 s[86:87], -1
	s_waitcnt lgkmcnt(0)
	s_barrier
	v_cmp_eq_u64_e32 vcc, 0, v[2:3]
	s_cbranch_vccnz .LBB99_181
.LBB99_177:                             ;   in Loop: Header=BB99_178 Depth=2
	s_and_b64 s[0:1], exec, s[34:35]
	s_or_b64 s[76:77], s[0:1], s[76:77]
	s_andn2_b64 s[0:1], s[84:85], exec
	s_and_b64 s[34:35], s[86:87], exec
	s_or_b64 s[84:85], s[0:1], s[34:35]
	s_andn2_b64 exec, exec, s[76:77]
	s_cbranch_execz .LBB99_182
.LBB99_178:                             ;   Parent Loop BB99_20 Depth=1
                                        ; =>  This Inner Loop Header: Depth=2
	v_cmp_gt_u32_e32 vcc, s24, v7
	s_and_saveexec_b64 s[86:87], vcc
	s_cbranch_execz .LBB99_176
; %bb.179:                              ;   in Loop: Header=BB99_178 Depth=2
	v_lshlrev_b64 v[2:3], 3, v[11:12]
	v_mov_b32_e32 v4, s33
	v_add_co_u32_e32 v2, vcc, s27, v2
	v_addc_co_u32_e32 v3, vcc, v4, v3, vcc
	global_load_dwordx2 v[3:4], v[2:3], off
	s_waitcnt vmcnt(0)
	v_xor_b32_e32 v2, 0x80000000, v4
	v_and_b32_e32 v22, v2, v20
	v_and_b32_e32 v21, v3, v19
	v_cmp_eq_u64_e32 vcc, v[21:22], v[17:18]
	s_and_b64 exec, exec, vcc
	s_cbranch_execz .LBB99_176
; %bb.180:                              ;   in Loop: Header=BB99_178 Depth=2
	v_mov_b32_e32 v2, v12
	ds_write_b128 v12, v[1:4] offset:3072
	s_branch .LBB99_176
.LBB99_181:                             ;   in Loop: Header=BB99_178 Depth=2
	v_add_u32_e32 v7, s50, v7
	v_cmp_le_u32_e32 vcc, s2, v7
	v_add_u32_e32 v11, s44, v11
	s_mov_b64 s[86:87], 0
	s_orn2_b64 s[34:35], vcc, exec
	s_branch .LBB99_177
.LBB99_182:                             ;   in Loop: Header=BB99_20 Depth=1
	s_or_b64 exec, exec, s[76:77]
	s_andn2_b64 s[0:1], s[82:83], exec
	s_and_b64 s[34:35], s[84:85], exec
	s_or_b64 s[82:83], s[0:1], s[34:35]
.LBB99_183:                             ;   in Loop: Header=BB99_20 Depth=1
	s_or_b64 exec, exec, s[74:75]
	s_mov_b64 s[74:75], 0
	s_mov_b64 s[76:77], -1
.LBB99_184:                             ;   in Loop: Header=BB99_20 Depth=1
	s_orn2_b64 s[82:83], s[82:83], exec
.LBB99_185:                             ;   in Loop: Header=BB99_20 Depth=1
	s_or_b64 exec, exec, s[78:79]
	s_mov_b64 s[84:85], 0
	s_and_saveexec_b64 s[78:79], s[82:83]
	s_cbranch_execz .LBB99_235
; %bb.186:                              ;   in Loop: Header=BB99_20 Depth=1
	s_xor_b64 s[0:1], s[80:81], -1
	s_mov_b64 s[86:87], 0
	v_mov_b32_e32 v7, 1
	v_mov_b32_e32 v6, 1
	s_and_saveexec_b64 s[80:81], s[0:1]
	s_cbranch_execz .LBB99_195
; %bb.187:                              ;   in Loop: Header=BB99_20 Depth=1
	v_cmp_ge_u32_e32 vcc, s36, v8
	s_and_saveexec_b64 s[0:1], vcc
	s_xor_b64 s[82:83], exec, s[0:1]
	s_cbranch_execz .LBB99_192
; %bb.188:                              ;   in Loop: Header=BB99_20 Depth=1
	ds_read_b32 v3, v12 offset:4104
	s_lshl_b64 s[0:1], 2, s40
	v_and_b32_e32 v2, s69, v18
	v_and_b32_e32 v6, s68, v17
	v_or_b32_e32 v18, s1, v2
	s_waitcnt lgkmcnt(0)
	v_cmp_ne_u32_e32 vcc, 0, v3
	v_or_b32_e32 v17, s0, v6
	v_or_b32_e32 v20, s7, v20
	;; [unrolled: 1-line block ×3, first 2 shown]
	s_cbranch_vccnz .LBB99_192
; %bb.189:                              ;   in Loop: Header=BB99_20 Depth=1
	s_mov_b64 s[34:35], exec
	v_readlane_b32 s0, v46, 2
	v_readlane_b32 s1, v46, 3
	s_and_b64 s[0:1], s[34:35], s[0:1]
	s_mov_b64 exec, s[0:1]
; %bb.190:                              ;   in Loop: Header=BB99_20 Depth=1
	v_mov_b32_e32 v2, s36
	ds_write_b32 v12, v2 offset:4108
; %bb.191:                              ;   in Loop: Header=BB99_20 Depth=1
	s_or_b64 exec, exec, s[34:35]
	s_waitcnt lgkmcnt(0)
	s_barrier
.LBB99_192:                             ;   in Loop: Header=BB99_20 Depth=1
	s_or_saveexec_b64 s[68:69], s[82:83]
	s_mov_b64 s[82:83], 0
	v_mov_b32_e32 v6, 8
	s_xor_b64 exec, exec, s[68:69]
; %bb.193:                              ;   in Loop: Header=BB99_20 Depth=1
	s_mov_b64 s[82:83], exec
	v_subrev_u32_e32 v8, s36, v8
	v_mov_b32_e32 v6, 0
; %bb.194:                              ;   in Loop: Header=BB99_20 Depth=1
	s_or_b64 exec, exec, s[68:69]
	s_and_b64 s[86:87], s[82:83], exec
	v_mov_b32_e32 v7, v8
.LBB99_195:                             ;   in Loop: Header=BB99_20 Depth=1
	s_or_b64 exec, exec, s[80:81]
	s_mov_b64 s[84:85], -1
                                        ; implicit-def: $sgpr82_sgpr83
                                        ; implicit-def: $sgpr80_sgpr81
	s_and_saveexec_b64 s[68:69], s[86:87]
	s_cbranch_execz .LBB99_234
; %bb.196:                              ;   in Loop: Header=BB99_20 Depth=1
	s_cmp_eq_u32 s41, 1
	s_cselect_b64 s[0:1], -1, 0
	v_cmp_eq_u32_e32 vcc, 1, v7
	s_and_b64 s[84:85], s[0:1], vcc
	s_mov_b64 s[88:89], -1
                                        ; implicit-def: $sgpr82_sgpr83
                                        ; implicit-def: $sgpr80_sgpr81
	s_and_saveexec_b64 s[86:87], s[84:85]
	s_cbranch_execz .LBB99_222
; %bb.197:                              ;   in Loop: Header=BB99_20 Depth=1
	ds_read_b32 v2, v12 offset:4104
	s_waitcnt lgkmcnt(0)
	s_barrier
	v_readfirstlane_b32 s0, v2
	s_and_saveexec_b64 s[34:35], s[20:21]
; %bb.198:                              ;   in Loop: Header=BB99_20 Depth=1
	v_mov_b32_e32 v11, v12
	ds_write_b64 v28, v[11:12]
; %bb.199:                              ;   in Loop: Header=BB99_20 Depth=1
	s_or_b64 exec, exec, s[34:35]
	v_or_b32_e32 v18, s7, v18
	v_or_b32_e32 v17, s6, v17
	;; [unrolled: 1-line block ×4, first 2 shown]
	s_mov_b64 s[80:81], -1
	s_mov_b64 s[82:83], 0
	s_cmp_eq_u32 s0, 0
	s_mov_b64 s[88:89], 0
	s_mov_b64 s[90:91], -1
	s_waitcnt lgkmcnt(0)
	s_barrier
                                        ; implicit-def: $vgpr4_vgpr5
	s_cbranch_scc1 .LBB99_210
; %bb.200:                              ;   in Loop: Header=BB99_20 Depth=1
	s_add_i32 s1, s0, s45
	s_mul_hi_u32 s34, s1, s49
	s_mul_i32 s34, s34, s50
	s_sub_i32 s34, s1, s34
	s_sub_i32 s35, s34, s50
	s_cmp_ge_u32 s34, s50
	s_cselect_b32 s34, s35, s34
	s_sub_i32 s35, s34, s50
	s_cmp_ge_u32 s34, s50
	s_cselect_b32 s34, s35, s34
	s_sub_i32 s1, s1, s34
	v_cmp_gt_u32_e32 vcc, s1, v0
	s_mov_b64 s[90:91], 0
                                        ; implicit-def: $vgpr4_vgpr5
	s_and_saveexec_b64 s[92:93], vcc
	s_cbranch_execz .LBB99_209
; %bb.201:                              ;   in Loop: Header=BB99_20 Depth=1
	v_mov_b32_e32 v8, v27
	v_mov_b32_e32 v9, v0
                                        ; implicit-def: $sgpr94_sgpr95
	s_branch .LBB99_204
.LBB99_202:                             ;   in Loop: Header=BB99_204 Depth=2
	s_or_b64 exec, exec, s[34:35]
	s_waitcnt lgkmcnt(0)
	s_barrier
	ds_read_b128 v[2:5], v12 offset:3072
	s_mov_b64 s[34:35], -1
	s_mov_b64 s[36:37], -1
	s_waitcnt lgkmcnt(0)
	s_barrier
	v_cmp_ne_u64_e32 vcc, 0, v[2:3]
	s_cbranch_vccz .LBB99_207
.LBB99_203:                             ;   in Loop: Header=BB99_204 Depth=2
	s_and_b64 s[34:35], exec, s[34:35]
	s_or_b64 s[88:89], s[34:35], s[88:89]
	s_andn2_b64 s[34:35], s[94:95], exec
	s_and_b64 s[36:37], s[36:37], exec
	s_or_b64 s[94:95], s[34:35], s[36:37]
	s_andn2_b64 exec, exec, s[88:89]
	s_cbranch_execz .LBB99_208
.LBB99_204:                             ;   Parent Loop BB99_20 Depth=1
                                        ; =>  This Inner Loop Header: Depth=2
	v_cmp_gt_u32_e32 vcc, s0, v9
	s_and_saveexec_b64 s[34:35], vcc
	s_cbranch_execz .LBB99_202
; %bb.205:                              ;   in Loop: Header=BB99_204 Depth=2
	ds_read_b64 v[3:4], v8
	s_waitcnt lgkmcnt(0)
	v_xor_b32_e32 v2, 0x80000000, v4
	v_and_b32_e32 v22, v2, v20
	v_and_b32_e32 v21, v3, v19
	v_cmp_eq_u64_e32 vcc, v[21:22], v[17:18]
	s_and_b64 exec, exec, vcc
	s_cbranch_execz .LBB99_202
; %bb.206:                              ;   in Loop: Header=BB99_204 Depth=2
	v_mov_b32_e32 v2, v12
	ds_write_b128 v12, v[1:4] offset:3072
	s_branch .LBB99_202
.LBB99_207:                             ;   in Loop: Header=BB99_204 Depth=2
	v_add_u32_e32 v9, s50, v9
	v_cmp_le_u32_e32 vcc, s1, v9
	v_add_u32_e32 v8, s13, v8
	s_mov_b64 s[36:37], 0
	s_orn2_b64 s[34:35], vcc, exec
	s_branch .LBB99_203
.LBB99_208:                             ;   in Loop: Header=BB99_20 Depth=1
	s_or_b64 exec, exec, s[88:89]
	s_and_b64 s[88:89], s[94:95], exec
.LBB99_209:                             ;   in Loop: Header=BB99_20 Depth=1
	s_or_b64 exec, exec, s[92:93]
.LBB99_210:                             ;   in Loop: Header=BB99_20 Depth=1
	s_and_b64 vcc, exec, s[90:91]
	s_cbranch_vccz .LBB99_221
; %bb.211:                              ;   in Loop: Header=BB99_20 Depth=1
                                        ; implicit-def: $vgpr4_vgpr5
	s_mov_b64 s[80:81], exec
	v_readlane_b32 s0, v46, 19
	v_readlane_b32 s1, v46, 20
	s_and_b64 s[0:1], s[80:81], s[0:1]
	s_mov_b64 exec, s[0:1]
	s_cbranch_execz .LBB99_220
; %bb.212:                              ;   in Loop: Header=BB99_20 Depth=1
	s_mov_b64 s[82:83], 0
	v_mov_b32_e32 v11, v10
	v_mov_b32_e32 v8, v0
                                        ; implicit-def: $sgpr90_sgpr91
	s_branch .LBB99_215
.LBB99_213:                             ;   in Loop: Header=BB99_215 Depth=2
	s_or_b64 exec, exec, s[92:93]
	s_waitcnt lgkmcnt(0)
	s_barrier
	ds_read_b128 v[2:5], v12 offset:3072
	s_mov_b64 s[34:35], -1
	s_mov_b64 s[36:37], -1
	s_waitcnt lgkmcnt(0)
	s_barrier
	v_cmp_eq_u64_e32 vcc, 0, v[2:3]
	s_cbranch_vccnz .LBB99_218
.LBB99_214:                             ;   in Loop: Header=BB99_215 Depth=2
	s_and_b64 s[0:1], exec, s[34:35]
	s_or_b64 s[82:83], s[0:1], s[82:83]
	s_andn2_b64 s[0:1], s[90:91], exec
	s_and_b64 s[34:35], s[36:37], exec
	s_or_b64 s[90:91], s[0:1], s[34:35]
	s_andn2_b64 exec, exec, s[82:83]
	s_cbranch_execz .LBB99_219
.LBB99_215:                             ;   Parent Loop BB99_20 Depth=1
                                        ; =>  This Inner Loop Header: Depth=2
	v_cmp_gt_u32_e32 vcc, s24, v8
	s_and_saveexec_b64 s[92:93], vcc
	s_cbranch_execz .LBB99_213
; %bb.216:                              ;   in Loop: Header=BB99_215 Depth=2
	v_lshlrev_b64 v[2:3], 3, v[11:12]
	v_mov_b32_e32 v4, s33
	v_add_co_u32_e32 v2, vcc, s27, v2
	v_addc_co_u32_e32 v3, vcc, v4, v3, vcc
	global_load_dwordx2 v[3:4], v[2:3], off
	s_waitcnt vmcnt(0)
	v_xor_b32_e32 v2, 0x80000000, v4
	v_and_b32_e32 v22, v2, v20
	v_and_b32_e32 v21, v3, v19
	v_cmp_eq_u64_e32 vcc, v[21:22], v[17:18]
	s_and_b64 exec, exec, vcc
	s_cbranch_execz .LBB99_213
; %bb.217:                              ;   in Loop: Header=BB99_215 Depth=2
	v_mov_b32_e32 v2, v12
	ds_write_b128 v12, v[1:4] offset:3072
	s_branch .LBB99_213
.LBB99_218:                             ;   in Loop: Header=BB99_215 Depth=2
	v_add_u32_e32 v8, s50, v8
	v_cmp_le_u32_e32 vcc, s2, v8
	v_add_u32_e32 v11, s44, v11
	s_mov_b64 s[36:37], 0
	s_orn2_b64 s[34:35], vcc, exec
	s_branch .LBB99_214
.LBB99_219:                             ;   in Loop: Header=BB99_20 Depth=1
	s_or_b64 exec, exec, s[82:83]
	s_andn2_b64 s[0:1], s[88:89], exec
	s_and_b64 s[34:35], s[90:91], exec
	s_or_b64 s[88:89], s[0:1], s[34:35]
.LBB99_220:                             ;   in Loop: Header=BB99_20 Depth=1
	s_or_b64 exec, exec, s[80:81]
	s_mov_b64 s[80:81], 0
	s_mov_b64 s[82:83], -1
.LBB99_221:                             ;   in Loop: Header=BB99_20 Depth=1
	s_orn2_b64 s[88:89], s[88:89], exec
.LBB99_222:                             ;   in Loop: Header=BB99_20 Depth=1
	s_or_b64 exec, exec, s[86:87]
	s_mov_b64 s[34:35], 0
	s_and_saveexec_b64 s[86:87], s[88:89]
	s_cbranch_execz .LBB99_233
; %bb.223:                              ;   in Loop: Header=BB99_20 Depth=1
	s_xor_b64 s[0:1], s[84:85], -1
	v_mov_b32_e32 v6, 1
	v_mov_b32_e32 v2, 1
	s_and_saveexec_b64 s[84:85], s[0:1]
	s_cbranch_execz .LBB99_232
; %bb.224:                              ;   in Loop: Header=BB99_20 Depth=1
	v_cmp_ge_u32_e32 vcc, s41, v7
	s_and_saveexec_b64 s[0:1], vcc
	s_xor_b64 s[88:89], exec, s[0:1]
	s_cbranch_execz .LBB99_229
; %bb.225:                              ;   in Loop: Header=BB99_20 Depth=1
	ds_read_b32 v2, v12 offset:4104
	v_or_b32_e32 v18, s7, v18
	v_or_b32_e32 v17, s6, v17
	;; [unrolled: 1-line block ×4, first 2 shown]
	s_waitcnt lgkmcnt(0)
	v_cmp_ne_u32_e32 vcc, 0, v2
	s_cbranch_vccnz .LBB99_229
; %bb.226:                              ;   in Loop: Header=BB99_20 Depth=1
	s_mov_b64 s[6:7], exec
	v_readlane_b32 s0, v46, 2
	v_readlane_b32 s1, v46, 3
	s_and_b64 s[0:1], s[6:7], s[0:1]
	s_mov_b64 exec, s[0:1]
; %bb.227:                              ;   in Loop: Header=BB99_20 Depth=1
	v_mov_b32_e32 v2, s41
	ds_write_b32 v12, v2 offset:4108
; %bb.228:                              ;   in Loop: Header=BB99_20 Depth=1
	s_or_b64 exec, exec, s[6:7]
	s_waitcnt lgkmcnt(0)
	s_barrier
.LBB99_229:                             ;   in Loop: Header=BB99_20 Depth=1
	s_andn2_saveexec_b64 s[6:7], s[88:89]
; %bb.230:                              ;   in Loop: Header=BB99_20 Depth=1
	v_subrev_u32_e32 v7, s41, v7
; %bb.231:                              ;   in Loop: Header=BB99_20 Depth=1
	s_or_b64 exec, exec, s[6:7]
	v_mov_b32_e32 v6, 8
	v_mov_b32_e32 v2, v7
.LBB99_232:                             ;   in Loop: Header=BB99_20 Depth=1
	s_or_b64 exec, exec, s[84:85]
	s_mov_b64 s[34:35], exec
	v_mov_b32_e32 v7, v2
.LBB99_233:                             ;   in Loop: Header=BB99_20 Depth=1
	s_or_b64 exec, exec, s[86:87]
	s_orn2_b64 s[84:85], s[34:35], exec
.LBB99_234:                             ;   in Loop: Header=BB99_20 Depth=1
	s_or_b64 exec, exec, s[68:69]
	s_andn2_b64 s[0:1], s[76:77], exec
	s_and_b64 s[6:7], s[82:83], exec
	s_or_b64 s[76:77], s[0:1], s[6:7]
	s_andn2_b64 s[0:1], s[74:75], exec
	s_and_b64 s[6:7], s[80:81], exec
	s_or_b64 s[74:75], s[0:1], s[6:7]
	s_and_b64 s[84:85], s[84:85], exec
	v_mov_b32_e32 v8, v7
.LBB99_235:                             ;   in Loop: Header=BB99_20 Depth=1
	s_or_b64 exec, exec, s[78:79]
	s_orn2_b64 s[78:79], s[84:85], exec
.LBB99_236:                             ;   in Loop: Header=BB99_20 Depth=1
	s_or_b64 exec, exec, s[72:73]
	s_andn2_b64 s[0:1], s[66:67], exec
	s_and_b64 s[6:7], s[76:77], exec
	s_or_b64 s[66:67], s[0:1], s[6:7]
	s_andn2_b64 s[0:1], s[22:23], exec
	s_and_b64 s[6:7], s[74:75], exec
	s_or_b64 s[22:23], s[0:1], s[6:7]
	s_and_b64 s[76:77], s[78:79], exec
	v_mov_b32_e32 v7, v8
.LBB99_237:                             ;   in Loop: Header=BB99_20 Depth=1
	s_or_b64 exec, exec, s[70:71]
	s_orn2_b64 s[70:71], s[76:77], exec
.LBB99_238:                             ;   in Loop: Header=BB99_20 Depth=1
	s_or_b64 exec, exec, s[18:19]
	s_mov_b64 s[18:19], 0
                                        ; implicit-def: $sgpr0
                                        ; implicit-def: $sgpr1
	s_and_saveexec_b64 s[6:7], s[70:71]
	s_xor_b64 s[6:7], exec, s[6:7]
	s_cbranch_execz .LBB99_18
; %bb.239:                              ;   in Loop: Header=BB99_20 Depth=1
	v_and_b32_e32 v2, 7, v6
	v_cmp_eq_u32_e32 vcc, 0, v2
	s_mov_b64 s[16:17], -1
	s_mov_b64 s[18:19], -1
                                        ; implicit-def: $sgpr0
                                        ; implicit-def: $sgpr1
	s_and_saveexec_b64 s[34:35], vcc
	s_cbranch_execz .LBB99_17
; %bb.240:                              ;   in Loop: Header=BB99_20 Depth=1
	s_xor_b32 s1, s51, 1
	s_add_i32 s0, s40, -2
	s_cmp_eq_u32 s40, 0
	s_cselect_b64 s[16:17], -1, 0
	s_xor_b64 s[18:19], exec, -1
	s_orn2_b64 s[16:17], s[16:17], exec
	s_branch .LBB99_17
.LBB99_241:
	s_or_b64 exec, exec, s[52:53]
	s_xor_b64 s[8:9], s[58:59], -1
	s_xor_b64 s[0:1], s[54:55], -1
	;; [unrolled: 1-line block ×3, first 2 shown]
	s_mov_b64 s[4:5], 0
	s_and_saveexec_b64 s[2:3], s[0:1]
	s_xor_b64 s[0:1], exec, s[2:3]
	s_cbranch_execnz .LBB99_246
; %bb.242:
	s_andn2_saveexec_b64 s[0:1], s[0:1]
	s_cbranch_execnz .LBB99_259
.LBB99_243:
	s_or_b64 exec, exec, s[0:1]
	s_and_saveexec_b64 s[0:1], s[4:5]
.LBB99_244:
	; divergent unreachable
.LBB99_245:
	s_endpgm
.LBB99_246:
	s_and_saveexec_b64 s[2:3], s[8:9]
	s_xor_b64 s[4:5], exec, s[2:3]
	s_cbranch_execz .LBB99_257
; %bb.247:
	s_and_saveexec_b64 s[2:3], s[6:7]
	s_xor_b64 s[6:7], exec, s[2:3]
; %bb.248:
	v_xor_b32_e32 v18, 0x80000000, v18
	v_mov_b32_e32 v4, v17
	v_mov_b32_e32 v5, v18
; %bb.249:
	s_or_b64 exec, exec, s[6:7]
	v_readlane_b32 s2, v46, 0
	s_mul_i32 s2, s2, s25
	s_add_i32 s2, s2, s29
	s_mov_b32 s3, 0
	s_lshl_b64 s[2:3], s[2:3], 3
	v_readlane_b32 s6, v46, 4
	v_readlane_b32 s7, v46, 5
	s_add_u32 s2, s6, s2
	s_addc_u32 s3, s7, s3
	v_mov_b32_e32 v11, 0
	global_store_dwordx2 v11, v[4:5], s[2:3]
	s_mov_b64 s[6:7], exec
	v_readlane_b32 s2, v46, 8
	v_readlane_b32 s3, v46, 9
	s_and_b64 s[2:3], s[6:7], s[2:3]
	s_mov_b64 exec, s[2:3]
	s_cbranch_execz .LBB99_256
; %bb.250:
	s_mov_b64 s[2:3], 0
	v_mov_b32_e32 v2, s33
                                        ; implicit-def: $sgpr8_sgpr9
                                        ; implicit-def: $sgpr12_sgpr13
                                        ; implicit-def: $sgpr10_sgpr11
	s_branch .LBB99_252
.LBB99_251:                             ;   in Loop: Header=BB99_252 Depth=1
	s_or_b64 exec, exec, s[14:15]
	s_and_b64 s[14:15], exec, s[12:13]
	s_or_b64 s[2:3], s[14:15], s[2:3]
	s_andn2_b64 s[8:9], s[8:9], exec
	s_and_b64 s[14:15], s[10:11], exec
	s_or_b64 s[8:9], s[8:9], s[14:15]
	s_andn2_b64 exec, exec, s[2:3]
	s_cbranch_execz .LBB99_254
.LBB99_252:                             ; =>This Inner Loop Header: Depth=1
	v_lshlrev_b64 v[6:7], 3, v[10:11]
	v_mov_b32_e32 v1, v0
	v_add_co_u32_e32 v6, vcc, s27, v6
	v_addc_co_u32_e32 v7, vcc, v2, v7, vcc
	global_load_dwordx2 v[6:7], v[6:7], off
	s_or_b64 s[10:11], s[10:11], exec
	s_or_b64 s[12:13], s[12:13], exec
                                        ; implicit-def: $vgpr0
	s_waitcnt vmcnt(0)
	v_cmp_ne_u64_e32 vcc, v[6:7], v[4:5]
	s_and_saveexec_b64 s[14:15], vcc
	s_cbranch_execz .LBB99_251
; %bb.253:                              ;   in Loop: Header=BB99_252 Depth=1
	v_add_u32_e32 v0, s50, v1
	v_cmp_le_u32_e32 vcc, s24, v0
	s_andn2_b64 s[12:13], s[12:13], exec
	s_and_b64 s[16:17], vcc, exec
	v_add_u32_e32 v10, s44, v10
	s_andn2_b64 s[10:11], s[10:11], exec
	s_or_b64 s[12:13], s[12:13], s[16:17]
	s_branch .LBB99_251
.LBB99_254:
	s_or_b64 exec, exec, s[2:3]
	s_and_saveexec_b64 s[2:3], s[8:9]
	s_xor_b64 s[2:3], exec, s[2:3]
	s_cbranch_execz .LBB99_256
; %bb.255:
	v_readlane_b32 s2, v46, 1
	s_mul_i32 s2, s2, s28
	s_add_i32 s2, s2, s31
	s_mov_b32 s3, 0
	s_lshl_b64 s[2:3], s[2:3], 3
	v_readlane_b32 s8, v46, 6
	v_readlane_b32 s9, v46, 7
	s_add_u32 s2, s8, s2
	s_addc_u32 s3, s9, s3
	v_mov_b32_e32 v2, 0
	global_store_dwordx2 v2, v[1:2], s[2:3]
.LBB99_256:
	s_or_b64 exec, exec, s[6:7]
.LBB99_257:
	s_or_saveexec_b64 s[2:3], s[4:5]
	s_mov_b64 s[4:5], 0
	s_xor_b64 exec, exec, s[2:3]
	s_cbranch_execnz .LBB99_260
.LBB99_258:
	s_or_b64 exec, exec, s[2:3]
	s_and_b64 s[4:5], s[4:5], exec
	s_andn2_saveexec_b64 s[0:1], s[0:1]
	s_cbranch_execz .LBB99_243
.LBB99_259:
	s_or_b64 s[4:5], s[4:5], exec
	s_trap 2
	s_or_b64 exec, exec, s[0:1]
	s_and_saveexec_b64 s[0:1], s[4:5]
	s_cbranch_execnz .LBB99_244
	s_branch .LBB99_245
.LBB99_260:
	s_mov_b64 s[4:5], exec
	s_trap 2
	s_branch .LBB99_258
	.section	.rodata,"a",@progbits
	.p2align	6, 0x0
	.amdhsa_kernel _ZN2at6native12_GLOBAL__N_112gatherMedianIljLin1EEEvNS_4cuda6detail10TensorInfoIT_T0_EENS5_IlS7_EENS5_IKS6_S7_EES7_S7_S7_b
		.amdhsa_group_segment_fixed_size 4120
		.amdhsa_private_segment_fixed_size 0
		.amdhsa_kernarg_size 920
		.amdhsa_user_sgpr_count 6
		.amdhsa_user_sgpr_private_segment_buffer 1
		.amdhsa_user_sgpr_dispatch_ptr 0
		.amdhsa_user_sgpr_queue_ptr 0
		.amdhsa_user_sgpr_kernarg_segment_ptr 1
		.amdhsa_user_sgpr_dispatch_id 0
		.amdhsa_user_sgpr_flat_scratch_init 0
		.amdhsa_user_sgpr_private_segment_size 0
		.amdhsa_uses_dynamic_stack 0
		.amdhsa_system_sgpr_private_segment_wavefront_offset 0
		.amdhsa_system_sgpr_workgroup_id_x 1
		.amdhsa_system_sgpr_workgroup_id_y 1
		.amdhsa_system_sgpr_workgroup_id_z 1
		.amdhsa_system_sgpr_workgroup_info 0
		.amdhsa_system_vgpr_workitem_id 0
		.amdhsa_next_free_vgpr 47
		.amdhsa_next_free_sgpr 96
		.amdhsa_reserve_vcc 1
		.amdhsa_reserve_flat_scratch 0
		.amdhsa_float_round_mode_32 0
		.amdhsa_float_round_mode_16_64 0
		.amdhsa_float_denorm_mode_32 3
		.amdhsa_float_denorm_mode_16_64 3
		.amdhsa_dx10_clamp 1
		.amdhsa_ieee_mode 1
		.amdhsa_fp16_overflow 0
		.amdhsa_exception_fp_ieee_invalid_op 0
		.amdhsa_exception_fp_denorm_src 0
		.amdhsa_exception_fp_ieee_div_zero 0
		.amdhsa_exception_fp_ieee_overflow 0
		.amdhsa_exception_fp_ieee_underflow 0
		.amdhsa_exception_fp_ieee_inexact 0
		.amdhsa_exception_int_div_zero 0
	.end_amdhsa_kernel
	.section	.text._ZN2at6native12_GLOBAL__N_112gatherMedianIljLin1EEEvNS_4cuda6detail10TensorInfoIT_T0_EENS5_IlS7_EENS5_IKS6_S7_EES7_S7_S7_b,"axG",@progbits,_ZN2at6native12_GLOBAL__N_112gatherMedianIljLin1EEEvNS_4cuda6detail10TensorInfoIT_T0_EENS5_IlS7_EENS5_IKS6_S7_EES7_S7_S7_b,comdat
.Lfunc_end99:
	.size	_ZN2at6native12_GLOBAL__N_112gatherMedianIljLin1EEEvNS_4cuda6detail10TensorInfoIT_T0_EENS5_IlS7_EENS5_IKS6_S7_EES7_S7_S7_b, .Lfunc_end99-_ZN2at6native12_GLOBAL__N_112gatherMedianIljLin1EEEvNS_4cuda6detail10TensorInfoIT_T0_EENS5_IlS7_EENS5_IKS6_S7_EES7_S7_S7_b
                                        ; -- End function
	.set _ZN2at6native12_GLOBAL__N_112gatherMedianIljLin1EEEvNS_4cuda6detail10TensorInfoIT_T0_EENS5_IlS7_EENS5_IKS6_S7_EES7_S7_S7_b.num_vgpr, 47
	.set _ZN2at6native12_GLOBAL__N_112gatherMedianIljLin1EEEvNS_4cuda6detail10TensorInfoIT_T0_EENS5_IlS7_EENS5_IKS6_S7_EES7_S7_S7_b.num_agpr, 0
	.set _ZN2at6native12_GLOBAL__N_112gatherMedianIljLin1EEEvNS_4cuda6detail10TensorInfoIT_T0_EENS5_IlS7_EENS5_IKS6_S7_EES7_S7_S7_b.numbered_sgpr, 96
	.set _ZN2at6native12_GLOBAL__N_112gatherMedianIljLin1EEEvNS_4cuda6detail10TensorInfoIT_T0_EENS5_IlS7_EENS5_IKS6_S7_EES7_S7_S7_b.num_named_barrier, 0
	.set _ZN2at6native12_GLOBAL__N_112gatherMedianIljLin1EEEvNS_4cuda6detail10TensorInfoIT_T0_EENS5_IlS7_EENS5_IKS6_S7_EES7_S7_S7_b.private_seg_size, 0
	.set _ZN2at6native12_GLOBAL__N_112gatherMedianIljLin1EEEvNS_4cuda6detail10TensorInfoIT_T0_EENS5_IlS7_EENS5_IKS6_S7_EES7_S7_S7_b.uses_vcc, 1
	.set _ZN2at6native12_GLOBAL__N_112gatherMedianIljLin1EEEvNS_4cuda6detail10TensorInfoIT_T0_EENS5_IlS7_EENS5_IKS6_S7_EES7_S7_S7_b.uses_flat_scratch, 0
	.set _ZN2at6native12_GLOBAL__N_112gatherMedianIljLin1EEEvNS_4cuda6detail10TensorInfoIT_T0_EENS5_IlS7_EENS5_IKS6_S7_EES7_S7_S7_b.has_dyn_sized_stack, 0
	.set _ZN2at6native12_GLOBAL__N_112gatherMedianIljLin1EEEvNS_4cuda6detail10TensorInfoIT_T0_EENS5_IlS7_EENS5_IKS6_S7_EES7_S7_S7_b.has_recursion, 0
	.set _ZN2at6native12_GLOBAL__N_112gatherMedianIljLin1EEEvNS_4cuda6detail10TensorInfoIT_T0_EENS5_IlS7_EENS5_IKS6_S7_EES7_S7_S7_b.has_indirect_call, 0
	.section	.AMDGPU.csdata,"",@progbits
; Kernel info:
; codeLenInByte = 9656
; TotalNumSgprs: 100
; NumVgprs: 47
; ScratchSize: 0
; MemoryBound: 0
; FloatMode: 240
; IeeeMode: 1
; LDSByteSize: 4120 bytes/workgroup (compile time only)
; SGPRBlocks: 12
; VGPRBlocks: 11
; NumSGPRsForWavesPerEU: 100
; NumVGPRsForWavesPerEU: 47
; Occupancy: 5
; WaveLimiterHint : 1
; COMPUTE_PGM_RSRC2:SCRATCH_EN: 0
; COMPUTE_PGM_RSRC2:USER_SGPR: 6
; COMPUTE_PGM_RSRC2:TRAP_HANDLER: 0
; COMPUTE_PGM_RSRC2:TGID_X_EN: 1
; COMPUTE_PGM_RSRC2:TGID_Y_EN: 1
; COMPUTE_PGM_RSRC2:TGID_Z_EN: 1
; COMPUTE_PGM_RSRC2:TIDIG_COMP_CNT: 0
	.section	.text._ZN2at6native12_GLOBAL__N_112gatherMedianIlmLi1EEEvNS_4cuda6detail10TensorInfoIT_T0_EENS5_IlS7_EENS5_IKS6_S7_EES7_S7_S7_b,"axG",@progbits,_ZN2at6native12_GLOBAL__N_112gatherMedianIlmLi1EEEvNS_4cuda6detail10TensorInfoIT_T0_EENS5_IlS7_EENS5_IKS6_S7_EES7_S7_S7_b,comdat
	.globl	_ZN2at6native12_GLOBAL__N_112gatherMedianIlmLi1EEEvNS_4cuda6detail10TensorInfoIT_T0_EENS5_IlS7_EENS5_IKS6_S7_EES7_S7_S7_b ; -- Begin function _ZN2at6native12_GLOBAL__N_112gatherMedianIlmLi1EEEvNS_4cuda6detail10TensorInfoIT_T0_EENS5_IlS7_EENS5_IKS6_S7_EES7_S7_S7_b
	.p2align	8
	.type	_ZN2at6native12_GLOBAL__N_112gatherMedianIlmLi1EEEvNS_4cuda6detail10TensorInfoIT_T0_EENS5_IlS7_EENS5_IKS6_S7_EES7_S7_S7_b,@function
_ZN2at6native12_GLOBAL__N_112gatherMedianIlmLi1EEEvNS_4cuda6detail10TensorInfoIT_T0_EENS5_IlS7_EENS5_IKS6_S7_EES7_S7_S7_b: ; @_ZN2at6native12_GLOBAL__N_112gatherMedianIlmLi1EEEvNS_4cuda6detail10TensorInfoIT_T0_EENS5_IlS7_EENS5_IKS6_S7_EES7_S7_S7_b
; %bb.0:
	s_load_dwordx2 s[10:11], s[4:5], 0x500
	s_load_dwordx4 s[20:23], s[4:5], 0x4e0
	s_add_u32 s12, s4, 0x500
	s_addc_u32 s13, s5, 0
	s_mov_b32 s15, 0
	s_waitcnt lgkmcnt(0)
	s_mul_i32 s0, s11, s8
	s_add_i32 s0, s0, s7
	s_mul_i32 s0, s0, s10
	s_add_i32 s14, s0, s6
	v_mov_b32_e32 v1, s14
	v_mov_b32_e32 v2, s15
	v_cmp_le_u64_e32 vcc, s[22:23], v[1:2]
	s_cbranch_vccnz .LBB100_273
; %bb.1:
	s_load_dwordx2 s[28:29], s[4:5], 0x4f0
	v_cmp_eq_u32_e64 s[0:1], 0, v0
	s_mov_b64 s[2:3], exec
                                        ; implicit-def: $vgpr57 : SGPR spill to VGPR lane
	v_writelane_b32 v57, s0, 0
	v_writelane_b32 v57, s1, 1
	s_and_b64 s[0:1], s[2:3], s[0:1]
	s_mov_b64 exec, s[0:1]
; %bb.2:
	v_mov_b32_e32 v1, 0
	v_mov_b32_e32 v2, v1
	ds_write_b64 v1, v[1:2] offset:5136
; %bb.3:
	s_or_b64 exec, exec, s[2:3]
	v_mov_b32_e32 v1, 0
	s_load_dword s0, s[4:5], 0x4f8
	s_waitcnt lgkmcnt(0)
	s_barrier
	s_barrier
	ds_read_b64 v[1:2], v1 offset:5136
	s_load_dwordx2 s[8:9], s[4:5], 0x410
	s_load_dwordx2 s[2:3], s[4:5], 0x340
	s_bitcmp1_b32 s0, 0
	s_cselect_b64 s[0:1], -1, 0
	v_mov_b32_e32 v32, s21
	s_waitcnt lgkmcnt(0)
	v_cmp_gt_i64_e32 vcc, 1, v[1:2]
	v_mov_b32_e32 v31, s20
	s_or_b64 s[0:1], s[0:1], vcc
	s_andn2_b64 vcc, exec, s[0:1]
	s_cbranch_vccnz .LBB100_5
; %bb.4:
	v_not_b32_e32 v1, v1
	v_not_b32_e32 v2, v2
	v_mov_b32_e32 v3, s21
	v_add_co_u32_e32 v1, vcc, s20, v1
	v_addc_co_u32_e32 v2, vcc, v3, v2, vcc
	v_lshrrev_b64 v[1:2], 1, v[1:2]
	v_add_co_u32_e32 v31, vcc, 1, v1
	v_addc_co_u32_e32 v32, vcc, 0, v2, vcc
.LBB100_5:
	s_load_dwordx2 s[0:1], s[4:5], 0x270
                                        ; kill: killed $sgpr4 killed $sgpr5
	s_waitcnt lgkmcnt(0)
	v_writelane_b32 v57, s0, 2
	v_writelane_b32 v57, s1, 3
	s_load_dwordx2 s[0:1], s[4:5], 0x1a0
	s_waitcnt lgkmcnt(0)
	v_writelane_b32 v57, s0, 4
	v_writelane_b32 v57, s1, 5
	s_load_dwordx2 s[0:1], s[4:5], 0xd0
	s_waitcnt lgkmcnt(0)
	v_writelane_b32 v57, s0, 6
	v_writelane_b32 v57, s1, 7
	s_load_dwordx2 s[0:1], s[4:5], 0x0
	s_waitcnt lgkmcnt(0)
	v_writelane_b32 v57, s0, 8
	v_writelane_b32 v57, s1, 9
	s_mov_b64 s[4:5], exec
	v_readlane_b32 s0, v57, 0
	v_readlane_b32 s1, v57, 1
	s_and_b64 s[0:1], s[4:5], s[0:1]
	s_mov_b64 exec, s[0:1]
	s_cbranch_execz .LBB100_7
; %bb.6:
	v_mov_b32_e32 v1, 0
	v_mov_b32_e32 v3, s20
	;; [unrolled: 1-line block ×4, first 2 shown]
	ds_write_b32 v1, v1 offset:5144
	ds_write_b128 v1, v[1:4] offset:5120
.LBB100_7:
	s_or_b64 exec, exec, s[4:5]
	s_mul_i32 s0, s9, s14
	s_mul_hi_u32 s1, s8, s14
	s_add_i32 s1, s1, s0
	s_mov_b32 s0, s14
	v_writelane_b32 v57, s0, 10
	v_writelane_b32 v57, s1, 11
	s_mul_i32 s0, s8, s14
	s_lshl_b64 s[0:1], s[0:1], 3
	v_mov_b32_e32 v18, 0
	s_add_u32 s36, s2, s0
	v_mov_b32_e32 v1, v18
	s_addc_u32 s37, s3, s1
	v_cmp_gt_u64_e64 s[0:1], s[20:21], v[0:1]
	v_mbcnt_lo_u32_b32 v2, -1, 0
	v_writelane_b32 v57, s0, 12
	v_writelane_b32 v57, s1, 13
	v_mbcnt_hi_u32_b32 v37, -1, v2
	v_mad_u64_u32 v[2:3], s[0:1], s28, v0, 0
	v_cmp_gt_u32_e32 vcc, 64, v0
	v_cmp_gt_i32_e64 s[8:9], 4, v37
	v_mad_u64_u32 v[3:4], s[0:1], s29, v0, v[3:4]
	v_mov_b32_e32 v4, 0x180
	v_mov_b32_e32 v5, 0
	v_cmp_gt_u64_e64 s[0:1], s[20:21], v[4:5]
	v_lshlrev_b64 v[4:5], 3, v[2:3]
	s_and_b64 s[42:43], vcc, s[8:9]
	v_mov_b32_e32 v6, s37
	v_add_co_u32_e32 v15, vcc, s36, v4
	v_addc_co_u32_e32 v16, vcc, v6, v5, vcc
	v_lshlrev_b64 v[4:5], v37, -1
	v_lshlrev_b32_e32 v43, 5, v0
	v_not_b32_e32 v41, v5
	v_or_b32_e32 v5, 24, v43
	v_lshlrev_b32_e32 v6, 2, v37
	v_mad_u64_u32 v[21:22], s[2:3], s28, v5, 0
	v_and_b32_e32 v40, 0x100, v6
	v_or_b32_e32 v6, 16, v43
	v_writelane_b32 v57, s0, 14
	v_mad_u64_u32 v[23:24], s[2:3], s28, v6, 0
	s_waitcnt lgkmcnt(0)
	s_barrier
	v_writelane_b32 v57, s1, 15
	s_load_dword s0, s[12:13], 0xc
	v_not_b32_e32 v42, v4
	v_mov_b32_e32 v4, v22
	v_mad_u64_u32 v[4:5], s[2:3], s29, v5, v[4:5]
	v_mov_b32_e32 v5, v24
	v_mad_u64_u32 v[5:6], s[2:3], s29, v6, v[5:6]
	s_waitcnt lgkmcnt(0)
	s_and_b32 s33, s0, 0xffff
	s_bfe_u32 s1, s0, 0xa0006
	v_or_b32_e32 v6, 8, v43
	s_cmp_gt_u32 s33, 63
	v_mad_u64_u32 v[24:25], s[2:3], s28, v6, 0
	s_cselect_b64 s[44:45], -1, 0
	s_add_u32 s55, s33, -1
	s_addc_u32 s7, 0, -1
	s_add_u32 s0, s55, s20
	s_addc_u32 s47, s7, s21
	v_mov_b32_e32 v22, v4
	v_mov_b32_e32 v4, v25
	;; [unrolled: 1-line block ×3, first 2 shown]
	v_mad_u64_u32 v[4:5], s[2:3], s29, v6, v[4:5]
	s_cmp_lt_u32 s6, s10
	s_cselect_b32 s2, 12, 18
	s_add_u32 s48, s12, s2
	s_addc_u32 s49, s13, 0
	s_add_i32 s2, s1, -1
	s_bfe_u32 s3, s33, 0x30006
	s_and_b32 s2, s2, 0xffff
	s_cmp_gt_u32 s2, 6
	v_writelane_b32 v57, s7, 16
	s_cselect_b64 s[6:7], -1, 0
	v_writelane_b32 v57, s6, 17
	s_and_b32 s1, s1, 0x3f8
	v_writelane_b32 v57, s7, 18
	s_cmp_lg_u32 s3, 0
	v_writelane_b32 v57, s3, 19
	s_cselect_b64 s[2:3], -1, 0
	v_writelane_b32 v57, s2, 20
	v_writelane_b32 v57, s3, 21
	s_lshl_b64 s[2:3], s[28:29], 3
	v_lshrrev_b32_e32 v5, 1, v0
	v_writelane_b32 v57, s2, 22
	v_and_b32_e32 v5, 0x1e0, v5
	v_writelane_b32 v57, s3, 23
	s_mul_i32 s2, s29, s33
	s_mul_hi_u32 s3, s28, s33
	v_lshlrev_b32_e32 v38, 3, v0
	v_or_b32_e32 v45, 0xc00, v5
	v_lshlrev_b64 v[27:28], 5, v[2:3]
	v_mov_b32_e32 v2, 0xc00
	s_add_i32 s3, s3, s2
	s_mul_i32 s2, s28, s33
	v_mov_b32_e32 v25, 0
	v_mov_b32_e32 v29, 0
	;; [unrolled: 1-line block ×3, first 2 shown]
	s_mov_b32 s39, 0
	v_cmp_eq_u32_e64 s[4:5], 0, v37
	v_cmp_gt_u32_e64 s[16:17], 2, v0
	v_add_u32_e32 v39, 0xc00, v38
	v_lshlrev_b32_e32 v19, 2, v0
	v_mov_b32_e32 v20, v18
	s_lshl_b64 s[56:57], s[28:29], 5
	v_mov_b32_e32 v46, v4
	v_lshl_or_b32 v47, v37, 3, v2
	s_lshl_b32 s8, s33, 3
	s_lshl_b64 s[40:41], s[2:3], 3
	s_mov_b32 s9, 62
	s_mov_b64 s[58:59], 0
	s_mov_b32 s54, 0
	v_mov_b32_e32 v48, 0x4f800000
	v_mov_b32_e32 v26, 0
	v_mov_b32_e32 v30, 0
	v_mov_b32_e32 v6, 0
	v_mov_b32_e32 v2, 1
                                        ; implicit-def: $sgpr60_sgpr61
                                        ; implicit-def: $sgpr64_sgpr65
                                        ; implicit-def: $sgpr62_sgpr63
                                        ; implicit-def: $sgpr68_sgpr69
                                        ; implicit-def: $sgpr70_sgpr71
                                        ; implicit-def: $sgpr66_sgpr67
	s_branch .LBB100_11
.LBB100_8:                              ;   in Loop: Header=BB100_11 Depth=1
	s_or_b64 exec, exec, s[12:13]
	s_and_b64 s[12:13], s[2:3], exec
	s_andn2_b64 s[78:79], s[78:79], exec
	s_andn2_b64 s[6:7], s[6:7], exec
	s_orn2_b64 s[18:19], s[18:19], exec
.LBB100_9:                              ;   in Loop: Header=BB100_11 Depth=1
	s_or_b64 exec, exec, s[10:11]
	s_andn2_b64 s[2:3], s[66:67], exec
	s_and_b64 s[10:11], s[12:13], exec
	s_or_b64 s[66:67], s[2:3], s[10:11]
	s_andn2_b64 s[2:3], s[70:71], exec
	s_and_b64 s[10:11], s[78:79], exec
	s_or_b64 s[70:71], s[2:3], s[10:11]
	;; [unrolled: 3-line block ×3, first 2 shown]
	s_orn2_b64 s[6:7], s[18:19], exec
.LBB100_10:                             ;   in Loop: Header=BB100_11 Depth=1
	s_or_b64 exec, exec, s[14:15]
	s_and_b64 s[2:3], exec, s[6:7]
	s_or_b64 s[58:59], s[2:3], s[58:59]
	s_andn2_b64 s[2:3], s[62:63], exec
	s_and_b64 s[6:7], s[66:67], exec
	s_or_b64 s[62:63], s[2:3], s[6:7]
	s_andn2_b64 s[2:3], s[64:65], exec
	s_and_b64 s[6:7], s[70:71], exec
	;; [unrolled: 3-line block ×3, first 2 shown]
	v_mov_b32_e32 v32, v12
	s_or_b64 s[60:61], s[2:3], s[6:7]
	v_mov_b32_e32 v31, v11
	s_andn2_b64 exec, exec, s[58:59]
	s_cbranch_execz .LBB100_269
.LBB100_11:                             ; =>This Loop Header: Depth=1
                                        ;     Child Loop BB100_17 Depth 2
                                        ;     Child Loop BB100_30 Depth 2
	;; [unrolled: 1-line block ×16, first 2 shown]
	ds_read_b128 v[7:10], v18 offset:5120
	s_waitcnt lgkmcnt(0)
	v_readfirstlane_b32 s19, v8
	v_readfirstlane_b32 s18, v7
	s_cmp_lg_u64 s[18:19], 0
	s_cbranch_scc1 .LBB100_38
; %bb.12:                               ;   in Loop: Header=BB100_11 Depth=1
	v_readlane_b32 s2, v57, 14
	v_readlane_b32 s3, v57, 15
	s_and_b64 vcc, exec, s[2:3]
	s_cbranch_vccz .LBB100_25
; %bb.13:                               ;   in Loop: Header=BB100_11 Depth=1
	s_mov_b64 s[2:3], 0x181
	v_cmp_gt_u64_e32 vcc, s[2:3], v[9:10]
	s_mov_b64 s[12:13], 0
	s_mov_b64 s[6:7], 0
	s_cbranch_vccz .LBB100_26
; %bb.14:                               ;   in Loop: Header=BB100_11 Depth=1
	s_mov_b64 s[14:15], exec
	v_readlane_b32 s2, v57, 12
	v_readlane_b32 s3, v57, 13
	s_and_b64 s[2:3], s[14:15], s[2:3]
	s_mov_b64 exec, s[2:3]
	s_cbranch_execz .LBB100_136
; %bb.15:                               ;   in Loop: Header=BB100_11 Depth=1
	global_load_ushort v13, v18, s[48:49]
	global_load_dwordx2 v[7:8], v[15:16], off
	v_mov_b32_e32 v3, s36
	v_mov_b32_e32 v4, s37
	v_readlane_b32 s10, v57, 22
	v_readlane_b32 s11, v57, 23
	s_mov_b64 s[18:19], 0
	s_waitcnt vmcnt(1)
	v_readfirstlane_b32 s2, v13
	s_and_b32 s6, 0xffff, s2
	v_add_u32_e32 v9, s6, v0
	v_mad_u64_u32 v[3:4], s[2:3], s10, v9, v[3:4]
	s_mul_i32 s7, s11, s6
	s_mul_i32 s26, s10, s6
	v_mad_u64_u32 v[9:10], s[2:3], s11, v9, v[4:5]
	s_mul_hi_u32 s2, s10, s6
	s_add_i32 s27, s2, s7
	v_mov_b32_e32 v4, v9
	v_mov_b32_e32 v10, v1
	;; [unrolled: 1-line block ×3, first 2 shown]
	s_branch .LBB100_17
.LBB100_16:                             ;   in Loop: Header=BB100_17 Depth=2
	s_or_b64 exec, exec, s[2:3]
	v_mov_b32_e32 v7, s27
	v_add_co_u32_e32 v3, vcc, s26, v3
	v_addc_co_u32_e32 v4, vcc, v4, v7, vcc
	v_mov_b32_e32 v7, v11
	v_mov_b32_e32 v8, v12
	s_andn2_b64 exec, exec, s[18:19]
	s_cbranch_execz .LBB100_136
.LBB100_17:                             ;   Parent Loop BB100_11 Depth=1
                                        ; =>  This Inner Loop Header: Depth=2
	v_add_co_u32_sdwa v9, vcc, v9, v13 dst_sel:DWORD dst_unused:UNUSED_PAD src0_sel:DWORD src1_sel:WORD_0
	v_addc_co_u32_e32 v10, vcc, 0, v10, vcc
	v_cmp_gt_u64_e64 s[6:7], s[20:21], v[9:10]
	v_cmp_le_u64_e32 vcc, s[20:21], v[9:10]
	v_mov_b32_e32 v11, 0
	v_mov_b32_e32 v12, 0
	s_and_saveexec_b64 s[2:3], s[6:7]
	s_cbranch_execz .LBB100_19
; %bb.18:                               ;   in Loop: Header=BB100_17 Depth=2
	global_load_dwordx2 v[11:12], v[3:4], off
.LBB100_19:                             ;   in Loop: Header=BB100_17 Depth=2
	s_or_b64 exec, exec, s[2:3]
	s_waitcnt vmcnt(0) lgkmcnt(0)
	v_xor_b32_e32 v14, 0x80000000, v8
	v_and_b32_e32 v34, v14, v30
	v_and_b32_e32 v33, v7, v29
	v_cmp_eq_u64_e64 s[10:11], v[33:34], v[25:26]
	v_mov_b32_e32 v14, 0
	s_cmp_lg_u64 s[10:11], 0
	s_cselect_b64 s[2:3], -1, 0
	s_and_b64 s[2:3], s[4:5], s[2:3]
	s_and_saveexec_b64 s[22:23], s[2:3]
	s_cbranch_execz .LBB100_23
; %bb.20:                               ;   in Loop: Header=BB100_17 Depth=2
	s_mov_b64 s[24:25], exec
	v_mbcnt_lo_u32_b32 v14, s24, 0
	v_mbcnt_hi_u32_b32 v14, s25, v14
	s_bcnt1_i32_b64 s30, s[10:11]
	v_cmp_eq_u32_e64 s[6:7], 0, v14
                                        ; implicit-def: $vgpr17
	s_and_saveexec_b64 s[2:3], s[6:7]
; %bb.21:                               ;   in Loop: Header=BB100_17 Depth=2
	s_bcnt1_i32_b64 s6, s[24:25]
	s_mul_i32 s6, s30, s6
	v_mov_b32_e32 v17, s6
	ds_add_rtn_u32 v17, v18, v17 offset:5144
; %bb.22:                               ;   in Loop: Header=BB100_17 Depth=2
	s_or_b64 exec, exec, s[2:3]
	s_waitcnt lgkmcnt(0)
	v_readfirstlane_b32 s2, v17
	v_mov_b32_e32 v17, s2
	v_mad_u32_u24 v14, s30, v14, v17
.LBB100_23:                             ;   in Loop: Header=BB100_17 Depth=2
	s_or_b64 exec, exec, s[22:23]
	ds_bpermute_b32 v14, v40, v14
	s_and_b64 s[2:3], exec, vcc
	s_or_b64 s[18:19], s[2:3], s[18:19]
	s_and_saveexec_b64 s[2:3], s[10:11]
	s_cbranch_execz .LBB100_16
; %bb.24:                               ;   in Loop: Header=BB100_17 Depth=2
	v_and_b32_e32 v33, s10, v42
	v_and_b32_e32 v17, s11, v41
	v_bcnt_u32_b32 v33, v33, 0
	v_bcnt_u32_b32 v17, v17, v33
	v_lshlrev_b32_e32 v17, 3, v17
	s_waitcnt lgkmcnt(0)
	v_lshl_add_u32 v14, v14, 3, v17
	ds_write_b64 v14, v[7:8]
	s_branch .LBB100_16
.LBB100_25:                             ;   in Loop: Header=BB100_11 Depth=1
	s_mov_b64 s[12:13], -1
	s_mov_b64 s[6:7], 0
.LBB100_26:                             ;   in Loop: Header=BB100_11 Depth=1
	s_and_b64 vcc, exec, s[12:13]
	s_cbranch_vccz .LBB100_36
.LBB100_27:                             ;   in Loop: Header=BB100_11 Depth=1
	s_mov_b64 s[10:11], exec
	v_readlane_b32 s2, v57, 12
	v_readlane_b32 s3, v57, 13
	s_and_b64 s[2:3], s[10:11], s[2:3]
	s_mov_b64 exec, s[2:3]
	s_cbranch_execz .LBB100_33
; %bb.28:                               ;   in Loop: Header=BB100_11 Depth=1
	global_load_ushort v7, v18, s[48:49]
	global_load_dwordx2 v[3:4], v[15:16], off
	s_waitcnt vmcnt(1)
	v_add_u32_sdwa v17, v7, v0 dst_sel:DWORD dst_unused:UNUSED_PAD src0_sel:WORD_0 src1_sel:DWORD
	v_cmp_gt_u64_e32 vcc, s[20:21], v[17:18]
	v_readfirstlane_b32 s2, v7
	v_mov_b32_e32 v7, v0
	s_and_saveexec_b64 s[12:13], vcc
	s_cbranch_execz .LBB100_32
; %bb.29:                               ;   in Loop: Header=BB100_11 Depth=1
	v_mov_b32_e32 v7, s36
	v_mov_b32_e32 v8, s37
	v_readlane_b32 s14, v57, 22
	v_mad_u64_u32 v[7:8], s[6:7], s14, v17, v[7:8]
	v_readlane_b32 s15, v57, 23
	s_and_b32 s2, s2, 0xffff
	v_mad_u64_u32 v[8:9], s[6:7], s15, v17, v[8:9]
	s_mul_i32 s3, s15, s2
	s_mul_hi_u32 s6, s14, s2
	v_mov_b32_e32 v11, v17
	v_mov_b32_e32 v14, v1
	s_add_i32 s3, s6, s3
	s_mul_i32 s18, s14, s2
	s_mov_b64 s[14:15], 0
	v_mov_b32_e32 v12, v18
	v_mov_b32_e32 v13, v0
.LBB100_30:                             ;   Parent Loop BB100_11 Depth=1
                                        ; =>  This Inner Loop Header: Depth=2
	global_load_dwordx2 v[9:10], v[7:8], off
	v_mov_b32_e32 v34, v12
	v_mov_b32_e32 v33, v11
	v_lshlrev_b32_e32 v11, 3, v13
	v_mov_b32_e32 v13, s3
	v_add_co_u32_e32 v7, vcc, s18, v7
	s_waitcnt vmcnt(1)
	ds_write_b64 v11, v[3:4]
	v_add_co_u32_e64 v11, s[6:7], s2, v33
	v_addc_co_u32_e64 v12, s[6:7], 0, v34, s[6:7]
	v_addc_co_u32_e32 v8, vcc, v8, v13, vcc
	v_cmp_le_u64_e32 vcc, s[20:21], v[11:12]
	v_mov_b32_e32 v13, v33
	s_or_b64 s[14:15], vcc, s[14:15]
	v_mov_b32_e32 v14, v34
	s_waitcnt vmcnt(0)
	v_mov_b32_e32 v3, v9
	v_mov_b32_e32 v4, v10
	s_andn2_b64 exec, exec, s[14:15]
	s_cbranch_execnz .LBB100_30
; %bb.31:                               ;   in Loop: Header=BB100_11 Depth=1
	s_or_b64 exec, exec, s[14:15]
	v_mov_b32_e32 v3, v9
	v_subrev_u32_e32 v7, s2, v11
	v_mov_b32_e32 v4, v10
.LBB100_32:                             ;   in Loop: Header=BB100_11 Depth=1
	s_or_b64 exec, exec, s[12:13]
	v_lshlrev_b32_e32 v7, 3, v7
	s_waitcnt vmcnt(0)
	ds_write_b64 v7, v[3:4]
.LBB100_33:                             ;   in Loop: Header=BB100_11 Depth=1
	s_or_b64 exec, exec, s[10:11]
	s_waitcnt lgkmcnt(0)
	s_barrier
	s_mov_b64 s[2:3], exec
	v_readlane_b32 s6, v57, 0
	v_readlane_b32 s7, v57, 1
	s_and_b64 s[6:7], s[2:3], s[6:7]
	s_mov_b64 exec, s[6:7]
; %bb.34:                               ;   in Loop: Header=BB100_11 Depth=1
	v_mov_b32_e32 v3, s20
	v_mov_b32_e32 v4, s21
	ds_write_b64 v18, v[3:4] offset:5120
; %bb.35:                               ;   in Loop: Header=BB100_11 Depth=1
	s_or_b64 exec, exec, s[2:3]
	s_mov_b64 s[6:7], -1
	s_waitcnt lgkmcnt(0)
	s_barrier
.LBB100_36:                             ;   in Loop: Header=BB100_11 Depth=1
	s_mov_b64 s[18:19], 0
	s_and_b64 vcc, exec, s[6:7]
	s_cbranch_vccz .LBB100_38
; %bb.37:                               ;   in Loop: Header=BB100_11 Depth=1
	ds_read_b64 v[3:4], v18 offset:5120
	s_waitcnt lgkmcnt(0)
	v_readfirstlane_b32 s18, v3
.LBB100_38:                             ;   in Loop: Header=BB100_11 Depth=1
	s_cmp_lt_i32 s18, 1
	s_mov_b64 s[2:3], -1
                                        ; implicit-def: $vgpr13_vgpr14
                                        ; implicit-def: $vgpr9_vgpr10
	s_cbranch_scc1 .LBB100_48
; %bb.39:                               ;   in Loop: Header=BB100_11 Depth=1
	s_and_b64 vcc, exec, s[2:3]
	s_cbranch_vccnz .LBB100_62
.LBB100_40:                             ;   in Loop: Header=BB100_11 Depth=1
	s_lshl_b32 s10, s54, 6
	s_and_saveexec_b64 s[2:3], s[4:5]
	s_cbranch_execz .LBB100_42
.LBB100_41:                             ;   in Loop: Header=BB100_11 Depth=1
	v_lshl_add_u32 v3, s10, 3, v45
	ds_write_b128 v3, v[7:10]
	ds_write_b128 v3, v[11:14] offset:16
.LBB100_42:                             ;   in Loop: Header=BB100_11 Depth=1
	s_or_b64 exec, exec, s[2:3]
	s_waitcnt lgkmcnt(0)
	s_barrier
	s_and_saveexec_b64 s[6:7], s[42:43]
	s_cbranch_execz .LBB100_77
; %bb.43:                               ;   in Loop: Header=BB100_11 Depth=1
	v_mov_b32_e32 v3, 0
	v_mov_b32_e32 v4, 0
	s_andn2_b64 vcc, exec, s[44:45]
	s_cbranch_vccnz .LBB100_76
; %bb.44:                               ;   in Loop: Header=BB100_11 Depth=1
	v_readlane_b32 s2, v57, 17
	v_readlane_b32 s3, v57, 18
	s_andn2_b64 vcc, exec, s[2:3]
	s_cbranch_vccnz .LBB100_72
; %bb.45:                               ;   in Loop: Header=BB100_11 Depth=1
	v_mov_b32_e32 v3, 0
	v_lshl_add_u32 v7, s54, 9, v47
	v_mov_b32_e32 v4, 0
	s_mov_b32 s2, 0
.LBB100_46:                             ;   Parent Loop BB100_11 Depth=1
                                        ; =>  This Inner Loop Header: Depth=2
	ds_read2_b64 v[8:11], v7 offset1:4
	ds_read2_b64 v[33:36], v7 offset0:8 offset1:12
	ds_read2_b64 v[49:52], v7 offset0:16 offset1:20
	;; [unrolled: 1-line block ×3, first 2 shown]
	s_add_i32 s2, s2, 8
	s_waitcnt lgkmcnt(3)
	v_add_co_u32_e32 v3, vcc, v8, v3
	v_addc_co_u32_e32 v4, vcc, v9, v4, vcc
	v_add_co_u32_e32 v3, vcc, v10, v3
	v_addc_co_u32_e32 v4, vcc, v11, v4, vcc
	s_waitcnt lgkmcnt(2)
	v_add_co_u32_e32 v3, vcc, v33, v3
	v_addc_co_u32_e32 v4, vcc, v34, v4, vcc
	v_add_co_u32_e32 v3, vcc, v35, v3
	v_addc_co_u32_e32 v4, vcc, v36, v4, vcc
	;; [unrolled: 5-line block ×3, first 2 shown]
	s_waitcnt lgkmcnt(0)
	v_add_co_u32_e32 v3, vcc, v53, v3
	v_addc_co_u32_e32 v4, vcc, v54, v4, vcc
	v_add_co_u32_e32 v3, vcc, v55, v3
	v_add_u32_e32 v7, 0x100, v7
	s_cmp_eq_u32 s1, s2
	v_addc_co_u32_e32 v4, vcc, v56, v4, vcc
	s_cbranch_scc0 .LBB100_46
; %bb.47:                               ;   in Loop: Header=BB100_11 Depth=1
	s_mov_b32 s2, s1
	s_branch .LBB100_73
.LBB100_48:                             ;   in Loop: Header=BB100_11 Depth=1
	global_load_ushort v3, v18, s[48:49]
	s_mov_b32 s2, s39
	s_waitcnt vmcnt(0)
	v_readfirstlane_b32 s3, v3
	s_and_b32 s19, s3, 0xffff
	s_lshl_b32 s22, s19, 2
	s_mov_b32 s3, s21
	s_cmp_lg_u64 s[2:3], 0
	s_cbranch_scc0 .LBB100_71
; %bb.49:                               ;   in Loop: Header=BB100_11 Depth=1
	v_cvt_f32_u32_e32 v3, s22
	s_sub_u32 s6, 0, s22
	s_subb_u32 s7, 0, 0
	v_mac_f32_e32 v3, 0, v48
	v_rcp_f32_e32 v3, v3
	v_mul_f32_e32 v3, 0x5f7ffffc, v3
	v_mul_f32_e32 v4, 0x2f800000, v3
	v_trunc_f32_e32 v4, v4
	v_mac_f32_e32 v3, 0xcf800000, v4
	v_cvt_u32_f32_e32 v4, v4
	v_cvt_u32_f32_e32 v3, v3
	v_readfirstlane_b32 s10, v4
	v_readfirstlane_b32 s2, v3
	s_mul_i32 s3, s6, s10
	s_mul_hi_u32 s12, s6, s2
	s_mul_i32 s11, s7, s2
	s_add_i32 s3, s12, s3
	s_mul_i32 s13, s6, s2
	s_add_i32 s3, s3, s11
	s_mul_hi_u32 s12, s2, s13
	s_mul_i32 s14, s2, s3
	s_mul_hi_u32 s11, s2, s3
	s_add_u32 s12, s12, s14
	s_addc_u32 s11, 0, s11
	s_mul_hi_u32 s15, s10, s13
	s_mul_i32 s13, s10, s13
	s_add_u32 s12, s12, s13
	s_mul_hi_u32 s14, s10, s3
	s_addc_u32 s11, s11, s15
	s_addc_u32 s12, s14, 0
	s_mul_i32 s3, s10, s3
	s_add_u32 s3, s11, s3
	s_addc_u32 s11, 0, s12
	s_add_u32 s12, s2, s3
	s_cselect_b64 s[2:3], -1, 0
	s_cmp_lg_u64 s[2:3], 0
	s_addc_u32 s10, s10, s11
	s_mul_i32 s2, s6, s10
	s_mul_hi_u32 s3, s6, s12
	s_add_i32 s2, s3, s2
	s_mul_i32 s7, s7, s12
	s_add_i32 s2, s2, s7
	s_mul_i32 s6, s6, s12
	s_mul_hi_u32 s7, s10, s6
	s_mul_i32 s11, s10, s6
	s_mul_i32 s14, s12, s2
	s_mul_hi_u32 s6, s12, s6
	s_mul_hi_u32 s13, s12, s2
	s_add_u32 s6, s6, s14
	s_addc_u32 s13, 0, s13
	s_add_u32 s6, s6, s11
	s_mul_hi_u32 s3, s10, s2
	s_addc_u32 s6, s13, s7
	s_addc_u32 s3, s3, 0
	s_mul_i32 s2, s10, s2
	s_add_u32 s2, s6, s2
	s_addc_u32 s6, 0, s3
	s_add_u32 s7, s12, s2
	s_cselect_b64 s[2:3], -1, 0
	s_cmp_lg_u64 s[2:3], 0
	s_addc_u32 s2, s10, s6
	s_mul_i32 s6, s20, s2
	s_mul_hi_u32 s10, s20, s7
	s_mul_hi_u32 s3, s20, s2
	s_add_u32 s6, s10, s6
	s_addc_u32 s3, 0, s3
	s_mul_hi_u32 s11, s21, s7
	s_mul_i32 s7, s21, s7
	s_add_u32 s6, s6, s7
	s_mul_hi_u32 s10, s21, s2
	s_addc_u32 s3, s3, s11
	s_addc_u32 s6, s10, 0
	s_mul_i32 s2, s21, s2
	s_add_u32 s2, s3, s2
	s_addc_u32 s3, 0, s6
	s_mul_i32 s3, s22, s3
	s_mul_hi_u32 s6, s22, s2
	s_add_i32 s6, s6, s3
	s_mul_i32 s2, s22, s2
	s_sub_u32 s10, s20, s2
	s_cselect_b64 s[2:3], -1, 0
	s_cmp_lg_u64 s[2:3], 0
	s_subb_u32 s6, s21, s6
	s_sub_u32 s7, s10, s22
	s_cselect_b64 s[2:3], -1, 0
	s_cmp_lg_u64 s[2:3], 0
	s_subb_u32 s11, s6, 0
	;; [unrolled: 4-line block ×3, first 2 shown]
	s_cmp_ge_u32 s7, s22
	s_cselect_b32 s3, -1, 0
	s_cmp_eq_u32 s11, 0
	s_cselect_b32 s3, s3, -1
	s_cmp_lg_u32 s3, 0
	s_cselect_b32 s2, s2, s11
	s_cselect_b32 s3, s12, s7
	s_cmp_ge_u32 s10, s22
	s_cselect_b32 s7, -1, 0
	s_cmp_eq_u32 s6, 0
	s_cselect_b32 s7, s7, -1
	s_cmp_lg_u32 s7, 0
	s_cselect_b32 s7, s2, s6
	s_cselect_b32 s6, s3, s10
	s_cbranch_execnz .LBB100_51
.LBB100_50:                             ;   in Loop: Header=BB100_11 Depth=1
	v_cvt_f32_u32_e32 v3, s22
	s_sub_i32 s2, 0, s22
	v_rcp_iflag_f32_e32 v3, v3
	v_mul_f32_e32 v3, 0x4f7ffffe, v3
	v_cvt_u32_f32_e32 v3, v3
	v_readfirstlane_b32 s3, v3
	s_mul_i32 s2, s2, s3
	s_mul_hi_u32 s2, s3, s2
	s_add_i32 s3, s3, s2
	s_mul_hi_u32 s2, s20, s3
	s_mul_i32 s2, s2, s22
	s_sub_i32 s2, s20, s2
	s_sub_i32 s3, s2, s22
	s_cmp_ge_u32 s2, s22
	s_cselect_b32 s2, s3, s2
	s_sub_i32 s3, s2, s22
	s_cmp_ge_u32 s2, s22
	s_cselect_b32 s38, s3, s2
	s_mov_b64 s[6:7], s[38:39]
.LBB100_51:                             ;   in Loop: Header=BB100_11 Depth=1
	s_sub_u32 s72, s20, s6
	s_subb_u32 s73, s21, s7
	v_cmp_gt_u64_e32 vcc, s[72:73], v[19:20]
	v_mov_b32_e32 v7, 0
	v_mov_b32_e32 v9, 0
	v_mov_b32_e32 v11, 0
	v_mov_b32_e32 v13, 0
	v_mov_b32_e32 v8, 0
	v_mov_b32_e32 v10, 0
	v_mov_b32_e32 v12, 0
	v_mov_b32_e32 v14, 0
	s_and_saveexec_b64 s[74:75], vcc
	s_cbranch_execz .LBB100_55
; %bb.52:                               ;   in Loop: Header=BB100_11 Depth=1
	s_mul_i32 s2, s57, s19
	s_mul_hi_u32 s3, s56, s19
	v_mov_b32_e32 v3, v19
	s_add_i32 s2, s3, s2
	s_mov_b64 s[76:77], 0
	s_mov_b64 s[78:79], s[36:37]
	;; [unrolled: 1-line block ×6, first 2 shown]
	v_mov_b32_e32 v4, v20
.LBB100_53:                             ;   Parent Loop BB100_11 Depth=1
                                        ; =>  This Inner Loop Header: Depth=2
	v_add_co_u32_e32 v7, vcc, s78, v27
	v_mov_b32_e32 v12, s79
	v_addc_co_u32_e32 v8, vcc, v12, v28, vcc
	global_load_dwordx2 v[7:8], v[7:8], off
	v_add_co_u32_e32 v9, vcc, s78, v24
	v_addc_co_u32_e32 v10, vcc, v12, v46, vcc
	global_load_dwordx2 v[13:14], v[9:10], off
	v_add_co_u32_e32 v9, vcc, s78, v23
	v_addc_co_u32_e32 v10, vcc, v12, v44, vcc
	global_load_dwordx2 v[9:10], v[9:10], off
	v_add_co_u32_e32 v11, vcc, s78, v21
	v_addc_co_u32_e32 v12, vcc, v12, v22, vcc
	global_load_dwordx2 v[11:12], v[11:12], off
	s_waitcnt vmcnt(3)
	v_xor_b32_e32 v8, 0x80000000, v8
	v_and_b32_e32 v34, v8, v30
	v_and_b32_e32 v33, v7, v29
	v_lshrrev_b64 v[7:8], s9, v[7:8]
	v_cmp_eq_u64_e32 vcc, v[33:34], v[25:26]
	s_waitcnt vmcnt(2)
	v_xor_b32_e32 v14, 0x80000000, v14
	v_and_b32_e32 v17, 3, v7
	v_lshrrev_b64 v[7:8], s9, v[13:14]
	v_and_b32_e32 v34, v14, v30
	v_and_b32_e32 v33, v13, v29
	s_waitcnt vmcnt(1)
	v_xor_b32_e32 v10, 0x80000000, v10
	v_cmp_eq_u64_e64 s[6:7], 0, v[17:18]
	v_cmp_eq_u64_e64 s[10:11], v[33:34], v[25:26]
	v_and_b32_e32 v34, v10, v30
	v_and_b32_e32 v33, v9, v29
	;; [unrolled: 1-line block ×3, first 2 shown]
	v_mov_b32_e32 v8, v18
	v_lshrrev_b64 v[9:10], s9, v[9:10]
	s_waitcnt vmcnt(0)
	v_xor_b32_e32 v12, 0x80000000, v12
	s_and_b64 s[24:25], vcc, s[6:7]
	v_cmp_eq_u64_e64 s[6:7], 0, v[7:8]
	v_cmp_eq_u64_e64 s[12:13], v[33:34], v[25:26]
	v_and_b32_e32 v34, v12, v30
	v_and_b32_e32 v33, v11, v29
	;; [unrolled: 1-line block ×3, first 2 shown]
	v_mov_b32_e32 v10, v18
	v_lshrrev_b64 v[11:12], s9, v[11:12]
	s_and_b64 s[26:27], s[10:11], s[6:7]
	v_cmp_eq_u64_e64 s[6:7], 0, v[9:10]
	v_and_b32_e32 v11, 3, v11
	v_mov_b32_e32 v12, v18
	v_cmp_eq_u64_e64 s[14:15], v[33:34], v[25:26]
	s_and_b64 s[30:31], s[12:13], s[6:7]
	v_cmp_eq_u64_e64 s[6:7], 0, v[11:12]
	v_cndmask_b32_e64 v13, 0, 1, s[24:25]
	s_and_b64 s[34:35], s[14:15], s[6:7]
	v_cmp_ne_u32_e64 s[6:7], 0, v13
	v_cndmask_b32_e64 v13, 0, 1, s[26:27]
	s_bcnt1_i32_b64 s3, s[6:7]
	v_cmp_ne_u32_e64 s[6:7], 0, v13
	v_cndmask_b32_e64 v13, 0, 1, s[30:31]
	s_bcnt1_i32_b64 s23, s[6:7]
	;; [unrolled: 3-line block ×3, first 2 shown]
	v_cmp_ne_u32_e64 s[6:7], 0, v13
	s_bcnt1_i32_b64 s6, s[6:7]
	s_add_u32 s3, s3, s86
	s_addc_u32 s7, 0, s87
	s_add_u32 s3, s3, s23
	s_addc_u32 s7, s7, 0
	;; [unrolled: 2-line block ×4, first 2 shown]
	v_cmp_eq_u64_e64 s[6:7], 1, v[17:18]
	s_and_b64 s[24:25], vcc, s[6:7]
	v_cmp_eq_u64_e64 s[6:7], 1, v[7:8]
	v_cndmask_b32_e64 v13, 0, 1, s[24:25]
	s_and_b64 s[26:27], s[10:11], s[6:7]
	v_cmp_eq_u64_e64 s[6:7], 1, v[9:10]
	s_and_b64 s[30:31], s[12:13], s[6:7]
	v_cmp_eq_u64_e64 s[6:7], 1, v[11:12]
	s_and_b64 s[34:35], s[14:15], s[6:7]
	v_cmp_ne_u32_e64 s[6:7], 0, v13
	v_cndmask_b32_e64 v13, 0, 1, s[26:27]
	s_bcnt1_i32_b64 s3, s[6:7]
	v_cmp_ne_u32_e64 s[6:7], 0, v13
	v_cndmask_b32_e64 v13, 0, 1, s[30:31]
	s_bcnt1_i32_b64 s23, s[6:7]
	;; [unrolled: 3-line block ×3, first 2 shown]
	v_cmp_ne_u32_e64 s[6:7], 0, v13
	s_bcnt1_i32_b64 s6, s[6:7]
	s_add_u32 s3, s3, s84
	s_addc_u32 s7, 0, s85
	s_add_u32 s3, s3, s23
	s_addc_u32 s7, s7, 0
	;; [unrolled: 2-line block ×4, first 2 shown]
	v_cmp_eq_u64_e64 s[6:7], 2, v[17:18]
	s_and_b64 s[24:25], vcc, s[6:7]
	v_cmp_eq_u64_e64 s[6:7], 2, v[7:8]
	v_cndmask_b32_e64 v13, 0, 1, s[24:25]
	s_and_b64 s[26:27], s[10:11], s[6:7]
	v_cmp_eq_u64_e64 s[6:7], 2, v[9:10]
	s_and_b64 s[30:31], s[12:13], s[6:7]
	v_cmp_eq_u64_e64 s[6:7], 2, v[11:12]
	s_and_b64 s[34:35], s[14:15], s[6:7]
	v_cmp_ne_u32_e64 s[6:7], 0, v13
	v_cndmask_b32_e64 v13, 0, 1, s[26:27]
	s_bcnt1_i32_b64 s3, s[6:7]
	v_cmp_ne_u32_e64 s[6:7], 0, v13
	v_cndmask_b32_e64 v13, 0, 1, s[30:31]
	s_bcnt1_i32_b64 s23, s[6:7]
	;; [unrolled: 3-line block ×3, first 2 shown]
	v_cmp_ne_u32_e64 s[6:7], 0, v13
	s_bcnt1_i32_b64 s6, s[6:7]
	s_add_u32 s3, s3, s82
	s_addc_u32 s7, 0, s83
	s_add_u32 s3, s3, s23
	s_addc_u32 s7, s7, 0
	;; [unrolled: 2-line block ×4, first 2 shown]
	v_cmp_eq_u64_e64 s[6:7], 3, v[17:18]
	s_and_b64 s[6:7], vcc, s[6:7]
	v_cmp_eq_u64_e32 vcc, 3, v[7:8]
	v_cndmask_b32_e64 v7, 0, 1, s[6:7]
	s_and_b64 s[10:11], s[10:11], vcc
	v_cmp_eq_u64_e32 vcc, 3, v[9:10]
	v_mov_b32_e32 v9, s84
	s_and_b64 s[12:13], s[12:13], vcc
	v_cmp_eq_u64_e32 vcc, 3, v[11:12]
	v_mov_b32_e32 v11, s82
	s_and_b64 s[14:15], s[14:15], vcc
	v_cmp_ne_u32_e32 vcc, 0, v7
	v_cndmask_b32_e64 v7, 0, 1, s[10:11]
	s_bcnt1_i32_b64 s3, vcc
	v_cmp_ne_u32_e32 vcc, 0, v7
	v_cndmask_b32_e64 v7, 0, 1, s[12:13]
	s_bcnt1_i32_b64 s6, vcc
	v_cmp_ne_u32_e32 vcc, 0, v7
	v_cndmask_b32_e64 v7, 0, 1, s[14:15]
	s_bcnt1_i32_b64 s7, vcc
	v_cmp_ne_u32_e32 vcc, 0, v7
	s_bcnt1_i32_b64 s10, vcc
	s_add_u32 s3, s3, s80
	s_addc_u32 s11, 0, s81
	s_add_u32 s3, s3, s6
	s_addc_u32 s6, s11, 0
	s_add_u32 s3, s3, s7
	s_addc_u32 s6, s6, 0
	s_add_u32 s80, s3, s10
	v_add_co_u32_e32 v3, vcc, s22, v3
	s_addc_u32 s81, s6, 0
	v_addc_co_u32_e32 v4, vcc, 0, v4, vcc
	s_mul_i32 s3, s56, s19
	s_add_u32 s78, s78, s3
	v_cmp_le_u64_e32 vcc, s[72:73], v[3:4]
	s_addc_u32 s79, s79, s2
	v_mov_b32_e32 v7, s86
	v_mov_b32_e32 v13, s80
	s_or_b64 s[76:77], vcc, s[76:77]
	v_mov_b32_e32 v8, s87
	v_mov_b32_e32 v10, s85
	;; [unrolled: 1-line block ×4, first 2 shown]
	s_andn2_b64 exec, exec, s[76:77]
	s_cbranch_execnz .LBB100_53
; %bb.54:                               ;   in Loop: Header=BB100_11 Depth=1
	s_or_b64 exec, exec, s[76:77]
.LBB100_55:                             ;   in Loop: Header=BB100_11 Depth=1
	s_or_b64 exec, exec, s[74:75]
	v_mov_b32_e32 v4, s73
	v_add_co_u32_e32 v3, vcc, s72, v0
	v_addc_co_u32_e32 v4, vcc, 0, v4, vcc
	v_cmp_gt_u64_e32 vcc, s[20:21], v[3:4]
	s_and_saveexec_b64 s[12:13], vcc
	s_cbranch_execz .LBB100_61
; %bb.56:                               ;   in Loop: Header=BB100_11 Depth=1
	v_mul_lo_u32 v17, v4, s28
	v_mul_lo_u32 v35, v3, s29
	v_mad_u64_u32 v[33:34], s[2:3], v3, s28, 0
	s_mov_b64 s[14:15], 0
	v_add3_u32 v34, v34, v35, v17
	v_lshlrev_b64 v[33:34], 3, v[33:34]
	v_mov_b32_e32 v17, s37
	v_add_co_u32_e32 v33, vcc, s36, v33
	v_addc_co_u32_e32 v34, vcc, v17, v34, vcc
	global_load_dwordx2 v[35:36], v[33:34], off
	s_branch .LBB100_58
.LBB100_57:                             ;   in Loop: Header=BB100_58 Depth=2
	s_or_b64 exec, exec, s[2:3]
	s_waitcnt vmcnt(0)
	v_xor_b32_e32 v36, 0x80000000, v36
	v_and_b32_e32 v50, v36, v30
	v_and_b32_e32 v49, v35, v29
	v_lshrrev_b64 v[35:36], s9, v[35:36]
	s_and_b64 s[2:3], exec, vcc
	v_and_b32_e32 v17, 3, v35
	v_cmp_eq_u64_e32 vcc, v[49:50], v[25:26]
	v_cmp_eq_u64_e64 s[6:7], 0, v[17:18]
	s_or_b64 s[14:15], s[2:3], s[14:15]
	s_and_b64 s[2:3], vcc, s[6:7]
	v_cndmask_b32_e64 v35, 0, 1, s[2:3]
	v_cmp_ne_u32_e64 s[6:7], 0, v35
	s_bcnt1_i32_b64 s2, s[6:7]
	v_cmp_eq_u64_e64 s[6:7], 1, v[17:18]
	v_add_co_u32_e64 v7, s[10:11], s2, v7
	s_and_b64 s[2:3], vcc, s[6:7]
	v_cndmask_b32_e64 v35, 0, 1, s[2:3]
	v_cmp_ne_u32_e64 s[6:7], 0, v35
	s_bcnt1_i32_b64 s2, s[6:7]
	v_cmp_eq_u64_e64 s[6:7], 2, v[17:18]
	v_addc_co_u32_e64 v8, s[10:11], 0, v8, s[10:11]
	v_add_co_u32_e64 v9, s[10:11], s2, v9
	s_and_b64 s[2:3], vcc, s[6:7]
	v_cndmask_b32_e64 v35, 0, 1, s[2:3]
	v_cmp_ne_u32_e64 s[6:7], 0, v35
	s_bcnt1_i32_b64 s2, s[6:7]
	v_cmp_eq_u64_e64 s[6:7], 3, v[17:18]
	v_addc_co_u32_e64 v10, s[10:11], 0, v10, s[10:11]
	v_add_co_u32_e64 v11, s[10:11], s2, v11
	s_and_b64 s[2:3], vcc, s[6:7]
	v_cndmask_b32_e64 v17, 0, 1, s[2:3]
	v_cmp_ne_u32_e32 vcc, 0, v17
	s_bcnt1_i32_b64 s2, vcc
	v_add_co_u32_e32 v13, vcc, s2, v13
	v_mov_b32_e32 v36, v34
	v_addc_co_u32_e64 v12, s[10:11], 0, v12, s[10:11]
	v_addc_co_u32_e32 v14, vcc, 0, v14, vcc
	v_mov_b32_e32 v35, v33
	s_andn2_b64 exec, exec, s[14:15]
	s_cbranch_execz .LBB100_60
.LBB100_58:                             ;   Parent Loop BB100_11 Depth=1
                                        ; =>  This Inner Loop Header: Depth=2
	v_add_co_u32_e32 v3, vcc, s19, v3
	v_addc_co_u32_e32 v4, vcc, 0, v4, vcc
	v_cmp_gt_u64_e64 s[6:7], s[20:21], v[3:4]
	v_cmp_le_u64_e32 vcc, s[20:21], v[3:4]
	v_mov_b32_e32 v33, 0
	v_mov_b32_e32 v34, 0
	s_and_saveexec_b64 s[2:3], s[6:7]
	s_cbranch_execz .LBB100_57
; %bb.59:                               ;   in Loop: Header=BB100_58 Depth=2
	v_mul_lo_u32 v17, v4, s28
	v_mul_lo_u32 v49, v3, s29
	v_mad_u64_u32 v[33:34], s[6:7], v3, s28, 0
	v_add3_u32 v34, v34, v49, v17
	v_lshlrev_b64 v[33:34], 3, v[33:34]
	v_mov_b32_e32 v17, s37
	v_add_co_u32_e64 v33, s[6:7], s36, v33
	v_addc_co_u32_e64 v34, s[6:7], v17, v34, s[6:7]
	global_load_dwordx2 v[33:34], v[33:34], off
	s_branch .LBB100_57
.LBB100_60:                             ;   in Loop: Header=BB100_11 Depth=1
	s_or_b64 exec, exec, s[14:15]
.LBB100_61:                             ;   in Loop: Header=BB100_11 Depth=1
	s_or_b64 exec, exec, s[12:13]
	s_branch .LBB100_40
.LBB100_62:                             ;   in Loop: Header=BB100_11 Depth=1
	global_load_ushort v33, v18, s[48:49]
	v_mov_b32_e32 v7, 0
	v_mov_b32_e32 v9, 0
	;; [unrolled: 1-line block ×8, first 2 shown]
	s_waitcnt vmcnt(0)
	v_readfirstlane_b32 s2, v33
	s_and_b32 s2, 0xffff, s2
	s_lshl_b32 s3, s2, 2
	v_cvt_f32_u32_e32 v3, s3
	s_sub_i32 s6, 0, s3
	v_rcp_iflag_f32_e32 v3, v3
	v_mul_f32_e32 v3, 0x4f7ffffe, v3
	v_cvt_u32_f32_e32 v3, v3
	v_readfirstlane_b32 s7, v3
	s_mul_i32 s6, s6, s7
	s_mul_hi_u32 s6, s7, s6
	s_add_i32 s7, s7, s6
	s_mul_hi_u32 s6, s18, s7
	s_mul_i32 s7, s6, s3
	s_sub_i32 s7, s18, s7
	s_add_i32 s10, s6, 1
	s_sub_i32 s11, s7, s3
	s_cmp_ge_u32 s7, s3
	s_cselect_b32 s6, s10, s6
	s_cselect_b32 s7, s11, s7
	s_add_i32 s10, s6, 1
	s_cmp_ge_u32 s7, s3
	s_cselect_b32 s6, s10, s6
	s_mul_hi_u32 s73, s2, s6
	s_mul_i32 s72, s2, s6
	s_lshl_b64 s[74:75], s[72:73], 2
	v_cmp_gt_u64_e32 vcc, s[74:75], v[19:20]
	s_and_saveexec_b64 s[76:77], vcc
	s_cbranch_execz .LBB100_66
; %bb.63:                               ;   in Loop: Header=BB100_11 Depth=1
	v_mov_b32_e32 v3, v19
	s_lshl_b32 s19, s2, 5
	s_mov_b64 s[78:79], 0
	v_mov_b32_e32 v34, v43
	s_mov_b64 s[80:81], 0
	s_mov_b64 s[82:83], 0
	;; [unrolled: 1-line block ×4, first 2 shown]
	v_mov_b32_e32 v4, v20
.LBB100_64:                             ;   Parent Loop BB100_11 Depth=1
                                        ; =>  This Inner Loop Header: Depth=2
	ds_read_b128 v[11:14], v34
	ds_read_b128 v[7:10], v34 offset:16
	v_add_u32_e32 v34, s19, v34
	s_waitcnt lgkmcnt(1)
	v_xor_b32_e32 v12, 0x80000000, v12
	v_and_b32_e32 v36, v12, v30
	v_and_b32_e32 v35, v11, v29
	v_lshrrev_b64 v[11:12], s9, v[11:12]
	v_xor_b32_e32 v14, 0x80000000, v14
	v_and_b32_e32 v17, 3, v11
	v_lshrrev_b64 v[11:12], s9, v[13:14]
	s_waitcnt lgkmcnt(0)
	v_xor_b32_e32 v8, 0x80000000, v8
	v_cmp_eq_u64_e32 vcc, v[35:36], v[25:26]
	v_and_b32_e32 v36, v14, v30
	v_and_b32_e32 v35, v13, v29
	v_cmp_eq_u64_e64 s[6:7], 0, v[17:18]
	v_cmp_eq_u64_e64 s[10:11], v[35:36], v[25:26]
	v_and_b32_e32 v36, v8, v30
	v_and_b32_e32 v35, v7, v29
	;; [unrolled: 1-line block ×3, first 2 shown]
	v_mov_b32_e32 v12, v18
	v_lshrrev_b64 v[7:8], s9, v[7:8]
	v_xor_b32_e32 v10, 0x80000000, v10
	s_and_b64 s[22:23], vcc, s[6:7]
	v_cmp_eq_u64_e64 s[6:7], 0, v[11:12]
	v_cmp_eq_u64_e64 s[12:13], v[35:36], v[25:26]
	v_and_b32_e32 v36, v10, v30
	v_and_b32_e32 v35, v9, v29
	;; [unrolled: 1-line block ×3, first 2 shown]
	v_mov_b32_e32 v8, v18
	v_lshrrev_b64 v[9:10], s9, v[9:10]
	s_and_b64 s[24:25], s[10:11], s[6:7]
	v_cmp_eq_u64_e64 s[6:7], 0, v[7:8]
	v_and_b32_e32 v9, 3, v9
	v_mov_b32_e32 v10, v18
	v_cmp_eq_u64_e64 s[14:15], v[35:36], v[25:26]
	s_and_b64 s[26:27], s[12:13], s[6:7]
	v_cmp_eq_u64_e64 s[6:7], 0, v[9:10]
	v_cndmask_b32_e64 v13, 0, 1, s[22:23]
	s_and_b64 s[30:31], s[14:15], s[6:7]
	v_cmp_ne_u32_e64 s[6:7], 0, v13
	v_cndmask_b32_e64 v13, 0, 1, s[24:25]
	s_bcnt1_i32_b64 s22, s[6:7]
	v_cmp_ne_u32_e64 s[6:7], 0, v13
	v_cndmask_b32_e64 v13, 0, 1, s[26:27]
	s_bcnt1_i32_b64 s23, s[6:7]
	;; [unrolled: 3-line block ×3, first 2 shown]
	v_cmp_ne_u32_e64 s[6:7], 0, v13
	s_bcnt1_i32_b64 s6, s[6:7]
	s_add_u32 s7, s22, s86
	s_addc_u32 s22, 0, s87
	s_add_u32 s7, s7, s23
	s_addc_u32 s22, s22, 0
	s_add_u32 s7, s7, s24
	s_addc_u32 s22, s22, 0
	s_add_u32 s86, s7, s6
	v_cmp_eq_u64_e64 s[6:7], 1, v[17:18]
	s_addc_u32 s87, s22, 0
	s_and_b64 s[22:23], vcc, s[6:7]
	v_cmp_eq_u64_e64 s[6:7], 1, v[11:12]
	v_cndmask_b32_e64 v13, 0, 1, s[22:23]
	s_and_b64 s[24:25], s[10:11], s[6:7]
	v_cmp_eq_u64_e64 s[6:7], 1, v[7:8]
	s_and_b64 s[26:27], s[12:13], s[6:7]
	v_cmp_eq_u64_e64 s[6:7], 1, v[9:10]
	s_and_b64 s[30:31], s[14:15], s[6:7]
	v_cmp_ne_u32_e64 s[6:7], 0, v13
	v_cndmask_b32_e64 v13, 0, 1, s[24:25]
	s_bcnt1_i32_b64 s22, s[6:7]
	v_cmp_ne_u32_e64 s[6:7], 0, v13
	v_cndmask_b32_e64 v13, 0, 1, s[26:27]
	s_bcnt1_i32_b64 s23, s[6:7]
	;; [unrolled: 3-line block ×3, first 2 shown]
	v_cmp_ne_u32_e64 s[6:7], 0, v13
	s_bcnt1_i32_b64 s6, s[6:7]
	s_add_u32 s7, s22, s84
	s_addc_u32 s22, 0, s85
	s_add_u32 s7, s7, s23
	s_addc_u32 s22, s22, 0
	;; [unrolled: 2-line block ×3, first 2 shown]
	s_add_u32 s84, s7, s6
	v_cmp_eq_u64_e64 s[6:7], 2, v[17:18]
	s_addc_u32 s85, s22, 0
	s_and_b64 s[22:23], vcc, s[6:7]
	v_cmp_eq_u64_e64 s[6:7], 2, v[11:12]
	v_cndmask_b32_e64 v13, 0, 1, s[22:23]
	s_and_b64 s[24:25], s[10:11], s[6:7]
	v_cmp_eq_u64_e64 s[6:7], 2, v[7:8]
	s_and_b64 s[26:27], s[12:13], s[6:7]
	v_cmp_eq_u64_e64 s[6:7], 2, v[9:10]
	s_and_b64 s[30:31], s[14:15], s[6:7]
	v_cmp_ne_u32_e64 s[6:7], 0, v13
	v_cndmask_b32_e64 v13, 0, 1, s[24:25]
	s_bcnt1_i32_b64 s22, s[6:7]
	v_cmp_ne_u32_e64 s[6:7], 0, v13
	v_cndmask_b32_e64 v13, 0, 1, s[26:27]
	s_bcnt1_i32_b64 s23, s[6:7]
	;; [unrolled: 3-line block ×3, first 2 shown]
	v_cmp_ne_u32_e64 s[6:7], 0, v13
	s_bcnt1_i32_b64 s6, s[6:7]
	s_add_u32 s7, s22, s82
	s_addc_u32 s22, 0, s83
	s_add_u32 s7, s7, s23
	s_addc_u32 s22, s22, 0
	;; [unrolled: 2-line block ×3, first 2 shown]
	s_add_u32 s82, s7, s6
	v_cmp_eq_u64_e64 s[6:7], 3, v[17:18]
	s_addc_u32 s83, s22, 0
	s_and_b64 s[6:7], vcc, s[6:7]
	v_cmp_eq_u64_e32 vcc, 3, v[11:12]
	v_mov_b32_e32 v11, s82
	s_and_b64 s[10:11], s[10:11], vcc
	v_cmp_eq_u64_e32 vcc, 3, v[7:8]
	v_cndmask_b32_e64 v7, 0, 1, s[6:7]
	s_and_b64 s[12:13], s[12:13], vcc
	v_cmp_eq_u64_e32 vcc, 3, v[9:10]
	v_mov_b32_e32 v9, s84
	s_and_b64 s[14:15], s[14:15], vcc
	v_cmp_ne_u32_e32 vcc, 0, v7
	v_cndmask_b32_e64 v7, 0, 1, s[10:11]
	s_bcnt1_i32_b64 s6, vcc
	v_cmp_ne_u32_e32 vcc, 0, v7
	v_cndmask_b32_e64 v7, 0, 1, s[12:13]
	s_bcnt1_i32_b64 s7, vcc
	;; [unrolled: 3-line block ×3, first 2 shown]
	v_cmp_ne_u32_e32 vcc, 0, v7
	s_bcnt1_i32_b64 s11, vcc
	s_add_u32 s6, s6, s80
	s_addc_u32 s12, 0, s81
	s_add_u32 s6, s6, s7
	s_addc_u32 s7, s12, 0
	s_add_u32 s6, s6, s10
	v_add_co_u32_e32 v3, vcc, s3, v3
	s_addc_u32 s7, s7, 0
	v_addc_co_u32_e32 v4, vcc, 0, v4, vcc
	s_add_u32 s80, s6, s11
	v_cmp_le_u64_e32 vcc, s[74:75], v[3:4]
	s_addc_u32 s81, s7, 0
	v_mov_b32_e32 v7, s86
	v_mov_b32_e32 v13, s80
	s_or_b64 s[78:79], vcc, s[78:79]
	v_mov_b32_e32 v8, s87
	v_mov_b32_e32 v10, s85
	;; [unrolled: 1-line block ×4, first 2 shown]
	s_andn2_b64 exec, exec, s[78:79]
	s_cbranch_execnz .LBB100_64
; %bb.65:                               ;   in Loop: Header=BB100_11 Depth=1
	s_or_b64 exec, exec, s[78:79]
.LBB100_66:                             ;   in Loop: Header=BB100_11 Depth=1
	s_or_b64 exec, exec, s[76:77]
	v_mov_b32_e32 v4, s75
	v_add_co_u32_e32 v3, vcc, s74, v0
	s_and_b32 s38, s18, 0x7fffffff
	v_addc_co_u32_e32 v4, vcc, 0, v4, vcc
	v_cmp_gt_u64_e32 vcc, s[38:39], v[3:4]
	s_and_saveexec_b64 s[22:23], vcc
	s_cbranch_execz .LBB100_70
; %bb.67:                               ;   in Loop: Header=BB100_11 Depth=1
	v_lshl_add_u32 v34, s72, 5, v38
	s_lshl_b32 s2, s2, 3
	s_mov_b64 s[26:27], 0
.LBB100_68:                             ;   Parent Loop BB100_11 Depth=1
                                        ; =>  This Inner Loop Header: Depth=2
	ds_read_b64 v[35:36], v34
	v_add_co_u32_sdwa v3, vcc, v3, v33 dst_sel:DWORD dst_unused:UNUSED_PAD src0_sel:DWORD src1_sel:WORD_0
	v_addc_co_u32_e32 v4, vcc, 0, v4, vcc
	s_waitcnt lgkmcnt(0)
	v_xor_b32_e32 v36, 0x80000000, v36
	v_and_b32_e32 v49, v35, v29
	v_and_b32_e32 v50, v36, v30
	v_lshrrev_b64 v[35:36], s9, v[35:36]
	v_cmp_eq_u64_e64 s[6:7], v[49:50], v[25:26]
	v_and_b32_e32 v17, 3, v35
	v_cmp_eq_u64_e64 s[10:11], 0, v[17:18]
	v_cmp_eq_u64_e64 s[12:13], 1, v[17:18]
	;; [unrolled: 1-line block ×4, first 2 shown]
	s_and_b64 s[10:11], s[6:7], s[10:11]
	v_cndmask_b32_e64 v17, 0, 1, s[10:11]
	s_and_b64 s[10:11], s[6:7], s[12:13]
	v_cndmask_b32_e64 v35, 0, 1, s[10:11]
	s_and_b64 s[10:11], s[6:7], s[14:15]
	s_and_b64 s[6:7], s[6:7], s[18:19]
	v_cndmask_b32_e64 v49, 0, 1, s[6:7]
	v_cmp_ne_u32_e64 s[6:7], 0, v17
	s_bcnt1_i32_b64 s3, s[6:7]
	v_cndmask_b32_e64 v36, 0, 1, s[10:11]
	v_cmp_ne_u32_e64 s[10:11], 0, v35
	v_add_co_u32_e64 v7, s[6:7], s3, v7
	s_bcnt1_i32_b64 s10, s[10:11]
	v_addc_co_u32_e64 v8, s[6:7], 0, v8, s[6:7]
	v_cmp_le_u64_e32 vcc, s[38:39], v[3:4]
	v_cmp_ne_u32_e64 s[12:13], 0, v36
	v_cmp_ne_u32_e64 s[14:15], 0, v49
	v_add_co_u32_e64 v9, s[6:7], s10, v9
	s_bcnt1_i32_b64 s11, s[12:13]
	s_bcnt1_i32_b64 s12, s[14:15]
	v_addc_co_u32_e64 v10, s[6:7], 0, v10, s[6:7]
	v_add_co_u32_e64 v11, s[6:7], s11, v11
	s_or_b64 s[26:27], vcc, s[26:27]
	v_add_co_u32_e32 v13, vcc, s12, v13
	v_add_u32_e32 v34, s2, v34
	v_addc_co_u32_e64 v12, s[6:7], 0, v12, s[6:7]
	v_addc_co_u32_e32 v14, vcc, 0, v14, vcc
	s_andn2_b64 exec, exec, s[26:27]
	s_cbranch_execnz .LBB100_68
; %bb.69:                               ;   in Loop: Header=BB100_11 Depth=1
	s_or_b64 exec, exec, s[26:27]
.LBB100_70:                             ;   in Loop: Header=BB100_11 Depth=1
	s_or_b64 exec, exec, s[22:23]
	s_lshl_b32 s10, s54, 6
	s_and_saveexec_b64 s[2:3], s[4:5]
	s_cbranch_execnz .LBB100_41
	s_branch .LBB100_42
.LBB100_71:                             ;   in Loop: Header=BB100_11 Depth=1
                                        ; implicit-def: $sgpr6_sgpr7
	s_branch .LBB100_50
.LBB100_72:                             ;   in Loop: Header=BB100_11 Depth=1
	v_mov_b32_e32 v3, 0
	v_mov_b32_e32 v4, 0
	s_mov_b32 s2, 0
.LBB100_73:                             ;   in Loop: Header=BB100_11 Depth=1
	v_readlane_b32 s12, v57, 20
	v_readlane_b32 s13, v57, 21
	s_andn2_b64 vcc, exec, s[12:13]
	s_cbranch_vccnz .LBB100_76
; %bb.74:                               ;   in Loop: Header=BB100_11 Depth=1
	s_lshl_b32 s3, s54, 9
	s_lshl_b32 s2, s2, 5
	s_add_i32 s3, s3, s2
	v_add_u32_e32 v7, s3, v47
	v_readlane_b32 s2, v57, 19
.LBB100_75:                             ;   Parent Loop BB100_11 Depth=1
                                        ; =>  This Inner Loop Header: Depth=2
	ds_read_b64 v[8:9], v7
	s_add_i32 s2, s2, -1
	v_add_u32_e32 v7, 32, v7
	s_cmp_lg_u32 s2, 0
	s_waitcnt lgkmcnt(0)
	v_add_co_u32_e32 v3, vcc, v8, v3
	v_addc_co_u32_e32 v4, vcc, v9, v4, vcc
	s_cbranch_scc1 .LBB100_75
.LBB100_76:                             ;   in Loop: Header=BB100_11 Depth=1
	v_add_lshl_u32 v7, s10, v37, 3
	ds_write_b64 v7, v[3:4] offset:3072
.LBB100_77:                             ;   in Loop: Header=BB100_11 Depth=1
	s_or_b64 exec, exec, s[6:7]
	s_lshl_b32 s2, s10, 3
	v_mov_b32_e32 v3, s2
	s_waitcnt lgkmcnt(0)
	s_barrier
	ds_read_b128 v[11:14], v3 offset:3088
	ds_read_b128 v[7:10], v3 offset:3072
	v_cmp_eq_u64_e64 s[6:7], 1, v[31:32]
	s_lshl_b64 s[12:13], 3, s9
	s_not_b64 s[76:77], s[12:13]
	s_waitcnt lgkmcnt(1)
	v_readfirstlane_b32 s74, v11
	s_waitcnt lgkmcnt(0)
	v_cmp_eq_u64_e32 vcc, 1, v[7:8]
	v_readfirstlane_b32 s75, v12
	v_readfirstlane_b32 s10, v13
	v_readfirstlane_b32 s11, v14
	s_and_b64 s[18:19], vcc, s[6:7]
	s_mov_b64 s[6:7], -1
	s_mov_b64 s[22:23], -1
                                        ; implicit-def: $sgpr78_sgpr79
                                        ; implicit-def: $sgpr72_sgpr73
	s_and_saveexec_b64 s[14:15], s[18:19]
	s_cbranch_execz .LBB100_109
; %bb.78:                               ;   in Loop: Header=BB100_11 Depth=1
	ds_read_b64 v[3:4], v18 offset:5120
	s_waitcnt lgkmcnt(0)
	s_barrier
	v_readfirstlane_b32 s26, v3
	v_readfirstlane_b32 s27, v4
	s_and_saveexec_b64 s[2:3], s[16:17]
; %bb.79:                               ;   in Loop: Header=BB100_11 Depth=1
	v_mov_b32_e32 v17, v18
	ds_write_b64 v39, v[17:18]
; %bb.80:                               ;   in Loop: Header=BB100_11 Depth=1
	s_or_b64 exec, exec, s[2:3]
	v_and_b32_e32 v26, s77, v26
	v_and_b32_e32 v25, s76, v25
	v_or_b32_e32 v30, s13, v30
	v_or_b32_e32 v29, s12, v29
	s_mov_b64 s[72:73], -1
	s_mov_b64 s[78:79], 0
	s_cmp_eq_u64 s[26:27], 0
	s_mov_b64 s[22:23], 0
	s_mov_b64 s[30:31], -1
	s_waitcnt lgkmcnt(0)
	s_barrier
                                        ; implicit-def: $vgpr5_vgpr6
	s_cbranch_scc1 .LBB100_94
; %bb.81:                               ;   in Loop: Header=BB100_11 Depth=1
	s_add_u32 s30, s26, s55
	v_readlane_b32 s2, v57, 16
	s_addc_u32 s23, s27, s2
	s_mov_b32 s22, s39
	s_cmp_lg_u64 s[22:23], 0
	s_cbranch_scc0 .LBB100_135
; %bb.82:                               ;   in Loop: Header=BB100_11 Depth=1
	v_cvt_f32_u32_e32 v3, s33
	s_sub_u32 s22, 0, s33
	s_subb_u32 s24, 0, 0
	v_mac_f32_e32 v3, 0, v48
	v_rcp_f32_e32 v3, v3
	v_mul_f32_e32 v3, 0x5f7ffffc, v3
	v_mul_f32_e32 v4, 0x2f800000, v3
	v_trunc_f32_e32 v4, v4
	v_mac_f32_e32 v3, 0xcf800000, v4
	v_cvt_u32_f32_e32 v4, v4
	v_cvt_u32_f32_e32 v3, v3
	v_readfirstlane_b32 s25, v4
	v_readfirstlane_b32 s2, v3
	s_mul_i32 s3, s22, s25
	s_mul_hi_u32 s34, s22, s2
	s_mul_i32 s31, s24, s2
	s_add_i32 s3, s34, s3
	s_mul_i32 s35, s22, s2
	s_add_i32 s3, s3, s31
	s_mul_hi_u32 s34, s2, s35
	s_mul_i32 s38, s2, s3
	s_mul_hi_u32 s31, s2, s3
	s_add_u32 s34, s34, s38
	s_addc_u32 s31, 0, s31
	s_mul_hi_u32 s46, s25, s35
	s_mul_i32 s35, s25, s35
	s_add_u32 s34, s34, s35
	s_mul_hi_u32 s38, s25, s3
	s_addc_u32 s31, s31, s46
	s_addc_u32 s34, s38, 0
	s_mul_i32 s3, s25, s3
	s_add_u32 s3, s31, s3
	s_addc_u32 s31, 0, s34
	s_add_u32 s34, s2, s3
	s_cselect_b64 s[2:3], -1, 0
	s_cmp_lg_u64 s[2:3], 0
	s_addc_u32 s25, s25, s31
	s_mul_i32 s2, s22, s25
	s_mul_hi_u32 s3, s22, s34
	s_add_i32 s2, s3, s2
	s_mul_i32 s24, s24, s34
	s_add_i32 s2, s2, s24
	s_mul_i32 s22, s22, s34
	s_mul_hi_u32 s24, s25, s22
	s_mul_i32 s31, s25, s22
	s_mul_i32 s38, s34, s2
	s_mul_hi_u32 s22, s34, s22
	s_mul_hi_u32 s35, s34, s2
	s_add_u32 s22, s22, s38
	s_addc_u32 s35, 0, s35
	s_add_u32 s22, s22, s31
	s_mul_hi_u32 s3, s25, s2
	s_addc_u32 s22, s35, s24
	s_addc_u32 s3, s3, 0
	s_mul_i32 s2, s25, s2
	s_add_u32 s2, s22, s2
	s_addc_u32 s22, 0, s3
	s_add_u32 s24, s34, s2
	s_cselect_b64 s[2:3], -1, 0
	s_cmp_lg_u64 s[2:3], 0
	s_addc_u32 s2, s25, s22
	s_mul_i32 s22, s30, s2
	s_mul_hi_u32 s25, s30, s24
	s_mul_hi_u32 s3, s30, s2
	s_add_u32 s22, s25, s22
	s_addc_u32 s3, 0, s3
	s_mul_hi_u32 s31, s23, s24
	s_mul_i32 s24, s23, s24
	s_add_u32 s22, s22, s24
	s_mul_hi_u32 s25, s23, s2
	s_addc_u32 s3, s3, s31
	s_addc_u32 s22, s25, 0
	s_mul_i32 s2, s23, s2
	s_add_u32 s2, s3, s2
	s_addc_u32 s3, 0, s22
	s_mul_i32 s3, s33, s3
	s_mul_hi_u32 s22, s33, s2
	s_add_i32 s22, s22, s3
	s_mul_i32 s2, s33, s2
	s_sub_u32 s24, s30, s2
	s_cselect_b64 s[2:3], -1, 0
	s_cmp_lg_u64 s[2:3], 0
	s_subb_u32 s22, s23, s22
	s_sub_u32 s25, s24, s33
	s_cselect_b64 s[2:3], -1, 0
	s_cmp_lg_u64 s[2:3], 0
	s_subb_u32 s31, s22, 0
	;; [unrolled: 4-line block ×3, first 2 shown]
	s_cmp_ge_u32 s25, s33
	s_cselect_b32 s3, -1, 0
	s_cmp_eq_u32 s31, 0
	s_cselect_b32 s3, s3, -1
	s_cmp_lg_u32 s3, 0
	s_cselect_b32 s2, s2, s31
	s_cselect_b32 s25, s34, s25
	s_cmp_ge_u32 s24, s33
	s_cselect_b32 s3, -1, 0
	s_cmp_eq_u32 s22, 0
	s_cselect_b32 s3, s3, -1
	s_cmp_lg_u32 s3, 0
	s_cselect_b32 s3, s2, s22
	s_cselect_b32 s2, s25, s24
	s_cbranch_execnz .LBB100_84
.LBB100_83:                             ;   in Loop: Header=BB100_11 Depth=1
	v_cvt_f32_u32_e32 v3, s33
	s_sub_i32 s2, 0, s33
	v_rcp_iflag_f32_e32 v3, v3
	v_mul_f32_e32 v3, 0x4f7ffffe, v3
	v_cvt_u32_f32_e32 v3, v3
	v_readfirstlane_b32 s3, v3
	s_mul_i32 s2, s2, s3
	s_mul_hi_u32 s2, s3, s2
	s_add_i32 s3, s3, s2
	s_mul_hi_u32 s2, s30, s3
	s_mul_i32 s2, s2, s33
	s_sub_i32 s2, s30, s2
	s_sub_i32 s3, s2, s33
	s_cmp_ge_u32 s2, s33
	s_cselect_b32 s2, s3, s2
	s_sub_i32 s3, s2, s33
	s_cmp_ge_u32 s2, s33
	s_cselect_b32 s38, s3, s2
	s_mov_b64 s[2:3], s[38:39]
.LBB100_84:                             ;   in Loop: Header=BB100_11 Depth=1
	s_sub_u32 s50, s30, s2
	s_subb_u32 s51, s23, s3
	v_cmp_gt_u64_e32 vcc, s[50:51], v[0:1]
	s_mov_b64 s[30:31], 0
	s_mov_b64 s[22:23], 0
                                        ; implicit-def: $vgpr5_vgpr6
	s_and_saveexec_b64 s[34:35], vcc
	s_cbranch_execz .LBB100_93
; %bb.85:                               ;   in Loop: Header=BB100_11 Depth=1
	v_mov_b32_e32 v12, v1
	v_mov_b32_e32 v13, v38
	;; [unrolled: 1-line block ×3, first 2 shown]
                                        ; implicit-def: $sgpr52_sgpr53
	s_branch .LBB100_88
.LBB100_86:                             ;   in Loop: Header=BB100_88 Depth=2
	s_or_b64 exec, exec, s[2:3]
	s_waitcnt lgkmcnt(0)
	s_barrier
	ds_read_b128 v[3:6], v18 offset:3072
	s_mov_b64 s[2:3], -1
	s_mov_b64 s[80:81], -1
	s_waitcnt lgkmcnt(0)
	s_barrier
	v_cmp_ne_u64_e32 vcc, 0, v[3:4]
	s_cbranch_vccz .LBB100_91
.LBB100_87:                             ;   in Loop: Header=BB100_88 Depth=2
	s_and_b64 s[2:3], exec, s[2:3]
	s_or_b64 s[22:23], s[2:3], s[22:23]
	s_andn2_b64 s[2:3], s[52:53], exec
	s_and_b64 s[24:25], s[80:81], exec
	s_or_b64 s[52:53], s[2:3], s[24:25]
	s_andn2_b64 exec, exec, s[22:23]
	s_cbranch_execz .LBB100_92
.LBB100_88:                             ;   Parent Loop BB100_11 Depth=1
                                        ; =>  This Inner Loop Header: Depth=2
	v_cmp_gt_u64_e32 vcc, s[26:27], v[11:12]
	s_and_saveexec_b64 s[2:3], vcc
	s_cbranch_execz .LBB100_86
; %bb.89:                               ;   in Loop: Header=BB100_88 Depth=2
	ds_read_b64 v[4:5], v13
	s_waitcnt lgkmcnt(0)
	v_xor_b32_e32 v3, 0x80000000, v5
	v_and_b32_e32 v34, v3, v30
	v_and_b32_e32 v33, v4, v29
	v_cmp_eq_u64_e32 vcc, v[33:34], v[25:26]
	s_and_b64 exec, exec, vcc
	s_cbranch_execz .LBB100_86
; %bb.90:                               ;   in Loop: Header=BB100_88 Depth=2
	v_mov_b32_e32 v3, v18
	ds_write_b128 v18, v[2:5] offset:3072
	s_branch .LBB100_86
.LBB100_91:                             ;   in Loop: Header=BB100_88 Depth=2
	v_add_co_u32_e32 v11, vcc, s33, v11
	v_addc_co_u32_e32 v12, vcc, 0, v12, vcc
	v_cmp_le_u64_e32 vcc, s[50:51], v[11:12]
	v_add_u32_e32 v13, s8, v13
	s_mov_b64 s[80:81], 0
	s_orn2_b64 s[2:3], vcc, exec
	s_branch .LBB100_87
.LBB100_92:                             ;   in Loop: Header=BB100_11 Depth=1
	s_or_b64 exec, exec, s[22:23]
	s_and_b64 s[22:23], s[52:53], exec
.LBB100_93:                             ;   in Loop: Header=BB100_11 Depth=1
	s_or_b64 exec, exec, s[34:35]
.LBB100_94:                             ;   in Loop: Header=BB100_11 Depth=1
	s_and_b64 vcc, exec, s[30:31]
	s_cbranch_vccz .LBB100_108
; %bb.95:                               ;   in Loop: Header=BB100_11 Depth=1
	s_mov_b32 s46, s39
	s_cmp_lg_u64 s[46:47], 0
	s_cbranch_scc0 .LBB100_139
; %bb.96:                               ;   in Loop: Header=BB100_11 Depth=1
	v_cvt_f32_u32_e32 v3, s33
	s_sub_u32 s24, 0, s33
	s_subb_u32 s25, 0, 0
	v_mac_f32_e32 v3, 0, v48
	v_rcp_f32_e32 v3, v3
	v_mul_f32_e32 v3, 0x5f7ffffc, v3
	v_mul_f32_e32 v4, 0x2f800000, v3
	v_trunc_f32_e32 v4, v4
	v_mac_f32_e32 v3, 0xcf800000, v4
	v_cvt_u32_f32_e32 v4, v4
	v_cvt_u32_f32_e32 v3, v3
	v_readfirstlane_b32 s26, v4
	v_readfirstlane_b32 s2, v3
	s_mul_i32 s3, s24, s26
	s_mul_hi_u32 s30, s24, s2
	s_mul_i32 s27, s25, s2
	s_add_i32 s3, s30, s3
	s_mul_i32 s31, s24, s2
	s_add_i32 s3, s3, s27
	s_mul_hi_u32 s30, s2, s31
	s_mul_i32 s34, s2, s3
	s_mul_hi_u32 s27, s2, s3
	s_add_u32 s30, s30, s34
	s_addc_u32 s27, 0, s27
	s_mul_hi_u32 s35, s26, s31
	s_mul_i32 s31, s26, s31
	s_add_u32 s30, s30, s31
	s_mul_hi_u32 s34, s26, s3
	s_addc_u32 s27, s27, s35
	s_addc_u32 s30, s34, 0
	s_mul_i32 s3, s26, s3
	s_add_u32 s3, s27, s3
	s_addc_u32 s27, 0, s30
	s_add_u32 s30, s2, s3
	s_cselect_b64 s[2:3], -1, 0
	s_cmp_lg_u64 s[2:3], 0
	s_addc_u32 s26, s26, s27
	s_mul_i32 s2, s24, s26
	s_mul_hi_u32 s3, s24, s30
	s_add_i32 s2, s3, s2
	s_mul_i32 s25, s25, s30
	s_add_i32 s2, s2, s25
	s_mul_i32 s24, s24, s30
	s_mul_hi_u32 s25, s26, s24
	s_mul_i32 s27, s26, s24
	s_mul_i32 s34, s30, s2
	s_mul_hi_u32 s24, s30, s24
	s_mul_hi_u32 s31, s30, s2
	s_add_u32 s24, s24, s34
	s_addc_u32 s31, 0, s31
	s_add_u32 s24, s24, s27
	s_mul_hi_u32 s3, s26, s2
	s_addc_u32 s24, s31, s25
	s_addc_u32 s3, s3, 0
	s_mul_i32 s2, s26, s2
	s_add_u32 s2, s24, s2
	s_addc_u32 s24, 0, s3
	s_add_u32 s25, s30, s2
	s_cselect_b64 s[2:3], -1, 0
	s_cmp_lg_u64 s[2:3], 0
	s_addc_u32 s2, s26, s24
	s_mul_i32 s24, s0, s2
	s_mul_hi_u32 s26, s0, s25
	s_mul_hi_u32 s3, s0, s2
	s_add_u32 s24, s26, s24
	s_addc_u32 s3, 0, s3
	s_mul_hi_u32 s27, s47, s25
	s_mul_i32 s25, s47, s25
	s_add_u32 s24, s24, s25
	s_mul_hi_u32 s26, s47, s2
	s_addc_u32 s3, s3, s27
	s_addc_u32 s24, s26, 0
	s_mul_i32 s2, s47, s2
	s_add_u32 s2, s3, s2
	s_addc_u32 s3, 0, s24
	s_mul_i32 s3, s33, s3
	s_mul_hi_u32 s24, s33, s2
	s_add_i32 s24, s24, s3
	s_mul_i32 s2, s33, s2
	s_sub_u32 s25, s0, s2
	s_cselect_b64 s[2:3], -1, 0
	s_cmp_lg_u64 s[2:3], 0
	s_subb_u32 s24, s47, s24
	s_sub_u32 s26, s25, s33
	s_cselect_b64 s[2:3], -1, 0
	s_cmp_lg_u64 s[2:3], 0
	s_subb_u32 s27, s24, 0
	;; [unrolled: 4-line block ×3, first 2 shown]
	s_cmp_ge_u32 s26, s33
	s_cselect_b32 s3, -1, 0
	s_cmp_eq_u32 s27, 0
	s_cselect_b32 s3, s3, -1
	s_cmp_lg_u32 s3, 0
	s_cselect_b32 s2, s2, s27
	s_cselect_b32 s26, s30, s26
	s_cmp_ge_u32 s25, s33
	s_cselect_b32 s3, -1, 0
	s_cmp_eq_u32 s24, 0
	s_cselect_b32 s3, s3, -1
	s_cmp_lg_u32 s3, 0
	s_cselect_b32 s3, s2, s24
	s_cselect_b32 s2, s26, s25
	s_cbranch_execnz .LBB100_98
.LBB100_97:                             ;   in Loop: Header=BB100_11 Depth=1
	v_cvt_f32_u32_e32 v3, s33
	s_sub_i32 s2, 0, s33
	v_rcp_iflag_f32_e32 v3, v3
	v_mul_f32_e32 v3, 0x4f7ffffe, v3
	v_cvt_u32_f32_e32 v3, v3
	v_readfirstlane_b32 s3, v3
	s_mul_i32 s2, s2, s3
	s_mul_hi_u32 s2, s3, s2
	s_add_i32 s3, s3, s2
	s_mul_hi_u32 s2, s0, s3
	s_mul_i32 s2, s2, s33
	s_sub_i32 s2, s0, s2
	s_sub_i32 s3, s2, s33
	s_cmp_ge_u32 s2, s33
	s_cselect_b32 s2, s3, s2
	s_sub_i32 s3, s2, s33
	s_cmp_ge_u32 s2, s33
	s_cselect_b32 s38, s3, s2
	s_mov_b64 s[2:3], s[38:39]
.LBB100_98:                             ;   in Loop: Header=BB100_11 Depth=1
	s_sub_u32 s30, s0, s2
	s_subb_u32 s31, s47, s3
	v_cmp_gt_u64_e32 vcc, s[30:31], v[0:1]
                                        ; implicit-def: $vgpr5_vgpr6
	s_and_saveexec_b64 s[26:27], vcc
	s_cbranch_execz .LBB100_107
; %bb.99:                               ;   in Loop: Header=BB100_11 Depth=1
	v_mov_b32_e32 v11, v15
	v_mov_b32_e32 v14, v1
	s_mov_b64 s[50:51], 0
	v_mov_b32_e32 v12, v16
	v_mov_b32_e32 v13, v0
                                        ; implicit-def: $sgpr34_sgpr35
	s_branch .LBB100_102
.LBB100_100:                            ;   in Loop: Header=BB100_102 Depth=2
	s_or_b64 exec, exec, s[2:3]
	s_waitcnt lgkmcnt(0)
	s_barrier
	ds_read_b128 v[3:6], v18 offset:3072
	s_mov_b64 s[2:3], -1
	s_mov_b64 s[52:53], -1
	s_waitcnt lgkmcnt(0)
	s_barrier
	v_cmp_ne_u64_e32 vcc, 0, v[3:4]
	s_cbranch_vccz .LBB100_105
.LBB100_101:                            ;   in Loop: Header=BB100_102 Depth=2
	s_and_b64 s[2:3], exec, s[2:3]
	s_or_b64 s[50:51], s[2:3], s[50:51]
	s_andn2_b64 s[2:3], s[34:35], exec
	s_and_b64 s[24:25], s[52:53], exec
	s_or_b64 s[34:35], s[2:3], s[24:25]
	s_andn2_b64 exec, exec, s[50:51]
	s_cbranch_execz .LBB100_106
.LBB100_102:                            ;   Parent Loop BB100_11 Depth=1
                                        ; =>  This Inner Loop Header: Depth=2
	v_cmp_gt_u64_e32 vcc, s[20:21], v[13:14]
	s_and_saveexec_b64 s[2:3], vcc
	s_cbranch_execz .LBB100_100
; %bb.103:                              ;   in Loop: Header=BB100_102 Depth=2
	global_load_dwordx2 v[4:5], v[11:12], off
	s_waitcnt vmcnt(0)
	v_xor_b32_e32 v3, 0x80000000, v5
	v_and_b32_e32 v34, v3, v30
	v_and_b32_e32 v33, v4, v29
	v_cmp_eq_u64_e32 vcc, v[33:34], v[25:26]
	s_and_b64 exec, exec, vcc
	s_cbranch_execz .LBB100_100
; %bb.104:                              ;   in Loop: Header=BB100_102 Depth=2
	v_mov_b32_e32 v3, v18
	ds_write_b128 v18, v[2:5] offset:3072
	s_branch .LBB100_100
.LBB100_105:                            ;   in Loop: Header=BB100_102 Depth=2
	v_add_co_u32_e32 v13, vcc, s33, v13
	v_addc_co_u32_e32 v14, vcc, 0, v14, vcc
	v_mov_b32_e32 v3, s41
	v_add_co_u32_e32 v11, vcc, s40, v11
	v_addc_co_u32_e32 v12, vcc, v12, v3, vcc
	v_cmp_le_u64_e32 vcc, s[30:31], v[13:14]
	s_mov_b64 s[52:53], 0
	s_orn2_b64 s[2:3], vcc, exec
	s_branch .LBB100_101
.LBB100_106:                            ;   in Loop: Header=BB100_11 Depth=1
	s_or_b64 exec, exec, s[50:51]
	s_andn2_b64 s[2:3], s[22:23], exec
	s_and_b64 s[22:23], s[34:35], exec
	s_or_b64 s[22:23], s[2:3], s[22:23]
.LBB100_107:                            ;   in Loop: Header=BB100_11 Depth=1
	s_or_b64 exec, exec, s[26:27]
	s_mov_b64 s[72:73], 0
	s_mov_b64 s[78:79], -1
.LBB100_108:                            ;   in Loop: Header=BB100_11 Depth=1
	s_orn2_b64 s[22:23], s[22:23], exec
.LBB100_109:                            ;   in Loop: Header=BB100_11 Depth=1
	s_or_b64 exec, exec, s[14:15]
	s_andn2_b64 s[2:3], s[70:71], exec
	s_and_b64 s[14:15], s[78:79], exec
	s_or_b64 s[70:71], s[2:3], s[14:15]
	s_andn2_b64 s[2:3], s[68:69], exec
	s_and_b64 s[14:15], s[72:73], exec
	s_andn2_b64 s[66:67], s[66:67], exec
	s_or_b64 s[68:69], s[2:3], s[14:15]
                                        ; implicit-def: $vgpr11_vgpr12
	s_and_saveexec_b64 s[14:15], s[22:23]
	s_cbranch_execz .LBB100_10
; %bb.110:                              ;   in Loop: Header=BB100_11 Depth=1
	v_mov_b32_e32 v11, 1
	s_xor_b64 s[2:3], s[18:19], -1
	v_mov_b32_e32 v33, 1
	v_mov_b32_e32 v12, 0
	s_mov_b64 s[26:27], 0
	s_and_saveexec_b64 s[6:7], s[2:3]
	s_cbranch_execz .LBB100_119
; %bb.111:                              ;   in Loop: Header=BB100_11 Depth=1
	v_cmp_le_u64_e32 vcc, v[31:32], v[7:8]
	s_and_saveexec_b64 s[2:3], vcc
	s_xor_b64 s[18:19], exec, s[2:3]
	s_cbranch_execz .LBB100_116
; %bb.112:                              ;   in Loop: Header=BB100_11 Depth=1
	ds_read_b64 v[3:4], v18 offset:5120
	v_and_b32_e32 v26, s77, v26
	v_and_b32_e32 v25, s76, v25
	v_or_b32_e32 v30, s13, v30
	v_or_b32_e32 v29, s12, v29
	s_waitcnt lgkmcnt(0)
	v_cmp_ne_u64_e32 vcc, 0, v[3:4]
	s_cbranch_vccnz .LBB100_116
; %bb.113:                              ;   in Loop: Header=BB100_11 Depth=1
	s_mov_b64 s[2:3], exec
	v_readlane_b32 s22, v57, 0
	v_readlane_b32 s23, v57, 1
	s_and_b64 s[22:23], s[2:3], s[22:23]
	s_mov_b64 exec, s[22:23]
; %bb.114:                              ;   in Loop: Header=BB100_11 Depth=1
	ds_write_b64 v18, v[7:8] offset:5128
; %bb.115:                              ;   in Loop: Header=BB100_11 Depth=1
	s_or_b64 exec, exec, s[2:3]
	s_waitcnt lgkmcnt(0)
	s_barrier
.LBB100_116:                            ;   in Loop: Header=BB100_11 Depth=1
	s_or_saveexec_b64 s[18:19], s[18:19]
	s_mov_b64 s[22:23], 0
	v_mov_b32_e32 v33, 8
	s_xor_b64 exec, exec, s[18:19]
; %bb.117:                              ;   in Loop: Header=BB100_11 Depth=1
	v_sub_co_u32_e32 v31, vcc, v31, v7
	s_mov_b64 s[22:23], exec
	v_subb_co_u32_e32 v32, vcc, v32, v8, vcc
	v_mov_b32_e32 v33, 0
; %bb.118:                              ;   in Loop: Header=BB100_11 Depth=1
	s_or_b64 exec, exec, s[18:19]
	v_mov_b32_e32 v11, v31
	s_and_b64 s[26:27], s[22:23], exec
	v_mov_b32_e32 v12, v32
.LBB100_119:                            ;   in Loop: Header=BB100_11 Depth=1
	s_or_b64 exec, exec, s[6:7]
	s_mov_b64 s[18:19], -1
	s_mov_b64 s[22:23], -1
                                        ; implicit-def: $sgpr6_sgpr7
                                        ; implicit-def: $sgpr78_sgpr79
	s_and_saveexec_b64 s[2:3], s[26:27]
	s_xor_b64 s[72:73], exec, s[2:3]
	s_cbranch_execz .LBB100_264
; %bb.120:                              ;   in Loop: Header=BB100_11 Depth=1
	v_cmp_eq_u64_e32 vcc, 1, v[9:10]
	v_cmp_eq_u64_e64 s[6:7], 1, v[11:12]
                                        ; implicit-def: $sgpr78_sgpr79
	s_and_b64 s[82:83], vcc, s[6:7]
                                        ; implicit-def: $sgpr6_sgpr7
	s_and_saveexec_b64 s[80:81], s[82:83]
	s_cbranch_execz .LBB100_157
; %bb.121:                              ;   in Loop: Header=BB100_11 Depth=1
	ds_read_b64 v[3:4], v18 offset:5120
	s_waitcnt lgkmcnt(0)
	s_barrier
	v_readfirstlane_b32 s22, v3
	v_readfirstlane_b32 s23, v4
	s_and_saveexec_b64 s[2:3], s[16:17]
; %bb.122:                              ;   in Loop: Header=BB100_11 Depth=1
	v_mov_b32_e32 v17, v18
	ds_write_b64 v39, v[17:18]
; %bb.123:                              ;   in Loop: Header=BB100_11 Depth=1
	s_or_b64 exec, exec, s[2:3]
	s_lshl_b64 s[2:3], 1, s9
	v_and_b32_e32 v3, s77, v26
	v_and_b32_e32 v4, s76, v25
	v_or_b32_e32 v26, s3, v3
	v_or_b32_e32 v25, s2, v4
	;; [unrolled: 1-line block ×4, first 2 shown]
	s_mov_b64 s[6:7], -1
	s_mov_b64 s[78:79], 0
	s_cmp_eq_u64 s[22:23], 0
	s_mov_b64 s[84:85], 0
	s_mov_b64 s[26:27], -1
	s_waitcnt lgkmcnt(0)
	s_barrier
                                        ; implicit-def: $vgpr5_vgpr6
	s_cbranch_scc1 .LBB100_142
; %bb.124:                              ;   in Loop: Header=BB100_11 Depth=1
	s_add_u32 s30, s22, s55
	v_readlane_b32 s2, v57, 16
	s_addc_u32 s27, s23, s2
	s_mov_b32 s26, s39
	s_cmp_lg_u64 s[26:27], 0
	s_cbranch_scc0 .LBB100_184
; %bb.125:                              ;   in Loop: Header=BB100_11 Depth=1
	v_cvt_f32_u32_e32 v3, s33
	s_sub_u32 s24, 0, s33
	s_subb_u32 s25, 0, 0
	v_mac_f32_e32 v3, 0, v48
	v_rcp_f32_e32 v3, v3
	v_mul_f32_e32 v3, 0x5f7ffffc, v3
	v_mul_f32_e32 v4, 0x2f800000, v3
	v_trunc_f32_e32 v4, v4
	v_mac_f32_e32 v3, 0xcf800000, v4
	v_cvt_u32_f32_e32 v4, v4
	v_cvt_u32_f32_e32 v3, v3
	v_readfirstlane_b32 s26, v4
	v_readfirstlane_b32 s2, v3
	s_mul_i32 s3, s24, s26
	s_mul_hi_u32 s34, s24, s2
	s_mul_i32 s31, s25, s2
	s_add_i32 s3, s34, s3
	s_mul_i32 s35, s24, s2
	s_add_i32 s3, s3, s31
	s_mul_hi_u32 s34, s2, s35
	s_mul_i32 s38, s2, s3
	s_mul_hi_u32 s31, s2, s3
	s_add_u32 s34, s34, s38
	s_addc_u32 s31, 0, s31
	s_mul_hi_u32 s46, s26, s35
	s_mul_i32 s35, s26, s35
	s_add_u32 s34, s34, s35
	s_mul_hi_u32 s38, s26, s3
	s_addc_u32 s31, s31, s46
	s_addc_u32 s34, s38, 0
	s_mul_i32 s3, s26, s3
	s_add_u32 s3, s31, s3
	s_addc_u32 s31, 0, s34
	s_add_u32 s34, s2, s3
	s_cselect_b64 s[2:3], -1, 0
	s_cmp_lg_u64 s[2:3], 0
	s_addc_u32 s26, s26, s31
	s_mul_i32 s2, s24, s26
	s_mul_hi_u32 s3, s24, s34
	s_add_i32 s2, s3, s2
	s_mul_i32 s25, s25, s34
	s_add_i32 s2, s2, s25
	s_mul_i32 s24, s24, s34
	s_mul_hi_u32 s25, s26, s24
	s_mul_i32 s31, s26, s24
	s_mul_i32 s38, s34, s2
	s_mul_hi_u32 s24, s34, s24
	s_mul_hi_u32 s35, s34, s2
	s_add_u32 s24, s24, s38
	s_addc_u32 s35, 0, s35
	s_add_u32 s24, s24, s31
	s_mul_hi_u32 s3, s26, s2
	s_addc_u32 s24, s35, s25
	s_addc_u32 s3, s3, 0
	s_mul_i32 s2, s26, s2
	s_add_u32 s2, s24, s2
	s_addc_u32 s24, 0, s3
	s_add_u32 s25, s34, s2
	s_cselect_b64 s[2:3], -1, 0
	s_cmp_lg_u64 s[2:3], 0
	s_addc_u32 s2, s26, s24
	s_mul_i32 s24, s30, s2
	s_mul_hi_u32 s26, s30, s25
	s_mul_hi_u32 s3, s30, s2
	s_add_u32 s24, s26, s24
	s_addc_u32 s3, 0, s3
	s_mul_hi_u32 s31, s27, s25
	s_mul_i32 s25, s27, s25
	s_add_u32 s24, s24, s25
	s_mul_hi_u32 s26, s27, s2
	s_addc_u32 s3, s3, s31
	s_addc_u32 s24, s26, 0
	s_mul_i32 s2, s27, s2
	s_add_u32 s2, s3, s2
	s_addc_u32 s3, 0, s24
	s_mul_i32 s3, s33, s3
	s_mul_hi_u32 s24, s33, s2
	s_add_i32 s24, s24, s3
	s_mul_i32 s2, s33, s2
	s_sub_u32 s25, s30, s2
	s_cselect_b64 s[2:3], -1, 0
	s_cmp_lg_u64 s[2:3], 0
	s_subb_u32 s24, s27, s24
	s_sub_u32 s26, s25, s33
	s_cselect_b64 s[2:3], -1, 0
	s_cmp_lg_u64 s[2:3], 0
	s_subb_u32 s31, s24, 0
	;; [unrolled: 4-line block ×3, first 2 shown]
	s_cmp_ge_u32 s26, s33
	s_cselect_b32 s3, -1, 0
	s_cmp_eq_u32 s31, 0
	s_cselect_b32 s3, s3, -1
	s_cmp_lg_u32 s3, 0
	s_cselect_b32 s2, s2, s31
	s_cselect_b32 s26, s34, s26
	s_cmp_ge_u32 s25, s33
	s_cselect_b32 s3, -1, 0
	s_cmp_eq_u32 s24, 0
	s_cselect_b32 s3, s3, -1
	s_cmp_lg_u32 s3, 0
	s_cselect_b32 s3, s2, s24
	s_cselect_b32 s2, s26, s25
	s_cbranch_execnz .LBB100_127
.LBB100_126:                            ;   in Loop: Header=BB100_11 Depth=1
	v_cvt_f32_u32_e32 v3, s33
	s_sub_i32 s2, 0, s33
	v_rcp_iflag_f32_e32 v3, v3
	v_mul_f32_e32 v3, 0x4f7ffffe, v3
	v_cvt_u32_f32_e32 v3, v3
	v_readfirstlane_b32 s3, v3
	s_mul_i32 s2, s2, s3
	s_mul_hi_u32 s2, s3, s2
	s_add_i32 s3, s3, s2
	s_mul_hi_u32 s2, s30, s3
	s_mul_i32 s2, s2, s33
	s_sub_i32 s2, s30, s2
	s_sub_i32 s3, s2, s33
	s_cmp_ge_u32 s2, s33
	s_cselect_b32 s2, s3, s2
	s_sub_i32 s3, s2, s33
	s_cmp_ge_u32 s2, s33
	s_cselect_b32 s38, s3, s2
	s_mov_b64 s[2:3], s[38:39]
.LBB100_127:                            ;   in Loop: Header=BB100_11 Depth=1
	s_sub_u32 s34, s30, s2
	s_subb_u32 s35, s27, s3
	v_cmp_gt_u64_e32 vcc, s[34:35], v[0:1]
	s_mov_b64 s[26:27], 0
                                        ; implicit-def: $vgpr5_vgpr6
	s_and_saveexec_b64 s[30:31], vcc
	s_cbranch_execz .LBB100_141
; %bb.128:                              ;   in Loop: Header=BB100_11 Depth=1
	v_mov_b32_e32 v8, v1
	s_mov_b64 s[50:51], 0
	v_mov_b32_e32 v13, v38
	v_mov_b32_e32 v7, v0
                                        ; implicit-def: $sgpr84_sgpr85
	s_branch .LBB100_131
.LBB100_129:                            ;   in Loop: Header=BB100_131 Depth=2
	s_or_b64 exec, exec, s[52:53]
	s_waitcnt lgkmcnt(0)
	s_barrier
	ds_read_b128 v[3:6], v18 offset:3072
	s_mov_b64 s[2:3], -1
	s_mov_b64 s[52:53], -1
	s_waitcnt lgkmcnt(0)
	s_barrier
	v_cmp_ne_u64_e32 vcc, 0, v[3:4]
	s_cbranch_vccz .LBB100_134
.LBB100_130:                            ;   in Loop: Header=BB100_131 Depth=2
	s_and_b64 s[2:3], exec, s[2:3]
	s_or_b64 s[50:51], s[2:3], s[50:51]
	s_andn2_b64 s[2:3], s[84:85], exec
	s_and_b64 s[24:25], s[52:53], exec
	s_or_b64 s[84:85], s[2:3], s[24:25]
	s_andn2_b64 exec, exec, s[50:51]
	s_cbranch_execz .LBB100_140
.LBB100_131:                            ;   Parent Loop BB100_11 Depth=1
                                        ; =>  This Inner Loop Header: Depth=2
	v_cmp_gt_u64_e32 vcc, s[22:23], v[7:8]
	s_and_saveexec_b64 s[52:53], vcc
	s_cbranch_execz .LBB100_129
; %bb.132:                              ;   in Loop: Header=BB100_131 Depth=2
	ds_read_b64 v[4:5], v13
	s_waitcnt lgkmcnt(0)
	v_xor_b32_e32 v3, 0x80000000, v5
	v_and_b32_e32 v32, v3, v30
	v_and_b32_e32 v31, v4, v29
	v_cmp_eq_u64_e32 vcc, v[31:32], v[25:26]
	s_and_b64 exec, exec, vcc
	s_cbranch_execz .LBB100_129
; %bb.133:                              ;   in Loop: Header=BB100_131 Depth=2
	v_mov_b32_e32 v3, v18
	ds_write_b128 v18, v[2:5] offset:3072
	s_branch .LBB100_129
.LBB100_134:                            ;   in Loop: Header=BB100_131 Depth=2
	v_add_co_u32_e32 v7, vcc, s33, v7
	v_addc_co_u32_e32 v8, vcc, 0, v8, vcc
	v_cmp_le_u64_e32 vcc, s[34:35], v[7:8]
	v_add_u32_e32 v13, s8, v13
	s_mov_b64 s[52:53], 0
	s_orn2_b64 s[2:3], vcc, exec
	s_branch .LBB100_130
.LBB100_135:                            ;   in Loop: Header=BB100_11 Depth=1
                                        ; implicit-def: $sgpr2_sgpr3
	s_branch .LBB100_83
.LBB100_136:                            ;   in Loop: Header=BB100_11 Depth=1
	s_or_b64 exec, exec, s[14:15]
	s_waitcnt lgkmcnt(0)
	s_barrier
	s_mov_b64 s[2:3], exec
	v_readlane_b32 s6, v57, 0
	v_readlane_b32 s7, v57, 1
	s_and_b64 s[6:7], s[2:3], s[6:7]
	s_mov_b64 exec, s[6:7]
	s_cbranch_execz .LBB100_138
; %bb.137:                              ;   in Loop: Header=BB100_11 Depth=1
	ds_read_b32 v3, v18 offset:5144
	s_waitcnt lgkmcnt(0)
	v_ashrrev_i32_e32 v4, 31, v3
	ds_write_b64 v18, v[3:4] offset:5120
.LBB100_138:                            ;   in Loop: Header=BB100_11 Depth=1
	s_or_b64 exec, exec, s[2:3]
	s_waitcnt lgkmcnt(0)
	s_barrier
	s_mov_b64 s[6:7], -1
	s_and_b64 vcc, exec, s[12:13]
	s_cbranch_vccnz .LBB100_27
	s_branch .LBB100_36
.LBB100_139:                            ;   in Loop: Header=BB100_11 Depth=1
                                        ; implicit-def: $sgpr2_sgpr3
	s_branch .LBB100_97
.LBB100_140:                            ;   in Loop: Header=BB100_11 Depth=1
	s_or_b64 exec, exec, s[50:51]
	s_and_b64 s[84:85], s[84:85], exec
.LBB100_141:                            ;   in Loop: Header=BB100_11 Depth=1
	s_or_b64 exec, exec, s[30:31]
.LBB100_142:                            ;   in Loop: Header=BB100_11 Depth=1
	s_and_b64 vcc, exec, s[26:27]
	s_cbranch_vccz .LBB100_156
; %bb.143:                              ;   in Loop: Header=BB100_11 Depth=1
	s_mov_b32 s46, s39
	s_cmp_lg_u64 s[46:47], 0
	s_cbranch_scc0 .LBB100_185
; %bb.144:                              ;   in Loop: Header=BB100_11 Depth=1
	v_cvt_f32_u32_e32 v3, s33
	s_sub_u32 s6, 0, s33
	s_subb_u32 s7, 0, 0
	v_mac_f32_e32 v3, 0, v48
	v_rcp_f32_e32 v3, v3
	v_mul_f32_e32 v3, 0x5f7ffffc, v3
	v_mul_f32_e32 v4, 0x2f800000, v3
	v_trunc_f32_e32 v4, v4
	v_mac_f32_e32 v3, 0xcf800000, v4
	v_cvt_u32_f32_e32 v4, v4
	v_cvt_u32_f32_e32 v3, v3
	v_readfirstlane_b32 s22, v4
	v_readfirstlane_b32 s2, v3
	s_mul_i32 s3, s6, s22
	s_mul_hi_u32 s24, s6, s2
	s_mul_i32 s23, s7, s2
	s_add_i32 s3, s24, s3
	s_mul_i32 s25, s6, s2
	s_add_i32 s3, s3, s23
	s_mul_hi_u32 s24, s2, s25
	s_mul_i32 s26, s2, s3
	s_mul_hi_u32 s23, s2, s3
	s_add_u32 s24, s24, s26
	s_addc_u32 s23, 0, s23
	s_mul_hi_u32 s27, s22, s25
	s_mul_i32 s25, s22, s25
	s_add_u32 s24, s24, s25
	s_mul_hi_u32 s26, s22, s3
	s_addc_u32 s23, s23, s27
	s_addc_u32 s24, s26, 0
	s_mul_i32 s3, s22, s3
	s_add_u32 s3, s23, s3
	s_addc_u32 s23, 0, s24
	s_add_u32 s24, s2, s3
	s_cselect_b64 s[2:3], -1, 0
	s_cmp_lg_u64 s[2:3], 0
	s_addc_u32 s22, s22, s23
	s_mul_i32 s2, s6, s22
	s_mul_hi_u32 s3, s6, s24
	s_add_i32 s2, s3, s2
	s_mul_i32 s7, s7, s24
	s_add_i32 s2, s2, s7
	s_mul_i32 s6, s6, s24
	s_mul_hi_u32 s7, s22, s6
	s_mul_i32 s23, s22, s6
	s_mul_i32 s26, s24, s2
	s_mul_hi_u32 s6, s24, s6
	s_mul_hi_u32 s25, s24, s2
	s_add_u32 s6, s6, s26
	s_addc_u32 s25, 0, s25
	s_add_u32 s6, s6, s23
	s_mul_hi_u32 s3, s22, s2
	s_addc_u32 s6, s25, s7
	s_addc_u32 s3, s3, 0
	s_mul_i32 s2, s22, s2
	s_add_u32 s2, s6, s2
	s_addc_u32 s6, 0, s3
	s_add_u32 s7, s24, s2
	s_cselect_b64 s[2:3], -1, 0
	s_cmp_lg_u64 s[2:3], 0
	s_addc_u32 s2, s22, s6
	s_mul_i32 s6, s0, s2
	s_mul_hi_u32 s22, s0, s7
	s_mul_hi_u32 s3, s0, s2
	s_add_u32 s6, s22, s6
	s_addc_u32 s3, 0, s3
	s_mul_hi_u32 s23, s47, s7
	s_mul_i32 s7, s47, s7
	s_add_u32 s6, s6, s7
	s_mul_hi_u32 s22, s47, s2
	s_addc_u32 s3, s3, s23
	s_addc_u32 s6, s22, 0
	s_mul_i32 s2, s47, s2
	s_add_u32 s2, s3, s2
	s_addc_u32 s3, 0, s6
	s_mul_i32 s3, s33, s3
	s_mul_hi_u32 s6, s33, s2
	s_add_i32 s6, s6, s3
	s_mul_i32 s2, s33, s2
	s_sub_u32 s7, s0, s2
	s_cselect_b64 s[2:3], -1, 0
	s_cmp_lg_u64 s[2:3], 0
	s_subb_u32 s6, s47, s6
	s_sub_u32 s22, s7, s33
	s_cselect_b64 s[2:3], -1, 0
	s_cmp_lg_u64 s[2:3], 0
	s_subb_u32 s23, s6, 0
	;; [unrolled: 4-line block ×3, first 2 shown]
	s_cmp_ge_u32 s22, s33
	s_cselect_b32 s3, -1, 0
	s_cmp_eq_u32 s23, 0
	s_cselect_b32 s3, s3, -1
	s_cmp_lg_u32 s3, 0
	s_cselect_b32 s2, s2, s23
	s_cselect_b32 s22, s24, s22
	s_cmp_ge_u32 s7, s33
	s_cselect_b32 s3, -1, 0
	s_cmp_eq_u32 s6, 0
	s_cselect_b32 s3, s3, -1
	s_cmp_lg_u32 s3, 0
	s_cselect_b32 s3, s2, s6
	s_cselect_b32 s2, s22, s7
	s_cbranch_execnz .LBB100_146
.LBB100_145:                            ;   in Loop: Header=BB100_11 Depth=1
	v_cvt_f32_u32_e32 v3, s33
	s_sub_i32 s2, 0, s33
	v_rcp_iflag_f32_e32 v3, v3
	v_mul_f32_e32 v3, 0x4f7ffffe, v3
	v_cvt_u32_f32_e32 v3, v3
	v_readfirstlane_b32 s3, v3
	s_mul_i32 s2, s2, s3
	s_mul_hi_u32 s2, s3, s2
	s_add_i32 s3, s3, s2
	s_mul_hi_u32 s2, s0, s3
	s_mul_i32 s2, s2, s33
	s_sub_i32 s2, s0, s2
	s_sub_i32 s3, s2, s33
	s_cmp_ge_u32 s2, s33
	s_cselect_b32 s2, s3, s2
	s_sub_i32 s3, s2, s33
	s_cmp_ge_u32 s2, s33
	s_cselect_b32 s38, s3, s2
	s_mov_b64 s[2:3], s[38:39]
.LBB100_146:                            ;   in Loop: Header=BB100_11 Depth=1
	s_sub_u32 s22, s0, s2
	s_subb_u32 s23, s47, s3
	v_cmp_gt_u64_e32 vcc, s[22:23], v[0:1]
                                        ; implicit-def: $vgpr5_vgpr6
	s_and_saveexec_b64 s[6:7], vcc
	s_cbranch_execz .LBB100_155
; %bb.147:                              ;   in Loop: Header=BB100_11 Depth=1
	v_mov_b32_e32 v7, v15
	v_mov_b32_e32 v14, v1
	s_mov_b64 s[26:27], 0
	v_mov_b32_e32 v8, v16
	v_mov_b32_e32 v13, v0
                                        ; implicit-def: $sgpr30_sgpr31
	s_branch .LBB100_150
.LBB100_148:                            ;   in Loop: Header=BB100_150 Depth=2
	s_or_b64 exec, exec, s[34:35]
	s_waitcnt lgkmcnt(0)
	s_barrier
	ds_read_b128 v[3:6], v18 offset:3072
	s_mov_b64 s[2:3], -1
	s_mov_b64 s[34:35], -1
	s_waitcnt lgkmcnt(0)
	s_barrier
	v_cmp_eq_u64_e32 vcc, 0, v[3:4]
	s_cbranch_vccnz .LBB100_153
.LBB100_149:                            ;   in Loop: Header=BB100_150 Depth=2
	s_and_b64 s[2:3], exec, s[2:3]
	s_or_b64 s[26:27], s[2:3], s[26:27]
	s_andn2_b64 s[2:3], s[30:31], exec
	s_and_b64 s[24:25], s[34:35], exec
	s_or_b64 s[30:31], s[2:3], s[24:25]
	s_andn2_b64 exec, exec, s[26:27]
	s_cbranch_execz .LBB100_154
.LBB100_150:                            ;   Parent Loop BB100_11 Depth=1
                                        ; =>  This Inner Loop Header: Depth=2
	v_cmp_gt_u64_e32 vcc, s[20:21], v[13:14]
	s_and_saveexec_b64 s[34:35], vcc
	s_cbranch_execz .LBB100_148
; %bb.151:                              ;   in Loop: Header=BB100_150 Depth=2
	global_load_dwordx2 v[4:5], v[7:8], off
	s_waitcnt vmcnt(0)
	v_xor_b32_e32 v3, 0x80000000, v5
	v_and_b32_e32 v32, v3, v30
	v_and_b32_e32 v31, v4, v29
	v_cmp_eq_u64_e32 vcc, v[31:32], v[25:26]
	s_and_b64 exec, exec, vcc
	s_cbranch_execz .LBB100_148
; %bb.152:                              ;   in Loop: Header=BB100_150 Depth=2
	v_mov_b32_e32 v3, v18
	ds_write_b128 v18, v[2:5] offset:3072
	s_branch .LBB100_148
.LBB100_153:                            ;   in Loop: Header=BB100_150 Depth=2
	v_add_co_u32_e32 v13, vcc, s33, v13
	v_addc_co_u32_e32 v14, vcc, 0, v14, vcc
	v_mov_b32_e32 v3, s41
	v_add_co_u32_e32 v7, vcc, s40, v7
	v_addc_co_u32_e32 v8, vcc, v8, v3, vcc
	v_cmp_le_u64_e32 vcc, s[22:23], v[13:14]
	s_mov_b64 s[34:35], 0
	s_orn2_b64 s[2:3], vcc, exec
	s_branch .LBB100_149
.LBB100_154:                            ;   in Loop: Header=BB100_11 Depth=1
	s_or_b64 exec, exec, s[26:27]
	s_andn2_b64 s[2:3], s[84:85], exec
	s_and_b64 s[22:23], s[30:31], exec
	s_or_b64 s[84:85], s[2:3], s[22:23]
.LBB100_155:                            ;   in Loop: Header=BB100_11 Depth=1
	s_or_b64 exec, exec, s[6:7]
	s_mov_b64 s[6:7], 0
	s_mov_b64 s[78:79], -1
.LBB100_156:                            ;   in Loop: Header=BB100_11 Depth=1
	s_orn2_b64 s[22:23], s[84:85], exec
.LBB100_157:                            ;   in Loop: Header=BB100_11 Depth=1
	s_or_b64 exec, exec, s[80:81]
	s_mov_b64 s[26:27], 0
	s_and_saveexec_b64 s[80:81], s[22:23]
	s_cbranch_execz .LBB100_263
; %bb.158:                              ;   in Loop: Header=BB100_11 Depth=1
	v_mov_b32_e32 v7, 1
	s_xor_b64 s[2:3], s[82:83], -1
	v_mov_b32_e32 v33, 1
	v_mov_b32_e32 v8, 0
	s_and_saveexec_b64 s[22:23], s[2:3]
	s_cbranch_execz .LBB100_168
; %bb.159:                              ;   in Loop: Header=BB100_11 Depth=1
	v_cmp_le_u64_e32 vcc, v[11:12], v[9:10]
	s_and_saveexec_b64 s[2:3], vcc
	s_xor_b64 s[26:27], exec, s[2:3]
	s_cbranch_execz .LBB100_165
; %bb.160:                              ;   in Loop: Header=BB100_11 Depth=1
	ds_read_b64 v[3:4], v18 offset:5120
	s_lshl_b64 s[2:3], 1, s9
	v_and_b32_e32 v7, s77, v26
	v_and_b32_e32 v8, s76, v25
	v_or_b32_e32 v26, s3, v7
	s_waitcnt lgkmcnt(0)
	v_cmp_ne_u64_e32 vcc, 0, v[3:4]
	v_or_b32_e32 v25, s2, v8
	v_or_b32_e32 v30, s13, v30
	;; [unrolled: 1-line block ×3, first 2 shown]
	s_cbranch_vccnz .LBB100_164
; %bb.161:                              ;   in Loop: Header=BB100_11 Depth=1
	s_mov_b64 s[2:3], exec
	v_readlane_b32 s24, v57, 0
	v_readlane_b32 s25, v57, 1
	s_and_b64 s[24:25], s[2:3], s[24:25]
	s_mov_b64 exec, s[24:25]
; %bb.162:                              ;   in Loop: Header=BB100_11 Depth=1
	ds_write_b64 v18, v[9:10] offset:5128
; %bb.163:                              ;   in Loop: Header=BB100_11 Depth=1
	s_or_b64 exec, exec, s[2:3]
	s_waitcnt lgkmcnt(0)
	s_barrier
.LBB100_164:                            ;   in Loop: Header=BB100_11 Depth=1
                                        ; implicit-def: $vgpr7_vgpr8_vgpr9_vgpr10
.LBB100_165:                            ;   in Loop: Header=BB100_11 Depth=1
	s_or_saveexec_b64 s[26:27], s[26:27]
	s_mov_b64 s[30:31], 0
	v_mov_b32_e32 v33, 8
	s_xor_b64 exec, exec, s[26:27]
; %bb.166:                              ;   in Loop: Header=BB100_11 Depth=1
	v_sub_co_u32_e32 v11, vcc, v11, v9
	s_mov_b64 s[30:31], exec
	v_subb_co_u32_e32 v12, vcc, v12, v10, vcc
	v_mov_b32_e32 v33, 0
; %bb.167:                              ;   in Loop: Header=BB100_11 Depth=1
	s_or_b64 exec, exec, s[26:27]
	v_mov_b32_e32 v7, v11
	s_and_b64 s[26:27], s[30:31], exec
	v_mov_b32_e32 v8, v12
.LBB100_168:                            ;   in Loop: Header=BB100_11 Depth=1
	s_or_b64 exec, exec, s[22:23]
	s_mov_b64 s[22:23], -1
                                        ; implicit-def: $sgpr84_sgpr85
                                        ; implicit-def: $sgpr86_sgpr87
	s_and_saveexec_b64 s[82:83], s[26:27]
	s_cbranch_execz .LBB100_262
; %bb.169:                              ;   in Loop: Header=BB100_11 Depth=1
	s_cmp_eq_u64 s[74:75], 1
	v_cmp_eq_u64_e32 vcc, 1, v[7:8]
	s_cselect_b64 s[2:3], -1, 0
	s_and_b64 s[90:91], s[2:3], vcc
                                        ; implicit-def: $sgpr86_sgpr87
                                        ; implicit-def: $sgpr84_sgpr85
	s_and_saveexec_b64 s[88:89], s[90:91]
	s_cbranch_execz .LBB100_203
; %bb.170:                              ;   in Loop: Header=BB100_11 Depth=1
	ds_read_b64 v[3:4], v18 offset:5120
	s_waitcnt lgkmcnt(0)
	s_barrier
	v_readfirstlane_b32 s22, v3
	v_readfirstlane_b32 s23, v4
	s_and_saveexec_b64 s[2:3], s[16:17]
; %bb.171:                              ;   in Loop: Header=BB100_11 Depth=1
	v_mov_b32_e32 v17, v18
	ds_write_b64 v39, v[17:18]
; %bb.172:                              ;   in Loop: Header=BB100_11 Depth=1
	s_or_b64 exec, exec, s[2:3]
	s_lshl_b64 s[2:3], 2, s9
	v_and_b32_e32 v3, s77, v26
	v_and_b32_e32 v4, s76, v25
	v_or_b32_e32 v26, s3, v3
	v_or_b32_e32 v25, s2, v4
	;; [unrolled: 1-line block ×4, first 2 shown]
	s_mov_b64 s[84:85], -1
	s_mov_b64 s[86:87], 0
	s_cmp_eq_u64 s[22:23], 0
	s_mov_b64 s[92:93], 0
	s_mov_b64 s[26:27], -1
	s_waitcnt lgkmcnt(0)
	s_barrier
                                        ; implicit-def: $vgpr5_vgpr6
	s_cbranch_scc1 .LBB100_188
; %bb.173:                              ;   in Loop: Header=BB100_11 Depth=1
	s_add_u32 s30, s22, s55
	v_readlane_b32 s2, v57, 16
	s_addc_u32 s27, s23, s2
	s_mov_b32 s26, s39
	s_cmp_lg_u64 s[26:27], 0
	s_cbranch_scc0 .LBB100_229
; %bb.174:                              ;   in Loop: Header=BB100_11 Depth=1
	v_cvt_f32_u32_e32 v3, s33
	s_sub_u32 s24, 0, s33
	s_subb_u32 s25, 0, 0
	v_mac_f32_e32 v3, 0, v48
	v_rcp_f32_e32 v3, v3
	v_mul_f32_e32 v3, 0x5f7ffffc, v3
	v_mul_f32_e32 v4, 0x2f800000, v3
	v_trunc_f32_e32 v4, v4
	v_mac_f32_e32 v3, 0xcf800000, v4
	v_cvt_u32_f32_e32 v4, v4
	v_cvt_u32_f32_e32 v3, v3
	v_readfirstlane_b32 s26, v4
	v_readfirstlane_b32 s2, v3
	s_mul_i32 s3, s24, s26
	s_mul_hi_u32 s34, s24, s2
	s_mul_i32 s31, s25, s2
	s_add_i32 s3, s34, s3
	s_mul_i32 s35, s24, s2
	s_add_i32 s3, s3, s31
	s_mul_hi_u32 s34, s2, s35
	s_mul_i32 s38, s2, s3
	s_mul_hi_u32 s31, s2, s3
	s_add_u32 s34, s34, s38
	s_addc_u32 s31, 0, s31
	s_mul_hi_u32 s46, s26, s35
	s_mul_i32 s35, s26, s35
	s_add_u32 s34, s34, s35
	s_mul_hi_u32 s38, s26, s3
	s_addc_u32 s31, s31, s46
	s_addc_u32 s34, s38, 0
	s_mul_i32 s3, s26, s3
	s_add_u32 s3, s31, s3
	s_addc_u32 s31, 0, s34
	s_add_u32 s34, s2, s3
	s_cselect_b64 s[2:3], -1, 0
	s_cmp_lg_u64 s[2:3], 0
	s_addc_u32 s26, s26, s31
	s_mul_i32 s2, s24, s26
	s_mul_hi_u32 s3, s24, s34
	s_add_i32 s2, s3, s2
	s_mul_i32 s25, s25, s34
	s_add_i32 s2, s2, s25
	s_mul_i32 s24, s24, s34
	s_mul_hi_u32 s25, s26, s24
	s_mul_i32 s31, s26, s24
	s_mul_i32 s38, s34, s2
	s_mul_hi_u32 s24, s34, s24
	s_mul_hi_u32 s35, s34, s2
	s_add_u32 s24, s24, s38
	s_addc_u32 s35, 0, s35
	s_add_u32 s24, s24, s31
	s_mul_hi_u32 s3, s26, s2
	s_addc_u32 s24, s35, s25
	s_addc_u32 s3, s3, 0
	s_mul_i32 s2, s26, s2
	s_add_u32 s2, s24, s2
	s_addc_u32 s24, 0, s3
	s_add_u32 s25, s34, s2
	s_cselect_b64 s[2:3], -1, 0
	s_cmp_lg_u64 s[2:3], 0
	s_addc_u32 s2, s26, s24
	s_mul_i32 s24, s30, s2
	s_mul_hi_u32 s26, s30, s25
	s_mul_hi_u32 s3, s30, s2
	s_add_u32 s24, s26, s24
	s_addc_u32 s3, 0, s3
	s_mul_hi_u32 s31, s27, s25
	s_mul_i32 s25, s27, s25
	s_add_u32 s24, s24, s25
	s_mul_hi_u32 s26, s27, s2
	s_addc_u32 s3, s3, s31
	s_addc_u32 s24, s26, 0
	s_mul_i32 s2, s27, s2
	s_add_u32 s2, s3, s2
	s_addc_u32 s3, 0, s24
	s_mul_i32 s3, s33, s3
	s_mul_hi_u32 s24, s33, s2
	s_add_i32 s24, s24, s3
	s_mul_i32 s2, s33, s2
	s_sub_u32 s25, s30, s2
	s_cselect_b64 s[2:3], -1, 0
	s_cmp_lg_u64 s[2:3], 0
	s_subb_u32 s24, s27, s24
	s_sub_u32 s26, s25, s33
	s_cselect_b64 s[2:3], -1, 0
	s_cmp_lg_u64 s[2:3], 0
	s_subb_u32 s31, s24, 0
	;; [unrolled: 4-line block ×3, first 2 shown]
	s_cmp_ge_u32 s26, s33
	s_cselect_b32 s3, -1, 0
	s_cmp_eq_u32 s31, 0
	s_cselect_b32 s3, s3, -1
	s_cmp_lg_u32 s3, 0
	s_cselect_b32 s2, s2, s31
	s_cselect_b32 s26, s34, s26
	s_cmp_ge_u32 s25, s33
	s_cselect_b32 s3, -1, 0
	s_cmp_eq_u32 s24, 0
	s_cselect_b32 s3, s3, -1
	s_cmp_lg_u32 s3, 0
	s_cselect_b32 s3, s2, s24
	s_cselect_b32 s2, s26, s25
	s_cbranch_execnz .LBB100_176
.LBB100_175:                            ;   in Loop: Header=BB100_11 Depth=1
	v_cvt_f32_u32_e32 v3, s33
	s_sub_i32 s2, 0, s33
	v_rcp_iflag_f32_e32 v3, v3
	v_mul_f32_e32 v3, 0x4f7ffffe, v3
	v_cvt_u32_f32_e32 v3, v3
	v_readfirstlane_b32 s3, v3
	s_mul_i32 s2, s2, s3
	s_mul_hi_u32 s2, s3, s2
	s_add_i32 s3, s3, s2
	s_mul_hi_u32 s2, s30, s3
	s_mul_i32 s2, s2, s33
	s_sub_i32 s2, s30, s2
	s_sub_i32 s3, s2, s33
	s_cmp_ge_u32 s2, s33
	s_cselect_b32 s2, s3, s2
	s_sub_i32 s3, s2, s33
	s_cmp_ge_u32 s2, s33
	s_cselect_b32 s38, s3, s2
	s_mov_b64 s[2:3], s[38:39]
.LBB100_176:                            ;   in Loop: Header=BB100_11 Depth=1
	s_sub_u32 s34, s30, s2
	s_subb_u32 s35, s27, s3
	v_cmp_gt_u64_e32 vcc, s[34:35], v[0:1]
	s_mov_b64 s[26:27], 0
                                        ; implicit-def: $vgpr5_vgpr6
	s_and_saveexec_b64 s[30:31], vcc
	s_cbranch_execz .LBB100_187
; %bb.177:                              ;   in Loop: Header=BB100_11 Depth=1
	v_mov_b32_e32 v10, v1
	s_mov_b64 s[50:51], 0
	v_mov_b32_e32 v11, v38
	v_mov_b32_e32 v9, v0
                                        ; implicit-def: $sgpr92_sgpr93
	s_branch .LBB100_180
.LBB100_178:                            ;   in Loop: Header=BB100_180 Depth=2
	s_or_b64 exec, exec, s[52:53]
	s_waitcnt lgkmcnt(0)
	s_barrier
	ds_read_b128 v[3:6], v18 offset:3072
	s_mov_b64 s[2:3], -1
	s_mov_b64 s[52:53], -1
	s_waitcnt lgkmcnt(0)
	s_barrier
	v_cmp_ne_u64_e32 vcc, 0, v[3:4]
	s_cbranch_vccz .LBB100_183
.LBB100_179:                            ;   in Loop: Header=BB100_180 Depth=2
	s_and_b64 s[2:3], exec, s[2:3]
	s_or_b64 s[50:51], s[2:3], s[50:51]
	s_andn2_b64 s[2:3], s[92:93], exec
	s_and_b64 s[24:25], s[52:53], exec
	s_or_b64 s[92:93], s[2:3], s[24:25]
	s_andn2_b64 exec, exec, s[50:51]
	s_cbranch_execz .LBB100_186
.LBB100_180:                            ;   Parent Loop BB100_11 Depth=1
                                        ; =>  This Inner Loop Header: Depth=2
	v_cmp_gt_u64_e32 vcc, s[22:23], v[9:10]
	s_and_saveexec_b64 s[52:53], vcc
	s_cbranch_execz .LBB100_178
; %bb.181:                              ;   in Loop: Header=BB100_180 Depth=2
	ds_read_b64 v[4:5], v11
	s_waitcnt lgkmcnt(0)
	v_xor_b32_e32 v3, 0x80000000, v5
	v_and_b32_e32 v13, v3, v30
	v_and_b32_e32 v12, v4, v29
	v_cmp_eq_u64_e32 vcc, v[12:13], v[25:26]
	s_and_b64 exec, exec, vcc
	s_cbranch_execz .LBB100_178
; %bb.182:                              ;   in Loop: Header=BB100_180 Depth=2
	v_mov_b32_e32 v3, v18
	ds_write_b128 v18, v[2:5] offset:3072
	s_branch .LBB100_178
.LBB100_183:                            ;   in Loop: Header=BB100_180 Depth=2
	v_add_co_u32_e32 v9, vcc, s33, v9
	v_addc_co_u32_e32 v10, vcc, 0, v10, vcc
	v_cmp_le_u64_e32 vcc, s[34:35], v[9:10]
	v_add_u32_e32 v11, s8, v11
	s_mov_b64 s[52:53], 0
	s_orn2_b64 s[2:3], vcc, exec
	s_branch .LBB100_179
.LBB100_184:                            ;   in Loop: Header=BB100_11 Depth=1
                                        ; implicit-def: $sgpr2_sgpr3
	s_branch .LBB100_126
.LBB100_185:                            ;   in Loop: Header=BB100_11 Depth=1
                                        ; implicit-def: $sgpr2_sgpr3
	s_branch .LBB100_145
.LBB100_186:                            ;   in Loop: Header=BB100_11 Depth=1
	s_or_b64 exec, exec, s[50:51]
	s_and_b64 s[92:93], s[92:93], exec
.LBB100_187:                            ;   in Loop: Header=BB100_11 Depth=1
	s_or_b64 exec, exec, s[30:31]
.LBB100_188:                            ;   in Loop: Header=BB100_11 Depth=1
	s_and_b64 vcc, exec, s[26:27]
	s_cbranch_vccz .LBB100_202
; %bb.189:                              ;   in Loop: Header=BB100_11 Depth=1
	s_mov_b32 s46, s39
	s_cmp_lg_u64 s[46:47], 0
	s_cbranch_scc0 .LBB100_230
; %bb.190:                              ;   in Loop: Header=BB100_11 Depth=1
	v_cvt_f32_u32_e32 v3, s33
	s_sub_u32 s22, 0, s33
	s_subb_u32 s23, 0, 0
	v_mac_f32_e32 v3, 0, v48
	v_rcp_f32_e32 v3, v3
	v_mul_f32_e32 v3, 0x5f7ffffc, v3
	v_mul_f32_e32 v4, 0x2f800000, v3
	v_trunc_f32_e32 v4, v4
	v_mac_f32_e32 v3, 0xcf800000, v4
	v_cvt_u32_f32_e32 v4, v4
	v_cvt_u32_f32_e32 v3, v3
	v_readfirstlane_b32 s24, v4
	v_readfirstlane_b32 s2, v3
	s_mul_i32 s3, s22, s24
	s_mul_hi_u32 s26, s22, s2
	s_mul_i32 s25, s23, s2
	s_add_i32 s3, s26, s3
	s_mul_i32 s27, s22, s2
	s_add_i32 s3, s3, s25
	s_mul_hi_u32 s26, s2, s27
	s_mul_i32 s30, s2, s3
	s_mul_hi_u32 s25, s2, s3
	s_add_u32 s26, s26, s30
	s_addc_u32 s25, 0, s25
	s_mul_hi_u32 s31, s24, s27
	s_mul_i32 s27, s24, s27
	s_add_u32 s26, s26, s27
	s_mul_hi_u32 s30, s24, s3
	s_addc_u32 s25, s25, s31
	s_addc_u32 s26, s30, 0
	s_mul_i32 s3, s24, s3
	s_add_u32 s3, s25, s3
	s_addc_u32 s25, 0, s26
	s_add_u32 s26, s2, s3
	s_cselect_b64 s[2:3], -1, 0
	s_cmp_lg_u64 s[2:3], 0
	s_addc_u32 s24, s24, s25
	s_mul_i32 s2, s22, s24
	s_mul_hi_u32 s3, s22, s26
	s_add_i32 s2, s3, s2
	s_mul_i32 s23, s23, s26
	s_add_i32 s2, s2, s23
	s_mul_i32 s22, s22, s26
	s_mul_hi_u32 s23, s24, s22
	s_mul_i32 s25, s24, s22
	s_mul_i32 s30, s26, s2
	s_mul_hi_u32 s22, s26, s22
	s_mul_hi_u32 s27, s26, s2
	s_add_u32 s22, s22, s30
	s_addc_u32 s27, 0, s27
	s_add_u32 s22, s22, s25
	s_mul_hi_u32 s3, s24, s2
	s_addc_u32 s22, s27, s23
	s_addc_u32 s3, s3, 0
	s_mul_i32 s2, s24, s2
	s_add_u32 s2, s22, s2
	s_addc_u32 s22, 0, s3
	s_add_u32 s23, s26, s2
	s_cselect_b64 s[2:3], -1, 0
	s_cmp_lg_u64 s[2:3], 0
	s_addc_u32 s2, s24, s22
	s_mul_i32 s22, s0, s2
	s_mul_hi_u32 s24, s0, s23
	s_mul_hi_u32 s3, s0, s2
	s_add_u32 s22, s24, s22
	s_addc_u32 s3, 0, s3
	s_mul_hi_u32 s25, s47, s23
	s_mul_i32 s23, s47, s23
	s_add_u32 s22, s22, s23
	s_mul_hi_u32 s24, s47, s2
	s_addc_u32 s3, s3, s25
	s_addc_u32 s22, s24, 0
	s_mul_i32 s2, s47, s2
	s_add_u32 s2, s3, s2
	s_addc_u32 s3, 0, s22
	s_mul_i32 s3, s33, s3
	s_mul_hi_u32 s22, s33, s2
	s_add_i32 s22, s22, s3
	s_mul_i32 s2, s33, s2
	s_sub_u32 s23, s0, s2
	s_cselect_b64 s[2:3], -1, 0
	s_cmp_lg_u64 s[2:3], 0
	s_subb_u32 s22, s47, s22
	s_sub_u32 s24, s23, s33
	s_cselect_b64 s[2:3], -1, 0
	s_cmp_lg_u64 s[2:3], 0
	s_subb_u32 s25, s22, 0
	;; [unrolled: 4-line block ×3, first 2 shown]
	s_cmp_ge_u32 s24, s33
	s_cselect_b32 s3, -1, 0
	s_cmp_eq_u32 s25, 0
	s_cselect_b32 s3, s3, -1
	s_cmp_lg_u32 s3, 0
	s_cselect_b32 s2, s2, s25
	s_cselect_b32 s24, s26, s24
	s_cmp_ge_u32 s23, s33
	s_cselect_b32 s3, -1, 0
	s_cmp_eq_u32 s22, 0
	s_cselect_b32 s3, s3, -1
	s_cmp_lg_u32 s3, 0
	s_cselect_b32 s3, s2, s22
	s_cselect_b32 s2, s24, s23
	s_cbranch_execnz .LBB100_192
.LBB100_191:                            ;   in Loop: Header=BB100_11 Depth=1
	v_cvt_f32_u32_e32 v3, s33
	s_sub_i32 s2, 0, s33
	v_rcp_iflag_f32_e32 v3, v3
	v_mul_f32_e32 v3, 0x4f7ffffe, v3
	v_cvt_u32_f32_e32 v3, v3
	v_readfirstlane_b32 s3, v3
	s_mul_i32 s2, s2, s3
	s_mul_hi_u32 s2, s3, s2
	s_add_i32 s3, s3, s2
	s_mul_hi_u32 s2, s0, s3
	s_mul_i32 s2, s2, s33
	s_sub_i32 s2, s0, s2
	s_sub_i32 s3, s2, s33
	s_cmp_ge_u32 s2, s33
	s_cselect_b32 s2, s3, s2
	s_sub_i32 s3, s2, s33
	s_cmp_ge_u32 s2, s33
	s_cselect_b32 s38, s3, s2
	s_mov_b64 s[2:3], s[38:39]
.LBB100_192:                            ;   in Loop: Header=BB100_11 Depth=1
	s_sub_u32 s26, s0, s2
	s_subb_u32 s27, s47, s3
	v_cmp_gt_u64_e32 vcc, s[26:27], v[0:1]
                                        ; implicit-def: $vgpr5_vgpr6
	s_and_saveexec_b64 s[22:23], vcc
	s_cbranch_execz .LBB100_201
; %bb.193:                              ;   in Loop: Header=BB100_11 Depth=1
	v_mov_b32_e32 v9, v15
	v_mov_b32_e32 v12, v1
	s_mov_b64 s[30:31], 0
	v_mov_b32_e32 v10, v16
	v_mov_b32_e32 v11, v0
                                        ; implicit-def: $sgpr34_sgpr35
	s_branch .LBB100_196
.LBB100_194:                            ;   in Loop: Header=BB100_196 Depth=2
	s_or_b64 exec, exec, s[50:51]
	s_waitcnt lgkmcnt(0)
	s_barrier
	ds_read_b128 v[3:6], v18 offset:3072
	s_mov_b64 s[2:3], -1
	s_mov_b64 s[50:51], -1
	s_waitcnt lgkmcnt(0)
	s_barrier
	v_cmp_eq_u64_e32 vcc, 0, v[3:4]
	s_cbranch_vccnz .LBB100_199
.LBB100_195:                            ;   in Loop: Header=BB100_196 Depth=2
	s_and_b64 s[2:3], exec, s[2:3]
	s_or_b64 s[30:31], s[2:3], s[30:31]
	s_andn2_b64 s[2:3], s[34:35], exec
	s_and_b64 s[24:25], s[50:51], exec
	s_or_b64 s[34:35], s[2:3], s[24:25]
	s_andn2_b64 exec, exec, s[30:31]
	s_cbranch_execz .LBB100_200
.LBB100_196:                            ;   Parent Loop BB100_11 Depth=1
                                        ; =>  This Inner Loop Header: Depth=2
	v_cmp_gt_u64_e32 vcc, s[20:21], v[11:12]
	s_and_saveexec_b64 s[50:51], vcc
	s_cbranch_execz .LBB100_194
; %bb.197:                              ;   in Loop: Header=BB100_196 Depth=2
	global_load_dwordx2 v[4:5], v[9:10], off
	s_waitcnt vmcnt(0)
	v_xor_b32_e32 v3, 0x80000000, v5
	v_and_b32_e32 v14, v3, v30
	v_and_b32_e32 v13, v4, v29
	v_cmp_eq_u64_e32 vcc, v[13:14], v[25:26]
	s_and_b64 exec, exec, vcc
	s_cbranch_execz .LBB100_194
; %bb.198:                              ;   in Loop: Header=BB100_196 Depth=2
	v_mov_b32_e32 v3, v18
	ds_write_b128 v18, v[2:5] offset:3072
	s_branch .LBB100_194
.LBB100_199:                            ;   in Loop: Header=BB100_196 Depth=2
	v_add_co_u32_e32 v11, vcc, s33, v11
	v_addc_co_u32_e32 v12, vcc, 0, v12, vcc
	v_mov_b32_e32 v3, s41
	v_add_co_u32_e32 v9, vcc, s40, v9
	v_addc_co_u32_e32 v10, vcc, v10, v3, vcc
	v_cmp_le_u64_e32 vcc, s[26:27], v[11:12]
	s_mov_b64 s[50:51], 0
	s_orn2_b64 s[2:3], vcc, exec
	s_branch .LBB100_195
.LBB100_200:                            ;   in Loop: Header=BB100_11 Depth=1
	s_or_b64 exec, exec, s[30:31]
	s_andn2_b64 s[2:3], s[92:93], exec
	s_and_b64 s[24:25], s[34:35], exec
	s_or_b64 s[92:93], s[2:3], s[24:25]
.LBB100_201:                            ;   in Loop: Header=BB100_11 Depth=1
	s_or_b64 exec, exec, s[22:23]
	s_mov_b64 s[84:85], 0
	s_mov_b64 s[86:87], -1
.LBB100_202:                            ;   in Loop: Header=BB100_11 Depth=1
	s_orn2_b64 s[22:23], s[92:93], exec
.LBB100_203:                            ;   in Loop: Header=BB100_11 Depth=1
	s_or_b64 exec, exec, s[88:89]
	s_mov_b64 s[26:27], 0
	s_and_saveexec_b64 s[88:89], s[22:23]
	s_cbranch_execz .LBB100_261
; %bb.204:                              ;   in Loop: Header=BB100_11 Depth=1
	v_mov_b32_e32 v9, 1
	s_xor_b64 s[2:3], s[90:91], -1
	v_mov_b32_e32 v33, 1
	v_mov_b32_e32 v10, 0
	s_and_saveexec_b64 s[22:23], s[2:3]
	s_cbranch_execz .LBB100_213
; %bb.205:                              ;   in Loop: Header=BB100_11 Depth=1
	v_cmp_ge_u64_e32 vcc, s[74:75], v[7:8]
	s_and_saveexec_b64 s[2:3], vcc
	s_xor_b64 s[26:27], exec, s[2:3]
	s_cbranch_execz .LBB100_210
; %bb.206:                              ;   in Loop: Header=BB100_11 Depth=1
	ds_read_b64 v[3:4], v18 offset:5120
	s_lshl_b64 s[2:3], 2, s9
	v_and_b32_e32 v9, s77, v26
	v_and_b32_e32 v10, s76, v25
	v_or_b32_e32 v26, s3, v9
	s_waitcnt lgkmcnt(0)
	v_cmp_ne_u64_e32 vcc, 0, v[3:4]
	v_or_b32_e32 v25, s2, v10
	v_or_b32_e32 v30, s13, v30
	;; [unrolled: 1-line block ×3, first 2 shown]
	s_cbranch_vccnz .LBB100_210
; %bb.207:                              ;   in Loop: Header=BB100_11 Depth=1
	s_mov_b64 s[2:3], exec
	v_readlane_b32 s24, v57, 0
	v_readlane_b32 s25, v57, 1
	s_and_b64 s[24:25], s[2:3], s[24:25]
	s_mov_b64 exec, s[24:25]
; %bb.208:                              ;   in Loop: Header=BB100_11 Depth=1
	v_mov_b32_e32 v3, s74
	v_mov_b32_e32 v4, s75
	ds_write_b64 v18, v[3:4] offset:5128
; %bb.209:                              ;   in Loop: Header=BB100_11 Depth=1
	s_or_b64 exec, exec, s[2:3]
	s_waitcnt lgkmcnt(0)
	s_barrier
.LBB100_210:                            ;   in Loop: Header=BB100_11 Depth=1
	s_or_saveexec_b64 s[26:27], s[26:27]
	s_mov_b64 s[30:31], 0
	v_mov_b32_e32 v33, 8
	s_xor_b64 exec, exec, s[26:27]
; %bb.211:                              ;   in Loop: Header=BB100_11 Depth=1
	v_mov_b32_e32 v3, s75
	v_subrev_co_u32_e32 v7, vcc, s74, v7
	s_mov_b64 s[30:31], exec
	v_subb_co_u32_e32 v8, vcc, v8, v3, vcc
	v_mov_b32_e32 v33, 0
; %bb.212:                              ;   in Loop: Header=BB100_11 Depth=1
	s_or_b64 exec, exec, s[26:27]
	v_mov_b32_e32 v10, v8
	s_and_b64 s[26:27], s[30:31], exec
	v_mov_b32_e32 v9, v7
.LBB100_213:                            ;   in Loop: Header=BB100_11 Depth=1
	s_or_b64 exec, exec, s[22:23]
	s_mov_b64 s[22:23], -1
                                        ; implicit-def: $sgpr94_sgpr95
                                        ; implicit-def: $sgpr92_sgpr93
	s_and_saveexec_b64 s[74:75], s[26:27]
	s_cbranch_execz .LBB100_260
; %bb.214:                              ;   in Loop: Header=BB100_11 Depth=1
	s_cmp_eq_u64 s[10:11], 1
	v_cmp_eq_u64_e32 vcc, 1, v[9:10]
	s_cselect_b64 s[2:3], -1, 0
	s_and_b64 s[76:77], s[2:3], vcc
	s_mov_b64 s[26:27], -1
                                        ; implicit-def: $sgpr94_sgpr95
                                        ; implicit-def: $sgpr92_sgpr93
	s_and_saveexec_b64 s[90:91], s[76:77]
	s_cbranch_execz .LBB100_248
; %bb.215:                              ;   in Loop: Header=BB100_11 Depth=1
	ds_read_b64 v[3:4], v18 offset:5120
	s_waitcnt lgkmcnt(0)
	s_barrier
	v_readfirstlane_b32 s26, v3
	v_readfirstlane_b32 s27, v4
	s_and_saveexec_b64 s[2:3], s[16:17]
; %bb.216:                              ;   in Loop: Header=BB100_11 Depth=1
	v_mov_b32_e32 v17, v18
	ds_write_b64 v39, v[17:18]
; %bb.217:                              ;   in Loop: Header=BB100_11 Depth=1
	s_or_b64 exec, exec, s[2:3]
	v_or_b32_e32 v26, s13, v26
	v_or_b32_e32 v25, s12, v25
	;; [unrolled: 1-line block ×4, first 2 shown]
	s_mov_b64 s[92:93], -1
	s_mov_b64 s[94:95], 0
	s_cmp_eq_u64 s[26:27], 0
	s_mov_b64 s[22:23], 0
	s_mov_b64 s[30:31], -1
	s_waitcnt lgkmcnt(0)
	s_barrier
                                        ; implicit-def: $vgpr5_vgpr6
	s_cbranch_scc1 .LBB100_233
; %bb.218:                              ;   in Loop: Header=BB100_11 Depth=1
	s_add_u32 s30, s26, s55
	v_readlane_b32 s2, v57, 16
	s_addc_u32 s23, s27, s2
	s_mov_b32 s22, s39
	s_cmp_lg_u64 s[22:23], 0
	s_cbranch_scc0 .LBB100_267
; %bb.219:                              ;   in Loop: Header=BB100_11 Depth=1
	v_cvt_f32_u32_e32 v3, s33
	s_sub_u32 s22, 0, s33
	s_subb_u32 s24, 0, 0
	v_mac_f32_e32 v3, 0, v48
	v_rcp_f32_e32 v3, v3
	v_mul_f32_e32 v3, 0x5f7ffffc, v3
	v_mul_f32_e32 v4, 0x2f800000, v3
	v_trunc_f32_e32 v4, v4
	v_mac_f32_e32 v3, 0xcf800000, v4
	v_cvt_u32_f32_e32 v4, v4
	v_cvt_u32_f32_e32 v3, v3
	v_readfirstlane_b32 s25, v4
	v_readfirstlane_b32 s2, v3
	s_mul_i32 s3, s22, s25
	s_mul_hi_u32 s34, s22, s2
	s_mul_i32 s31, s24, s2
	s_add_i32 s3, s34, s3
	s_mul_i32 s35, s22, s2
	s_add_i32 s3, s3, s31
	s_mul_hi_u32 s34, s2, s35
	s_mul_i32 s38, s2, s3
	s_mul_hi_u32 s31, s2, s3
	s_add_u32 s34, s34, s38
	s_addc_u32 s31, 0, s31
	s_mul_hi_u32 s46, s25, s35
	s_mul_i32 s35, s25, s35
	s_add_u32 s34, s34, s35
	s_mul_hi_u32 s38, s25, s3
	s_addc_u32 s31, s31, s46
	s_addc_u32 s34, s38, 0
	s_mul_i32 s3, s25, s3
	s_add_u32 s3, s31, s3
	s_addc_u32 s31, 0, s34
	s_add_u32 s34, s2, s3
	s_cselect_b64 s[2:3], -1, 0
	s_cmp_lg_u64 s[2:3], 0
	s_addc_u32 s25, s25, s31
	s_mul_i32 s2, s22, s25
	s_mul_hi_u32 s3, s22, s34
	s_add_i32 s2, s3, s2
	s_mul_i32 s24, s24, s34
	s_add_i32 s2, s2, s24
	s_mul_i32 s22, s22, s34
	s_mul_hi_u32 s24, s25, s22
	s_mul_i32 s31, s25, s22
	s_mul_i32 s38, s34, s2
	s_mul_hi_u32 s22, s34, s22
	s_mul_hi_u32 s35, s34, s2
	s_add_u32 s22, s22, s38
	s_addc_u32 s35, 0, s35
	s_add_u32 s22, s22, s31
	s_mul_hi_u32 s3, s25, s2
	s_addc_u32 s22, s35, s24
	s_addc_u32 s3, s3, 0
	s_mul_i32 s2, s25, s2
	s_add_u32 s2, s22, s2
	s_addc_u32 s22, 0, s3
	s_add_u32 s24, s34, s2
	s_cselect_b64 s[2:3], -1, 0
	s_cmp_lg_u64 s[2:3], 0
	s_addc_u32 s2, s25, s22
	s_mul_i32 s22, s30, s2
	s_mul_hi_u32 s25, s30, s24
	s_mul_hi_u32 s3, s30, s2
	s_add_u32 s22, s25, s22
	s_addc_u32 s3, 0, s3
	s_mul_hi_u32 s31, s23, s24
	s_mul_i32 s24, s23, s24
	s_add_u32 s22, s22, s24
	s_mul_hi_u32 s25, s23, s2
	s_addc_u32 s3, s3, s31
	s_addc_u32 s22, s25, 0
	s_mul_i32 s2, s23, s2
	s_add_u32 s2, s3, s2
	s_addc_u32 s3, 0, s22
	s_mul_i32 s3, s33, s3
	s_mul_hi_u32 s22, s33, s2
	s_add_i32 s22, s22, s3
	s_mul_i32 s2, s33, s2
	s_sub_u32 s24, s30, s2
	s_cselect_b64 s[2:3], -1, 0
	s_cmp_lg_u64 s[2:3], 0
	s_subb_u32 s22, s23, s22
	s_sub_u32 s25, s24, s33
	s_cselect_b64 s[2:3], -1, 0
	s_cmp_lg_u64 s[2:3], 0
	s_subb_u32 s31, s22, 0
	;; [unrolled: 4-line block ×3, first 2 shown]
	s_cmp_ge_u32 s25, s33
	s_cselect_b32 s3, -1, 0
	s_cmp_eq_u32 s31, 0
	s_cselect_b32 s3, s3, -1
	s_cmp_lg_u32 s3, 0
	s_cselect_b32 s2, s2, s31
	s_cselect_b32 s25, s34, s25
	s_cmp_ge_u32 s24, s33
	s_cselect_b32 s3, -1, 0
	s_cmp_eq_u32 s22, 0
	s_cselect_b32 s3, s3, -1
	s_cmp_lg_u32 s3, 0
	s_cselect_b32 s3, s2, s22
	s_cselect_b32 s2, s25, s24
	s_cbranch_execnz .LBB100_221
.LBB100_220:                            ;   in Loop: Header=BB100_11 Depth=1
	v_cvt_f32_u32_e32 v3, s33
	s_sub_i32 s2, 0, s33
	v_rcp_iflag_f32_e32 v3, v3
	v_mul_f32_e32 v3, 0x4f7ffffe, v3
	v_cvt_u32_f32_e32 v3, v3
	v_readfirstlane_b32 s3, v3
	s_mul_i32 s2, s2, s3
	s_mul_hi_u32 s2, s3, s2
	s_add_i32 s3, s3, s2
	s_mul_hi_u32 s2, s30, s3
	s_mul_i32 s2, s2, s33
	s_sub_i32 s2, s30, s2
	s_sub_i32 s3, s2, s33
	s_cmp_ge_u32 s2, s33
	s_cselect_b32 s2, s3, s2
	s_sub_i32 s3, s2, s33
	s_cmp_ge_u32 s2, s33
	s_cselect_b32 s38, s3, s2
	s_mov_b64 s[2:3], s[38:39]
.LBB100_221:                            ;   in Loop: Header=BB100_11 Depth=1
	s_sub_u32 s50, s30, s2
	s_subb_u32 s51, s23, s3
	v_cmp_gt_u64_e32 vcc, s[50:51], v[0:1]
	s_mov_b64 s[30:31], 0
	s_mov_b64 s[22:23], 0
                                        ; implicit-def: $vgpr5_vgpr6
	s_and_saveexec_b64 s[34:35], vcc
	s_cbranch_execz .LBB100_232
; %bb.222:                              ;   in Loop: Header=BB100_11 Depth=1
	v_mov_b32_e32 v8, v1
	v_mov_b32_e32 v11, v38
	;; [unrolled: 1-line block ×3, first 2 shown]
                                        ; implicit-def: $sgpr52_sgpr53
	s_branch .LBB100_225
.LBB100_223:                            ;   in Loop: Header=BB100_225 Depth=2
	s_or_b64 exec, exec, s[2:3]
	s_waitcnt lgkmcnt(0)
	s_barrier
	ds_read_b128 v[3:6], v18 offset:3072
	s_mov_b64 s[2:3], -1
	s_mov_b64 s[24:25], -1
	s_waitcnt lgkmcnt(0)
	s_barrier
	v_cmp_ne_u64_e32 vcc, 0, v[3:4]
	s_cbranch_vccz .LBB100_228
.LBB100_224:                            ;   in Loop: Header=BB100_225 Depth=2
	s_and_b64 s[2:3], exec, s[2:3]
	s_or_b64 s[22:23], s[2:3], s[22:23]
	s_andn2_b64 s[2:3], s[52:53], exec
	s_and_b64 s[24:25], s[24:25], exec
	s_or_b64 s[52:53], s[2:3], s[24:25]
	s_andn2_b64 exec, exec, s[22:23]
	s_cbranch_execz .LBB100_231
.LBB100_225:                            ;   Parent Loop BB100_11 Depth=1
                                        ; =>  This Inner Loop Header: Depth=2
	v_cmp_gt_u64_e32 vcc, s[26:27], v[7:8]
	s_and_saveexec_b64 s[2:3], vcc
	s_cbranch_execz .LBB100_223
; %bb.226:                              ;   in Loop: Header=BB100_225 Depth=2
	ds_read_b64 v[4:5], v11
	s_waitcnt lgkmcnt(0)
	v_xor_b32_e32 v3, 0x80000000, v5
	v_and_b32_e32 v13, v3, v30
	v_and_b32_e32 v12, v4, v29
	v_cmp_eq_u64_e32 vcc, v[12:13], v[25:26]
	s_and_b64 exec, exec, vcc
	s_cbranch_execz .LBB100_223
; %bb.227:                              ;   in Loop: Header=BB100_225 Depth=2
	v_mov_b32_e32 v3, v18
	ds_write_b128 v18, v[2:5] offset:3072
	s_branch .LBB100_223
.LBB100_228:                            ;   in Loop: Header=BB100_225 Depth=2
	v_add_co_u32_e32 v7, vcc, s33, v7
	v_addc_co_u32_e32 v8, vcc, 0, v8, vcc
	v_cmp_le_u64_e32 vcc, s[50:51], v[7:8]
	v_add_u32_e32 v11, s8, v11
	s_mov_b64 s[24:25], 0
	s_orn2_b64 s[2:3], vcc, exec
	s_branch .LBB100_224
.LBB100_229:                            ;   in Loop: Header=BB100_11 Depth=1
                                        ; implicit-def: $sgpr2_sgpr3
	s_branch .LBB100_175
.LBB100_230:                            ;   in Loop: Header=BB100_11 Depth=1
                                        ; implicit-def: $sgpr2_sgpr3
	s_branch .LBB100_191
.LBB100_231:                            ;   in Loop: Header=BB100_11 Depth=1
	s_or_b64 exec, exec, s[22:23]
	s_and_b64 s[22:23], s[52:53], exec
.LBB100_232:                            ;   in Loop: Header=BB100_11 Depth=1
	s_or_b64 exec, exec, s[34:35]
.LBB100_233:                            ;   in Loop: Header=BB100_11 Depth=1
	s_and_b64 vcc, exec, s[30:31]
	s_cbranch_vccz .LBB100_247
; %bb.234:                              ;   in Loop: Header=BB100_11 Depth=1
	s_mov_b32 s46, s39
	s_cmp_lg_u64 s[46:47], 0
	s_cbranch_scc0 .LBB100_268
; %bb.235:                              ;   in Loop: Header=BB100_11 Depth=1
	v_cvt_f32_u32_e32 v3, s33
	s_sub_u32 s24, 0, s33
	s_subb_u32 s25, 0, 0
	v_mac_f32_e32 v3, 0, v48
	v_rcp_f32_e32 v3, v3
	v_mul_f32_e32 v3, 0x5f7ffffc, v3
	v_mul_f32_e32 v4, 0x2f800000, v3
	v_trunc_f32_e32 v4, v4
	v_mac_f32_e32 v3, 0xcf800000, v4
	v_cvt_u32_f32_e32 v4, v4
	v_cvt_u32_f32_e32 v3, v3
	v_readfirstlane_b32 s26, v4
	v_readfirstlane_b32 s2, v3
	s_mul_i32 s3, s24, s26
	s_mul_hi_u32 s30, s24, s2
	s_mul_i32 s27, s25, s2
	s_add_i32 s3, s30, s3
	s_mul_i32 s31, s24, s2
	s_add_i32 s3, s3, s27
	s_mul_hi_u32 s30, s2, s31
	s_mul_i32 s34, s2, s3
	s_mul_hi_u32 s27, s2, s3
	s_add_u32 s30, s30, s34
	s_addc_u32 s27, 0, s27
	s_mul_hi_u32 s35, s26, s31
	s_mul_i32 s31, s26, s31
	s_add_u32 s30, s30, s31
	s_mul_hi_u32 s34, s26, s3
	s_addc_u32 s27, s27, s35
	s_addc_u32 s30, s34, 0
	s_mul_i32 s3, s26, s3
	s_add_u32 s3, s27, s3
	s_addc_u32 s27, 0, s30
	s_add_u32 s30, s2, s3
	s_cselect_b64 s[2:3], -1, 0
	s_cmp_lg_u64 s[2:3], 0
	s_addc_u32 s26, s26, s27
	s_mul_i32 s2, s24, s26
	s_mul_hi_u32 s3, s24, s30
	s_add_i32 s2, s3, s2
	s_mul_i32 s25, s25, s30
	s_add_i32 s2, s2, s25
	s_mul_i32 s24, s24, s30
	s_mul_hi_u32 s25, s26, s24
	s_mul_i32 s27, s26, s24
	s_mul_i32 s34, s30, s2
	s_mul_hi_u32 s24, s30, s24
	s_mul_hi_u32 s31, s30, s2
	s_add_u32 s24, s24, s34
	s_addc_u32 s31, 0, s31
	s_add_u32 s24, s24, s27
	s_mul_hi_u32 s3, s26, s2
	s_addc_u32 s24, s31, s25
	s_addc_u32 s3, s3, 0
	s_mul_i32 s2, s26, s2
	s_add_u32 s2, s24, s2
	s_addc_u32 s24, 0, s3
	s_add_u32 s25, s30, s2
	s_cselect_b64 s[2:3], -1, 0
	s_cmp_lg_u64 s[2:3], 0
	s_addc_u32 s2, s26, s24
	s_mul_i32 s24, s0, s2
	s_mul_hi_u32 s26, s0, s25
	s_mul_hi_u32 s3, s0, s2
	s_add_u32 s24, s26, s24
	s_addc_u32 s3, 0, s3
	s_mul_hi_u32 s27, s47, s25
	s_mul_i32 s25, s47, s25
	s_add_u32 s24, s24, s25
	s_mul_hi_u32 s26, s47, s2
	s_addc_u32 s3, s3, s27
	s_addc_u32 s24, s26, 0
	s_mul_i32 s2, s47, s2
	s_add_u32 s2, s3, s2
	s_addc_u32 s3, 0, s24
	s_mul_i32 s3, s33, s3
	s_mul_hi_u32 s24, s33, s2
	s_add_i32 s24, s24, s3
	s_mul_i32 s2, s33, s2
	s_sub_u32 s25, s0, s2
	s_cselect_b64 s[2:3], -1, 0
	s_cmp_lg_u64 s[2:3], 0
	s_subb_u32 s24, s47, s24
	s_sub_u32 s26, s25, s33
	s_cselect_b64 s[2:3], -1, 0
	s_cmp_lg_u64 s[2:3], 0
	s_subb_u32 s27, s24, 0
	;; [unrolled: 4-line block ×3, first 2 shown]
	s_cmp_ge_u32 s26, s33
	s_cselect_b32 s3, -1, 0
	s_cmp_eq_u32 s27, 0
	s_cselect_b32 s3, s3, -1
	s_cmp_lg_u32 s3, 0
	s_cselect_b32 s2, s2, s27
	s_cselect_b32 s26, s30, s26
	s_cmp_ge_u32 s25, s33
	s_cselect_b32 s3, -1, 0
	s_cmp_eq_u32 s24, 0
	s_cselect_b32 s3, s3, -1
	s_cmp_lg_u32 s3, 0
	s_cselect_b32 s3, s2, s24
	s_cselect_b32 s2, s26, s25
	s_cbranch_execnz .LBB100_237
.LBB100_236:                            ;   in Loop: Header=BB100_11 Depth=1
	v_cvt_f32_u32_e32 v3, s33
	s_sub_i32 s2, 0, s33
	v_rcp_iflag_f32_e32 v3, v3
	v_mul_f32_e32 v3, 0x4f7ffffe, v3
	v_cvt_u32_f32_e32 v3, v3
	v_readfirstlane_b32 s3, v3
	s_mul_i32 s2, s2, s3
	s_mul_hi_u32 s2, s3, s2
	s_add_i32 s3, s3, s2
	s_mul_hi_u32 s2, s0, s3
	s_mul_i32 s2, s2, s33
	s_sub_i32 s2, s0, s2
	s_sub_i32 s3, s2, s33
	s_cmp_ge_u32 s2, s33
	s_cselect_b32 s2, s3, s2
	s_sub_i32 s3, s2, s33
	s_cmp_ge_u32 s2, s33
	s_cselect_b32 s38, s3, s2
	s_mov_b64 s[2:3], s[38:39]
.LBB100_237:                            ;   in Loop: Header=BB100_11 Depth=1
	s_sub_u32 s30, s0, s2
	s_subb_u32 s31, s47, s3
	v_cmp_gt_u64_e32 vcc, s[30:31], v[0:1]
                                        ; implicit-def: $vgpr5_vgpr6
	s_and_saveexec_b64 s[26:27], vcc
	s_cbranch_execz .LBB100_246
; %bb.238:                              ;   in Loop: Header=BB100_11 Depth=1
	v_mov_b32_e32 v7, v15
	v_mov_b32_e32 v12, v1
	s_mov_b64 s[34:35], 0
	v_mov_b32_e32 v8, v16
	v_mov_b32_e32 v11, v0
                                        ; implicit-def: $sgpr50_sgpr51
	s_branch .LBB100_241
.LBB100_239:                            ;   in Loop: Header=BB100_241 Depth=2
	s_or_b64 exec, exec, s[2:3]
	s_waitcnt lgkmcnt(0)
	s_barrier
	ds_read_b128 v[3:6], v18 offset:3072
	s_mov_b64 s[2:3], -1
	s_mov_b64 s[24:25], -1
	s_waitcnt lgkmcnt(0)
	s_barrier
	v_cmp_eq_u64_e32 vcc, 0, v[3:4]
	s_cbranch_vccnz .LBB100_244
.LBB100_240:                            ;   in Loop: Header=BB100_241 Depth=2
	s_and_b64 s[2:3], exec, s[2:3]
	s_or_b64 s[34:35], s[2:3], s[34:35]
	s_andn2_b64 s[2:3], s[50:51], exec
	s_and_b64 s[24:25], s[24:25], exec
	s_or_b64 s[50:51], s[2:3], s[24:25]
	s_andn2_b64 exec, exec, s[34:35]
	s_cbranch_execz .LBB100_245
.LBB100_241:                            ;   Parent Loop BB100_11 Depth=1
                                        ; =>  This Inner Loop Header: Depth=2
	v_cmp_gt_u64_e32 vcc, s[20:21], v[11:12]
	s_and_saveexec_b64 s[2:3], vcc
	s_cbranch_execz .LBB100_239
; %bb.242:                              ;   in Loop: Header=BB100_241 Depth=2
	global_load_dwordx2 v[4:5], v[7:8], off
	s_waitcnt vmcnt(0)
	v_xor_b32_e32 v3, 0x80000000, v5
	v_and_b32_e32 v14, v3, v30
	v_and_b32_e32 v13, v4, v29
	v_cmp_eq_u64_e32 vcc, v[13:14], v[25:26]
	s_and_b64 exec, exec, vcc
	s_cbranch_execz .LBB100_239
; %bb.243:                              ;   in Loop: Header=BB100_241 Depth=2
	v_mov_b32_e32 v3, v18
	ds_write_b128 v18, v[2:5] offset:3072
	s_branch .LBB100_239
.LBB100_244:                            ;   in Loop: Header=BB100_241 Depth=2
	v_add_co_u32_e32 v11, vcc, s33, v11
	v_addc_co_u32_e32 v12, vcc, 0, v12, vcc
	v_mov_b32_e32 v3, s41
	v_add_co_u32_e32 v7, vcc, s40, v7
	v_addc_co_u32_e32 v8, vcc, v8, v3, vcc
	v_cmp_le_u64_e32 vcc, s[30:31], v[11:12]
	s_mov_b64 s[24:25], 0
	s_orn2_b64 s[2:3], vcc, exec
	s_branch .LBB100_240
.LBB100_245:                            ;   in Loop: Header=BB100_11 Depth=1
	s_or_b64 exec, exec, s[34:35]
	s_andn2_b64 s[2:3], s[22:23], exec
	s_and_b64 s[22:23], s[50:51], exec
	s_or_b64 s[22:23], s[2:3], s[22:23]
.LBB100_246:                            ;   in Loop: Header=BB100_11 Depth=1
	s_or_b64 exec, exec, s[26:27]
	s_mov_b64 s[92:93], 0
	s_mov_b64 s[94:95], -1
.LBB100_247:                            ;   in Loop: Header=BB100_11 Depth=1
	s_orn2_b64 s[26:27], s[22:23], exec
.LBB100_248:                            ;   in Loop: Header=BB100_11 Depth=1
	s_or_b64 exec, exec, s[90:91]
	s_mov_b64 s[2:3], 0
	s_and_saveexec_b64 s[22:23], s[26:27]
	s_cbranch_execz .LBB100_259
; %bb.249:                              ;   in Loop: Header=BB100_11 Depth=1
	v_mov_b32_e32 v3, 1
	s_xor_b64 s[2:3], s[76:77], -1
	v_mov_b32_e32 v4, 0
	v_mov_b32_e32 v33, 1
	s_and_saveexec_b64 s[26:27], s[2:3]
	s_cbranch_execz .LBB100_258
; %bb.250:                              ;   in Loop: Header=BB100_11 Depth=1
	v_cmp_ge_u64_e32 vcc, s[10:11], v[9:10]
	s_and_saveexec_b64 s[2:3], vcc
	s_xor_b64 s[30:31], exec, s[2:3]
	s_cbranch_execz .LBB100_255
; %bb.251:                              ;   in Loop: Header=BB100_11 Depth=1
	ds_read_b64 v[3:4], v18 offset:5120
	v_or_b32_e32 v26, s13, v26
	v_or_b32_e32 v25, s12, v25
	;; [unrolled: 1-line block ×4, first 2 shown]
	s_waitcnt lgkmcnt(0)
	v_cmp_ne_u64_e32 vcc, 0, v[3:4]
	s_cbranch_vccnz .LBB100_255
; %bb.252:                              ;   in Loop: Header=BB100_11 Depth=1
	s_mov_b64 s[2:3], exec
	v_readlane_b32 s12, v57, 0
	v_readlane_b32 s13, v57, 1
	s_and_b64 s[12:13], s[2:3], s[12:13]
	s_mov_b64 exec, s[12:13]
; %bb.253:                              ;   in Loop: Header=BB100_11 Depth=1
	v_mov_b32_e32 v3, s10
	v_mov_b32_e32 v4, s11
	ds_write_b64 v18, v[3:4] offset:5128
; %bb.254:                              ;   in Loop: Header=BB100_11 Depth=1
	s_or_b64 exec, exec, s[2:3]
	s_waitcnt lgkmcnt(0)
	s_barrier
.LBB100_255:                            ;   in Loop: Header=BB100_11 Depth=1
	s_andn2_saveexec_b64 s[2:3], s[30:31]
; %bb.256:                              ;   in Loop: Header=BB100_11 Depth=1
	v_mov_b32_e32 v3, s11
	v_subrev_co_u32_e32 v9, vcc, s10, v9
	v_subb_co_u32_e32 v10, vcc, v10, v3, vcc
; %bb.257:                              ;   in Loop: Header=BB100_11 Depth=1
	s_or_b64 exec, exec, s[2:3]
	v_mov_b32_e32 v3, v9
	v_mov_b32_e32 v33, 8
	v_mov_b32_e32 v4, v10
.LBB100_258:                            ;   in Loop: Header=BB100_11 Depth=1
	s_or_b64 exec, exec, s[26:27]
	v_mov_b32_e32 v10, v4
	s_mov_b64 s[2:3], exec
	v_mov_b32_e32 v9, v3
.LBB100_259:                            ;   in Loop: Header=BB100_11 Depth=1
	s_or_b64 exec, exec, s[22:23]
	s_orn2_b64 s[22:23], s[2:3], exec
.LBB100_260:                            ;   in Loop: Header=BB100_11 Depth=1
	s_or_b64 exec, exec, s[74:75]
	s_andn2_b64 s[2:3], s[86:87], exec
	s_and_b64 s[10:11], s[94:95], exec
	s_or_b64 s[86:87], s[2:3], s[10:11]
	s_andn2_b64 s[2:3], s[84:85], exec
	s_and_b64 s[10:11], s[92:93], exec
	v_mov_b32_e32 v7, v9
	s_or_b64 s[84:85], s[2:3], s[10:11]
	s_and_b64 s[26:27], s[22:23], exec
	v_mov_b32_e32 v8, v10
.LBB100_261:                            ;   in Loop: Header=BB100_11 Depth=1
	s_or_b64 exec, exec, s[88:89]
	s_orn2_b64 s[22:23], s[26:27], exec
.LBB100_262:                            ;   in Loop: Header=BB100_11 Depth=1
	s_or_b64 exec, exec, s[82:83]
	s_andn2_b64 s[2:3], s[78:79], exec
	s_and_b64 s[10:11], s[86:87], exec
	s_or_b64 s[78:79], s[2:3], s[10:11]
	s_andn2_b64 s[2:3], s[6:7], exec
	s_and_b64 s[6:7], s[84:85], exec
	v_mov_b32_e32 v12, v8
	s_or_b64 s[6:7], s[2:3], s[6:7]
	s_and_b64 s[26:27], s[22:23], exec
	v_mov_b32_e32 v11, v7
.LBB100_263:                            ;   in Loop: Header=BB100_11 Depth=1
	s_or_b64 exec, exec, s[80:81]
	s_orn2_b64 s[22:23], s[26:27], exec
.LBB100_264:                            ;   in Loop: Header=BB100_11 Depth=1
	s_or_b64 exec, exec, s[72:73]
	s_mov_b64 s[12:13], 0
	s_and_saveexec_b64 s[2:3], s[22:23]
	s_xor_b64 s[10:11], exec, s[2:3]
	s_cbranch_execz .LBB100_9
; %bb.265:                              ;   in Loop: Header=BB100_11 Depth=1
	v_and_b32_e32 v3, 7, v33
	v_cmp_eq_u32_e32 vcc, 0, v3
	s_mov_b64 s[18:19], -1
	s_mov_b64 s[2:3], -1
	s_and_saveexec_b64 s[12:13], vcc
	s_cbranch_execz .LBB100_8
; %bb.266:                              ;   in Loop: Header=BB100_11 Depth=1
	s_xor_b32 s54, s54, 1
	s_add_i32 s22, s9, -2
	s_cmp_eq_u32 s9, 0
	s_cselect_b64 s[18:19], -1, 0
	s_xor_b64 s[2:3], exec, -1
	s_orn2_b64 s[18:19], s[18:19], exec
	s_mov_b32 s9, s22
	s_branch .LBB100_8
.LBB100_267:                            ;   in Loop: Header=BB100_11 Depth=1
                                        ; implicit-def: $sgpr2_sgpr3
	s_branch .LBB100_220
.LBB100_268:                            ;   in Loop: Header=BB100_11 Depth=1
                                        ; implicit-def: $sgpr2_sgpr3
	s_branch .LBB100_236
.LBB100_269:
	s_or_b64 exec, exec, s[58:59]
	s_xor_b64 s[6:7], s[64:65], -1
	s_xor_b64 s[0:1], s[60:61], -1
	;; [unrolled: 1-line block ×3, first 2 shown]
	s_mov_b64 s[4:5], 0
	s_and_saveexec_b64 s[8:9], s[0:1]
	s_xor_b64 s[0:1], exec, s[8:9]
	s_cbranch_execnz .LBB100_274
; %bb.270:
	s_andn2_saveexec_b64 s[0:1], s[0:1]
	s_cbranch_execnz .LBB100_287
.LBB100_271:
	s_or_b64 exec, exec, s[0:1]
	s_and_saveexec_b64 s[0:1], s[4:5]
.LBB100_272:
	; divergent unreachable
.LBB100_273:
	s_endpgm
.LBB100_274:
	s_and_saveexec_b64 s[4:5], s[6:7]
	s_xor_b64 s[4:5], exec, s[4:5]
	s_cbranch_execz .LBB100_285
; %bb.275:
	s_and_saveexec_b64 s[6:7], s[2:3]
	s_xor_b64 s[2:3], exec, s[6:7]
; %bb.276:
	v_xor_b32_e32 v26, 0x80000000, v26
	v_mov_b32_e32 v5, v25
	v_mov_b32_e32 v6, v26
; %bb.277:
	s_or_b64 exec, exec, s[2:3]
	v_readlane_b32 s6, v57, 6
	v_readlane_b32 s18, v57, 10
	;; [unrolled: 1-line block ×3, first 2 shown]
	s_mul_i32 s2, s7, s18
	s_mul_hi_u32 s3, s6, s18
	s_add_i32 s3, s3, s2
	s_mul_i32 s2, s6, s18
	s_lshl_b64 s[2:3], s[2:3], 3
	v_readlane_b32 s6, v57, 8
	v_readlane_b32 s7, v57, 9
	s_add_u32 s2, s6, s2
	s_addc_u32 s3, s7, s3
	v_mov_b32_e32 v2, 0
	v_readlane_b32 s19, v57, 11
	global_store_dwordx2 v2, v[5:6], s[2:3]
	s_mov_b64 s[6:7], exec
	v_readlane_b32 s2, v57, 12
	v_readlane_b32 s3, v57, 13
	s_and_b64 s[2:3], s[6:7], s[2:3]
	s_mov_b64 exec, s[2:3]
	s_cbranch_execz .LBB100_284
; %bb.278:
	s_mov_b64 s[2:3], 0
                                        ; implicit-def: $sgpr8_sgpr9
                                        ; implicit-def: $sgpr12_sgpr13
                                        ; implicit-def: $sgpr10_sgpr11
	s_branch .LBB100_280
.LBB100_279:                            ;   in Loop: Header=BB100_280 Depth=1
	s_or_b64 exec, exec, s[14:15]
	s_and_b64 s[14:15], exec, s[12:13]
	s_or_b64 s[2:3], s[14:15], s[2:3]
	s_andn2_b64 s[8:9], s[8:9], exec
	s_and_b64 s[14:15], s[10:11], exec
	s_or_b64 s[8:9], s[8:9], s[14:15]
	s_andn2_b64 exec, exec, s[2:3]
	s_cbranch_execz .LBB100_282
.LBB100_280:                            ; =>This Inner Loop Header: Depth=1
	global_load_dwordx2 v[7:8], v[15:16], off
	v_mov_b32_e32 v3, v1
	v_mov_b32_e32 v2, v0
	s_or_b64 s[10:11], s[10:11], exec
	s_or_b64 s[12:13], s[12:13], exec
                                        ; implicit-def: $vgpr0_vgpr1
	s_waitcnt vmcnt(0)
	v_cmp_ne_u64_e32 vcc, v[7:8], v[5:6]
	s_and_saveexec_b64 s[14:15], vcc
	s_cbranch_execz .LBB100_279
; %bb.281:                              ;   in Loop: Header=BB100_280 Depth=1
	v_add_co_u32_e32 v0, vcc, s33, v2
	v_addc_co_u32_e32 v1, vcc, 0, v3, vcc
	v_mov_b32_e32 v4, s41
	v_add_co_u32_e32 v15, vcc, s40, v15
	v_addc_co_u32_e32 v16, vcc, v16, v4, vcc
	v_cmp_le_u64_e32 vcc, s[20:21], v[0:1]
	s_andn2_b64 s[12:13], s[12:13], exec
	s_and_b64 s[16:17], vcc, exec
	s_andn2_b64 s[10:11], s[10:11], exec
	s_or_b64 s[12:13], s[12:13], s[16:17]
	s_branch .LBB100_279
.LBB100_282:
	s_or_b64 exec, exec, s[2:3]
	s_and_saveexec_b64 s[2:3], s[8:9]
	s_xor_b64 s[2:3], exec, s[2:3]
	s_cbranch_execz .LBB100_284
; %bb.283:
	v_readlane_b32 s8, v57, 2
	v_readlane_b32 s9, v57, 3
	s_mul_i32 s2, s9, s18
	s_mul_hi_u32 s3, s8, s18
	s_add_i32 s3, s3, s2
	s_mul_i32 s2, s8, s18
	s_lshl_b64 s[2:3], s[2:3], 3
	v_readlane_b32 s8, v57, 4
	v_readlane_b32 s9, v57, 5
	s_add_u32 s2, s8, s2
	s_addc_u32 s3, s9, s3
	v_mov_b32_e32 v0, 0
	global_store_dwordx2 v0, v[2:3], s[2:3]
.LBB100_284:
	s_or_b64 exec, exec, s[6:7]
.LBB100_285:
	s_or_saveexec_b64 s[2:3], s[4:5]
	s_mov_b64 s[4:5], 0
	s_xor_b64 exec, exec, s[2:3]
	s_cbranch_execnz .LBB100_288
.LBB100_286:
	s_or_b64 exec, exec, s[2:3]
	s_and_b64 s[4:5], s[4:5], exec
	s_andn2_saveexec_b64 s[0:1], s[0:1]
	s_cbranch_execz .LBB100_271
.LBB100_287:
	s_or_b64 s[4:5], s[4:5], exec
	s_trap 2
	s_or_b64 exec, exec, s[0:1]
	s_and_saveexec_b64 s[0:1], s[4:5]
	s_cbranch_execnz .LBB100_272
	s_branch .LBB100_273
.LBB100_288:
	s_mov_b64 s[4:5], exec
	s_trap 2
	s_branch .LBB100_286
	.section	.rodata,"a",@progbits
	.p2align	6, 0x0
	.amdhsa_kernel _ZN2at6native12_GLOBAL__N_112gatherMedianIlmLi1EEEvNS_4cuda6detail10TensorInfoIT_T0_EENS5_IlS7_EENS5_IKS6_S7_EES7_S7_S7_b
		.amdhsa_group_segment_fixed_size 5152
		.amdhsa_private_segment_fixed_size 0
		.amdhsa_kernarg_size 1536
		.amdhsa_user_sgpr_count 6
		.amdhsa_user_sgpr_private_segment_buffer 1
		.amdhsa_user_sgpr_dispatch_ptr 0
		.amdhsa_user_sgpr_queue_ptr 0
		.amdhsa_user_sgpr_kernarg_segment_ptr 1
		.amdhsa_user_sgpr_dispatch_id 0
		.amdhsa_user_sgpr_flat_scratch_init 0
		.amdhsa_user_sgpr_private_segment_size 0
		.amdhsa_uses_dynamic_stack 0
		.amdhsa_system_sgpr_private_segment_wavefront_offset 0
		.amdhsa_system_sgpr_workgroup_id_x 1
		.amdhsa_system_sgpr_workgroup_id_y 1
		.amdhsa_system_sgpr_workgroup_id_z 1
		.amdhsa_system_sgpr_workgroup_info 0
		.amdhsa_system_vgpr_workitem_id 0
		.amdhsa_next_free_vgpr 58
		.amdhsa_next_free_sgpr 96
		.amdhsa_reserve_vcc 1
		.amdhsa_reserve_flat_scratch 0
		.amdhsa_float_round_mode_32 0
		.amdhsa_float_round_mode_16_64 0
		.amdhsa_float_denorm_mode_32 3
		.amdhsa_float_denorm_mode_16_64 3
		.amdhsa_dx10_clamp 1
		.amdhsa_ieee_mode 1
		.amdhsa_fp16_overflow 0
		.amdhsa_exception_fp_ieee_invalid_op 0
		.amdhsa_exception_fp_denorm_src 0
		.amdhsa_exception_fp_ieee_div_zero 0
		.amdhsa_exception_fp_ieee_overflow 0
		.amdhsa_exception_fp_ieee_underflow 0
		.amdhsa_exception_fp_ieee_inexact 0
		.amdhsa_exception_int_div_zero 0
	.end_amdhsa_kernel
	.section	.text._ZN2at6native12_GLOBAL__N_112gatherMedianIlmLi1EEEvNS_4cuda6detail10TensorInfoIT_T0_EENS5_IlS7_EENS5_IKS6_S7_EES7_S7_S7_b,"axG",@progbits,_ZN2at6native12_GLOBAL__N_112gatherMedianIlmLi1EEEvNS_4cuda6detail10TensorInfoIT_T0_EENS5_IlS7_EENS5_IKS6_S7_EES7_S7_S7_b,comdat
.Lfunc_end100:
	.size	_ZN2at6native12_GLOBAL__N_112gatherMedianIlmLi1EEEvNS_4cuda6detail10TensorInfoIT_T0_EENS5_IlS7_EENS5_IKS6_S7_EES7_S7_S7_b, .Lfunc_end100-_ZN2at6native12_GLOBAL__N_112gatherMedianIlmLi1EEEvNS_4cuda6detail10TensorInfoIT_T0_EENS5_IlS7_EENS5_IKS6_S7_EES7_S7_S7_b
                                        ; -- End function
	.set _ZN2at6native12_GLOBAL__N_112gatherMedianIlmLi1EEEvNS_4cuda6detail10TensorInfoIT_T0_EENS5_IlS7_EENS5_IKS6_S7_EES7_S7_S7_b.num_vgpr, 58
	.set _ZN2at6native12_GLOBAL__N_112gatherMedianIlmLi1EEEvNS_4cuda6detail10TensorInfoIT_T0_EENS5_IlS7_EENS5_IKS6_S7_EES7_S7_S7_b.num_agpr, 0
	.set _ZN2at6native12_GLOBAL__N_112gatherMedianIlmLi1EEEvNS_4cuda6detail10TensorInfoIT_T0_EENS5_IlS7_EENS5_IKS6_S7_EES7_S7_S7_b.numbered_sgpr, 96
	.set _ZN2at6native12_GLOBAL__N_112gatherMedianIlmLi1EEEvNS_4cuda6detail10TensorInfoIT_T0_EENS5_IlS7_EENS5_IKS6_S7_EES7_S7_S7_b.num_named_barrier, 0
	.set _ZN2at6native12_GLOBAL__N_112gatherMedianIlmLi1EEEvNS_4cuda6detail10TensorInfoIT_T0_EENS5_IlS7_EENS5_IKS6_S7_EES7_S7_S7_b.private_seg_size, 0
	.set _ZN2at6native12_GLOBAL__N_112gatherMedianIlmLi1EEEvNS_4cuda6detail10TensorInfoIT_T0_EENS5_IlS7_EENS5_IKS6_S7_EES7_S7_S7_b.uses_vcc, 1
	.set _ZN2at6native12_GLOBAL__N_112gatherMedianIlmLi1EEEvNS_4cuda6detail10TensorInfoIT_T0_EENS5_IlS7_EENS5_IKS6_S7_EES7_S7_S7_b.uses_flat_scratch, 0
	.set _ZN2at6native12_GLOBAL__N_112gatherMedianIlmLi1EEEvNS_4cuda6detail10TensorInfoIT_T0_EENS5_IlS7_EENS5_IKS6_S7_EES7_S7_S7_b.has_dyn_sized_stack, 0
	.set _ZN2at6native12_GLOBAL__N_112gatherMedianIlmLi1EEEvNS_4cuda6detail10TensorInfoIT_T0_EENS5_IlS7_EENS5_IKS6_S7_EES7_S7_S7_b.has_recursion, 0
	.set _ZN2at6native12_GLOBAL__N_112gatherMedianIlmLi1EEEvNS_4cuda6detail10TensorInfoIT_T0_EENS5_IlS7_EENS5_IKS6_S7_EES7_S7_S7_b.has_indirect_call, 0
	.section	.AMDGPU.csdata,"",@progbits
; Kernel info:
; codeLenInByte = 14440
; TotalNumSgprs: 100
; NumVgprs: 58
; ScratchSize: 0
; MemoryBound: 0
; FloatMode: 240
; IeeeMode: 1
; LDSByteSize: 5152 bytes/workgroup (compile time only)
; SGPRBlocks: 12
; VGPRBlocks: 14
; NumSGPRsForWavesPerEU: 100
; NumVGPRsForWavesPerEU: 58
; Occupancy: 4
; WaveLimiterHint : 1
; COMPUTE_PGM_RSRC2:SCRATCH_EN: 0
; COMPUTE_PGM_RSRC2:USER_SGPR: 6
; COMPUTE_PGM_RSRC2:TRAP_HANDLER: 0
; COMPUTE_PGM_RSRC2:TGID_X_EN: 1
; COMPUTE_PGM_RSRC2:TGID_Y_EN: 1
; COMPUTE_PGM_RSRC2:TGID_Z_EN: 1
; COMPUTE_PGM_RSRC2:TIDIG_COMP_CNT: 0
	.section	.text._ZN2at6native12_GLOBAL__N_112gatherMedianIlmLi2EEEvNS_4cuda6detail10TensorInfoIT_T0_EENS5_IlS7_EENS5_IKS6_S7_EES7_S7_S7_b,"axG",@progbits,_ZN2at6native12_GLOBAL__N_112gatherMedianIlmLi2EEEvNS_4cuda6detail10TensorInfoIT_T0_EENS5_IlS7_EENS5_IKS6_S7_EES7_S7_S7_b,comdat
	.globl	_ZN2at6native12_GLOBAL__N_112gatherMedianIlmLi2EEEvNS_4cuda6detail10TensorInfoIT_T0_EENS5_IlS7_EENS5_IKS6_S7_EES7_S7_S7_b ; -- Begin function _ZN2at6native12_GLOBAL__N_112gatherMedianIlmLi2EEEvNS_4cuda6detail10TensorInfoIT_T0_EENS5_IlS7_EENS5_IKS6_S7_EES7_S7_S7_b
	.p2align	8
	.type	_ZN2at6native12_GLOBAL__N_112gatherMedianIlmLi2EEEvNS_4cuda6detail10TensorInfoIT_T0_EENS5_IlS7_EENS5_IKS6_S7_EES7_S7_S7_b,@function
_ZN2at6native12_GLOBAL__N_112gatherMedianIlmLi2EEEvNS_4cuda6detail10TensorInfoIT_T0_EENS5_IlS7_EENS5_IKS6_S7_EES7_S7_S7_b: ; @_ZN2at6native12_GLOBAL__N_112gatherMedianIlmLi2EEEvNS_4cuda6detail10TensorInfoIT_T0_EENS5_IlS7_EENS5_IKS6_S7_EES7_S7_S7_b
; %bb.0:
	s_load_dwordx2 s[12:13], s[4:5], 0x500
	s_load_dwordx4 s[20:23], s[4:5], 0x4e0
	s_add_u32 s14, s4, 0x500
	s_addc_u32 s15, s5, 0
	s_mov_b32 s35, 0
	s_waitcnt lgkmcnt(0)
	s_mul_i32 s0, s13, s8
	s_add_i32 s0, s0, s7
	s_mul_i32 s0, s0, s12
	s_add_i32 s34, s0, s6
	v_mov_b32_e32 v1, s34
	v_mov_b32_e32 v2, s35
	v_cmp_le_u64_e32 vcc, s[22:23], v[1:2]
	s_cbranch_vccnz .LBB101_279
; %bb.1:
	s_load_dwordx2 s[10:11], s[4:5], 0x10
	s_load_dwordx2 s[2:3], s[4:5], 0x350
	;; [unrolled: 1-line block ×3, first 2 shown]
                                        ; implicit-def: $vgpr46 : SGPR spill to VGPR lane
	s_waitcnt lgkmcnt(0)
	v_mov_b32_e32 v1, s10
	v_mov_b32_e32 v2, s11
	v_writelane_b32 v46, s0, 0
	v_writelane_b32 v46, s1, 1
	v_cmp_lt_u64_e32 vcc, s[34:35], v[1:2]
	s_mov_b64 s[0:1], 0
	v_writelane_b32 v46, s0, 2
	v_writelane_b32 v46, s1, 3
	s_mov_b64 s[0:1], 0
	s_cbranch_vccnz .LBB101_3
; %bb.2:
	v_cvt_f32_u32_e32 v1, s10
	s_sub_i32 s0, 0, s10
	v_rcp_iflag_f32_e32 v1, v1
	v_mul_f32_e32 v1, 0x4f7ffffe, v1
	v_cvt_u32_f32_e32 v1, v1
	v_readfirstlane_b32 s1, v1
	s_mul_i32 s0, s0, s1
	s_mul_hi_u32 s0, s1, s0
	s_add_i32 s1, s1, s0
	s_mul_hi_u32 s0, s34, s1
	s_mul_i32 s7, s0, s10
	s_sub_i32 s7, s34, s7
	s_add_i32 s1, s0, 1
	s_sub_i32 s8, s7, s10
	s_cmp_ge_u32 s7, s10
	s_cselect_b32 s0, s1, s0
	s_cselect_b32 s7, s8, s7
	s_add_i32 s1, s0, 1
	s_cmp_ge_u32 s7, s10
	s_cselect_b32 s0, s1, s0
.LBB101_3:
	v_writelane_b32 v46, s0, 4
	v_writelane_b32 v46, s1, 5
	s_load_dwordx2 s[38:39], s[4:5], 0x4f0
	s_load_dwordx2 s[0:1], s[4:5], 0x1b0
	v_writelane_b32 v46, s10, 6
	v_writelane_b32 v46, s11, 7
	s_waitcnt lgkmcnt(0)
	v_mov_b32_e32 v2, s1
	v_mov_b32_e32 v1, s0
	v_cmp_lt_u64_e32 vcc, s[34:35], v[1:2]
	s_cbranch_vccnz .LBB101_5
; %bb.4:
	s_load_dwordx2 s[10:11], s[4:5], 0x1b0
	s_waitcnt lgkmcnt(0)
	v_cvt_f32_u32_e32 v1, s10
	s_sub_i32 s0, 0, s10
	v_rcp_iflag_f32_e32 v1, v1
	v_mul_f32_e32 v1, 0x4f7ffffe, v1
	v_cvt_u32_f32_e32 v1, v1
	v_readfirstlane_b32 s1, v1
	s_mul_i32 s0, s0, s1
	s_mul_hi_u32 s0, s1, s0
	s_add_i32 s1, s1, s0
	s_mul_hi_u32 s0, s34, s1
	s_mul_i32 s7, s0, s10
	s_sub_i32 s7, s34, s7
	s_add_i32 s1, s0, 1
	s_sub_i32 s8, s7, s10
	s_cmp_ge_u32 s7, s10
	s_cselect_b32 s0, s1, s0
	s_cselect_b32 s7, s8, s7
	s_add_i32 s1, s0, 1
	s_cmp_ge_u32 s7, s10
	s_cselect_b32 s0, s1, s0
	v_writelane_b32 v46, s0, 2
	v_writelane_b32 v46, s1, 3
.LBB101_5:
	v_mov_b32_e32 v1, s2
	v_mov_b32_e32 v2, s3
	v_cmp_lt_u64_e32 vcc, s[34:35], v[1:2]
	s_mov_b64 s[16:17], 0
	s_cbranch_vccnz .LBB101_7
; %bb.6:
	v_cvt_f32_u32_e32 v1, s2
	s_sub_i32 s0, 0, s2
	v_rcp_iflag_f32_e32 v1, v1
	v_mul_f32_e32 v1, 0x4f7ffffe, v1
	v_cvt_u32_f32_e32 v1, v1
	v_readfirstlane_b32 s1, v1
	s_mul_i32 s0, s0, s1
	s_mul_hi_u32 s0, s1, s0
	s_add_i32 s1, s1, s0
	s_mul_hi_u32 s0, s34, s1
	s_mul_i32 s7, s0, s2
	s_sub_i32 s7, s34, s7
	s_add_i32 s1, s0, 1
	s_sub_i32 s8, s7, s2
	s_cmp_ge_u32 s7, s2
	s_cselect_b32 s0, s1, s0
	s_cselect_b32 s7, s8, s7
	s_add_i32 s1, s0, 1
	s_cmp_ge_u32 s7, s2
	s_cselect_b32 s16, s1, s0
.LBB101_7:
	v_cmp_eq_u32_e64 s[0:1], 0, v0
	s_and_saveexec_b64 s[8:9], s[0:1]
; %bb.8:
	v_mov_b32_e32 v1, 0
	v_mov_b32_e32 v2, v1
	ds_write_b64 v1, v[1:2] offset:5136
; %bb.9:
	s_or_b64 exec, exec, s[8:9]
	v_mov_b32_e32 v1, 0
	s_load_dword s7, s[4:5], 0x4f8
	s_load_dwordx2 s[18:19], s[4:5], 0x340
	s_waitcnt lgkmcnt(0)
	s_barrier
	s_barrier
	ds_read_b64 v[1:2], v1 offset:5136
	s_bitcmp1_b32 s7, 0
	s_cselect_b64 s[8:9], -1, 0
	v_mov_b32_e32 v26, s21
	v_mov_b32_e32 v25, s20
	s_waitcnt lgkmcnt(0)
	v_cmp_gt_i64_e32 vcc, 1, v[1:2]
	s_or_b64 s[8:9], s[8:9], vcc
	s_andn2_b64 vcc, exec, s[8:9]
	s_cbranch_vccnz .LBB101_11
; %bb.10:
	v_not_b32_e32 v1, v1
	v_not_b32_e32 v2, v2
	v_mov_b32_e32 v3, s21
	v_add_co_u32_e32 v1, vcc, s20, v1
	v_addc_co_u32_e32 v2, vcc, v3, v2, vcc
	v_lshrrev_b64 v[1:2], 1, v[1:2]
	v_add_co_u32_e32 v25, vcc, 1, v1
	v_addc_co_u32_e32 v26, vcc, 0, v2, vcc
.LBB101_11:
	s_load_dwordx2 s[8:9], s[4:5], 0x1a0
	s_waitcnt lgkmcnt(0)
	v_writelane_b32 v46, s8, 8
	v_writelane_b32 v46, s9, 9
	s_load_dwordx2 s[8:9], s[4:5], 0x0
	s_waitcnt lgkmcnt(0)
	v_writelane_b32 v46, s8, 10
	v_writelane_b32 v46, s9, 11
	s_load_dwordx4 s[8:11], s[4:5], 0x410
	s_and_saveexec_b64 s[22:23], s[0:1]
	s_cbranch_execz .LBB101_13
; %bb.12:
	v_mov_b32_e32 v1, 0
	v_mov_b32_e32 v3, s20
	;; [unrolled: 1-line block ×4, first 2 shown]
	ds_write_b32 v1, v1 offset:5144
	ds_write_b128 v1, v[1:4] offset:5120
.LBB101_13:
	s_or_b64 exec, exec, s[22:23]
	s_load_dwordx4 s[24:27], s[4:5], 0x270
                                        ; kill: killed $sgpr4 killed $sgpr5
	s_mul_i32 s3, s16, s3
	v_mov_b32_e32 v16, 0
	v_mov_b32_e32 v1, v16
	v_mbcnt_lo_u32_b32 v2, -1, 0
	s_waitcnt lgkmcnt(0)
	v_writelane_b32 v46, s24, 12
	v_writelane_b32 v46, s25, 13
	v_writelane_b32 v46, s26, 14
	v_writelane_b32 v46, s27, 15
	s_load_dwordx4 s[24:27], s[4:5], 0xd0
	s_mul_hi_u32 s4, s16, s2
	s_add_i32 s4, s4, s3
	s_mul_i32 s2, s16, s2
	s_sub_u32 s2, s34, s2
	s_subb_u32 s3, 0, s4
	s_mul_i32 s4, s2, s11
	s_mul_hi_u32 s5, s2, s10
	s_add_i32 s4, s5, s4
	s_mul_i32 s3, s3, s10
	s_add_i32 s3, s4, s3
	s_mul_i32 s4, s16, s9
	s_mul_hi_u32 s5, s16, s8
	s_add_i32 s5, s5, s4
	s_mul_i32 s4, s16, s8
	s_lshl_b64 s[4:5], s[4:5], 3
	s_mul_i32 s2, s2, s10
	s_add_u32 s4, s18, s4
	s_waitcnt lgkmcnt(0)
	v_writelane_b32 v46, s24, 16
	s_addc_u32 s5, s19, s5
	s_lshl_b64 s[2:3], s[2:3], 3
	v_writelane_b32 v46, s25, 17
	s_add_u32 s33, s4, s2
	v_writelane_b32 v46, s26, 18
	s_addc_u32 s58, s5, s3
	v_cmp_gt_u64_e64 s[2:3], s[20:21], v[0:1]
	v_writelane_b32 v46, s27, 19
	v_writelane_b32 v46, s2, 20
	;; [unrolled: 1-line block ×3, first 2 shown]
	v_mbcnt_hi_u32_b32 v31, -1, v2
	v_mad_u64_u32 v[2:3], s[2:3], s38, v0, 0
	s_barrier
	v_mad_u64_u32 v[3:4], s[2:3], s39, v0, v[3:4]
	v_mov_b32_e32 v4, 0x180
	v_mov_b32_e32 v5, 0
	v_cmp_gt_u64_e64 s[2:3], s[20:21], v[4:5]
	v_writelane_b32 v46, s2, 22
	v_writelane_b32 v46, s3, 23
	s_load_dword s2, s[14:15], 0xc
	v_cmp_gt_u32_e32 vcc, 64, v0
	v_cmp_gt_i32_e64 s[8:9], 4, v31
	s_and_b64 s[50:51], vcc, s[8:9]
	v_lshlrev_b64 v[2:3], 3, v[2:3]
	s_waitcnt lgkmcnt(0)
	s_and_b32 s35, s2, 0xffff
	s_bfe_u32 s2, s2, 0xa0006
	s_cmp_gt_u32 s35, 63
	s_cselect_b64 s[52:53], -1, 0
	s_add_u32 s59, s35, -1
	s_addc_u32 s60, 0, -1
	s_add_u32 s61, s59, s20
	s_addc_u32 s55, s60, s21
	s_cmp_lt_u32 s6, s12
	s_cselect_b32 s3, 12, 18
	s_add_u32 s56, s14, s3
	s_addc_u32 s57, s15, 0
	s_add_i32 s3, s2, -1
	v_mov_b32_e32 v34, s58
	v_add_co_u32_e32 v17, vcc, s33, v2
	s_bfe_u32 s6, s35, 0x30006
	s_and_b32 s3, s3, 0xffff
	v_addc_co_u32_e32 v18, vcc, v34, v3, vcc
	v_lshlrev_b64 v[2:3], v31, -1
	s_cmp_gt_u32 s3, 6
	s_cselect_b64 s[8:9], -1, 0
	v_not_b32_e32 v37, v2
	v_lshrrev_b32_e32 v2, 1, v0
	v_writelane_b32 v46, s8, 24
	s_and_b32 s2, s2, 0x3f8
	v_and_b32_e32 v2, 0x1e0, v2
	v_writelane_b32 v46, s9, 25
	s_cmp_lg_u32 s6, 0
	v_lshlrev_b32_e32 v32, 3, v0
	v_lshlrev_b32_e32 v4, 2, v31
	v_or_b32_e32 v38, 0xc00, v2
	v_writelane_b32 v46, s6, 26
	s_cselect_b64 s[6:7], -1, 0
	v_mov_b32_e32 v2, 0xc00
	v_mov_b32_e32 v5, 0
	v_mov_b32_e32 v21, 0
	v_mov_b32_e32 v23, 0
	s_mov_b32 s49, 0
	v_cmp_eq_u32_e64 s[4:5], 0, v31
	v_cmp_gt_u32_e64 s[16:17], 2, v0
	v_add_u32_e32 v33, 0xc00, v32
	v_lshlrev_b32_e32 v19, 2, v0
	v_mov_b32_e32 v20, v16
	v_and_b32_e32 v35, 0x100, v4
	v_not_b32_e32 v36, v3
	v_writelane_b32 v46, s6, 27
	v_lshlrev_b32_e32 v39, 5, v0
	v_lshl_or_b32 v40, v31, 3, v2
	s_lshl_b32 s3, s35, 3
	s_mov_b32 s8, 62
	s_mov_b64 s[62:63], 0
	v_mov_b32_e32 v6, 0
	v_mov_b32_e32 v22, 0
	;; [unrolled: 1-line block ×4, first 2 shown]
	s_mov_b32 s9, 0
	v_mov_b32_e32 v2, 1
	v_writelane_b32 v46, s7, 28
                                        ; implicit-def: $sgpr64_sgpr65
                                        ; implicit-def: $sgpr68_sgpr69
                                        ; implicit-def: $sgpr66_sgpr67
                                        ; implicit-def: $sgpr72_sgpr73
                                        ; implicit-def: $sgpr74_sgpr75
                                        ; implicit-def: $sgpr70_sgpr71
	s_branch .LBB101_17
.LBB101_14:                             ;   in Loop: Header=BB101_17 Depth=1
	s_or_b64 exec, exec, s[22:23]
	s_and_b64 s[12:13], s[12:13], exec
	s_andn2_b64 s[80:81], s[80:81], exec
	s_andn2_b64 s[6:7], s[6:7], exec
	s_orn2_b64 s[18:19], s[18:19], exec
.LBB101_15:                             ;   in Loop: Header=BB101_17 Depth=1
	s_or_b64 exec, exec, s[10:11]
	s_andn2_b64 s[10:11], s[70:71], exec
	s_and_b64 s[12:13], s[12:13], exec
	s_or_b64 s[70:71], s[10:11], s[12:13]
	s_andn2_b64 s[10:11], s[74:75], exec
	s_and_b64 s[12:13], s[80:81], exec
	s_or_b64 s[74:75], s[10:11], s[12:13]
	;; [unrolled: 3-line block ×3, first 2 shown]
	s_orn2_b64 s[6:7], s[18:19], exec
.LBB101_16:                             ;   in Loop: Header=BB101_17 Depth=1
	s_or_b64 exec, exec, s[14:15]
	s_and_b64 s[6:7], exec, s[6:7]
	s_or_b64 s[62:63], s[6:7], s[62:63]
	s_andn2_b64 s[6:7], s[66:67], exec
	s_and_b64 s[10:11], s[70:71], exec
	s_or_b64 s[66:67], s[6:7], s[10:11]
	s_andn2_b64 s[6:7], s[68:69], exec
	s_and_b64 s[10:11], s[74:75], exec
	;; [unrolled: 3-line block ×3, first 2 shown]
	v_mov_b32_e32 v26, v12
	s_or_b64 s[64:65], s[6:7], s[10:11]
	v_mov_b32_e32 v25, v11
	s_andn2_b64 exec, exec, s[62:63]
	s_cbranch_execz .LBB101_275
.LBB101_17:                             ; =>This Loop Header: Depth=1
                                        ;     Child Loop BB101_23 Depth 2
                                        ;     Child Loop BB101_36 Depth 2
	;; [unrolled: 1-line block ×16, first 2 shown]
	ds_read_b128 v[7:10], v16 offset:5120
	s_waitcnt lgkmcnt(0)
	v_readfirstlane_b32 s19, v8
	v_readfirstlane_b32 s18, v7
	s_cmp_lg_u64 s[18:19], 0
	s_cbranch_scc1 .LBB101_44
; %bb.18:                               ;   in Loop: Header=BB101_17 Depth=1
	v_readlane_b32 s6, v46, 22
	v_readlane_b32 s7, v46, 23
	s_and_b64 vcc, exec, s[6:7]
	s_cbranch_vccz .LBB101_31
; %bb.19:                               ;   in Loop: Header=BB101_17 Depth=1
	s_mov_b64 s[6:7], 0x181
	v_cmp_gt_u64_e32 vcc, s[6:7], v[9:10]
	s_mov_b64 s[12:13], 0
	s_mov_b64 s[6:7], 0
	s_cbranch_vccz .LBB101_32
; %bb.20:                               ;   in Loop: Header=BB101_17 Depth=1
	s_mov_b64 s[14:15], exec
	v_readlane_b32 s6, v46, 20
	v_readlane_b32 s7, v46, 21
	s_and_b64 s[6:7], s[14:15], s[6:7]
	s_mov_b64 exec, s[6:7]
	s_cbranch_execz .LBB101_142
; %bb.21:                               ;   in Loop: Header=BB101_17 Depth=1
	global_load_dwordx2 v[3:4], v[17:18], off
	global_load_ushort v11, v16, s[56:57]
	v_mov_b32_e32 v8, v1
	s_mov_b64 s[18:19], 0
	v_mov_b32_e32 v7, v0
	s_branch .LBB101_23
.LBB101_22:                             ;   in Loop: Header=BB101_23 Depth=2
	s_or_b64 exec, exec, s[6:7]
	s_waitcnt vmcnt(0)
	v_mov_b32_e32 v3, v9
	v_mov_b32_e32 v4, v10
	s_andn2_b64 exec, exec, s[18:19]
	s_cbranch_execz .LBB101_142
.LBB101_23:                             ;   Parent Loop BB101_17 Depth=1
                                        ; =>  This Inner Loop Header: Depth=2
	s_waitcnt vmcnt(0)
	v_add_co_u32_sdwa v7, vcc, v7, v11 dst_sel:DWORD dst_unused:UNUSED_PAD src0_sel:DWORD src1_sel:WORD_0
	v_addc_co_u32_e32 v8, vcc, 0, v8, vcc
	v_cmp_gt_u64_e64 s[6:7], s[20:21], v[7:8]
	v_cmp_le_u64_e32 vcc, s[20:21], v[7:8]
	v_mov_b32_e32 v9, 0
	v_mov_b32_e32 v10, 0
	s_and_saveexec_b64 s[10:11], s[6:7]
	s_cbranch_execz .LBB101_25
; %bb.24:                               ;   in Loop: Header=BB101_23 Depth=2
	s_waitcnt lgkmcnt(0)
	v_mul_lo_u32 v12, v8, s38
	v_mul_lo_u32 v13, v7, s39
	v_mad_u64_u32 v[9:10], s[6:7], v7, s38, 0
	v_add3_u32 v10, v10, v13, v12
	v_lshlrev_b64 v[9:10], 3, v[9:10]
	v_add_co_u32_e64 v9, s[6:7], s33, v9
	v_addc_co_u32_e64 v10, s[6:7], v34, v10, s[6:7]
	global_load_dwordx2 v[9:10], v[9:10], off
.LBB101_25:                             ;   in Loop: Header=BB101_23 Depth=2
	s_or_b64 exec, exec, s[10:11]
	s_waitcnt lgkmcnt(0)
	v_xor_b32_e32 v12, 0x80000000, v4
	v_and_b32_e32 v13, v12, v24
	v_and_b32_e32 v12, v3, v23
	v_cmp_eq_u64_e64 s[10:11], v[12:13], v[21:22]
	v_mov_b32_e32 v12, 0
	s_cmp_lg_u64 s[10:11], 0
	s_cselect_b64 s[6:7], -1, 0
	s_and_b64 s[6:7], s[4:5], s[6:7]
	s_and_saveexec_b64 s[24:25], s[6:7]
	s_cbranch_execz .LBB101_29
; %bb.26:                               ;   in Loop: Header=BB101_23 Depth=2
	s_mov_b64 s[26:27], exec
	v_mbcnt_lo_u32_b32 v12, s26, 0
	v_mbcnt_hi_u32_b32 v12, s27, v12
	s_bcnt1_i32_b64 s28, s[10:11]
	v_cmp_eq_u32_e64 s[6:7], 0, v12
                                        ; implicit-def: $vgpr13
	s_and_saveexec_b64 s[22:23], s[6:7]
; %bb.27:                               ;   in Loop: Header=BB101_23 Depth=2
	s_bcnt1_i32_b64 s6, s[26:27]
	s_mul_i32 s6, s28, s6
	v_mov_b32_e32 v13, s6
	ds_add_rtn_u32 v13, v16, v13 offset:5144
; %bb.28:                               ;   in Loop: Header=BB101_23 Depth=2
	s_or_b64 exec, exec, s[22:23]
	s_waitcnt lgkmcnt(0)
	v_readfirstlane_b32 s6, v13
	v_mov_b32_e32 v13, s6
	v_mad_u32_u24 v12, s28, v12, v13
.LBB101_29:                             ;   in Loop: Header=BB101_23 Depth=2
	s_or_b64 exec, exec, s[24:25]
	ds_bpermute_b32 v12, v35, v12
	s_and_b64 s[6:7], exec, vcc
	s_or_b64 s[18:19], s[6:7], s[18:19]
	s_and_saveexec_b64 s[6:7], s[10:11]
	s_cbranch_execz .LBB101_22
; %bb.30:                               ;   in Loop: Header=BB101_23 Depth=2
	v_and_b32_e32 v14, s10, v37
	v_and_b32_e32 v13, s11, v36
	v_bcnt_u32_b32 v14, v14, 0
	v_bcnt_u32_b32 v13, v13, v14
	v_lshlrev_b32_e32 v13, 3, v13
	s_waitcnt lgkmcnt(0)
	v_lshl_add_u32 v12, v12, 3, v13
	ds_write_b64 v12, v[3:4]
	s_branch .LBB101_22
.LBB101_31:                             ;   in Loop: Header=BB101_17 Depth=1
	s_mov_b64 s[12:13], -1
	s_mov_b64 s[6:7], 0
.LBB101_32:                             ;   in Loop: Header=BB101_17 Depth=1
	s_and_b64 vcc, exec, s[12:13]
	s_cbranch_vccz .LBB101_42
.LBB101_33:                             ;   in Loop: Header=BB101_17 Depth=1
	s_mov_b64 s[6:7], exec
	v_readlane_b32 s10, v46, 20
	v_readlane_b32 s11, v46, 21
	s_and_b64 s[10:11], s[6:7], s[10:11]
	s_mov_b64 exec, s[10:11]
	s_cbranch_execz .LBB101_39
; %bb.34:                               ;   in Loop: Header=BB101_17 Depth=1
	global_load_ushort v7, v16, s[56:57]
	global_load_dwordx2 v[3:4], v[17:18], off
	s_waitcnt vmcnt(1)
	v_and_b32_e32 v13, 0xffff, v7
	v_add_u32_e32 v15, v13, v0
	v_cmp_gt_u64_e32 vcc, s[20:21], v[15:16]
	v_mov_b32_e32 v7, v0
	s_and_saveexec_b64 s[10:11], vcc
	s_cbranch_execz .LBB101_38
; %bb.35:                               ;   in Loop: Header=BB101_17 Depth=1
	v_mov_b32_e32 v11, v15
	v_mov_b32_e32 v8, v1
	s_mov_b64 s[12:13], 0
	v_mov_b32_e32 v12, v16
	v_mov_b32_e32 v7, v0
.LBB101_36:                             ;   Parent Loop BB101_17 Depth=1
                                        ; =>  This Inner Loop Header: Depth=2
	v_mov_b32_e32 v15, v12
	v_mov_b32_e32 v14, v11
	v_mul_lo_u32 v10, v15, s38
	v_mul_lo_u32 v11, v14, s39
	v_mad_u64_u32 v[8:9], s[14:15], v14, s38, 0
	v_mov_b32_e32 v12, s58
	v_lshlrev_b32_e32 v7, 3, v7
	v_add3_u32 v9, v9, v11, v10
	v_lshlrev_b64 v[8:9], 3, v[8:9]
	s_waitcnt vmcnt(0)
	ds_write_b64 v7, v[3:4]
	v_add_co_u32_e32 v8, vcc, s33, v8
	v_addc_co_u32_e32 v9, vcc, v12, v9, vcc
	global_load_dwordx2 v[9:10], v[8:9], off
	v_add_co_u32_e32 v11, vcc, v14, v13
	v_addc_co_u32_e32 v12, vcc, 0, v15, vcc
	v_cmp_le_u64_e32 vcc, s[20:21], v[11:12]
	v_mov_b32_e32 v7, v14
	s_or_b64 s[12:13], vcc, s[12:13]
	v_mov_b32_e32 v8, v15
	s_waitcnt vmcnt(0)
	v_mov_b32_e32 v3, v9
	v_mov_b32_e32 v4, v10
	s_andn2_b64 exec, exec, s[12:13]
	s_cbranch_execnz .LBB101_36
; %bb.37:                               ;   in Loop: Header=BB101_17 Depth=1
	s_or_b64 exec, exec, s[12:13]
	v_mov_b32_e32 v3, v9
	v_sub_u32_e32 v7, v11, v13
	v_mov_b32_e32 v4, v10
.LBB101_38:                             ;   in Loop: Header=BB101_17 Depth=1
	s_or_b64 exec, exec, s[10:11]
	v_lshlrev_b32_e32 v7, 3, v7
	s_waitcnt vmcnt(0)
	ds_write_b64 v7, v[3:4]
.LBB101_39:                             ;   in Loop: Header=BB101_17 Depth=1
	s_or_b64 exec, exec, s[6:7]
	s_waitcnt lgkmcnt(0)
	s_barrier
	s_and_saveexec_b64 s[6:7], s[0:1]
; %bb.40:                               ;   in Loop: Header=BB101_17 Depth=1
	v_mov_b32_e32 v3, s20
	v_mov_b32_e32 v4, s21
	ds_write_b64 v16, v[3:4] offset:5120
; %bb.41:                               ;   in Loop: Header=BB101_17 Depth=1
	s_or_b64 exec, exec, s[6:7]
	s_mov_b64 s[6:7], -1
	s_waitcnt lgkmcnt(0)
	s_barrier
.LBB101_42:                             ;   in Loop: Header=BB101_17 Depth=1
	s_mov_b64 s[18:19], 0
	s_and_b64 vcc, exec, s[6:7]
	s_cbranch_vccz .LBB101_44
; %bb.43:                               ;   in Loop: Header=BB101_17 Depth=1
	ds_read_b64 v[3:4], v16 offset:5120
	s_waitcnt lgkmcnt(0)
	v_readfirstlane_b32 s18, v3
.LBB101_44:                             ;   in Loop: Header=BB101_17 Depth=1
	s_cmp_lt_i32 s18, 1
	s_mov_b64 s[6:7], -1
                                        ; implicit-def: $vgpr13_vgpr14
                                        ; implicit-def: $vgpr9_vgpr10
	s_cbranch_scc1 .LBB101_54
; %bb.45:                               ;   in Loop: Header=BB101_17 Depth=1
	s_and_b64 vcc, exec, s[6:7]
	s_cbranch_vccnz .LBB101_68
.LBB101_46:                             ;   in Loop: Header=BB101_17 Depth=1
	s_lshl_b32 s10, s9, 6
	s_and_saveexec_b64 s[6:7], s[4:5]
	s_cbranch_execz .LBB101_48
.LBB101_47:                             ;   in Loop: Header=BB101_17 Depth=1
	v_lshl_add_u32 v3, s10, 3, v38
	ds_write_b128 v3, v[7:10]
	ds_write_b128 v3, v[11:14] offset:16
.LBB101_48:                             ;   in Loop: Header=BB101_17 Depth=1
	s_or_b64 exec, exec, s[6:7]
	s_waitcnt lgkmcnt(0)
	s_barrier
	s_and_saveexec_b64 s[6:7], s[50:51]
	s_cbranch_execz .LBB101_83
; %bb.49:                               ;   in Loop: Header=BB101_17 Depth=1
	v_mov_b32_e32 v3, 0
	v_mov_b32_e32 v4, 0
	s_andn2_b64 vcc, exec, s[52:53]
	s_cbranch_vccnz .LBB101_82
; %bb.50:                               ;   in Loop: Header=BB101_17 Depth=1
	v_readlane_b32 s12, v46, 24
	v_readlane_b32 s13, v46, 25
	s_andn2_b64 vcc, exec, s[12:13]
	s_cbranch_vccnz .LBB101_78
; %bb.51:                               ;   in Loop: Header=BB101_17 Depth=1
	v_mov_b32_e32 v3, 0
	v_lshl_add_u32 v7, s9, 9, v40
	v_mov_b32_e32 v4, 0
	s_mov_b32 s11, 0
.LBB101_52:                             ;   Parent Loop BB101_17 Depth=1
                                        ; =>  This Inner Loop Header: Depth=2
	ds_read2_b64 v[8:11], v7 offset1:4
	ds_read2_b64 v[12:15], v7 offset0:8 offset1:12
	ds_read2_b64 v[27:30], v7 offset0:16 offset1:20
	;; [unrolled: 1-line block ×3, first 2 shown]
	s_add_i32 s11, s11, 8
	s_waitcnt lgkmcnt(3)
	v_add_co_u32_e32 v3, vcc, v8, v3
	v_addc_co_u32_e32 v4, vcc, v9, v4, vcc
	v_add_co_u32_e32 v3, vcc, v10, v3
	v_addc_co_u32_e32 v4, vcc, v11, v4, vcc
	s_waitcnt lgkmcnt(2)
	v_add_co_u32_e32 v3, vcc, v12, v3
	v_addc_co_u32_e32 v4, vcc, v13, v4, vcc
	v_add_co_u32_e32 v3, vcc, v14, v3
	v_addc_co_u32_e32 v4, vcc, v15, v4, vcc
	;; [unrolled: 5-line block ×3, first 2 shown]
	s_waitcnt lgkmcnt(0)
	v_add_co_u32_e32 v3, vcc, v42, v3
	v_addc_co_u32_e32 v4, vcc, v43, v4, vcc
	v_add_co_u32_e32 v3, vcc, v44, v3
	v_add_u32_e32 v7, 0x100, v7
	s_cmp_eq_u32 s2, s11
	v_addc_co_u32_e32 v4, vcc, v45, v4, vcc
	s_cbranch_scc0 .LBB101_52
; %bb.53:                               ;   in Loop: Header=BB101_17 Depth=1
	s_mov_b32 s11, s2
	s_branch .LBB101_79
.LBB101_54:                             ;   in Loop: Header=BB101_17 Depth=1
	global_load_ushort v42, v16, s[56:57]
	s_mov_b32 s6, s49
	s_waitcnt vmcnt(0)
	v_readfirstlane_b32 s7, v42
	s_and_b32 s7, 0xffff, s7
	s_lshl_b32 s19, s7, 2
	s_mov_b32 s7, s21
	s_cmp_lg_u64 s[6:7], 0
	s_cbranch_scc0 .LBB101_77
; %bb.55:                               ;   in Loop: Header=BB101_17 Depth=1
	v_cvt_f32_u32_e32 v3, s19
	s_sub_u32 s10, 0, s19
	s_subb_u32 s11, 0, 0
	v_mac_f32_e32 v3, 0, v41
	v_rcp_f32_e32 v3, v3
	v_mul_f32_e32 v3, 0x5f7ffffc, v3
	v_mul_f32_e32 v4, 0x2f800000, v3
	v_trunc_f32_e32 v4, v4
	v_mac_f32_e32 v3, 0xcf800000, v4
	v_cvt_u32_f32_e32 v4, v4
	v_cvt_u32_f32_e32 v3, v3
	v_readfirstlane_b32 s12, v4
	v_readfirstlane_b32 s6, v3
	s_mul_i32 s7, s10, s12
	s_mul_hi_u32 s14, s10, s6
	s_mul_i32 s13, s11, s6
	s_add_i32 s7, s14, s7
	s_mul_i32 s15, s10, s6
	s_add_i32 s7, s7, s13
	s_mul_hi_u32 s14, s6, s15
	s_mul_i32 s22, s6, s7
	s_mul_hi_u32 s13, s6, s7
	s_add_u32 s14, s14, s22
	s_addc_u32 s13, 0, s13
	s_mul_hi_u32 s23, s12, s15
	s_mul_i32 s15, s12, s15
	s_add_u32 s14, s14, s15
	s_mul_hi_u32 s22, s12, s7
	s_addc_u32 s13, s13, s23
	s_addc_u32 s14, s22, 0
	s_mul_i32 s7, s12, s7
	s_add_u32 s7, s13, s7
	s_addc_u32 s13, 0, s14
	s_add_u32 s14, s6, s7
	s_cselect_b64 s[6:7], -1, 0
	s_cmp_lg_u64 s[6:7], 0
	s_addc_u32 s12, s12, s13
	s_mul_i32 s6, s10, s12
	s_mul_hi_u32 s7, s10, s14
	s_add_i32 s6, s7, s6
	s_mul_i32 s11, s11, s14
	s_add_i32 s6, s6, s11
	s_mul_i32 s10, s10, s14
	s_mul_hi_u32 s11, s12, s10
	s_mul_i32 s13, s12, s10
	s_mul_i32 s22, s14, s6
	s_mul_hi_u32 s10, s14, s10
	s_mul_hi_u32 s15, s14, s6
	s_add_u32 s10, s10, s22
	s_addc_u32 s15, 0, s15
	s_add_u32 s10, s10, s13
	s_mul_hi_u32 s7, s12, s6
	s_addc_u32 s10, s15, s11
	s_addc_u32 s7, s7, 0
	s_mul_i32 s6, s12, s6
	s_add_u32 s6, s10, s6
	s_addc_u32 s10, 0, s7
	s_add_u32 s11, s14, s6
	s_cselect_b64 s[6:7], -1, 0
	s_cmp_lg_u64 s[6:7], 0
	s_addc_u32 s6, s12, s10
	s_mul_i32 s10, s20, s6
	s_mul_hi_u32 s12, s20, s11
	s_mul_hi_u32 s7, s20, s6
	s_add_u32 s10, s12, s10
	s_addc_u32 s7, 0, s7
	s_mul_hi_u32 s13, s21, s11
	s_mul_i32 s11, s21, s11
	s_add_u32 s10, s10, s11
	s_mul_hi_u32 s12, s21, s6
	s_addc_u32 s7, s7, s13
	s_addc_u32 s10, s12, 0
	s_mul_i32 s6, s21, s6
	s_add_u32 s6, s7, s6
	s_addc_u32 s7, 0, s10
	s_mul_i32 s7, s19, s7
	s_mul_hi_u32 s10, s19, s6
	s_add_i32 s10, s10, s7
	s_mul_i32 s6, s19, s6
	s_sub_u32 s11, s20, s6
	s_cselect_b64 s[6:7], -1, 0
	s_cmp_lg_u64 s[6:7], 0
	s_subb_u32 s10, s21, s10
	s_sub_u32 s12, s11, s19
	s_cselect_b64 s[6:7], -1, 0
	s_cmp_lg_u64 s[6:7], 0
	s_subb_u32 s13, s10, 0
	;; [unrolled: 4-line block ×3, first 2 shown]
	s_cmp_ge_u32 s12, s19
	s_cselect_b32 s7, -1, 0
	s_cmp_eq_u32 s13, 0
	s_cselect_b32 s7, s7, -1
	s_cmp_lg_u32 s7, 0
	s_cselect_b32 s6, s6, s13
	s_cselect_b32 s12, s14, s12
	s_cmp_ge_u32 s11, s19
	s_cselect_b32 s7, -1, 0
	s_cmp_eq_u32 s10, 0
	s_cselect_b32 s7, s7, -1
	s_cmp_lg_u32 s7, 0
	s_cselect_b32 s7, s6, s10
	s_cselect_b32 s6, s12, s11
	s_cbranch_execnz .LBB101_57
.LBB101_56:                             ;   in Loop: Header=BB101_17 Depth=1
	v_cvt_f32_u32_e32 v3, s19
	s_sub_i32 s6, 0, s19
	v_rcp_iflag_f32_e32 v3, v3
	v_mul_f32_e32 v3, 0x4f7ffffe, v3
	v_cvt_u32_f32_e32 v3, v3
	v_readfirstlane_b32 s7, v3
	s_mul_i32 s6, s6, s7
	s_mul_hi_u32 s6, s7, s6
	s_add_i32 s7, s7, s6
	s_mul_hi_u32 s6, s20, s7
	s_mul_i32 s6, s6, s19
	s_sub_i32 s6, s20, s6
	s_sub_i32 s7, s6, s19
	s_cmp_ge_u32 s6, s19
	s_cselect_b32 s6, s7, s6
	s_sub_i32 s7, s6, s19
	s_cmp_ge_u32 s6, s19
	s_cselect_b32 s48, s7, s6
	s_mov_b64 s[6:7], s[48:49]
.LBB101_57:                             ;   in Loop: Header=BB101_17 Depth=1
	s_sub_u32 s76, s20, s6
	s_subb_u32 s77, s21, s7
	v_cmp_gt_u64_e32 vcc, s[76:77], v[19:20]
	v_mov_b32_e32 v7, 0
	v_mov_b32_e32 v9, 0
	;; [unrolled: 1-line block ×8, first 2 shown]
	s_and_saveexec_b64 s[78:79], vcc
	s_cbranch_execz .LBB101_61
; %bb.58:                               ;   in Loop: Header=BB101_17 Depth=1
	v_mov_b32_e32 v3, v19
	s_mov_b64 s[80:81], 0
	s_mov_b64 s[82:83], 0
	s_mov_b64 s[84:85], 0
	s_mov_b64 s[86:87], 0
	s_mov_b64 s[88:89], 0
	v_mov_b32_e32 v4, v20
.LBB101_59:                             ;   Parent Loop BB101_17 Depth=1
                                        ; =>  This Inner Loop Header: Depth=2
	v_mul_lo_u32 v9, v4, s38
	v_mul_lo_u32 v10, v3, s39
	v_mad_u64_u32 v[7:8], s[6:7], v3, s38, 0
	s_lshl_b64 s[6:7], s[38:39], 3
	v_add3_u32 v8, v8, v10, v9
	v_lshlrev_b64 v[7:8], 3, v[7:8]
	v_mov_b32_e32 v9, s58
	v_add_co_u32_e32 v7, vcc, s33, v7
	v_addc_co_u32_e32 v8, vcc, v9, v8, vcc
	global_load_dwordx2 v[13:14], v[7:8], off
	v_add_co_u32_e32 v7, vcc, s6, v7
	v_mov_b32_e32 v9, s7
	v_addc_co_u32_e32 v8, vcc, v8, v9, vcc
	global_load_dwordx2 v[27:28], v[7:8], off
	v_add_co_u32_e32 v7, vcc, s6, v7
	v_addc_co_u32_e32 v8, vcc, v8, v9, vcc
	global_load_dwordx2 v[11:12], v[7:8], off
	v_add_co_u32_e32 v7, vcc, s6, v7
	v_addc_co_u32_e32 v8, vcc, v8, v9, vcc
	global_load_dwordx2 v[9:10], v[7:8], off
	s_waitcnt vmcnt(3)
	v_xor_b32_e32 v14, 0x80000000, v14
	v_and_b32_e32 v8, v14, v24
	v_and_b32_e32 v7, v13, v23
	v_cmp_eq_u64_e32 vcc, v[7:8], v[21:22]
	s_waitcnt vmcnt(2)
	v_xor_b32_e32 v28, 0x80000000, v28
	v_and_b32_e32 v8, v28, v24
	v_and_b32_e32 v7, v27, v23
	v_cmp_eq_u64_e64 s[10:11], v[7:8], v[21:22]
	s_waitcnt vmcnt(1)
	v_xor_b32_e32 v12, 0x80000000, v12
	v_and_b32_e32 v8, v12, v24
	v_and_b32_e32 v7, v11, v23
	v_cmp_eq_u64_e64 s[12:13], v[7:8], v[21:22]
	v_lshrrev_b64 v[11:12], s8, v[11:12]
	s_waitcnt vmcnt(0)
	v_xor_b32_e32 v10, 0x80000000, v10
	v_and_b32_e32 v8, v10, v24
	v_and_b32_e32 v7, v9, v23
	v_cmp_eq_u64_e64 s[14:15], v[7:8], v[21:22]
	v_lshrrev_b64 v[7:8], s8, v[13:14]
	v_and_b32_e32 v11, 3, v11
	v_and_b32_e32 v15, 3, v7
	v_lshrrev_b64 v[7:8], s8, v[27:28]
	v_cmp_eq_u64_e64 s[6:7], 0, v[15:16]
	v_and_b32_e32 v7, 3, v7
	v_mov_b32_e32 v8, v16
	s_and_b64 s[22:23], vcc, s[6:7]
	v_cmp_eq_u64_e64 s[6:7], 0, v[7:8]
	v_mov_b32_e32 v12, v16
	v_lshrrev_b64 v[9:10], s8, v[9:10]
	s_and_b64 s[24:25], s[10:11], s[6:7]
	v_cmp_eq_u64_e64 s[6:7], 0, v[11:12]
	v_and_b32_e32 v9, 3, v9
	v_mov_b32_e32 v10, v16
	s_and_b64 s[26:27], s[12:13], s[6:7]
	v_cmp_eq_u64_e64 s[6:7], 0, v[9:10]
	v_cndmask_b32_e64 v13, 0, 1, s[22:23]
	s_and_b64 s[28:29], s[14:15], s[6:7]
	v_cmp_ne_u32_e64 s[6:7], 0, v13
	v_cndmask_b32_e64 v13, 0, 1, s[24:25]
	s_bcnt1_i32_b64 s22, s[6:7]
	v_cmp_ne_u32_e64 s[6:7], 0, v13
	v_cndmask_b32_e64 v13, 0, 1, s[26:27]
	s_bcnt1_i32_b64 s23, s[6:7]
	;; [unrolled: 3-line block ×3, first 2 shown]
	v_cmp_ne_u32_e64 s[6:7], 0, v13
	s_bcnt1_i32_b64 s6, s[6:7]
	s_add_u32 s7, s22, s88
	s_addc_u32 s22, 0, s89
	s_add_u32 s7, s7, s23
	s_addc_u32 s22, s22, 0
	;; [unrolled: 2-line block ×3, first 2 shown]
	s_add_u32 s88, s7, s6
	v_cmp_eq_u64_e64 s[6:7], 1, v[15:16]
	s_addc_u32 s89, s22, 0
	s_and_b64 s[22:23], vcc, s[6:7]
	v_cmp_eq_u64_e64 s[6:7], 1, v[7:8]
	v_cndmask_b32_e64 v13, 0, 1, s[22:23]
	s_and_b64 s[24:25], s[10:11], s[6:7]
	v_cmp_eq_u64_e64 s[6:7], 1, v[11:12]
	s_and_b64 s[26:27], s[12:13], s[6:7]
	v_cmp_eq_u64_e64 s[6:7], 1, v[9:10]
	s_and_b64 s[28:29], s[14:15], s[6:7]
	v_cmp_ne_u32_e64 s[6:7], 0, v13
	v_cndmask_b32_e64 v13, 0, 1, s[24:25]
	s_bcnt1_i32_b64 s22, s[6:7]
	v_cmp_ne_u32_e64 s[6:7], 0, v13
	v_cndmask_b32_e64 v13, 0, 1, s[26:27]
	s_bcnt1_i32_b64 s23, s[6:7]
	;; [unrolled: 3-line block ×3, first 2 shown]
	v_cmp_ne_u32_e64 s[6:7], 0, v13
	s_bcnt1_i32_b64 s6, s[6:7]
	s_add_u32 s7, s22, s86
	s_addc_u32 s22, 0, s87
	s_add_u32 s7, s7, s23
	s_addc_u32 s22, s22, 0
	;; [unrolled: 2-line block ×3, first 2 shown]
	s_add_u32 s86, s7, s6
	v_cmp_eq_u64_e64 s[6:7], 2, v[15:16]
	s_addc_u32 s87, s22, 0
	s_and_b64 s[22:23], vcc, s[6:7]
	v_cmp_eq_u64_e64 s[6:7], 2, v[7:8]
	v_cndmask_b32_e64 v13, 0, 1, s[22:23]
	s_and_b64 s[24:25], s[10:11], s[6:7]
	v_cmp_eq_u64_e64 s[6:7], 2, v[11:12]
	s_and_b64 s[26:27], s[12:13], s[6:7]
	v_cmp_eq_u64_e64 s[6:7], 2, v[9:10]
	s_and_b64 s[28:29], s[14:15], s[6:7]
	v_cmp_ne_u32_e64 s[6:7], 0, v13
	v_cndmask_b32_e64 v13, 0, 1, s[24:25]
	s_bcnt1_i32_b64 s22, s[6:7]
	v_cmp_ne_u32_e64 s[6:7], 0, v13
	v_cndmask_b32_e64 v13, 0, 1, s[26:27]
	s_bcnt1_i32_b64 s23, s[6:7]
	;; [unrolled: 3-line block ×3, first 2 shown]
	v_cmp_ne_u32_e64 s[6:7], 0, v13
	s_bcnt1_i32_b64 s6, s[6:7]
	s_add_u32 s7, s22, s84
	s_addc_u32 s22, 0, s85
	s_add_u32 s7, s7, s23
	s_addc_u32 s22, s22, 0
	;; [unrolled: 2-line block ×3, first 2 shown]
	s_add_u32 s84, s7, s6
	v_cmp_eq_u64_e64 s[6:7], 3, v[15:16]
	s_addc_u32 s85, s22, 0
	s_and_b64 s[6:7], vcc, s[6:7]
	v_cmp_eq_u64_e32 vcc, 3, v[7:8]
	v_cndmask_b32_e64 v7, 0, 1, s[6:7]
	s_and_b64 s[10:11], s[10:11], vcc
	v_cmp_eq_u64_e32 vcc, 3, v[11:12]
	v_mov_b32_e32 v11, s84
	s_and_b64 s[12:13], s[12:13], vcc
	v_cmp_eq_u64_e32 vcc, 3, v[9:10]
	v_mov_b32_e32 v9, s86
	s_and_b64 s[14:15], s[14:15], vcc
	v_cmp_ne_u32_e32 vcc, 0, v7
	v_cndmask_b32_e64 v7, 0, 1, s[10:11]
	s_bcnt1_i32_b64 s6, vcc
	v_cmp_ne_u32_e32 vcc, 0, v7
	v_cndmask_b32_e64 v7, 0, 1, s[12:13]
	s_bcnt1_i32_b64 s7, vcc
	;; [unrolled: 3-line block ×3, first 2 shown]
	v_cmp_ne_u32_e32 vcc, 0, v7
	s_bcnt1_i32_b64 s11, vcc
	s_add_u32 s6, s6, s82
	s_addc_u32 s12, 0, s83
	s_add_u32 s6, s6, s7
	s_addc_u32 s7, s12, 0
	s_add_u32 s6, s6, s10
	v_add_co_u32_e32 v3, vcc, s19, v3
	s_addc_u32 s7, s7, 0
	v_addc_co_u32_e32 v4, vcc, 0, v4, vcc
	s_add_u32 s82, s6, s11
	v_cmp_le_u64_e32 vcc, s[76:77], v[3:4]
	s_addc_u32 s83, s7, 0
	v_mov_b32_e32 v7, s88
	v_mov_b32_e32 v13, s82
	s_or_b64 s[80:81], vcc, s[80:81]
	v_mov_b32_e32 v8, s89
	v_mov_b32_e32 v10, s87
	v_mov_b32_e32 v12, s85
	v_mov_b32_e32 v14, s83
	s_andn2_b64 exec, exec, s[80:81]
	s_cbranch_execnz .LBB101_59
; %bb.60:                               ;   in Loop: Header=BB101_17 Depth=1
	s_or_b64 exec, exec, s[80:81]
.LBB101_61:                             ;   in Loop: Header=BB101_17 Depth=1
	s_or_b64 exec, exec, s[78:79]
	v_mov_b32_e32 v4, s77
	v_add_co_u32_e32 v3, vcc, s76, v0
	v_addc_co_u32_e32 v4, vcc, 0, v4, vcc
	v_cmp_gt_u64_e32 vcc, s[20:21], v[3:4]
	s_and_saveexec_b64 s[12:13], vcc
	s_cbranch_execz .LBB101_67
; %bb.62:                               ;   in Loop: Header=BB101_17 Depth=1
	v_mul_lo_u32 v15, v4, s38
	v_mul_lo_u32 v29, v3, s39
	v_mad_u64_u32 v[27:28], s[6:7], v3, s38, 0
	s_mov_b64 s[14:15], 0
	v_add3_u32 v28, v28, v29, v15
	v_lshlrev_b64 v[27:28], 3, v[27:28]
	v_mov_b32_e32 v15, s58
	v_add_co_u32_e32 v27, vcc, s33, v27
	v_addc_co_u32_e32 v28, vcc, v15, v28, vcc
	global_load_dwordx2 v[29:30], v[27:28], off
	s_branch .LBB101_64
.LBB101_63:                             ;   in Loop: Header=BB101_64 Depth=2
	s_or_b64 exec, exec, s[10:11]
	s_waitcnt vmcnt(0)
	v_xor_b32_e32 v30, 0x80000000, v30
	v_and_b32_e32 v44, v30, v24
	v_and_b32_e32 v43, v29, v23
	v_lshrrev_b64 v[29:30], s8, v[29:30]
	s_and_b64 s[10:11], exec, vcc
	v_and_b32_e32 v15, 3, v29
	v_cmp_eq_u64_e32 vcc, v[43:44], v[21:22]
	v_cmp_eq_u64_e64 s[6:7], 0, v[15:16]
	s_or_b64 s[14:15], s[10:11], s[14:15]
	s_and_b64 s[6:7], vcc, s[6:7]
	v_cndmask_b32_e64 v29, 0, 1, s[6:7]
	v_cmp_ne_u32_e64 s[6:7], 0, v29
	s_bcnt1_i32_b64 s10, s[6:7]
	v_cmp_eq_u64_e64 s[6:7], 1, v[15:16]
	v_add_co_u32_e64 v7, s[10:11], s10, v7
	s_and_b64 s[6:7], vcc, s[6:7]
	v_cndmask_b32_e64 v29, 0, 1, s[6:7]
	v_addc_co_u32_e64 v8, s[10:11], 0, v8, s[10:11]
	v_cmp_ne_u32_e64 s[6:7], 0, v29
	s_bcnt1_i32_b64 s10, s[6:7]
	v_cmp_eq_u64_e64 s[6:7], 2, v[15:16]
	v_add_co_u32_e64 v9, s[10:11], s10, v9
	s_and_b64 s[6:7], vcc, s[6:7]
	v_cndmask_b32_e64 v29, 0, 1, s[6:7]
	v_addc_co_u32_e64 v10, s[10:11], 0, v10, s[10:11]
	v_cmp_ne_u32_e64 s[6:7], 0, v29
	s_bcnt1_i32_b64 s10, s[6:7]
	v_cmp_eq_u64_e64 s[6:7], 3, v[15:16]
	v_add_co_u32_e64 v11, s[10:11], s10, v11
	s_and_b64 s[6:7], vcc, s[6:7]
	v_cndmask_b32_e64 v15, 0, 1, s[6:7]
	v_cmp_ne_u32_e32 vcc, 0, v15
	s_bcnt1_i32_b64 s6, vcc
	v_add_co_u32_e32 v13, vcc, s6, v13
	v_mov_b32_e32 v30, v28
	v_addc_co_u32_e64 v12, s[10:11], 0, v12, s[10:11]
	v_addc_co_u32_e32 v14, vcc, 0, v14, vcc
	v_mov_b32_e32 v29, v27
	s_andn2_b64 exec, exec, s[14:15]
	s_cbranch_execz .LBB101_66
.LBB101_64:                             ;   Parent Loop BB101_17 Depth=1
                                        ; =>  This Inner Loop Header: Depth=2
	v_add_co_u32_sdwa v3, vcc, v3, v42 dst_sel:DWORD dst_unused:UNUSED_PAD src0_sel:DWORD src1_sel:WORD_0
	v_addc_co_u32_e32 v4, vcc, 0, v4, vcc
	v_cmp_gt_u64_e64 s[6:7], s[20:21], v[3:4]
	v_cmp_le_u64_e32 vcc, s[20:21], v[3:4]
	v_mov_b32_e32 v27, 0
	v_mov_b32_e32 v28, 0
	s_and_saveexec_b64 s[10:11], s[6:7]
	s_cbranch_execz .LBB101_63
; %bb.65:                               ;   in Loop: Header=BB101_64 Depth=2
	v_mul_lo_u32 v15, v4, s38
	v_mul_lo_u32 v43, v3, s39
	v_mad_u64_u32 v[27:28], s[6:7], v3, s38, 0
	v_add3_u32 v28, v28, v43, v15
	v_lshlrev_b64 v[27:28], 3, v[27:28]
	v_mov_b32_e32 v15, s58
	v_add_co_u32_e64 v27, s[6:7], s33, v27
	v_addc_co_u32_e64 v28, s[6:7], v15, v28, s[6:7]
	global_load_dwordx2 v[27:28], v[27:28], off
	s_branch .LBB101_63
.LBB101_66:                             ;   in Loop: Header=BB101_17 Depth=1
	s_or_b64 exec, exec, s[14:15]
.LBB101_67:                             ;   in Loop: Header=BB101_17 Depth=1
	s_or_b64 exec, exec, s[12:13]
	s_branch .LBB101_46
.LBB101_68:                             ;   in Loop: Header=BB101_17 Depth=1
	global_load_ushort v27, v16, s[56:57]
	v_mov_b32_e32 v7, 0
	v_mov_b32_e32 v9, 0
	;; [unrolled: 1-line block ×8, first 2 shown]
	s_waitcnt vmcnt(0)
	v_readfirstlane_b32 s6, v27
	s_and_b32 s19, 0xffff, s6
	s_lshl_b32 s22, s19, 2
	v_cvt_f32_u32_e32 v3, s22
	s_sub_i32 s6, 0, s22
	v_rcp_iflag_f32_e32 v3, v3
	v_mul_f32_e32 v3, 0x4f7ffffe, v3
	v_cvt_u32_f32_e32 v3, v3
	v_readfirstlane_b32 s7, v3
	s_mul_i32 s6, s6, s7
	s_mul_hi_u32 s6, s7, s6
	s_add_i32 s7, s7, s6
	s_mul_hi_u32 s6, s18, s7
	s_mul_i32 s7, s6, s22
	s_sub_i32 s7, s18, s7
	s_add_i32 s10, s6, 1
	s_sub_i32 s11, s7, s22
	s_cmp_ge_u32 s7, s22
	s_cselect_b32 s6, s10, s6
	s_cselect_b32 s7, s11, s7
	s_add_i32 s10, s6, 1
	s_cmp_ge_u32 s7, s22
	s_cselect_b32 s6, s10, s6
	s_mul_hi_u32 s77, s19, s6
	s_mul_i32 s76, s19, s6
	s_lshl_b64 s[78:79], s[76:77], 2
	v_cmp_gt_u64_e32 vcc, s[78:79], v[19:20]
	s_and_saveexec_b64 s[80:81], vcc
	s_cbranch_execz .LBB101_72
; %bb.69:                               ;   in Loop: Header=BB101_17 Depth=1
	v_mov_b32_e32 v3, v19
	s_lshl_b32 s23, s19, 5
	s_mov_b64 s[82:83], 0
	v_mov_b32_e32 v28, v39
	s_mov_b64 s[84:85], 0
	s_mov_b64 s[86:87], 0
	;; [unrolled: 1-line block ×4, first 2 shown]
	v_mov_b32_e32 v4, v20
.LBB101_70:                             ;   Parent Loop BB101_17 Depth=1
                                        ; =>  This Inner Loop Header: Depth=2
	ds_read_b128 v[11:14], v28
	ds_read_b128 v[7:10], v28 offset:16
	v_add_u32_e32 v28, s23, v28
	s_waitcnt lgkmcnt(1)
	v_xor_b32_e32 v12, 0x80000000, v12
	v_and_b32_e32 v30, v12, v24
	v_and_b32_e32 v29, v11, v23
	v_lshrrev_b64 v[11:12], s8, v[11:12]
	v_xor_b32_e32 v14, 0x80000000, v14
	v_and_b32_e32 v15, 3, v11
	v_lshrrev_b64 v[11:12], s8, v[13:14]
	s_waitcnt lgkmcnt(0)
	v_xor_b32_e32 v8, 0x80000000, v8
	v_cmp_eq_u64_e32 vcc, v[29:30], v[21:22]
	v_and_b32_e32 v30, v14, v24
	v_and_b32_e32 v29, v13, v23
	v_cmp_eq_u64_e64 s[6:7], 0, v[15:16]
	v_cmp_eq_u64_e64 s[10:11], v[29:30], v[21:22]
	v_and_b32_e32 v30, v8, v24
	v_and_b32_e32 v29, v7, v23
	;; [unrolled: 1-line block ×3, first 2 shown]
	v_mov_b32_e32 v12, v16
	v_lshrrev_b64 v[7:8], s8, v[7:8]
	v_xor_b32_e32 v10, 0x80000000, v10
	s_and_b64 s[24:25], vcc, s[6:7]
	v_cmp_eq_u64_e64 s[6:7], 0, v[11:12]
	v_cmp_eq_u64_e64 s[12:13], v[29:30], v[21:22]
	v_and_b32_e32 v30, v10, v24
	v_and_b32_e32 v29, v9, v23
	;; [unrolled: 1-line block ×3, first 2 shown]
	v_mov_b32_e32 v8, v16
	v_lshrrev_b64 v[9:10], s8, v[9:10]
	s_and_b64 s[26:27], s[10:11], s[6:7]
	v_cmp_eq_u64_e64 s[6:7], 0, v[7:8]
	v_and_b32_e32 v9, 3, v9
	v_mov_b32_e32 v10, v16
	v_cmp_eq_u64_e64 s[14:15], v[29:30], v[21:22]
	s_and_b64 s[28:29], s[12:13], s[6:7]
	v_cmp_eq_u64_e64 s[6:7], 0, v[9:10]
	v_cndmask_b32_e64 v13, 0, 1, s[24:25]
	s_and_b64 s[30:31], s[14:15], s[6:7]
	v_cmp_ne_u32_e64 s[6:7], 0, v13
	v_cndmask_b32_e64 v13, 0, 1, s[26:27]
	s_bcnt1_i32_b64 s24, s[6:7]
	v_cmp_ne_u32_e64 s[6:7], 0, v13
	v_cndmask_b32_e64 v13, 0, 1, s[28:29]
	s_bcnt1_i32_b64 s25, s[6:7]
	;; [unrolled: 3-line block ×3, first 2 shown]
	v_cmp_ne_u32_e64 s[6:7], 0, v13
	s_bcnt1_i32_b64 s6, s[6:7]
	s_add_u32 s7, s24, s90
	s_addc_u32 s24, 0, s91
	s_add_u32 s7, s7, s25
	s_addc_u32 s24, s24, 0
	;; [unrolled: 2-line block ×3, first 2 shown]
	s_add_u32 s90, s7, s6
	v_cmp_eq_u64_e64 s[6:7], 1, v[15:16]
	s_addc_u32 s91, s24, 0
	s_and_b64 s[24:25], vcc, s[6:7]
	v_cmp_eq_u64_e64 s[6:7], 1, v[11:12]
	v_cndmask_b32_e64 v13, 0, 1, s[24:25]
	s_and_b64 s[26:27], s[10:11], s[6:7]
	v_cmp_eq_u64_e64 s[6:7], 1, v[7:8]
	s_and_b64 s[28:29], s[12:13], s[6:7]
	v_cmp_eq_u64_e64 s[6:7], 1, v[9:10]
	s_and_b64 s[30:31], s[14:15], s[6:7]
	v_cmp_ne_u32_e64 s[6:7], 0, v13
	v_cndmask_b32_e64 v13, 0, 1, s[26:27]
	s_bcnt1_i32_b64 s24, s[6:7]
	v_cmp_ne_u32_e64 s[6:7], 0, v13
	v_cndmask_b32_e64 v13, 0, 1, s[28:29]
	s_bcnt1_i32_b64 s25, s[6:7]
	;; [unrolled: 3-line block ×3, first 2 shown]
	v_cmp_ne_u32_e64 s[6:7], 0, v13
	s_bcnt1_i32_b64 s6, s[6:7]
	s_add_u32 s7, s24, s88
	s_addc_u32 s24, 0, s89
	s_add_u32 s7, s7, s25
	s_addc_u32 s24, s24, 0
	;; [unrolled: 2-line block ×3, first 2 shown]
	s_add_u32 s88, s7, s6
	v_cmp_eq_u64_e64 s[6:7], 2, v[15:16]
	s_addc_u32 s89, s24, 0
	s_and_b64 s[24:25], vcc, s[6:7]
	v_cmp_eq_u64_e64 s[6:7], 2, v[11:12]
	v_cndmask_b32_e64 v13, 0, 1, s[24:25]
	s_and_b64 s[26:27], s[10:11], s[6:7]
	v_cmp_eq_u64_e64 s[6:7], 2, v[7:8]
	s_and_b64 s[28:29], s[12:13], s[6:7]
	v_cmp_eq_u64_e64 s[6:7], 2, v[9:10]
	s_and_b64 s[30:31], s[14:15], s[6:7]
	v_cmp_ne_u32_e64 s[6:7], 0, v13
	v_cndmask_b32_e64 v13, 0, 1, s[26:27]
	s_bcnt1_i32_b64 s24, s[6:7]
	v_cmp_ne_u32_e64 s[6:7], 0, v13
	v_cndmask_b32_e64 v13, 0, 1, s[28:29]
	s_bcnt1_i32_b64 s25, s[6:7]
	v_cmp_ne_u32_e64 s[6:7], 0, v13
	v_cndmask_b32_e64 v13, 0, 1, s[30:31]
	s_bcnt1_i32_b64 s26, s[6:7]
	v_cmp_ne_u32_e64 s[6:7], 0, v13
	s_bcnt1_i32_b64 s6, s[6:7]
	s_add_u32 s7, s24, s86
	s_addc_u32 s24, 0, s87
	s_add_u32 s7, s7, s25
	s_addc_u32 s24, s24, 0
	;; [unrolled: 2-line block ×3, first 2 shown]
	s_add_u32 s86, s7, s6
	v_cmp_eq_u64_e64 s[6:7], 3, v[15:16]
	s_addc_u32 s87, s24, 0
	s_and_b64 s[6:7], vcc, s[6:7]
	v_cmp_eq_u64_e32 vcc, 3, v[11:12]
	v_mov_b32_e32 v11, s86
	s_and_b64 s[10:11], s[10:11], vcc
	v_cmp_eq_u64_e32 vcc, 3, v[7:8]
	v_cndmask_b32_e64 v7, 0, 1, s[6:7]
	s_and_b64 s[12:13], s[12:13], vcc
	v_cmp_eq_u64_e32 vcc, 3, v[9:10]
	v_mov_b32_e32 v9, s88
	s_and_b64 s[14:15], s[14:15], vcc
	v_cmp_ne_u32_e32 vcc, 0, v7
	v_cndmask_b32_e64 v7, 0, 1, s[10:11]
	s_bcnt1_i32_b64 s6, vcc
	v_cmp_ne_u32_e32 vcc, 0, v7
	v_cndmask_b32_e64 v7, 0, 1, s[12:13]
	s_bcnt1_i32_b64 s7, vcc
	;; [unrolled: 3-line block ×3, first 2 shown]
	v_cmp_ne_u32_e32 vcc, 0, v7
	s_bcnt1_i32_b64 s11, vcc
	s_add_u32 s6, s6, s84
	s_addc_u32 s12, 0, s85
	s_add_u32 s6, s6, s7
	s_addc_u32 s7, s12, 0
	s_add_u32 s6, s6, s10
	v_add_co_u32_e32 v3, vcc, s22, v3
	s_addc_u32 s7, s7, 0
	v_addc_co_u32_e32 v4, vcc, 0, v4, vcc
	s_add_u32 s84, s6, s11
	v_cmp_le_u64_e32 vcc, s[78:79], v[3:4]
	s_addc_u32 s85, s7, 0
	v_mov_b32_e32 v7, s90
	v_mov_b32_e32 v13, s84
	s_or_b64 s[82:83], vcc, s[82:83]
	v_mov_b32_e32 v8, s91
	v_mov_b32_e32 v10, s89
	;; [unrolled: 1-line block ×4, first 2 shown]
	s_andn2_b64 exec, exec, s[82:83]
	s_cbranch_execnz .LBB101_70
; %bb.71:                               ;   in Loop: Header=BB101_17 Depth=1
	s_or_b64 exec, exec, s[82:83]
.LBB101_72:                             ;   in Loop: Header=BB101_17 Depth=1
	s_or_b64 exec, exec, s[80:81]
	v_mov_b32_e32 v4, s79
	v_add_co_u32_e32 v3, vcc, s78, v0
	s_and_b32 s48, s18, 0x7fffffff
	v_addc_co_u32_e32 v4, vcc, 0, v4, vcc
	v_cmp_gt_u64_e32 vcc, s[48:49], v[3:4]
	s_and_saveexec_b64 s[24:25], vcc
	s_cbranch_execz .LBB101_76
; %bb.73:                               ;   in Loop: Header=BB101_17 Depth=1
	v_lshl_add_u32 v28, s76, 5, v32
	s_lshl_b32 s22, s19, 3
	s_mov_b64 s[26:27], 0
.LBB101_74:                             ;   Parent Loop BB101_17 Depth=1
                                        ; =>  This Inner Loop Header: Depth=2
	ds_read_b64 v[29:30], v28
	v_add_co_u32_sdwa v3, vcc, v3, v27 dst_sel:DWORD dst_unused:UNUSED_PAD src0_sel:DWORD src1_sel:WORD_0
	v_addc_co_u32_e32 v4, vcc, 0, v4, vcc
	s_waitcnt lgkmcnt(0)
	v_xor_b32_e32 v30, 0x80000000, v30
	v_and_b32_e32 v42, v29, v23
	v_and_b32_e32 v43, v30, v24
	v_lshrrev_b64 v[29:30], s8, v[29:30]
	v_cmp_eq_u64_e64 s[6:7], v[42:43], v[21:22]
	v_and_b32_e32 v15, 3, v29
	v_cmp_eq_u64_e64 s[10:11], 0, v[15:16]
	v_cmp_eq_u64_e64 s[12:13], 1, v[15:16]
	;; [unrolled: 1-line block ×4, first 2 shown]
	s_and_b64 s[10:11], s[6:7], s[10:11]
	v_cndmask_b32_e64 v15, 0, 1, s[10:11]
	s_and_b64 s[10:11], s[6:7], s[12:13]
	v_cndmask_b32_e64 v29, 0, 1, s[10:11]
	s_and_b64 s[10:11], s[6:7], s[14:15]
	s_and_b64 s[6:7], s[6:7], s[18:19]
	v_cndmask_b32_e64 v42, 0, 1, s[6:7]
	v_cmp_ne_u32_e64 s[6:7], 0, v15
	s_bcnt1_i32_b64 s6, s[6:7]
	v_cndmask_b32_e64 v30, 0, 1, s[10:11]
	v_cmp_ne_u32_e64 s[10:11], 0, v29
	v_add_co_u32_e64 v7, s[6:7], s6, v7
	s_bcnt1_i32_b64 s10, s[10:11]
	v_addc_co_u32_e64 v8, s[6:7], 0, v8, s[6:7]
	v_cmp_le_u64_e32 vcc, s[48:49], v[3:4]
	v_cmp_ne_u32_e64 s[12:13], 0, v30
	v_cmp_ne_u32_e64 s[14:15], 0, v42
	v_add_co_u32_e64 v9, s[6:7], s10, v9
	s_bcnt1_i32_b64 s11, s[12:13]
	s_bcnt1_i32_b64 s12, s[14:15]
	v_addc_co_u32_e64 v10, s[6:7], 0, v10, s[6:7]
	v_add_co_u32_e64 v11, s[6:7], s11, v11
	s_or_b64 s[26:27], vcc, s[26:27]
	v_add_co_u32_e32 v13, vcc, s12, v13
	v_add_u32_e32 v28, s22, v28
	v_addc_co_u32_e64 v12, s[6:7], 0, v12, s[6:7]
	v_addc_co_u32_e32 v14, vcc, 0, v14, vcc
	s_andn2_b64 exec, exec, s[26:27]
	s_cbranch_execnz .LBB101_74
; %bb.75:                               ;   in Loop: Header=BB101_17 Depth=1
	s_or_b64 exec, exec, s[26:27]
.LBB101_76:                             ;   in Loop: Header=BB101_17 Depth=1
	s_or_b64 exec, exec, s[24:25]
	s_lshl_b32 s10, s9, 6
	s_and_saveexec_b64 s[6:7], s[4:5]
	s_cbranch_execnz .LBB101_47
	s_branch .LBB101_48
.LBB101_77:                             ;   in Loop: Header=BB101_17 Depth=1
                                        ; implicit-def: $sgpr6_sgpr7
	s_branch .LBB101_56
.LBB101_78:                             ;   in Loop: Header=BB101_17 Depth=1
	v_mov_b32_e32 v3, 0
	v_mov_b32_e32 v4, 0
	s_mov_b32 s11, 0
.LBB101_79:                             ;   in Loop: Header=BB101_17 Depth=1
	v_readlane_b32 s12, v46, 27
	v_readlane_b32 s13, v46, 28
	s_andn2_b64 vcc, exec, s[12:13]
	s_cbranch_vccnz .LBB101_82
; %bb.80:                               ;   in Loop: Header=BB101_17 Depth=1
	s_lshl_b32 s12, s9, 9
	s_lshl_b32 s11, s11, 5
	s_add_i32 s12, s12, s11
	v_add_u32_e32 v7, s12, v40
	v_readlane_b32 s11, v46, 26
.LBB101_81:                             ;   Parent Loop BB101_17 Depth=1
                                        ; =>  This Inner Loop Header: Depth=2
	ds_read_b64 v[8:9], v7
	s_add_i32 s11, s11, -1
	v_add_u32_e32 v7, 32, v7
	s_cmp_lg_u32 s11, 0
	s_waitcnt lgkmcnt(0)
	v_add_co_u32_e32 v3, vcc, v8, v3
	v_addc_co_u32_e32 v4, vcc, v9, v4, vcc
	s_cbranch_scc1 .LBB101_81
.LBB101_82:                             ;   in Loop: Header=BB101_17 Depth=1
	v_add_lshl_u32 v7, s10, v31, 3
	ds_write_b64 v7, v[3:4] offset:3072
.LBB101_83:                             ;   in Loop: Header=BB101_17 Depth=1
	s_or_b64 exec, exec, s[6:7]
	s_lshl_b32 s6, s10, 3
	v_mov_b32_e32 v3, s6
	s_waitcnt lgkmcnt(0)
	s_barrier
	ds_read_b128 v[11:14], v3 offset:3088
	ds_read_b128 v[7:10], v3 offset:3072
	v_cmp_eq_u64_e64 s[6:7], 1, v[25:26]
	s_lshl_b64 s[12:13], 3, s8
	s_not_b64 s[82:83], s[12:13]
	s_waitcnt lgkmcnt(1)
	v_readfirstlane_b32 s78, v11
	s_waitcnt lgkmcnt(0)
	v_cmp_eq_u64_e32 vcc, 1, v[7:8]
	v_readfirstlane_b32 s79, v12
	v_readfirstlane_b32 s10, v13
	v_readfirstlane_b32 s11, v14
	s_and_b64 s[18:19], vcc, s[6:7]
	s_mov_b64 s[6:7], -1
	s_mov_b64 s[28:29], -1
                                        ; implicit-def: $sgpr26_sgpr27
                                        ; implicit-def: $sgpr24_sgpr25
	s_and_saveexec_b64 s[14:15], s[18:19]
	s_cbranch_execz .LBB101_115
; %bb.84:                               ;   in Loop: Header=BB101_17 Depth=1
	ds_read_b64 v[3:4], v16 offset:5120
	s_waitcnt lgkmcnt(0)
	s_barrier
	v_readfirstlane_b32 s46, v3
	v_readfirstlane_b32 s47, v4
	s_and_saveexec_b64 s[22:23], s[16:17]
; %bb.85:                               ;   in Loop: Header=BB101_17 Depth=1
	v_mov_b32_e32 v15, v16
	ds_write_b64 v33, v[15:16]
; %bb.86:                               ;   in Loop: Header=BB101_17 Depth=1
	s_or_b64 exec, exec, s[22:23]
	v_and_b32_e32 v22, s83, v22
	v_and_b32_e32 v21, s82, v21
	v_or_b32_e32 v24, s13, v24
	v_or_b32_e32 v23, s12, v23
	s_mov_b64 s[24:25], -1
	s_mov_b64 s[26:27], 0
	s_cmp_eq_u64 s[46:47], 0
	s_mov_b64 s[44:45], 0
	s_mov_b64 s[36:37], -1
	s_waitcnt lgkmcnt(0)
	s_barrier
                                        ; implicit-def: $vgpr5_vgpr6
	s_cbranch_scc1 .LBB101_100
; %bb.87:                               ;   in Loop: Header=BB101_17 Depth=1
	s_add_u32 s30, s46, s59
	s_addc_u32 s45, s47, s60
	s_mov_b32 s44, s49
	s_cmp_lg_u64 s[44:45], 0
	s_cbranch_scc0 .LBB101_141
; %bb.88:                               ;   in Loop: Header=BB101_17 Depth=1
	v_cvt_f32_u32_e32 v3, s35
	s_sub_u32 s28, 0, s35
	s_subb_u32 s29, 0, 0
	v_mac_f32_e32 v3, 0, v41
	v_rcp_f32_e32 v3, v3
	v_mul_f32_e32 v3, 0x5f7ffffc, v3
	v_mul_f32_e32 v4, 0x2f800000, v3
	v_trunc_f32_e32 v4, v4
	v_mac_f32_e32 v3, 0xcf800000, v4
	v_cvt_u32_f32_e32 v4, v4
	v_cvt_u32_f32_e32 v3, v3
	v_readfirstlane_b32 s31, v4
	v_readfirstlane_b32 s22, v3
	s_mul_i32 s23, s28, s31
	s_mul_hi_u32 s37, s28, s22
	s_mul_i32 s36, s29, s22
	s_add_i32 s23, s37, s23
	s_mul_i32 s40, s28, s22
	s_add_i32 s23, s23, s36
	s_mul_hi_u32 s37, s22, s40
	s_mul_i32 s41, s22, s23
	s_mul_hi_u32 s36, s22, s23
	s_add_u32 s37, s37, s41
	s_addc_u32 s36, 0, s36
	s_mul_hi_u32 s42, s31, s40
	s_mul_i32 s40, s31, s40
	s_add_u32 s37, s37, s40
	s_mul_hi_u32 s41, s31, s23
	s_addc_u32 s36, s36, s42
	s_addc_u32 s37, s41, 0
	s_mul_i32 s23, s31, s23
	s_add_u32 s23, s36, s23
	s_addc_u32 s36, 0, s37
	s_add_u32 s37, s22, s23
	s_cselect_b64 s[22:23], -1, 0
	s_cmp_lg_u64 s[22:23], 0
	s_addc_u32 s31, s31, s36
	s_mul_i32 s22, s28, s31
	s_mul_hi_u32 s23, s28, s37
	s_add_i32 s22, s23, s22
	s_mul_i32 s29, s29, s37
	s_add_i32 s22, s22, s29
	s_mul_i32 s28, s28, s37
	s_mul_hi_u32 s29, s31, s28
	s_mul_i32 s36, s31, s28
	s_mul_i32 s41, s37, s22
	s_mul_hi_u32 s28, s37, s28
	s_mul_hi_u32 s40, s37, s22
	s_add_u32 s28, s28, s41
	s_addc_u32 s40, 0, s40
	s_add_u32 s28, s28, s36
	s_mul_hi_u32 s23, s31, s22
	s_addc_u32 s28, s40, s29
	s_addc_u32 s23, s23, 0
	s_mul_i32 s22, s31, s22
	s_add_u32 s22, s28, s22
	s_addc_u32 s28, 0, s23
	s_add_u32 s29, s37, s22
	s_cselect_b64 s[22:23], -1, 0
	s_cmp_lg_u64 s[22:23], 0
	s_addc_u32 s22, s31, s28
	s_mul_i32 s28, s30, s22
	s_mul_hi_u32 s31, s30, s29
	s_mul_hi_u32 s23, s30, s22
	s_add_u32 s28, s31, s28
	s_addc_u32 s23, 0, s23
	s_mul_hi_u32 s36, s45, s29
	s_mul_i32 s29, s45, s29
	s_add_u32 s28, s28, s29
	s_mul_hi_u32 s31, s45, s22
	s_addc_u32 s23, s23, s36
	s_addc_u32 s28, s31, 0
	s_mul_i32 s22, s45, s22
	s_add_u32 s22, s23, s22
	s_addc_u32 s23, 0, s28
	s_mul_i32 s23, s35, s23
	s_mul_hi_u32 s28, s35, s22
	s_add_i32 s28, s28, s23
	s_mul_i32 s22, s35, s22
	s_sub_u32 s29, s30, s22
	s_cselect_b64 s[22:23], -1, 0
	s_cmp_lg_u64 s[22:23], 0
	s_subb_u32 s28, s45, s28
	s_sub_u32 s31, s29, s35
	s_cselect_b64 s[22:23], -1, 0
	s_cmp_lg_u64 s[22:23], 0
	s_subb_u32 s36, s28, 0
	;; [unrolled: 4-line block ×3, first 2 shown]
	s_cmp_ge_u32 s31, s35
	s_cselect_b32 s23, -1, 0
	s_cmp_eq_u32 s36, 0
	s_cselect_b32 s23, s23, -1
	s_cmp_lg_u32 s23, 0
	s_cselect_b32 s22, s22, s36
	s_cselect_b32 s31, s37, s31
	s_cmp_ge_u32 s29, s35
	s_cselect_b32 s23, -1, 0
	s_cmp_eq_u32 s28, 0
	s_cselect_b32 s23, s23, -1
	s_cmp_lg_u32 s23, 0
	s_cselect_b32 s23, s22, s28
	s_cselect_b32 s22, s31, s29
	s_cbranch_execnz .LBB101_90
.LBB101_89:                             ;   in Loop: Header=BB101_17 Depth=1
	v_cvt_f32_u32_e32 v3, s35
	s_sub_i32 s22, 0, s35
	v_rcp_iflag_f32_e32 v3, v3
	v_mul_f32_e32 v3, 0x4f7ffffe, v3
	v_cvt_u32_f32_e32 v3, v3
	v_readfirstlane_b32 s23, v3
	s_mul_i32 s22, s22, s23
	s_mul_hi_u32 s22, s23, s22
	s_add_i32 s23, s23, s22
	s_mul_hi_u32 s22, s30, s23
	s_mul_i32 s22, s22, s35
	s_sub_i32 s22, s30, s22
	s_sub_i32 s23, s22, s35
	s_cmp_ge_u32 s22, s35
	s_cselect_b32 s22, s23, s22
	s_sub_i32 s23, s22, s35
	s_cmp_ge_u32 s22, s35
	s_cselect_b32 s48, s23, s22
	s_mov_b64 s[22:23], s[48:49]
.LBB101_90:                             ;   in Loop: Header=BB101_17 Depth=1
	s_sub_u32 s30, s30, s22
	s_subb_u32 s31, s45, s23
	v_cmp_gt_u64_e32 vcc, s[30:31], v[0:1]
	s_mov_b64 s[36:37], 0
	s_mov_b64 s[44:45], 0
                                        ; implicit-def: $vgpr5_vgpr6
	s_and_saveexec_b64 s[28:29], vcc
	s_cbranch_execz .LBB101_99
; %bb.91:                               ;   in Loop: Header=BB101_17 Depth=1
	v_mov_b32_e32 v12, v1
	v_mov_b32_e32 v13, v32
	v_mov_b32_e32 v11, v0
                                        ; implicit-def: $sgpr42_sgpr43
	s_branch .LBB101_94
.LBB101_92:                             ;   in Loop: Header=BB101_94 Depth=2
	s_or_b64 exec, exec, s[22:23]
	s_waitcnt lgkmcnt(0)
	s_barrier
	ds_read_b128 v[3:6], v16 offset:3072
	s_mov_b64 s[22:23], -1
	s_mov_b64 s[76:77], -1
	s_waitcnt lgkmcnt(0)
	s_barrier
	v_cmp_ne_u64_e32 vcc, 0, v[3:4]
	s_cbranch_vccz .LBB101_97
.LBB101_93:                             ;   in Loop: Header=BB101_94 Depth=2
	s_and_b64 s[22:23], exec, s[22:23]
	s_or_b64 s[44:45], s[22:23], s[44:45]
	s_andn2_b64 s[22:23], s[42:43], exec
	s_and_b64 s[40:41], s[76:77], exec
	s_or_b64 s[42:43], s[22:23], s[40:41]
	s_andn2_b64 exec, exec, s[44:45]
	s_cbranch_execz .LBB101_98
.LBB101_94:                             ;   Parent Loop BB101_17 Depth=1
                                        ; =>  This Inner Loop Header: Depth=2
	v_cmp_gt_u64_e32 vcc, s[46:47], v[11:12]
	s_and_saveexec_b64 s[22:23], vcc
	s_cbranch_execz .LBB101_92
; %bb.95:                               ;   in Loop: Header=BB101_94 Depth=2
	ds_read_b64 v[4:5], v13
	s_waitcnt lgkmcnt(0)
	v_xor_b32_e32 v3, 0x80000000, v5
	v_and_b32_e32 v15, v3, v24
	v_and_b32_e32 v14, v4, v23
	v_cmp_eq_u64_e32 vcc, v[14:15], v[21:22]
	s_and_b64 exec, exec, vcc
	s_cbranch_execz .LBB101_92
; %bb.96:                               ;   in Loop: Header=BB101_94 Depth=2
	v_mov_b32_e32 v3, v16
	ds_write_b128 v16, v[2:5] offset:3072
	s_branch .LBB101_92
.LBB101_97:                             ;   in Loop: Header=BB101_94 Depth=2
	v_add_co_u32_e32 v11, vcc, s35, v11
	v_addc_co_u32_e32 v12, vcc, 0, v12, vcc
	v_cmp_le_u64_e32 vcc, s[30:31], v[11:12]
	v_add_u32_e32 v13, s3, v13
	s_mov_b64 s[76:77], 0
	s_orn2_b64 s[22:23], vcc, exec
	s_branch .LBB101_93
.LBB101_98:                             ;   in Loop: Header=BB101_17 Depth=1
	s_or_b64 exec, exec, s[44:45]
	s_and_b64 s[44:45], s[42:43], exec
.LBB101_99:                             ;   in Loop: Header=BB101_17 Depth=1
	s_or_b64 exec, exec, s[28:29]
.LBB101_100:                            ;   in Loop: Header=BB101_17 Depth=1
	s_and_b64 vcc, exec, s[36:37]
	s_cbranch_vccz .LBB101_114
; %bb.101:                              ;   in Loop: Header=BB101_17 Depth=1
	s_mov_b32 s54, s49
	s_cmp_lg_u64 s[54:55], 0
	s_cbranch_scc0 .LBB101_145
; %bb.102:                              ;   in Loop: Header=BB101_17 Depth=1
	v_cvt_f32_u32_e32 v3, s35
	s_sub_u32 s24, 0, s35
	s_subb_u32 s25, 0, 0
	v_mac_f32_e32 v3, 0, v41
	v_rcp_f32_e32 v3, v3
	v_mul_f32_e32 v3, 0x5f7ffffc, v3
	v_mul_f32_e32 v4, 0x2f800000, v3
	v_trunc_f32_e32 v4, v4
	v_mac_f32_e32 v3, 0xcf800000, v4
	v_cvt_u32_f32_e32 v4, v4
	v_cvt_u32_f32_e32 v3, v3
	v_readfirstlane_b32 s26, v4
	v_readfirstlane_b32 s22, v3
	s_mul_i32 s23, s24, s26
	s_mul_hi_u32 s28, s24, s22
	s_mul_i32 s27, s25, s22
	s_add_i32 s23, s28, s23
	s_mul_i32 s29, s24, s22
	s_add_i32 s23, s23, s27
	s_mul_hi_u32 s28, s22, s29
	s_mul_i32 s30, s22, s23
	s_mul_hi_u32 s27, s22, s23
	s_add_u32 s28, s28, s30
	s_addc_u32 s27, 0, s27
	s_mul_hi_u32 s31, s26, s29
	s_mul_i32 s29, s26, s29
	s_add_u32 s28, s28, s29
	s_mul_hi_u32 s30, s26, s23
	s_addc_u32 s27, s27, s31
	s_addc_u32 s28, s30, 0
	s_mul_i32 s23, s26, s23
	s_add_u32 s23, s27, s23
	s_addc_u32 s27, 0, s28
	s_add_u32 s28, s22, s23
	s_cselect_b64 s[22:23], -1, 0
	s_cmp_lg_u64 s[22:23], 0
	s_addc_u32 s26, s26, s27
	s_mul_i32 s22, s24, s26
	s_mul_hi_u32 s23, s24, s28
	s_add_i32 s22, s23, s22
	s_mul_i32 s25, s25, s28
	s_add_i32 s22, s22, s25
	s_mul_i32 s24, s24, s28
	s_mul_hi_u32 s25, s26, s24
	s_mul_i32 s27, s26, s24
	s_mul_i32 s30, s28, s22
	s_mul_hi_u32 s24, s28, s24
	s_mul_hi_u32 s29, s28, s22
	s_add_u32 s24, s24, s30
	s_addc_u32 s29, 0, s29
	s_add_u32 s24, s24, s27
	s_mul_hi_u32 s23, s26, s22
	s_addc_u32 s24, s29, s25
	s_addc_u32 s23, s23, 0
	s_mul_i32 s22, s26, s22
	s_add_u32 s22, s24, s22
	s_addc_u32 s24, 0, s23
	s_add_u32 s25, s28, s22
	s_cselect_b64 s[22:23], -1, 0
	s_cmp_lg_u64 s[22:23], 0
	s_addc_u32 s22, s26, s24
	s_mul_i32 s24, s61, s22
	s_mul_hi_u32 s26, s61, s25
	s_mul_hi_u32 s23, s61, s22
	s_add_u32 s24, s26, s24
	s_addc_u32 s23, 0, s23
	s_mul_hi_u32 s27, s55, s25
	s_mul_i32 s25, s55, s25
	s_add_u32 s24, s24, s25
	s_mul_hi_u32 s26, s55, s22
	s_addc_u32 s23, s23, s27
	s_addc_u32 s24, s26, 0
	s_mul_i32 s22, s55, s22
	s_add_u32 s22, s23, s22
	s_addc_u32 s23, 0, s24
	s_mul_i32 s23, s35, s23
	s_mul_hi_u32 s24, s35, s22
	s_add_i32 s24, s24, s23
	s_mul_i32 s22, s35, s22
	s_sub_u32 s25, s61, s22
	s_cselect_b64 s[22:23], -1, 0
	s_cmp_lg_u64 s[22:23], 0
	s_subb_u32 s24, s55, s24
	s_sub_u32 s26, s25, s35
	s_cselect_b64 s[22:23], -1, 0
	s_cmp_lg_u64 s[22:23], 0
	s_subb_u32 s27, s24, 0
	;; [unrolled: 4-line block ×3, first 2 shown]
	s_cmp_ge_u32 s26, s35
	s_cselect_b32 s23, -1, 0
	s_cmp_eq_u32 s27, 0
	s_cselect_b32 s23, s23, -1
	s_cmp_lg_u32 s23, 0
	s_cselect_b32 s22, s22, s27
	s_cselect_b32 s26, s28, s26
	s_cmp_ge_u32 s25, s35
	s_cselect_b32 s23, -1, 0
	s_cmp_eq_u32 s24, 0
	s_cselect_b32 s23, s23, -1
	s_cmp_lg_u32 s23, 0
	s_cselect_b32 s23, s22, s24
	s_cselect_b32 s22, s26, s25
	s_cbranch_execnz .LBB101_104
.LBB101_103:                            ;   in Loop: Header=BB101_17 Depth=1
	v_cvt_f32_u32_e32 v3, s35
	s_sub_i32 s22, 0, s35
	v_rcp_iflag_f32_e32 v3, v3
	v_mul_f32_e32 v3, 0x4f7ffffe, v3
	v_cvt_u32_f32_e32 v3, v3
	v_readfirstlane_b32 s23, v3
	s_mul_i32 s22, s22, s23
	s_mul_hi_u32 s22, s23, s22
	s_add_i32 s23, s23, s22
	s_mul_hi_u32 s22, s61, s23
	s_mul_i32 s22, s22, s35
	s_sub_i32 s22, s61, s22
	s_sub_i32 s23, s22, s35
	s_cmp_ge_u32 s22, s35
	s_cselect_b32 s22, s23, s22
	s_sub_i32 s23, s22, s35
	s_cmp_ge_u32 s22, s35
	s_cselect_b32 s48, s23, s22
	s_mov_b64 s[22:23], s[48:49]
.LBB101_104:                            ;   in Loop: Header=BB101_17 Depth=1
	s_sub_u32 s26, s61, s22
	s_subb_u32 s27, s55, s23
	v_cmp_gt_u64_e32 vcc, s[26:27], v[0:1]
                                        ; implicit-def: $vgpr5_vgpr6
	s_and_saveexec_b64 s[24:25], vcc
	s_cbranch_execz .LBB101_113
; %bb.105:                              ;   in Loop: Header=BB101_17 Depth=1
	v_mov_b32_e32 v12, v1
	s_mov_b64 s[30:31], 0
	v_mov_b32_e32 v11, v0
                                        ; implicit-def: $sgpr28_sgpr29
	s_branch .LBB101_108
.LBB101_106:                            ;   in Loop: Header=BB101_108 Depth=2
	s_or_b64 exec, exec, s[36:37]
	s_waitcnt lgkmcnt(0)
	s_barrier
	ds_read_b128 v[3:6], v16 offset:3072
	s_mov_b64 s[36:37], -1
	s_mov_b64 s[22:23], -1
	s_waitcnt lgkmcnt(0)
	s_barrier
	v_cmp_ne_u64_e32 vcc, 0, v[3:4]
	s_cbranch_vccz .LBB101_111
.LBB101_107:                            ;   in Loop: Header=BB101_108 Depth=2
	s_and_b64 s[36:37], exec, s[36:37]
	s_or_b64 s[30:31], s[36:37], s[30:31]
	s_andn2_b64 s[28:29], s[28:29], exec
	s_and_b64 s[22:23], s[22:23], exec
	s_or_b64 s[28:29], s[28:29], s[22:23]
	s_andn2_b64 exec, exec, s[30:31]
	s_cbranch_execz .LBB101_112
.LBB101_108:                            ;   Parent Loop BB101_17 Depth=1
                                        ; =>  This Inner Loop Header: Depth=2
	v_cmp_gt_u64_e32 vcc, s[20:21], v[11:12]
	s_and_saveexec_b64 s[36:37], vcc
	s_cbranch_execz .LBB101_106
; %bb.109:                              ;   in Loop: Header=BB101_108 Depth=2
	v_mul_lo_u32 v5, v12, s38
	v_mul_lo_u32 v6, v11, s39
	v_mad_u64_u32 v[3:4], s[22:23], v11, s38, 0
	v_add3_u32 v4, v4, v6, v5
	v_lshlrev_b64 v[3:4], 3, v[3:4]
	v_mov_b32_e32 v5, s58
	v_add_co_u32_e32 v3, vcc, s33, v3
	v_addc_co_u32_e32 v4, vcc, v5, v4, vcc
	global_load_dwordx2 v[4:5], v[3:4], off
	s_waitcnt vmcnt(0)
	v_xor_b32_e32 v3, 0x80000000, v5
	v_and_b32_e32 v14, v3, v24
	v_and_b32_e32 v13, v4, v23
	v_cmp_eq_u64_e32 vcc, v[13:14], v[21:22]
	s_and_b64 exec, exec, vcc
	s_cbranch_execz .LBB101_106
; %bb.110:                              ;   in Loop: Header=BB101_108 Depth=2
	v_mov_b32_e32 v3, v16
	ds_write_b128 v16, v[2:5] offset:3072
	s_branch .LBB101_106
.LBB101_111:                            ;   in Loop: Header=BB101_108 Depth=2
	v_add_co_u32_e32 v11, vcc, s35, v11
	v_addc_co_u32_e32 v12, vcc, 0, v12, vcc
	v_cmp_le_u64_e32 vcc, s[26:27], v[11:12]
	s_mov_b64 s[22:23], 0
	s_orn2_b64 s[36:37], vcc, exec
	s_branch .LBB101_107
.LBB101_112:                            ;   in Loop: Header=BB101_17 Depth=1
	s_or_b64 exec, exec, s[30:31]
	s_andn2_b64 s[22:23], s[44:45], exec
	s_and_b64 s[26:27], s[28:29], exec
	s_or_b64 s[44:45], s[22:23], s[26:27]
.LBB101_113:                            ;   in Loop: Header=BB101_17 Depth=1
	s_or_b64 exec, exec, s[24:25]
	s_mov_b64 s[24:25], 0
	s_mov_b64 s[26:27], -1
.LBB101_114:                            ;   in Loop: Header=BB101_17 Depth=1
	s_orn2_b64 s[28:29], s[44:45], exec
.LBB101_115:                            ;   in Loop: Header=BB101_17 Depth=1
	s_or_b64 exec, exec, s[14:15]
	s_andn2_b64 s[14:15], s[74:75], exec
	s_and_b64 s[22:23], s[26:27], exec
	s_or_b64 s[74:75], s[14:15], s[22:23]
	s_andn2_b64 s[14:15], s[72:73], exec
	s_and_b64 s[22:23], s[24:25], exec
	s_andn2_b64 s[70:71], s[70:71], exec
	s_or_b64 s[72:73], s[14:15], s[22:23]
                                        ; implicit-def: $vgpr11_vgpr12
	s_and_saveexec_b64 s[14:15], s[28:29]
	s_cbranch_execz .LBB101_16
; %bb.116:                              ;   in Loop: Header=BB101_17 Depth=1
	v_mov_b32_e32 v11, 1
	s_xor_b64 s[18:19], s[18:19], -1
	v_mov_b32_e32 v13, 1
	v_mov_b32_e32 v12, 0
	s_mov_b64 s[26:27], 0
	s_and_saveexec_b64 s[6:7], s[18:19]
	s_cbranch_execz .LBB101_125
; %bb.117:                              ;   in Loop: Header=BB101_17 Depth=1
	v_cmp_le_u64_e32 vcc, v[25:26], v[7:8]
	s_and_saveexec_b64 s[18:19], vcc
	s_xor_b64 s[18:19], exec, s[18:19]
	s_cbranch_execz .LBB101_122
; %bb.118:                              ;   in Loop: Header=BB101_17 Depth=1
	ds_read_b64 v[3:4], v16 offset:5120
	v_and_b32_e32 v22, s83, v22
	v_and_b32_e32 v21, s82, v21
	v_or_b32_e32 v24, s13, v24
	v_or_b32_e32 v23, s12, v23
	s_waitcnt lgkmcnt(0)
	v_cmp_ne_u64_e32 vcc, 0, v[3:4]
	s_cbranch_vccnz .LBB101_122
; %bb.119:                              ;   in Loop: Header=BB101_17 Depth=1
	s_and_saveexec_b64 s[22:23], s[0:1]
; %bb.120:                              ;   in Loop: Header=BB101_17 Depth=1
	ds_write_b64 v16, v[7:8] offset:5128
; %bb.121:                              ;   in Loop: Header=BB101_17 Depth=1
	s_or_b64 exec, exec, s[22:23]
	s_waitcnt lgkmcnt(0)
	s_barrier
.LBB101_122:                            ;   in Loop: Header=BB101_17 Depth=1
	s_or_saveexec_b64 s[18:19], s[18:19]
	s_mov_b64 s[24:25], 0
	v_mov_b32_e32 v13, 8
	s_xor_b64 exec, exec, s[18:19]
; %bb.123:                              ;   in Loop: Header=BB101_17 Depth=1
	v_sub_co_u32_e32 v25, vcc, v25, v7
	s_mov_b64 s[24:25], exec
	v_subb_co_u32_e32 v26, vcc, v26, v8, vcc
	v_mov_b32_e32 v13, 0
; %bb.124:                              ;   in Loop: Header=BB101_17 Depth=1
	s_or_b64 exec, exec, s[18:19]
	v_mov_b32_e32 v11, v25
	s_and_b64 s[26:27], s[24:25], exec
	v_mov_b32_e32 v12, v26
.LBB101_125:                            ;   in Loop: Header=BB101_17 Depth=1
	s_or_b64 exec, exec, s[6:7]
	s_mov_b64 s[18:19], -1
	s_mov_b64 s[24:25], -1
                                        ; implicit-def: $sgpr6_sgpr7
                                        ; implicit-def: $sgpr80_sgpr81
	s_and_saveexec_b64 s[22:23], s[26:27]
	s_xor_b64 s[76:77], exec, s[22:23]
	s_cbranch_execz .LBB101_270
; %bb.126:                              ;   in Loop: Header=BB101_17 Depth=1
	v_cmp_eq_u64_e32 vcc, 1, v[9:10]
	v_cmp_eq_u64_e64 s[6:7], 1, v[11:12]
                                        ; implicit-def: $sgpr80_sgpr81
	s_and_b64 s[86:87], vcc, s[6:7]
                                        ; implicit-def: $sgpr6_sgpr7
	s_and_saveexec_b64 s[84:85], s[86:87]
	s_cbranch_execz .LBB101_163
; %bb.127:                              ;   in Loop: Header=BB101_17 Depth=1
	ds_read_b64 v[3:4], v16 offset:5120
	s_waitcnt lgkmcnt(0)
	s_barrier
	v_readfirstlane_b32 s26, v3
	v_readfirstlane_b32 s27, v4
	s_and_saveexec_b64 s[6:7], s[16:17]
; %bb.128:                              ;   in Loop: Header=BB101_17 Depth=1
	v_mov_b32_e32 v15, v16
	ds_write_b64 v33, v[15:16]
; %bb.129:                              ;   in Loop: Header=BB101_17 Depth=1
	s_or_b64 exec, exec, s[6:7]
	s_lshl_b64 s[6:7], 1, s8
	v_and_b32_e32 v3, s83, v22
	v_and_b32_e32 v4, s82, v21
	v_or_b32_e32 v22, s7, v3
	v_or_b32_e32 v21, s6, v4
	;; [unrolled: 1-line block ×4, first 2 shown]
	s_mov_b64 s[6:7], -1
	s_mov_b64 s[80:81], 0
	s_cmp_eq_u64 s[26:27], 0
	s_mov_b64 s[24:25], 0
	s_mov_b64 s[44:45], -1
	s_waitcnt lgkmcnt(0)
	s_barrier
                                        ; implicit-def: $vgpr5_vgpr6
	s_cbranch_scc1 .LBB101_148
; %bb.130:                              ;   in Loop: Header=BB101_17 Depth=1
	s_add_u32 s30, s26, s59
	s_addc_u32 s25, s27, s60
	s_mov_b32 s24, s49
	s_cmp_lg_u64 s[24:25], 0
	s_cbranch_scc0 .LBB101_190
; %bb.131:                              ;   in Loop: Header=BB101_17 Depth=1
	v_cvt_f32_u32_e32 v3, s35
	s_sub_u32 s24, 0, s35
	s_subb_u32 s28, 0, 0
	v_mac_f32_e32 v3, 0, v41
	v_rcp_f32_e32 v3, v3
	v_mul_f32_e32 v3, 0x5f7ffffc, v3
	v_mul_f32_e32 v4, 0x2f800000, v3
	v_trunc_f32_e32 v4, v4
	v_mac_f32_e32 v3, 0xcf800000, v4
	v_cvt_u32_f32_e32 v4, v4
	v_cvt_u32_f32_e32 v3, v3
	v_readfirstlane_b32 s29, v4
	v_readfirstlane_b32 s22, v3
	s_mul_i32 s23, s24, s29
	s_mul_hi_u32 s36, s24, s22
	s_mul_i32 s31, s28, s22
	s_add_i32 s23, s36, s23
	s_mul_i32 s37, s24, s22
	s_add_i32 s23, s23, s31
	s_mul_hi_u32 s36, s22, s37
	s_mul_i32 s40, s22, s23
	s_mul_hi_u32 s31, s22, s23
	s_add_u32 s36, s36, s40
	s_addc_u32 s31, 0, s31
	s_mul_hi_u32 s41, s29, s37
	s_mul_i32 s37, s29, s37
	s_add_u32 s36, s36, s37
	s_mul_hi_u32 s40, s29, s23
	s_addc_u32 s31, s31, s41
	s_addc_u32 s36, s40, 0
	s_mul_i32 s23, s29, s23
	s_add_u32 s23, s31, s23
	s_addc_u32 s31, 0, s36
	s_add_u32 s36, s22, s23
	s_cselect_b64 s[22:23], -1, 0
	s_cmp_lg_u64 s[22:23], 0
	s_addc_u32 s29, s29, s31
	s_mul_i32 s22, s24, s29
	s_mul_hi_u32 s23, s24, s36
	s_add_i32 s22, s23, s22
	s_mul_i32 s28, s28, s36
	s_add_i32 s22, s22, s28
	s_mul_i32 s24, s24, s36
	s_mul_hi_u32 s28, s29, s24
	s_mul_i32 s31, s29, s24
	s_mul_i32 s40, s36, s22
	s_mul_hi_u32 s24, s36, s24
	s_mul_hi_u32 s37, s36, s22
	s_add_u32 s24, s24, s40
	s_addc_u32 s37, 0, s37
	s_add_u32 s24, s24, s31
	s_mul_hi_u32 s23, s29, s22
	s_addc_u32 s24, s37, s28
	s_addc_u32 s23, s23, 0
	s_mul_i32 s22, s29, s22
	s_add_u32 s22, s24, s22
	s_addc_u32 s24, 0, s23
	s_add_u32 s28, s36, s22
	s_cselect_b64 s[22:23], -1, 0
	s_cmp_lg_u64 s[22:23], 0
	s_addc_u32 s22, s29, s24
	s_mul_i32 s24, s30, s22
	s_mul_hi_u32 s29, s30, s28
	s_mul_hi_u32 s23, s30, s22
	s_add_u32 s24, s29, s24
	s_addc_u32 s23, 0, s23
	s_mul_hi_u32 s31, s25, s28
	s_mul_i32 s28, s25, s28
	s_add_u32 s24, s24, s28
	s_mul_hi_u32 s29, s25, s22
	s_addc_u32 s23, s23, s31
	s_addc_u32 s24, s29, 0
	s_mul_i32 s22, s25, s22
	s_add_u32 s22, s23, s22
	s_addc_u32 s23, 0, s24
	s_mul_i32 s23, s35, s23
	s_mul_hi_u32 s24, s35, s22
	s_add_i32 s24, s24, s23
	s_mul_i32 s22, s35, s22
	s_sub_u32 s28, s30, s22
	s_cselect_b64 s[22:23], -1, 0
	s_cmp_lg_u64 s[22:23], 0
	s_subb_u32 s24, s25, s24
	s_sub_u32 s29, s28, s35
	s_cselect_b64 s[22:23], -1, 0
	s_cmp_lg_u64 s[22:23], 0
	s_subb_u32 s31, s24, 0
	;; [unrolled: 4-line block ×3, first 2 shown]
	s_cmp_ge_u32 s29, s35
	s_cselect_b32 s23, -1, 0
	s_cmp_eq_u32 s31, 0
	s_cselect_b32 s23, s23, -1
	s_cmp_lg_u32 s23, 0
	s_cselect_b32 s22, s22, s31
	s_cselect_b32 s29, s36, s29
	s_cmp_ge_u32 s28, s35
	s_cselect_b32 s23, -1, 0
	s_cmp_eq_u32 s24, 0
	s_cselect_b32 s23, s23, -1
	s_cmp_lg_u32 s23, 0
	s_cselect_b32 s23, s22, s24
	s_cselect_b32 s22, s29, s28
	s_cbranch_execnz .LBB101_133
.LBB101_132:                            ;   in Loop: Header=BB101_17 Depth=1
	v_cvt_f32_u32_e32 v3, s35
	s_sub_i32 s22, 0, s35
	v_rcp_iflag_f32_e32 v3, v3
	v_mul_f32_e32 v3, 0x4f7ffffe, v3
	v_cvt_u32_f32_e32 v3, v3
	v_readfirstlane_b32 s23, v3
	s_mul_i32 s22, s22, s23
	s_mul_hi_u32 s22, s23, s22
	s_add_i32 s23, s23, s22
	s_mul_hi_u32 s22, s30, s23
	s_mul_i32 s22, s22, s35
	s_sub_i32 s22, s30, s22
	s_sub_i32 s23, s22, s35
	s_cmp_ge_u32 s22, s35
	s_cselect_b32 s22, s23, s22
	s_sub_i32 s23, s22, s35
	s_cmp_ge_u32 s22, s35
	s_cselect_b32 s48, s23, s22
	s_mov_b64 s[22:23], s[48:49]
.LBB101_133:                            ;   in Loop: Header=BB101_17 Depth=1
	s_sub_u32 s28, s30, s22
	s_subb_u32 s29, s25, s23
	v_cmp_gt_u64_e32 vcc, s[28:29], v[0:1]
	s_mov_b64 s[44:45], 0
	s_mov_b64 s[24:25], 0
                                        ; implicit-def: $vgpr5_vgpr6
	s_and_saveexec_b64 s[36:37], vcc
	s_cbranch_execz .LBB101_147
; %bb.134:                              ;   in Loop: Header=BB101_17 Depth=1
	v_mov_b32_e32 v8, v1
	v_mov_b32_e32 v14, v32
	;; [unrolled: 1-line block ×3, first 2 shown]
                                        ; implicit-def: $sgpr30_sgpr31
	s_branch .LBB101_137
.LBB101_135:                            ;   in Loop: Header=BB101_137 Depth=2
	s_or_b64 exec, exec, s[42:43]
	s_waitcnt lgkmcnt(0)
	s_barrier
	ds_read_b128 v[3:6], v16 offset:3072
	s_mov_b64 s[22:23], -1
	s_mov_b64 s[42:43], -1
	s_waitcnt lgkmcnt(0)
	s_barrier
	v_cmp_ne_u64_e32 vcc, 0, v[3:4]
	s_cbranch_vccz .LBB101_140
.LBB101_136:                            ;   in Loop: Header=BB101_137 Depth=2
	s_and_b64 s[22:23], exec, s[22:23]
	s_or_b64 s[24:25], s[22:23], s[24:25]
	s_andn2_b64 s[22:23], s[30:31], exec
	s_and_b64 s[30:31], s[42:43], exec
	s_or_b64 s[30:31], s[22:23], s[30:31]
	s_andn2_b64 exec, exec, s[24:25]
	s_cbranch_execz .LBB101_146
.LBB101_137:                            ;   Parent Loop BB101_17 Depth=1
                                        ; =>  This Inner Loop Header: Depth=2
	v_cmp_gt_u64_e32 vcc, s[26:27], v[7:8]
	s_and_saveexec_b64 s[42:43], vcc
	s_cbranch_execz .LBB101_135
; %bb.138:                              ;   in Loop: Header=BB101_137 Depth=2
	ds_read_b64 v[4:5], v14
	s_waitcnt lgkmcnt(0)
	v_xor_b32_e32 v3, 0x80000000, v5
	v_and_b32_e32 v26, v3, v24
	v_and_b32_e32 v25, v4, v23
	v_cmp_eq_u64_e32 vcc, v[25:26], v[21:22]
	s_and_b64 exec, exec, vcc
	s_cbranch_execz .LBB101_135
; %bb.139:                              ;   in Loop: Header=BB101_137 Depth=2
	v_mov_b32_e32 v3, v16
	ds_write_b128 v16, v[2:5] offset:3072
	s_branch .LBB101_135
.LBB101_140:                            ;   in Loop: Header=BB101_137 Depth=2
	v_add_co_u32_e32 v7, vcc, s35, v7
	v_addc_co_u32_e32 v8, vcc, 0, v8, vcc
	v_cmp_le_u64_e32 vcc, s[28:29], v[7:8]
	v_add_u32_e32 v14, s3, v14
	s_mov_b64 s[42:43], 0
	s_orn2_b64 s[22:23], vcc, exec
	s_branch .LBB101_136
.LBB101_141:                            ;   in Loop: Header=BB101_17 Depth=1
                                        ; implicit-def: $sgpr22_sgpr23
	s_andn2_b64 vcc, exec, s[28:29]
	s_cbranch_vccz .LBB101_89
	s_branch .LBB101_90
.LBB101_142:                            ;   in Loop: Header=BB101_17 Depth=1
	s_or_b64 exec, exec, s[14:15]
	s_waitcnt lgkmcnt(0)
	s_barrier
	s_and_saveexec_b64 s[6:7], s[0:1]
	s_cbranch_execz .LBB101_144
; %bb.143:                              ;   in Loop: Header=BB101_17 Depth=1
	ds_read_b32 v3, v16 offset:5144
	s_waitcnt lgkmcnt(0)
	v_ashrrev_i32_e32 v4, 31, v3
	ds_write_b64 v16, v[3:4] offset:5120
.LBB101_144:                            ;   in Loop: Header=BB101_17 Depth=1
	s_or_b64 exec, exec, s[6:7]
	s_waitcnt lgkmcnt(0)
	s_barrier
	s_mov_b64 s[6:7], -1
	s_and_b64 vcc, exec, s[12:13]
	s_cbranch_vccnz .LBB101_33
	s_branch .LBB101_42
.LBB101_145:                            ;   in Loop: Header=BB101_17 Depth=1
                                        ; implicit-def: $sgpr22_sgpr23
	s_branch .LBB101_103
.LBB101_146:                            ;   in Loop: Header=BB101_17 Depth=1
	s_or_b64 exec, exec, s[24:25]
	s_and_b64 s[24:25], s[30:31], exec
.LBB101_147:                            ;   in Loop: Header=BB101_17 Depth=1
	s_or_b64 exec, exec, s[36:37]
.LBB101_148:                            ;   in Loop: Header=BB101_17 Depth=1
	s_and_b64 vcc, exec, s[44:45]
	s_cbranch_vccz .LBB101_162
; %bb.149:                              ;   in Loop: Header=BB101_17 Depth=1
	s_mov_b32 s54, s49
	s_cmp_lg_u64 s[54:55], 0
	s_cbranch_scc0 .LBB101_191
; %bb.150:                              ;   in Loop: Header=BB101_17 Depth=1
	v_cvt_f32_u32_e32 v3, s35
	s_sub_u32 s22, 0, s35
	s_subb_u32 s23, 0, 0
	v_mac_f32_e32 v3, 0, v41
	v_rcp_f32_e32 v3, v3
	v_mul_f32_e32 v3, 0x5f7ffffc, v3
	v_mul_f32_e32 v4, 0x2f800000, v3
	v_trunc_f32_e32 v4, v4
	v_mac_f32_e32 v3, 0xcf800000, v4
	v_cvt_u32_f32_e32 v4, v4
	v_cvt_u32_f32_e32 v3, v3
	v_readfirstlane_b32 s26, v4
	v_readfirstlane_b32 s6, v3
	s_mul_i32 s7, s22, s26
	s_mul_hi_u32 s28, s22, s6
	s_mul_i32 s27, s23, s6
	s_add_i32 s7, s28, s7
	s_mul_i32 s29, s22, s6
	s_add_i32 s7, s7, s27
	s_mul_hi_u32 s28, s6, s29
	s_mul_i32 s30, s6, s7
	s_mul_hi_u32 s27, s6, s7
	s_add_u32 s28, s28, s30
	s_addc_u32 s27, 0, s27
	s_mul_hi_u32 s31, s26, s29
	s_mul_i32 s29, s26, s29
	s_add_u32 s28, s28, s29
	s_mul_hi_u32 s30, s26, s7
	s_addc_u32 s27, s27, s31
	s_addc_u32 s28, s30, 0
	s_mul_i32 s7, s26, s7
	s_add_u32 s7, s27, s7
	s_addc_u32 s27, 0, s28
	s_add_u32 s28, s6, s7
	s_cselect_b64 s[6:7], -1, 0
	s_cmp_lg_u64 s[6:7], 0
	s_addc_u32 s26, s26, s27
	s_mul_i32 s6, s22, s26
	s_mul_hi_u32 s7, s22, s28
	s_add_i32 s6, s7, s6
	s_mul_i32 s23, s23, s28
	s_add_i32 s6, s6, s23
	s_mul_i32 s22, s22, s28
	s_mul_hi_u32 s23, s26, s22
	s_mul_i32 s27, s26, s22
	s_mul_i32 s30, s28, s6
	s_mul_hi_u32 s22, s28, s22
	s_mul_hi_u32 s29, s28, s6
	s_add_u32 s22, s22, s30
	s_addc_u32 s29, 0, s29
	s_add_u32 s22, s22, s27
	s_mul_hi_u32 s7, s26, s6
	s_addc_u32 s22, s29, s23
	s_addc_u32 s7, s7, 0
	s_mul_i32 s6, s26, s6
	s_add_u32 s6, s22, s6
	s_addc_u32 s22, 0, s7
	s_add_u32 s23, s28, s6
	s_cselect_b64 s[6:7], -1, 0
	s_cmp_lg_u64 s[6:7], 0
	s_addc_u32 s6, s26, s22
	s_mul_i32 s22, s61, s6
	s_mul_hi_u32 s26, s61, s23
	s_mul_hi_u32 s7, s61, s6
	s_add_u32 s22, s26, s22
	s_addc_u32 s7, 0, s7
	s_mul_hi_u32 s27, s55, s23
	s_mul_i32 s23, s55, s23
	s_add_u32 s22, s22, s23
	s_mul_hi_u32 s26, s55, s6
	s_addc_u32 s7, s7, s27
	s_addc_u32 s22, s26, 0
	s_mul_i32 s6, s55, s6
	s_add_u32 s6, s7, s6
	s_addc_u32 s7, 0, s22
	s_mul_i32 s7, s35, s7
	s_mul_hi_u32 s22, s35, s6
	s_add_i32 s22, s22, s7
	s_mul_i32 s6, s35, s6
	s_sub_u32 s23, s61, s6
	s_cselect_b64 s[6:7], -1, 0
	s_cmp_lg_u64 s[6:7], 0
	s_subb_u32 s22, s55, s22
	s_sub_u32 s26, s23, s35
	s_cselect_b64 s[6:7], -1, 0
	s_cmp_lg_u64 s[6:7], 0
	s_subb_u32 s27, s22, 0
	;; [unrolled: 4-line block ×3, first 2 shown]
	s_cmp_ge_u32 s26, s35
	s_cselect_b32 s7, -1, 0
	s_cmp_eq_u32 s27, 0
	s_cselect_b32 s7, s7, -1
	s_cmp_lg_u32 s7, 0
	s_cselect_b32 s6, s6, s27
	s_cselect_b32 s26, s28, s26
	s_cmp_ge_u32 s23, s35
	s_cselect_b32 s7, -1, 0
	s_cmp_eq_u32 s22, 0
	s_cselect_b32 s7, s7, -1
	s_cmp_lg_u32 s7, 0
	s_cselect_b32 s7, s6, s22
	s_cselect_b32 s6, s26, s23
	s_cbranch_execnz .LBB101_152
.LBB101_151:                            ;   in Loop: Header=BB101_17 Depth=1
	v_cvt_f32_u32_e32 v3, s35
	s_sub_i32 s6, 0, s35
	v_rcp_iflag_f32_e32 v3, v3
	v_mul_f32_e32 v3, 0x4f7ffffe, v3
	v_cvt_u32_f32_e32 v3, v3
	v_readfirstlane_b32 s7, v3
	s_mul_i32 s6, s6, s7
	s_mul_hi_u32 s6, s7, s6
	s_add_i32 s7, s7, s6
	s_mul_hi_u32 s6, s61, s7
	s_mul_i32 s6, s6, s35
	s_sub_i32 s6, s61, s6
	s_sub_i32 s7, s6, s35
	s_cmp_ge_u32 s6, s35
	s_cselect_b32 s6, s7, s6
	s_sub_i32 s7, s6, s35
	s_cmp_ge_u32 s6, s35
	s_cselect_b32 s48, s7, s6
	s_mov_b64 s[6:7], s[48:49]
.LBB101_152:                            ;   in Loop: Header=BB101_17 Depth=1
	s_sub_u32 s26, s61, s6
	s_subb_u32 s27, s55, s7
	v_cmp_gt_u64_e32 vcc, s[26:27], v[0:1]
                                        ; implicit-def: $vgpr5_vgpr6
	s_and_saveexec_b64 s[6:7], vcc
	s_cbranch_execz .LBB101_161
; %bb.153:                              ;   in Loop: Header=BB101_17 Depth=1
	v_mov_b32_e32 v8, v1
	s_mov_b64 s[28:29], 0
	v_mov_b32_e32 v7, v0
                                        ; implicit-def: $sgpr30_sgpr31
	s_branch .LBB101_156
.LBB101_154:                            ;   in Loop: Header=BB101_156 Depth=2
	s_or_b64 exec, exec, s[36:37]
	s_waitcnt lgkmcnt(0)
	s_barrier
	ds_read_b128 v[3:6], v16 offset:3072
	s_mov_b64 s[36:37], -1
	s_mov_b64 s[22:23], -1
	s_waitcnt lgkmcnt(0)
	s_barrier
	v_cmp_eq_u64_e32 vcc, 0, v[3:4]
	s_cbranch_vccnz .LBB101_159
.LBB101_155:                            ;   in Loop: Header=BB101_156 Depth=2
	s_and_b64 s[36:37], exec, s[36:37]
	s_or_b64 s[28:29], s[36:37], s[28:29]
	s_andn2_b64 s[30:31], s[30:31], exec
	s_and_b64 s[22:23], s[22:23], exec
	s_or_b64 s[30:31], s[30:31], s[22:23]
	s_andn2_b64 exec, exec, s[28:29]
	s_cbranch_execz .LBB101_160
.LBB101_156:                            ;   Parent Loop BB101_17 Depth=1
                                        ; =>  This Inner Loop Header: Depth=2
	v_cmp_gt_u64_e32 vcc, s[20:21], v[7:8]
	s_and_saveexec_b64 s[36:37], vcc
	s_cbranch_execz .LBB101_154
; %bb.157:                              ;   in Loop: Header=BB101_156 Depth=2
	v_mul_lo_u32 v5, v8, s38
	v_mul_lo_u32 v6, v7, s39
	v_mad_u64_u32 v[3:4], s[22:23], v7, s38, 0
	v_add3_u32 v4, v4, v6, v5
	v_lshlrev_b64 v[3:4], 3, v[3:4]
	v_mov_b32_e32 v5, s58
	v_add_co_u32_e32 v3, vcc, s33, v3
	v_addc_co_u32_e32 v4, vcc, v5, v4, vcc
	global_load_dwordx2 v[4:5], v[3:4], off
	s_waitcnt vmcnt(0)
	v_xor_b32_e32 v3, 0x80000000, v5
	v_and_b32_e32 v15, v3, v24
	v_and_b32_e32 v14, v4, v23
	v_cmp_eq_u64_e32 vcc, v[14:15], v[21:22]
	s_and_b64 exec, exec, vcc
	s_cbranch_execz .LBB101_154
; %bb.158:                              ;   in Loop: Header=BB101_156 Depth=2
	v_mov_b32_e32 v3, v16
	ds_write_b128 v16, v[2:5] offset:3072
	s_branch .LBB101_154
.LBB101_159:                            ;   in Loop: Header=BB101_156 Depth=2
	v_add_co_u32_e32 v7, vcc, s35, v7
	v_addc_co_u32_e32 v8, vcc, 0, v8, vcc
	v_cmp_le_u64_e32 vcc, s[26:27], v[7:8]
	s_mov_b64 s[22:23], 0
	s_orn2_b64 s[36:37], vcc, exec
	s_branch .LBB101_155
.LBB101_160:                            ;   in Loop: Header=BB101_17 Depth=1
	s_or_b64 exec, exec, s[28:29]
	s_andn2_b64 s[22:23], s[24:25], exec
	s_and_b64 s[24:25], s[30:31], exec
	s_or_b64 s[24:25], s[22:23], s[24:25]
.LBB101_161:                            ;   in Loop: Header=BB101_17 Depth=1
	s_or_b64 exec, exec, s[6:7]
	s_mov_b64 s[6:7], 0
	s_mov_b64 s[80:81], -1
.LBB101_162:                            ;   in Loop: Header=BB101_17 Depth=1
	s_orn2_b64 s[24:25], s[24:25], exec
.LBB101_163:                            ;   in Loop: Header=BB101_17 Depth=1
	s_or_b64 exec, exec, s[84:85]
	s_mov_b64 s[26:27], 0
	s_and_saveexec_b64 s[84:85], s[24:25]
	s_cbranch_execz .LBB101_269
; %bb.164:                              ;   in Loop: Header=BB101_17 Depth=1
	v_mov_b32_e32 v7, 1
	s_xor_b64 s[22:23], s[86:87], -1
	v_mov_b32_e32 v13, 1
	v_mov_b32_e32 v8, 0
	s_and_saveexec_b64 s[24:25], s[22:23]
	s_cbranch_execz .LBB101_174
; %bb.165:                              ;   in Loop: Header=BB101_17 Depth=1
	v_cmp_le_u64_e32 vcc, v[11:12], v[9:10]
	s_and_saveexec_b64 s[22:23], vcc
	s_xor_b64 s[26:27], exec, s[22:23]
	s_cbranch_execz .LBB101_171
; %bb.166:                              ;   in Loop: Header=BB101_17 Depth=1
	ds_read_b64 v[3:4], v16 offset:5120
	s_lshl_b64 s[22:23], 1, s8
	v_and_b32_e32 v7, s83, v22
	v_and_b32_e32 v8, s82, v21
	v_or_b32_e32 v22, s23, v7
	s_waitcnt lgkmcnt(0)
	v_cmp_ne_u64_e32 vcc, 0, v[3:4]
	v_or_b32_e32 v21, s22, v8
	v_or_b32_e32 v24, s13, v24
	;; [unrolled: 1-line block ×3, first 2 shown]
	s_cbranch_vccnz .LBB101_170
; %bb.167:                              ;   in Loop: Header=BB101_17 Depth=1
	s_and_saveexec_b64 s[22:23], s[0:1]
; %bb.168:                              ;   in Loop: Header=BB101_17 Depth=1
	ds_write_b64 v16, v[9:10] offset:5128
; %bb.169:                              ;   in Loop: Header=BB101_17 Depth=1
	s_or_b64 exec, exec, s[22:23]
	s_waitcnt lgkmcnt(0)
	s_barrier
.LBB101_170:                            ;   in Loop: Header=BB101_17 Depth=1
                                        ; implicit-def: $vgpr7_vgpr8_vgpr9_vgpr10
.LBB101_171:                            ;   in Loop: Header=BB101_17 Depth=1
	s_or_saveexec_b64 s[26:27], s[26:27]
	s_mov_b64 s[28:29], 0
	v_mov_b32_e32 v13, 8
	s_xor_b64 exec, exec, s[26:27]
; %bb.172:                              ;   in Loop: Header=BB101_17 Depth=1
	v_sub_co_u32_e32 v11, vcc, v11, v9
	s_mov_b64 s[28:29], exec
	v_subb_co_u32_e32 v12, vcc, v12, v10, vcc
	v_mov_b32_e32 v13, 0
; %bb.173:                              ;   in Loop: Header=BB101_17 Depth=1
	s_or_b64 exec, exec, s[26:27]
	v_mov_b32_e32 v7, v11
	s_and_b64 s[26:27], s[28:29], exec
	v_mov_b32_e32 v8, v12
.LBB101_174:                            ;   in Loop: Header=BB101_17 Depth=1
	s_or_b64 exec, exec, s[24:25]
	s_mov_b64 s[24:25], -1
                                        ; implicit-def: $sgpr88_sgpr89
                                        ; implicit-def: $sgpr90_sgpr91
	s_and_saveexec_b64 s[86:87], s[26:27]
	s_cbranch_execz .LBB101_268
; %bb.175:                              ;   in Loop: Header=BB101_17 Depth=1
	s_cmp_eq_u64 s[78:79], 1
	v_cmp_eq_u64_e32 vcc, 1, v[7:8]
	s_cselect_b64 s[22:23], -1, 0
	s_and_b64 s[94:95], s[22:23], vcc
                                        ; implicit-def: $sgpr90_sgpr91
                                        ; implicit-def: $sgpr88_sgpr89
	s_and_saveexec_b64 s[92:93], s[94:95]
	s_cbranch_execz .LBB101_209
; %bb.176:                              ;   in Loop: Header=BB101_17 Depth=1
	ds_read_b64 v[3:4], v16 offset:5120
	s_waitcnt lgkmcnt(0)
	s_barrier
	v_readfirstlane_b32 s26, v3
	v_readfirstlane_b32 s27, v4
	s_and_saveexec_b64 s[22:23], s[16:17]
; %bb.177:                              ;   in Loop: Header=BB101_17 Depth=1
	v_mov_b32_e32 v15, v16
	ds_write_b64 v33, v[15:16]
; %bb.178:                              ;   in Loop: Header=BB101_17 Depth=1
	s_or_b64 exec, exec, s[22:23]
	s_lshl_b64 s[22:23], 2, s8
	v_and_b32_e32 v3, s83, v22
	v_and_b32_e32 v4, s82, v21
	v_or_b32_e32 v22, s23, v3
	v_or_b32_e32 v21, s22, v4
	;; [unrolled: 1-line block ×4, first 2 shown]
	s_mov_b64 s[88:89], -1
	s_mov_b64 s[90:91], 0
	s_cmp_eq_u64 s[26:27], 0
	s_mov_b64 s[24:25], 0
	s_mov_b64 s[44:45], -1
	s_waitcnt lgkmcnt(0)
	s_barrier
                                        ; implicit-def: $vgpr5_vgpr6
	s_cbranch_scc1 .LBB101_194
; %bb.179:                              ;   in Loop: Header=BB101_17 Depth=1
	s_add_u32 s30, s26, s59
	s_addc_u32 s25, s27, s60
	s_mov_b32 s24, s49
	s_cmp_lg_u64 s[24:25], 0
	s_cbranch_scc0 .LBB101_235
; %bb.180:                              ;   in Loop: Header=BB101_17 Depth=1
	v_cvt_f32_u32_e32 v3, s35
	s_sub_u32 s24, 0, s35
	s_subb_u32 s28, 0, 0
	v_mac_f32_e32 v3, 0, v41
	v_rcp_f32_e32 v3, v3
	v_mul_f32_e32 v3, 0x5f7ffffc, v3
	v_mul_f32_e32 v4, 0x2f800000, v3
	v_trunc_f32_e32 v4, v4
	v_mac_f32_e32 v3, 0xcf800000, v4
	v_cvt_u32_f32_e32 v4, v4
	v_cvt_u32_f32_e32 v3, v3
	v_readfirstlane_b32 s29, v4
	v_readfirstlane_b32 s22, v3
	s_mul_i32 s23, s24, s29
	s_mul_hi_u32 s36, s24, s22
	s_mul_i32 s31, s28, s22
	s_add_i32 s23, s36, s23
	s_mul_i32 s37, s24, s22
	s_add_i32 s23, s23, s31
	s_mul_hi_u32 s36, s22, s37
	s_mul_i32 s40, s22, s23
	s_mul_hi_u32 s31, s22, s23
	s_add_u32 s36, s36, s40
	s_addc_u32 s31, 0, s31
	s_mul_hi_u32 s41, s29, s37
	s_mul_i32 s37, s29, s37
	s_add_u32 s36, s36, s37
	s_mul_hi_u32 s40, s29, s23
	s_addc_u32 s31, s31, s41
	s_addc_u32 s36, s40, 0
	s_mul_i32 s23, s29, s23
	s_add_u32 s23, s31, s23
	s_addc_u32 s31, 0, s36
	s_add_u32 s36, s22, s23
	s_cselect_b64 s[22:23], -1, 0
	s_cmp_lg_u64 s[22:23], 0
	s_addc_u32 s29, s29, s31
	s_mul_i32 s22, s24, s29
	s_mul_hi_u32 s23, s24, s36
	s_add_i32 s22, s23, s22
	s_mul_i32 s28, s28, s36
	s_add_i32 s22, s22, s28
	s_mul_i32 s24, s24, s36
	s_mul_hi_u32 s28, s29, s24
	s_mul_i32 s31, s29, s24
	s_mul_i32 s40, s36, s22
	s_mul_hi_u32 s24, s36, s24
	s_mul_hi_u32 s37, s36, s22
	s_add_u32 s24, s24, s40
	s_addc_u32 s37, 0, s37
	s_add_u32 s24, s24, s31
	s_mul_hi_u32 s23, s29, s22
	s_addc_u32 s24, s37, s28
	s_addc_u32 s23, s23, 0
	s_mul_i32 s22, s29, s22
	s_add_u32 s22, s24, s22
	s_addc_u32 s24, 0, s23
	s_add_u32 s28, s36, s22
	s_cselect_b64 s[22:23], -1, 0
	s_cmp_lg_u64 s[22:23], 0
	s_addc_u32 s22, s29, s24
	s_mul_i32 s24, s30, s22
	s_mul_hi_u32 s29, s30, s28
	s_mul_hi_u32 s23, s30, s22
	s_add_u32 s24, s29, s24
	s_addc_u32 s23, 0, s23
	s_mul_hi_u32 s31, s25, s28
	s_mul_i32 s28, s25, s28
	s_add_u32 s24, s24, s28
	s_mul_hi_u32 s29, s25, s22
	s_addc_u32 s23, s23, s31
	s_addc_u32 s24, s29, 0
	s_mul_i32 s22, s25, s22
	s_add_u32 s22, s23, s22
	s_addc_u32 s23, 0, s24
	s_mul_i32 s23, s35, s23
	s_mul_hi_u32 s24, s35, s22
	s_add_i32 s24, s24, s23
	s_mul_i32 s22, s35, s22
	s_sub_u32 s28, s30, s22
	s_cselect_b64 s[22:23], -1, 0
	s_cmp_lg_u64 s[22:23], 0
	s_subb_u32 s24, s25, s24
	s_sub_u32 s29, s28, s35
	s_cselect_b64 s[22:23], -1, 0
	s_cmp_lg_u64 s[22:23], 0
	s_subb_u32 s31, s24, 0
	;; [unrolled: 4-line block ×3, first 2 shown]
	s_cmp_ge_u32 s29, s35
	s_cselect_b32 s23, -1, 0
	s_cmp_eq_u32 s31, 0
	s_cselect_b32 s23, s23, -1
	s_cmp_lg_u32 s23, 0
	s_cselect_b32 s22, s22, s31
	s_cselect_b32 s29, s36, s29
	s_cmp_ge_u32 s28, s35
	s_cselect_b32 s23, -1, 0
	s_cmp_eq_u32 s24, 0
	s_cselect_b32 s23, s23, -1
	s_cmp_lg_u32 s23, 0
	s_cselect_b32 s23, s22, s24
	s_cselect_b32 s22, s29, s28
	s_cbranch_execnz .LBB101_182
.LBB101_181:                            ;   in Loop: Header=BB101_17 Depth=1
	v_cvt_f32_u32_e32 v3, s35
	s_sub_i32 s22, 0, s35
	v_rcp_iflag_f32_e32 v3, v3
	v_mul_f32_e32 v3, 0x4f7ffffe, v3
	v_cvt_u32_f32_e32 v3, v3
	v_readfirstlane_b32 s23, v3
	s_mul_i32 s22, s22, s23
	s_mul_hi_u32 s22, s23, s22
	s_add_i32 s23, s23, s22
	s_mul_hi_u32 s22, s30, s23
	s_mul_i32 s22, s22, s35
	s_sub_i32 s22, s30, s22
	s_sub_i32 s23, s22, s35
	s_cmp_ge_u32 s22, s35
	s_cselect_b32 s22, s23, s22
	s_sub_i32 s23, s22, s35
	s_cmp_ge_u32 s22, s35
	s_cselect_b32 s48, s23, s22
	s_mov_b64 s[22:23], s[48:49]
.LBB101_182:                            ;   in Loop: Header=BB101_17 Depth=1
	s_sub_u32 s28, s30, s22
	s_subb_u32 s29, s25, s23
	v_cmp_gt_u64_e32 vcc, s[28:29], v[0:1]
	s_mov_b64 s[44:45], 0
	s_mov_b64 s[24:25], 0
                                        ; implicit-def: $vgpr5_vgpr6
	s_and_saveexec_b64 s[36:37], vcc
	s_cbranch_execz .LBB101_193
; %bb.183:                              ;   in Loop: Header=BB101_17 Depth=1
	v_mov_b32_e32 v10, v1
	v_mov_b32_e32 v11, v32
	;; [unrolled: 1-line block ×3, first 2 shown]
                                        ; implicit-def: $sgpr30_sgpr31
	s_branch .LBB101_186
.LBB101_184:                            ;   in Loop: Header=BB101_186 Depth=2
	s_or_b64 exec, exec, s[42:43]
	s_waitcnt lgkmcnt(0)
	s_barrier
	ds_read_b128 v[3:6], v16 offset:3072
	s_mov_b64 s[22:23], -1
	s_mov_b64 s[42:43], -1
	s_waitcnt lgkmcnt(0)
	s_barrier
	v_cmp_ne_u64_e32 vcc, 0, v[3:4]
	s_cbranch_vccz .LBB101_189
.LBB101_185:                            ;   in Loop: Header=BB101_186 Depth=2
	s_and_b64 s[22:23], exec, s[22:23]
	s_or_b64 s[24:25], s[22:23], s[24:25]
	s_andn2_b64 s[22:23], s[30:31], exec
	s_and_b64 s[30:31], s[42:43], exec
	s_or_b64 s[30:31], s[22:23], s[30:31]
	s_andn2_b64 exec, exec, s[24:25]
	s_cbranch_execz .LBB101_192
.LBB101_186:                            ;   Parent Loop BB101_17 Depth=1
                                        ; =>  This Inner Loop Header: Depth=2
	v_cmp_gt_u64_e32 vcc, s[26:27], v[9:10]
	s_and_saveexec_b64 s[42:43], vcc
	s_cbranch_execz .LBB101_184
; %bb.187:                              ;   in Loop: Header=BB101_186 Depth=2
	ds_read_b64 v[4:5], v11
	s_waitcnt lgkmcnt(0)
	v_xor_b32_e32 v3, 0x80000000, v5
	v_and_b32_e32 v15, v3, v24
	v_and_b32_e32 v14, v4, v23
	v_cmp_eq_u64_e32 vcc, v[14:15], v[21:22]
	s_and_b64 exec, exec, vcc
	s_cbranch_execz .LBB101_184
; %bb.188:                              ;   in Loop: Header=BB101_186 Depth=2
	v_mov_b32_e32 v3, v16
	ds_write_b128 v16, v[2:5] offset:3072
	s_branch .LBB101_184
.LBB101_189:                            ;   in Loop: Header=BB101_186 Depth=2
	v_add_co_u32_e32 v9, vcc, s35, v9
	v_addc_co_u32_e32 v10, vcc, 0, v10, vcc
	v_cmp_le_u64_e32 vcc, s[28:29], v[9:10]
	v_add_u32_e32 v11, s3, v11
	s_mov_b64 s[42:43], 0
	s_orn2_b64 s[22:23], vcc, exec
	s_branch .LBB101_185
.LBB101_190:                            ;   in Loop: Header=BB101_17 Depth=1
                                        ; implicit-def: $sgpr22_sgpr23
	s_branch .LBB101_132
.LBB101_191:                            ;   in Loop: Header=BB101_17 Depth=1
                                        ; implicit-def: $sgpr6_sgpr7
	s_branch .LBB101_151
.LBB101_192:                            ;   in Loop: Header=BB101_17 Depth=1
	s_or_b64 exec, exec, s[24:25]
	s_and_b64 s[24:25], s[30:31], exec
.LBB101_193:                            ;   in Loop: Header=BB101_17 Depth=1
	s_or_b64 exec, exec, s[36:37]
.LBB101_194:                            ;   in Loop: Header=BB101_17 Depth=1
	s_and_b64 vcc, exec, s[44:45]
	s_cbranch_vccz .LBB101_208
; %bb.195:                              ;   in Loop: Header=BB101_17 Depth=1
	s_mov_b32 s54, s49
	s_cmp_lg_u64 s[54:55], 0
	s_cbranch_scc0 .LBB101_236
; %bb.196:                              ;   in Loop: Header=BB101_17 Depth=1
	v_cvt_f32_u32_e32 v3, s35
	s_sub_u32 s26, 0, s35
	s_subb_u32 s27, 0, 0
	v_mac_f32_e32 v3, 0, v41
	v_rcp_f32_e32 v3, v3
	v_mul_f32_e32 v3, 0x5f7ffffc, v3
	v_mul_f32_e32 v4, 0x2f800000, v3
	v_trunc_f32_e32 v4, v4
	v_mac_f32_e32 v3, 0xcf800000, v4
	v_cvt_u32_f32_e32 v4, v4
	v_cvt_u32_f32_e32 v3, v3
	v_readfirstlane_b32 s28, v4
	v_readfirstlane_b32 s22, v3
	s_mul_i32 s23, s26, s28
	s_mul_hi_u32 s30, s26, s22
	s_mul_i32 s29, s27, s22
	s_add_i32 s23, s30, s23
	s_mul_i32 s31, s26, s22
	s_add_i32 s23, s23, s29
	s_mul_hi_u32 s30, s22, s31
	s_mul_i32 s36, s22, s23
	s_mul_hi_u32 s29, s22, s23
	s_add_u32 s30, s30, s36
	s_addc_u32 s29, 0, s29
	s_mul_hi_u32 s37, s28, s31
	s_mul_i32 s31, s28, s31
	s_add_u32 s30, s30, s31
	s_mul_hi_u32 s36, s28, s23
	s_addc_u32 s29, s29, s37
	s_addc_u32 s30, s36, 0
	s_mul_i32 s23, s28, s23
	s_add_u32 s23, s29, s23
	s_addc_u32 s29, 0, s30
	s_add_u32 s30, s22, s23
	s_cselect_b64 s[22:23], -1, 0
	s_cmp_lg_u64 s[22:23], 0
	s_addc_u32 s28, s28, s29
	s_mul_i32 s22, s26, s28
	s_mul_hi_u32 s23, s26, s30
	s_add_i32 s22, s23, s22
	s_mul_i32 s27, s27, s30
	s_add_i32 s22, s22, s27
	s_mul_i32 s26, s26, s30
	s_mul_hi_u32 s27, s28, s26
	s_mul_i32 s29, s28, s26
	s_mul_i32 s36, s30, s22
	s_mul_hi_u32 s26, s30, s26
	s_mul_hi_u32 s31, s30, s22
	s_add_u32 s26, s26, s36
	s_addc_u32 s31, 0, s31
	s_add_u32 s26, s26, s29
	s_mul_hi_u32 s23, s28, s22
	s_addc_u32 s26, s31, s27
	s_addc_u32 s23, s23, 0
	s_mul_i32 s22, s28, s22
	s_add_u32 s22, s26, s22
	s_addc_u32 s26, 0, s23
	s_add_u32 s27, s30, s22
	s_cselect_b64 s[22:23], -1, 0
	s_cmp_lg_u64 s[22:23], 0
	s_addc_u32 s22, s28, s26
	s_mul_i32 s26, s61, s22
	s_mul_hi_u32 s28, s61, s27
	s_mul_hi_u32 s23, s61, s22
	s_add_u32 s26, s28, s26
	s_addc_u32 s23, 0, s23
	s_mul_hi_u32 s29, s55, s27
	s_mul_i32 s27, s55, s27
	s_add_u32 s26, s26, s27
	s_mul_hi_u32 s28, s55, s22
	s_addc_u32 s23, s23, s29
	s_addc_u32 s26, s28, 0
	s_mul_i32 s22, s55, s22
	s_add_u32 s22, s23, s22
	s_addc_u32 s23, 0, s26
	s_mul_i32 s23, s35, s23
	s_mul_hi_u32 s26, s35, s22
	s_add_i32 s26, s26, s23
	s_mul_i32 s22, s35, s22
	s_sub_u32 s27, s61, s22
	s_cselect_b64 s[22:23], -1, 0
	s_cmp_lg_u64 s[22:23], 0
	s_subb_u32 s26, s55, s26
	s_sub_u32 s28, s27, s35
	s_cselect_b64 s[22:23], -1, 0
	s_cmp_lg_u64 s[22:23], 0
	s_subb_u32 s29, s26, 0
	;; [unrolled: 4-line block ×3, first 2 shown]
	s_cmp_ge_u32 s28, s35
	s_cselect_b32 s23, -1, 0
	s_cmp_eq_u32 s29, 0
	s_cselect_b32 s23, s23, -1
	s_cmp_lg_u32 s23, 0
	s_cselect_b32 s22, s22, s29
	s_cselect_b32 s28, s30, s28
	s_cmp_ge_u32 s27, s35
	s_cselect_b32 s23, -1, 0
	s_cmp_eq_u32 s26, 0
	s_cselect_b32 s23, s23, -1
	s_cmp_lg_u32 s23, 0
	s_cselect_b32 s23, s22, s26
	s_cselect_b32 s22, s28, s27
	s_cbranch_execnz .LBB101_198
.LBB101_197:                            ;   in Loop: Header=BB101_17 Depth=1
	v_cvt_f32_u32_e32 v3, s35
	s_sub_i32 s22, 0, s35
	v_rcp_iflag_f32_e32 v3, v3
	v_mul_f32_e32 v3, 0x4f7ffffe, v3
	v_cvt_u32_f32_e32 v3, v3
	v_readfirstlane_b32 s23, v3
	s_mul_i32 s22, s22, s23
	s_mul_hi_u32 s22, s23, s22
	s_add_i32 s23, s23, s22
	s_mul_hi_u32 s22, s61, s23
	s_mul_i32 s22, s22, s35
	s_sub_i32 s22, s61, s22
	s_sub_i32 s23, s22, s35
	s_cmp_ge_u32 s22, s35
	s_cselect_b32 s22, s23, s22
	s_sub_i32 s23, s22, s35
	s_cmp_ge_u32 s22, s35
	s_cselect_b32 s48, s23, s22
	s_mov_b64 s[22:23], s[48:49]
.LBB101_198:                            ;   in Loop: Header=BB101_17 Depth=1
	s_sub_u32 s36, s61, s22
	s_subb_u32 s37, s55, s23
	v_cmp_gt_u64_e32 vcc, s[36:37], v[0:1]
                                        ; implicit-def: $vgpr5_vgpr6
	s_and_saveexec_b64 s[26:27], vcc
	s_cbranch_execz .LBB101_207
; %bb.199:                              ;   in Loop: Header=BB101_17 Depth=1
	v_mov_b32_e32 v10, v1
	s_mov_b64 s[28:29], 0
	v_mov_b32_e32 v9, v0
                                        ; implicit-def: $sgpr30_sgpr31
	s_branch .LBB101_202
.LBB101_200:                            ;   in Loop: Header=BB101_202 Depth=2
	s_or_b64 exec, exec, s[42:43]
	s_waitcnt lgkmcnt(0)
	s_barrier
	ds_read_b128 v[3:6], v16 offset:3072
	s_mov_b64 s[40:41], -1
	s_mov_b64 s[22:23], -1
	s_waitcnt lgkmcnt(0)
	s_barrier
	v_cmp_eq_u64_e32 vcc, 0, v[3:4]
	s_cbranch_vccnz .LBB101_205
.LBB101_201:                            ;   in Loop: Header=BB101_202 Depth=2
	s_and_b64 s[40:41], exec, s[40:41]
	s_or_b64 s[28:29], s[40:41], s[28:29]
	s_andn2_b64 s[30:31], s[30:31], exec
	s_and_b64 s[22:23], s[22:23], exec
	s_or_b64 s[30:31], s[30:31], s[22:23]
	s_andn2_b64 exec, exec, s[28:29]
	s_cbranch_execz .LBB101_206
.LBB101_202:                            ;   Parent Loop BB101_17 Depth=1
                                        ; =>  This Inner Loop Header: Depth=2
	v_cmp_gt_u64_e32 vcc, s[20:21], v[9:10]
	s_and_saveexec_b64 s[42:43], vcc
	s_cbranch_execz .LBB101_200
; %bb.203:                              ;   in Loop: Header=BB101_202 Depth=2
	v_mul_lo_u32 v5, v10, s38
	v_mul_lo_u32 v6, v9, s39
	v_mad_u64_u32 v[3:4], s[22:23], v9, s38, 0
	v_add3_u32 v4, v4, v6, v5
	v_lshlrev_b64 v[3:4], 3, v[3:4]
	v_mov_b32_e32 v5, s58
	v_add_co_u32_e32 v3, vcc, s33, v3
	v_addc_co_u32_e32 v4, vcc, v5, v4, vcc
	global_load_dwordx2 v[4:5], v[3:4], off
	s_waitcnt vmcnt(0)
	v_xor_b32_e32 v3, 0x80000000, v5
	v_and_b32_e32 v12, v3, v24
	v_and_b32_e32 v11, v4, v23
	v_cmp_eq_u64_e32 vcc, v[11:12], v[21:22]
	s_and_b64 exec, exec, vcc
	s_cbranch_execz .LBB101_200
; %bb.204:                              ;   in Loop: Header=BB101_202 Depth=2
	v_mov_b32_e32 v3, v16
	ds_write_b128 v16, v[2:5] offset:3072
	s_branch .LBB101_200
.LBB101_205:                            ;   in Loop: Header=BB101_202 Depth=2
	v_add_co_u32_e32 v9, vcc, s35, v9
	v_addc_co_u32_e32 v10, vcc, 0, v10, vcc
	v_cmp_le_u64_e32 vcc, s[36:37], v[9:10]
	s_mov_b64 s[22:23], 0
	s_orn2_b64 s[40:41], vcc, exec
	s_branch .LBB101_201
.LBB101_206:                            ;   in Loop: Header=BB101_17 Depth=1
	s_or_b64 exec, exec, s[28:29]
	s_andn2_b64 s[22:23], s[24:25], exec
	s_and_b64 s[24:25], s[30:31], exec
	s_or_b64 s[24:25], s[22:23], s[24:25]
.LBB101_207:                            ;   in Loop: Header=BB101_17 Depth=1
	s_or_b64 exec, exec, s[26:27]
	s_mov_b64 s[88:89], 0
	s_mov_b64 s[90:91], -1
.LBB101_208:                            ;   in Loop: Header=BB101_17 Depth=1
	s_orn2_b64 s[24:25], s[24:25], exec
.LBB101_209:                            ;   in Loop: Header=BB101_17 Depth=1
	s_or_b64 exec, exec, s[92:93]
	s_mov_b64 s[26:27], 0
	s_and_saveexec_b64 s[92:93], s[24:25]
	s_cbranch_execz .LBB101_267
; %bb.210:                              ;   in Loop: Header=BB101_17 Depth=1
	v_mov_b32_e32 v9, 1
	s_xor_b64 s[22:23], s[94:95], -1
	v_mov_b32_e32 v13, 1
	v_mov_b32_e32 v10, 0
	s_mov_b64 s[28:29], 0
	s_and_saveexec_b64 s[24:25], s[22:23]
	s_cbranch_execz .LBB101_219
; %bb.211:                              ;   in Loop: Header=BB101_17 Depth=1
	v_cmp_ge_u64_e32 vcc, s[78:79], v[7:8]
	s_and_saveexec_b64 s[22:23], vcc
	s_xor_b64 s[26:27], exec, s[22:23]
	s_cbranch_execz .LBB101_216
; %bb.212:                              ;   in Loop: Header=BB101_17 Depth=1
	s_lshl_b64 s[22:23], 2, s8
	v_and_b32_e32 v3, s83, v22
	v_and_b32_e32 v4, s82, v21
	v_or_b32_e32 v22, s23, v3
	v_or_b32_e32 v21, s22, v4
	ds_read_b64 v[3:4], v16 offset:5120
	v_or_b32_e32 v24, s13, v24
	v_or_b32_e32 v23, s12, v23
	s_waitcnt lgkmcnt(0)
	v_cmp_ne_u64_e32 vcc, 0, v[3:4]
	s_cbranch_vccnz .LBB101_216
; %bb.213:                              ;   in Loop: Header=BB101_17 Depth=1
	s_and_saveexec_b64 s[22:23], s[0:1]
; %bb.214:                              ;   in Loop: Header=BB101_17 Depth=1
	v_mov_b32_e32 v3, s78
	v_mov_b32_e32 v4, s79
	ds_write_b64 v16, v[3:4] offset:5128
; %bb.215:                              ;   in Loop: Header=BB101_17 Depth=1
	s_or_b64 exec, exec, s[22:23]
	s_waitcnt lgkmcnt(0)
	s_barrier
.LBB101_216:                            ;   in Loop: Header=BB101_17 Depth=1
	s_or_saveexec_b64 s[26:27], s[26:27]
	v_mov_b32_e32 v13, 8
	s_xor_b64 exec, exec, s[26:27]
; %bb.217:                              ;   in Loop: Header=BB101_17 Depth=1
	v_subrev_co_u32_e32 v7, vcc, s78, v7
	v_mov_b32_e32 v3, s79
	v_subb_co_u32_e32 v8, vcc, v8, v3, vcc
	v_mov_b32_e32 v13, 0
	s_mov_b64 s[28:29], exec
; %bb.218:                              ;   in Loop: Header=BB101_17 Depth=1
	s_or_b64 exec, exec, s[26:27]
	v_mov_b32_e32 v10, v8
	s_and_b64 s[28:29], s[28:29], exec
	v_mov_b32_e32 v9, v7
.LBB101_219:                            ;   in Loop: Header=BB101_17 Depth=1
	s_or_b64 exec, exec, s[24:25]
	s_mov_b64 s[26:27], -1
                                        ; implicit-def: $sgpr24_sgpr25
                                        ; implicit-def: $sgpr44_sgpr45
	s_and_saveexec_b64 s[78:79], s[28:29]
	s_cbranch_execz .LBB101_266
; %bb.220:                              ;   in Loop: Header=BB101_17 Depth=1
	s_cmp_eq_u64 s[10:11], 1
	v_cmp_eq_u64_e32 vcc, 1, v[9:10]
	s_cselect_b64 s[22:23], -1, 0
	s_and_b64 s[82:83], s[22:23], vcc
	s_mov_b64 s[28:29], -1
                                        ; implicit-def: $sgpr24_sgpr25
                                        ; implicit-def: $sgpr44_sgpr45
	s_and_saveexec_b64 s[94:95], s[82:83]
	s_cbranch_execz .LBB101_254
; %bb.221:                              ;   in Loop: Header=BB101_17 Depth=1
	ds_read_b64 v[3:4], v16 offset:5120
	s_waitcnt lgkmcnt(0)
	s_barrier
	v_readfirstlane_b32 s46, v3
	v_readfirstlane_b32 s47, v4
	s_and_saveexec_b64 s[22:23], s[16:17]
; %bb.222:                              ;   in Loop: Header=BB101_17 Depth=1
	v_mov_b32_e32 v15, v16
	ds_write_b64 v33, v[15:16]
; %bb.223:                              ;   in Loop: Header=BB101_17 Depth=1
	s_or_b64 exec, exec, s[22:23]
	v_or_b32_e32 v22, s13, v22
	v_or_b32_e32 v21, s12, v21
	;; [unrolled: 1-line block ×4, first 2 shown]
	s_mov_b64 s[44:45], -1
	s_mov_b64 s[24:25], 0
	s_cmp_eq_u64 s[46:47], 0
	s_mov_b64 s[26:27], 0
	s_mov_b64 s[36:37], -1
	s_waitcnt lgkmcnt(0)
	s_barrier
                                        ; implicit-def: $vgpr5_vgpr6
	s_cbranch_scc1 .LBB101_239
; %bb.224:                              ;   in Loop: Header=BB101_17 Depth=1
	s_add_u32 s30, s46, s59
	s_addc_u32 s27, s47, s60
	s_mov_b32 s26, s49
	s_cmp_lg_u64 s[26:27], 0
	s_cbranch_scc0 .LBB101_273
; %bb.225:                              ;   in Loop: Header=BB101_17 Depth=1
	v_cvt_f32_u32_e32 v3, s35
	s_sub_u32 s26, 0, s35
	s_subb_u32 s28, 0, 0
	v_mac_f32_e32 v3, 0, v41
	v_rcp_f32_e32 v3, v3
	v_mul_f32_e32 v3, 0x5f7ffffc, v3
	v_mul_f32_e32 v4, 0x2f800000, v3
	v_trunc_f32_e32 v4, v4
	v_mac_f32_e32 v3, 0xcf800000, v4
	v_cvt_u32_f32_e32 v4, v4
	v_cvt_u32_f32_e32 v3, v3
	v_readfirstlane_b32 s29, v4
	v_readfirstlane_b32 s22, v3
	s_mul_i32 s23, s26, s29
	s_mul_hi_u32 s36, s26, s22
	s_mul_i32 s31, s28, s22
	s_add_i32 s23, s36, s23
	s_mul_i32 s37, s26, s22
	s_add_i32 s23, s23, s31
	s_mul_hi_u32 s36, s22, s37
	s_mul_i32 s40, s22, s23
	s_mul_hi_u32 s31, s22, s23
	s_add_u32 s36, s36, s40
	s_addc_u32 s31, 0, s31
	s_mul_hi_u32 s41, s29, s37
	s_mul_i32 s37, s29, s37
	s_add_u32 s36, s36, s37
	s_mul_hi_u32 s40, s29, s23
	s_addc_u32 s31, s31, s41
	s_addc_u32 s36, s40, 0
	s_mul_i32 s23, s29, s23
	s_add_u32 s23, s31, s23
	s_addc_u32 s31, 0, s36
	s_add_u32 s36, s22, s23
	s_cselect_b64 s[22:23], -1, 0
	s_cmp_lg_u64 s[22:23], 0
	s_addc_u32 s29, s29, s31
	s_mul_i32 s22, s26, s29
	s_mul_hi_u32 s23, s26, s36
	s_add_i32 s22, s23, s22
	s_mul_i32 s28, s28, s36
	s_add_i32 s22, s22, s28
	s_mul_i32 s26, s26, s36
	s_mul_hi_u32 s28, s29, s26
	s_mul_i32 s31, s29, s26
	s_mul_i32 s40, s36, s22
	s_mul_hi_u32 s26, s36, s26
	s_mul_hi_u32 s37, s36, s22
	s_add_u32 s26, s26, s40
	s_addc_u32 s37, 0, s37
	s_add_u32 s26, s26, s31
	s_mul_hi_u32 s23, s29, s22
	s_addc_u32 s26, s37, s28
	s_addc_u32 s23, s23, 0
	s_mul_i32 s22, s29, s22
	s_add_u32 s22, s26, s22
	s_addc_u32 s26, 0, s23
	s_add_u32 s28, s36, s22
	s_cselect_b64 s[22:23], -1, 0
	s_cmp_lg_u64 s[22:23], 0
	s_addc_u32 s22, s29, s26
	s_mul_i32 s26, s30, s22
	s_mul_hi_u32 s29, s30, s28
	s_mul_hi_u32 s23, s30, s22
	s_add_u32 s26, s29, s26
	s_addc_u32 s23, 0, s23
	s_mul_hi_u32 s31, s27, s28
	s_mul_i32 s28, s27, s28
	s_add_u32 s26, s26, s28
	s_mul_hi_u32 s29, s27, s22
	s_addc_u32 s23, s23, s31
	s_addc_u32 s26, s29, 0
	s_mul_i32 s22, s27, s22
	s_add_u32 s22, s23, s22
	s_addc_u32 s23, 0, s26
	s_mul_i32 s23, s35, s23
	s_mul_hi_u32 s26, s35, s22
	s_add_i32 s26, s26, s23
	s_mul_i32 s22, s35, s22
	s_sub_u32 s28, s30, s22
	s_cselect_b64 s[22:23], -1, 0
	s_cmp_lg_u64 s[22:23], 0
	s_subb_u32 s26, s27, s26
	s_sub_u32 s29, s28, s35
	s_cselect_b64 s[22:23], -1, 0
	s_cmp_lg_u64 s[22:23], 0
	s_subb_u32 s31, s26, 0
	;; [unrolled: 4-line block ×3, first 2 shown]
	s_cmp_ge_u32 s29, s35
	s_cselect_b32 s23, -1, 0
	s_cmp_eq_u32 s31, 0
	s_cselect_b32 s23, s23, -1
	s_cmp_lg_u32 s23, 0
	s_cselect_b32 s22, s22, s31
	s_cselect_b32 s29, s36, s29
	s_cmp_ge_u32 s28, s35
	s_cselect_b32 s23, -1, 0
	s_cmp_eq_u32 s26, 0
	s_cselect_b32 s23, s23, -1
	s_cmp_lg_u32 s23, 0
	s_cselect_b32 s23, s22, s26
	s_cselect_b32 s22, s29, s28
	s_cbranch_execnz .LBB101_227
.LBB101_226:                            ;   in Loop: Header=BB101_17 Depth=1
	v_cvt_f32_u32_e32 v3, s35
	s_sub_i32 s22, 0, s35
	v_rcp_iflag_f32_e32 v3, v3
	v_mul_f32_e32 v3, 0x4f7ffffe, v3
	v_cvt_u32_f32_e32 v3, v3
	v_readfirstlane_b32 s23, v3
	s_mul_i32 s22, s22, s23
	s_mul_hi_u32 s22, s23, s22
	s_add_i32 s23, s23, s22
	s_mul_hi_u32 s22, s30, s23
	s_mul_i32 s22, s22, s35
	s_sub_i32 s22, s30, s22
	s_sub_i32 s23, s22, s35
	s_cmp_ge_u32 s22, s35
	s_cselect_b32 s22, s23, s22
	s_sub_i32 s23, s22, s35
	s_cmp_ge_u32 s22, s35
	s_cselect_b32 s48, s23, s22
	s_mov_b64 s[22:23], s[48:49]
.LBB101_227:                            ;   in Loop: Header=BB101_17 Depth=1
	s_sub_u32 s30, s30, s22
	s_subb_u32 s31, s27, s23
	v_cmp_gt_u64_e32 vcc, s[30:31], v[0:1]
	s_mov_b64 s[36:37], 0
	s_mov_b64 s[26:27], 0
                                        ; implicit-def: $vgpr5_vgpr6
	s_and_saveexec_b64 s[28:29], vcc
	s_cbranch_execz .LBB101_238
; %bb.228:                              ;   in Loop: Header=BB101_17 Depth=1
	v_mov_b32_e32 v8, v1
	v_mov_b32_e32 v11, v32
	;; [unrolled: 1-line block ×3, first 2 shown]
                                        ; implicit-def: $sgpr42_sgpr43
	s_branch .LBB101_231
.LBB101_229:                            ;   in Loop: Header=BB101_231 Depth=2
	s_or_b64 exec, exec, s[22:23]
	s_waitcnt lgkmcnt(0)
	s_barrier
	ds_read_b128 v[3:6], v16 offset:3072
	s_mov_b64 s[22:23], -1
	s_mov_b64 s[40:41], -1
	s_waitcnt lgkmcnt(0)
	s_barrier
	v_cmp_ne_u64_e32 vcc, 0, v[3:4]
	s_cbranch_vccz .LBB101_234
.LBB101_230:                            ;   in Loop: Header=BB101_231 Depth=2
	s_and_b64 s[22:23], exec, s[22:23]
	s_or_b64 s[26:27], s[22:23], s[26:27]
	s_andn2_b64 s[22:23], s[42:43], exec
	s_and_b64 s[40:41], s[40:41], exec
	s_or_b64 s[42:43], s[22:23], s[40:41]
	s_andn2_b64 exec, exec, s[26:27]
	s_cbranch_execz .LBB101_237
.LBB101_231:                            ;   Parent Loop BB101_17 Depth=1
                                        ; =>  This Inner Loop Header: Depth=2
	v_cmp_gt_u64_e32 vcc, s[46:47], v[7:8]
	s_and_saveexec_b64 s[22:23], vcc
	s_cbranch_execz .LBB101_229
; %bb.232:                              ;   in Loop: Header=BB101_231 Depth=2
	ds_read_b64 v[4:5], v11
	s_waitcnt lgkmcnt(0)
	v_xor_b32_e32 v3, 0x80000000, v5
	v_and_b32_e32 v15, v3, v24
	v_and_b32_e32 v14, v4, v23
	v_cmp_eq_u64_e32 vcc, v[14:15], v[21:22]
	s_and_b64 exec, exec, vcc
	s_cbranch_execz .LBB101_229
; %bb.233:                              ;   in Loop: Header=BB101_231 Depth=2
	v_mov_b32_e32 v3, v16
	ds_write_b128 v16, v[2:5] offset:3072
	s_branch .LBB101_229
.LBB101_234:                            ;   in Loop: Header=BB101_231 Depth=2
	v_add_co_u32_e32 v7, vcc, s35, v7
	v_addc_co_u32_e32 v8, vcc, 0, v8, vcc
	v_cmp_le_u64_e32 vcc, s[30:31], v[7:8]
	v_add_u32_e32 v11, s3, v11
	s_mov_b64 s[40:41], 0
	s_orn2_b64 s[22:23], vcc, exec
	s_branch .LBB101_230
.LBB101_235:                            ;   in Loop: Header=BB101_17 Depth=1
                                        ; implicit-def: $sgpr22_sgpr23
	s_branch .LBB101_181
.LBB101_236:                            ;   in Loop: Header=BB101_17 Depth=1
                                        ; implicit-def: $sgpr22_sgpr23
	s_branch .LBB101_197
.LBB101_237:                            ;   in Loop: Header=BB101_17 Depth=1
	s_or_b64 exec, exec, s[26:27]
	s_and_b64 s[26:27], s[42:43], exec
.LBB101_238:                            ;   in Loop: Header=BB101_17 Depth=1
	s_or_b64 exec, exec, s[28:29]
.LBB101_239:                            ;   in Loop: Header=BB101_17 Depth=1
	s_and_b64 vcc, exec, s[36:37]
	s_cbranch_vccz .LBB101_253
; %bb.240:                              ;   in Loop: Header=BB101_17 Depth=1
	s_mov_b32 s54, s49
	s_cmp_lg_u64 s[54:55], 0
	s_cbranch_scc0 .LBB101_274
; %bb.241:                              ;   in Loop: Header=BB101_17 Depth=1
	v_cvt_f32_u32_e32 v3, s35
	s_sub_u32 s24, 0, s35
	s_subb_u32 s25, 0, 0
	v_mac_f32_e32 v3, 0, v41
	v_rcp_f32_e32 v3, v3
	v_mul_f32_e32 v3, 0x5f7ffffc, v3
	v_mul_f32_e32 v4, 0x2f800000, v3
	v_trunc_f32_e32 v4, v4
	v_mac_f32_e32 v3, 0xcf800000, v4
	v_cvt_u32_f32_e32 v4, v4
	v_cvt_u32_f32_e32 v3, v3
	v_readfirstlane_b32 s28, v4
	v_readfirstlane_b32 s22, v3
	s_mul_i32 s23, s24, s28
	s_mul_hi_u32 s30, s24, s22
	s_mul_i32 s29, s25, s22
	s_add_i32 s23, s30, s23
	s_mul_i32 s31, s24, s22
	s_add_i32 s23, s23, s29
	s_mul_hi_u32 s30, s22, s31
	s_mul_i32 s36, s22, s23
	s_mul_hi_u32 s29, s22, s23
	s_add_u32 s30, s30, s36
	s_addc_u32 s29, 0, s29
	s_mul_hi_u32 s37, s28, s31
	s_mul_i32 s31, s28, s31
	s_add_u32 s30, s30, s31
	s_mul_hi_u32 s36, s28, s23
	s_addc_u32 s29, s29, s37
	s_addc_u32 s30, s36, 0
	s_mul_i32 s23, s28, s23
	s_add_u32 s23, s29, s23
	s_addc_u32 s29, 0, s30
	s_add_u32 s30, s22, s23
	s_cselect_b64 s[22:23], -1, 0
	s_cmp_lg_u64 s[22:23], 0
	s_addc_u32 s28, s28, s29
	s_mul_i32 s22, s24, s28
	s_mul_hi_u32 s23, s24, s30
	s_add_i32 s22, s23, s22
	s_mul_i32 s25, s25, s30
	s_add_i32 s22, s22, s25
	s_mul_i32 s24, s24, s30
	s_mul_hi_u32 s25, s28, s24
	s_mul_i32 s29, s28, s24
	s_mul_i32 s36, s30, s22
	s_mul_hi_u32 s24, s30, s24
	s_mul_hi_u32 s31, s30, s22
	s_add_u32 s24, s24, s36
	s_addc_u32 s31, 0, s31
	s_add_u32 s24, s24, s29
	s_mul_hi_u32 s23, s28, s22
	s_addc_u32 s24, s31, s25
	s_addc_u32 s23, s23, 0
	s_mul_i32 s22, s28, s22
	s_add_u32 s22, s24, s22
	s_addc_u32 s24, 0, s23
	s_add_u32 s25, s30, s22
	s_cselect_b64 s[22:23], -1, 0
	s_cmp_lg_u64 s[22:23], 0
	s_addc_u32 s22, s28, s24
	s_mul_i32 s24, s61, s22
	s_mul_hi_u32 s28, s61, s25
	s_mul_hi_u32 s23, s61, s22
	s_add_u32 s24, s28, s24
	s_addc_u32 s23, 0, s23
	s_mul_hi_u32 s29, s55, s25
	s_mul_i32 s25, s55, s25
	s_add_u32 s24, s24, s25
	s_mul_hi_u32 s28, s55, s22
	s_addc_u32 s23, s23, s29
	s_addc_u32 s24, s28, 0
	s_mul_i32 s22, s55, s22
	s_add_u32 s22, s23, s22
	s_addc_u32 s23, 0, s24
	s_mul_i32 s23, s35, s23
	s_mul_hi_u32 s24, s35, s22
	s_add_i32 s24, s24, s23
	s_mul_i32 s22, s35, s22
	s_sub_u32 s25, s61, s22
	s_cselect_b64 s[22:23], -1, 0
	s_cmp_lg_u64 s[22:23], 0
	s_subb_u32 s24, s55, s24
	s_sub_u32 s28, s25, s35
	s_cselect_b64 s[22:23], -1, 0
	s_cmp_lg_u64 s[22:23], 0
	s_subb_u32 s29, s24, 0
	;; [unrolled: 4-line block ×3, first 2 shown]
	s_cmp_ge_u32 s28, s35
	s_cselect_b32 s23, -1, 0
	s_cmp_eq_u32 s29, 0
	s_cselect_b32 s23, s23, -1
	s_cmp_lg_u32 s23, 0
	s_cselect_b32 s22, s22, s29
	s_cselect_b32 s28, s30, s28
	s_cmp_ge_u32 s25, s35
	s_cselect_b32 s23, -1, 0
	s_cmp_eq_u32 s24, 0
	s_cselect_b32 s23, s23, -1
	s_cmp_lg_u32 s23, 0
	s_cselect_b32 s23, s22, s24
	s_cselect_b32 s22, s28, s25
	s_cbranch_execnz .LBB101_243
.LBB101_242:                            ;   in Loop: Header=BB101_17 Depth=1
	v_cvt_f32_u32_e32 v3, s35
	s_sub_i32 s22, 0, s35
	v_rcp_iflag_f32_e32 v3, v3
	v_mul_f32_e32 v3, 0x4f7ffffe, v3
	v_cvt_u32_f32_e32 v3, v3
	v_readfirstlane_b32 s23, v3
	s_mul_i32 s22, s22, s23
	s_mul_hi_u32 s22, s23, s22
	s_add_i32 s23, s23, s22
	s_mul_hi_u32 s22, s61, s23
	s_mul_i32 s22, s22, s35
	s_sub_i32 s22, s61, s22
	s_sub_i32 s23, s22, s35
	s_cmp_ge_u32 s22, s35
	s_cselect_b32 s22, s23, s22
	s_sub_i32 s23, s22, s35
	s_cmp_ge_u32 s22, s35
	s_cselect_b32 s48, s23, s22
	s_mov_b64 s[22:23], s[48:49]
.LBB101_243:                            ;   in Loop: Header=BB101_17 Depth=1
	s_sub_u32 s36, s61, s22
	s_subb_u32 s37, s55, s23
	v_cmp_gt_u64_e32 vcc, s[36:37], v[0:1]
                                        ; implicit-def: $vgpr5_vgpr6
	s_and_saveexec_b64 s[24:25], vcc
	s_cbranch_execz .LBB101_252
; %bb.244:                              ;   in Loop: Header=BB101_17 Depth=1
	v_mov_b32_e32 v8, v1
	s_mov_b64 s[28:29], 0
	v_mov_b32_e32 v7, v0
                                        ; implicit-def: $sgpr30_sgpr31
	s_branch .LBB101_247
.LBB101_245:                            ;   in Loop: Header=BB101_247 Depth=2
	s_or_b64 exec, exec, s[42:43]
	s_waitcnt lgkmcnt(0)
	s_barrier
	ds_read_b128 v[3:6], v16 offset:3072
	s_mov_b64 s[40:41], -1
	s_mov_b64 s[22:23], -1
	s_waitcnt lgkmcnt(0)
	s_barrier
	v_cmp_eq_u64_e32 vcc, 0, v[3:4]
	s_cbranch_vccnz .LBB101_250
.LBB101_246:                            ;   in Loop: Header=BB101_247 Depth=2
	s_and_b64 s[40:41], exec, s[40:41]
	s_or_b64 s[28:29], s[40:41], s[28:29]
	s_andn2_b64 s[30:31], s[30:31], exec
	s_and_b64 s[22:23], s[22:23], exec
	s_or_b64 s[30:31], s[30:31], s[22:23]
	s_andn2_b64 exec, exec, s[28:29]
	s_cbranch_execz .LBB101_251
.LBB101_247:                            ;   Parent Loop BB101_17 Depth=1
                                        ; =>  This Inner Loop Header: Depth=2
	v_cmp_gt_u64_e32 vcc, s[20:21], v[7:8]
	s_and_saveexec_b64 s[42:43], vcc
	s_cbranch_execz .LBB101_245
; %bb.248:                              ;   in Loop: Header=BB101_247 Depth=2
	v_mul_lo_u32 v5, v8, s38
	v_mul_lo_u32 v6, v7, s39
	v_mad_u64_u32 v[3:4], s[22:23], v7, s38, 0
	v_add3_u32 v4, v4, v6, v5
	v_lshlrev_b64 v[3:4], 3, v[3:4]
	v_mov_b32_e32 v5, s58
	v_add_co_u32_e32 v3, vcc, s33, v3
	v_addc_co_u32_e32 v4, vcc, v5, v4, vcc
	global_load_dwordx2 v[4:5], v[3:4], off
	s_waitcnt vmcnt(0)
	v_xor_b32_e32 v3, 0x80000000, v5
	v_and_b32_e32 v12, v3, v24
	v_and_b32_e32 v11, v4, v23
	v_cmp_eq_u64_e32 vcc, v[11:12], v[21:22]
	s_and_b64 exec, exec, vcc
	s_cbranch_execz .LBB101_245
; %bb.249:                              ;   in Loop: Header=BB101_247 Depth=2
	v_mov_b32_e32 v3, v16
	ds_write_b128 v16, v[2:5] offset:3072
	s_branch .LBB101_245
.LBB101_250:                            ;   in Loop: Header=BB101_247 Depth=2
	v_add_co_u32_e32 v7, vcc, s35, v7
	v_addc_co_u32_e32 v8, vcc, 0, v8, vcc
	v_cmp_le_u64_e32 vcc, s[36:37], v[7:8]
	s_mov_b64 s[22:23], 0
	s_orn2_b64 s[40:41], vcc, exec
	s_branch .LBB101_246
.LBB101_251:                            ;   in Loop: Header=BB101_17 Depth=1
	s_or_b64 exec, exec, s[28:29]
	s_andn2_b64 s[22:23], s[26:27], exec
	s_and_b64 s[26:27], s[30:31], exec
	s_or_b64 s[26:27], s[22:23], s[26:27]
.LBB101_252:                            ;   in Loop: Header=BB101_17 Depth=1
	s_or_b64 exec, exec, s[24:25]
	s_mov_b64 s[44:45], 0
	s_mov_b64 s[24:25], -1
.LBB101_253:                            ;   in Loop: Header=BB101_17 Depth=1
	s_orn2_b64 s[28:29], s[26:27], exec
.LBB101_254:                            ;   in Loop: Header=BB101_17 Depth=1
	s_or_b64 exec, exec, s[94:95]
	s_mov_b64 s[22:23], 0
	s_and_saveexec_b64 s[26:27], s[28:29]
	s_cbranch_execz .LBB101_265
; %bb.255:                              ;   in Loop: Header=BB101_17 Depth=1
	v_mov_b32_e32 v3, 1
	s_xor_b64 s[22:23], s[82:83], -1
	v_mov_b32_e32 v4, 0
	v_mov_b32_e32 v13, 1
	s_and_saveexec_b64 s[46:47], s[22:23]
	s_cbranch_execz .LBB101_264
; %bb.256:                              ;   in Loop: Header=BB101_17 Depth=1
	v_cmp_ge_u64_e32 vcc, s[10:11], v[9:10]
	s_and_saveexec_b64 s[22:23], vcc
	s_xor_b64 s[28:29], exec, s[22:23]
	s_cbranch_execz .LBB101_261
; %bb.257:                              ;   in Loop: Header=BB101_17 Depth=1
	ds_read_b64 v[3:4], v16 offset:5120
	v_or_b32_e32 v22, s13, v22
	v_or_b32_e32 v21, s12, v21
	;; [unrolled: 1-line block ×4, first 2 shown]
	s_waitcnt lgkmcnt(0)
	v_cmp_ne_u64_e32 vcc, 0, v[3:4]
	s_cbranch_vccnz .LBB101_261
; %bb.258:                              ;   in Loop: Header=BB101_17 Depth=1
	s_and_saveexec_b64 s[12:13], s[0:1]
; %bb.259:                              ;   in Loop: Header=BB101_17 Depth=1
	v_mov_b32_e32 v3, s10
	v_mov_b32_e32 v4, s11
	ds_write_b64 v16, v[3:4] offset:5128
; %bb.260:                              ;   in Loop: Header=BB101_17 Depth=1
	s_or_b64 exec, exec, s[12:13]
	s_waitcnt lgkmcnt(0)
	s_barrier
.LBB101_261:                            ;   in Loop: Header=BB101_17 Depth=1
	s_andn2_saveexec_b64 s[12:13], s[28:29]
; %bb.262:                              ;   in Loop: Header=BB101_17 Depth=1
	v_mov_b32_e32 v3, s11
	v_subrev_co_u32_e32 v9, vcc, s10, v9
	v_subb_co_u32_e32 v10, vcc, v10, v3, vcc
; %bb.263:                              ;   in Loop: Header=BB101_17 Depth=1
	s_or_b64 exec, exec, s[12:13]
	v_mov_b32_e32 v3, v9
	v_mov_b32_e32 v13, 8
	v_mov_b32_e32 v4, v10
.LBB101_264:                            ;   in Loop: Header=BB101_17 Depth=1
	s_or_b64 exec, exec, s[46:47]
	v_mov_b32_e32 v10, v4
	s_mov_b64 s[22:23], exec
	v_mov_b32_e32 v9, v3
.LBB101_265:                            ;   in Loop: Header=BB101_17 Depth=1
	s_or_b64 exec, exec, s[26:27]
	s_orn2_b64 s[26:27], s[22:23], exec
.LBB101_266:                            ;   in Loop: Header=BB101_17 Depth=1
	s_or_b64 exec, exec, s[78:79]
	s_andn2_b64 s[10:11], s[90:91], exec
	s_and_b64 s[12:13], s[24:25], exec
	s_or_b64 s[90:91], s[10:11], s[12:13]
	s_andn2_b64 s[10:11], s[88:89], exec
	s_and_b64 s[12:13], s[44:45], exec
	v_mov_b32_e32 v7, v9
	s_or_b64 s[88:89], s[10:11], s[12:13]
	s_and_b64 s[26:27], s[26:27], exec
	v_mov_b32_e32 v8, v10
.LBB101_267:                            ;   in Loop: Header=BB101_17 Depth=1
	s_or_b64 exec, exec, s[92:93]
	s_orn2_b64 s[24:25], s[26:27], exec
.LBB101_268:                            ;   in Loop: Header=BB101_17 Depth=1
	s_or_b64 exec, exec, s[86:87]
	s_andn2_b64 s[10:11], s[80:81], exec
	s_and_b64 s[12:13], s[90:91], exec
	s_or_b64 s[80:81], s[10:11], s[12:13]
	s_andn2_b64 s[6:7], s[6:7], exec
	s_and_b64 s[10:11], s[88:89], exec
	v_mov_b32_e32 v12, v8
	s_or_b64 s[6:7], s[6:7], s[10:11]
	s_and_b64 s[26:27], s[24:25], exec
	v_mov_b32_e32 v11, v7
.LBB101_269:                            ;   in Loop: Header=BB101_17 Depth=1
	s_or_b64 exec, exec, s[84:85]
	s_orn2_b64 s[24:25], s[26:27], exec
.LBB101_270:                            ;   in Loop: Header=BB101_17 Depth=1
	s_or_b64 exec, exec, s[76:77]
	s_mov_b64 s[12:13], 0
	s_and_saveexec_b64 s[10:11], s[24:25]
	s_xor_b64 s[10:11], exec, s[10:11]
	s_cbranch_execz .LBB101_15
; %bb.271:                              ;   in Loop: Header=BB101_17 Depth=1
	v_and_b32_e32 v3, 7, v13
	v_cmp_eq_u32_e32 vcc, 0, v3
	s_mov_b64 s[18:19], -1
	s_mov_b64 s[12:13], -1
	s_and_saveexec_b64 s[22:23], vcc
	s_cbranch_execz .LBB101_14
; %bb.272:                              ;   in Loop: Header=BB101_17 Depth=1
	s_xor_b32 s9, s9, 1
	s_add_i32 s24, s8, -2
	s_cmp_eq_u32 s8, 0
	s_cselect_b64 s[18:19], -1, 0
	s_xor_b64 s[12:13], exec, -1
	s_orn2_b64 s[18:19], s[18:19], exec
	s_mov_b32 s8, s24
	s_branch .LBB101_14
.LBB101_273:                            ;   in Loop: Header=BB101_17 Depth=1
                                        ; implicit-def: $sgpr22_sgpr23
	s_andn2_b64 vcc, exec, s[28:29]
	s_cbranch_vccz .LBB101_226
	s_branch .LBB101_227
.LBB101_274:                            ;   in Loop: Header=BB101_17 Depth=1
                                        ; implicit-def: $sgpr22_sgpr23
	s_branch .LBB101_242
.LBB101_275:
	s_or_b64 exec, exec, s[62:63]
	s_xor_b64 s[8:9], s[68:69], -1
	s_xor_b64 s[0:1], s[64:65], -1
	;; [unrolled: 1-line block ×3, first 2 shown]
	s_mov_b64 s[4:5], 0
	s_and_saveexec_b64 s[2:3], s[0:1]
	s_xor_b64 s[0:1], exec, s[2:3]
	s_cbranch_execnz .LBB101_280
; %bb.276:
	s_andn2_saveexec_b64 s[0:1], s[0:1]
	s_cbranch_execnz .LBB101_293
.LBB101_277:
	s_or_b64 exec, exec, s[0:1]
	s_and_saveexec_b64 s[0:1], s[4:5]
.LBB101_278:
	; divergent unreachable
.LBB101_279:
	s_endpgm
.LBB101_280:
	s_and_saveexec_b64 s[2:3], s[8:9]
	s_xor_b64 s[4:5], exec, s[2:3]
	s_cbranch_execz .LBB101_291
; %bb.281:
	s_and_saveexec_b64 s[2:3], s[6:7]
	s_xor_b64 s[6:7], exec, s[2:3]
; %bb.282:
	v_xor_b32_e32 v22, 0x80000000, v22
	v_mov_b32_e32 v5, v21
	v_mov_b32_e32 v6, v22
; %bb.283:
	s_or_b64 exec, exec, s[6:7]
	v_readlane_b32 s6, v46, 6
	v_readlane_b32 s2, v46, 4
	;; [unrolled: 1-line block ×4, first 2 shown]
	s_mov_b32 s8, s2
	s_mul_i32 s2, s2, s7
	s_mul_hi_u32 s3, s8, s6
	s_add_i32 s3, s3, s2
	s_mul_i32 s2, s8, s6
	v_readlane_b32 s12, v46, 16
	s_sub_u32 s2, s34, s2
	v_readlane_b32 s14, v46, 18
	v_readlane_b32 s15, v46, 19
	s_subb_u32 s3, 0, s3
	s_mul_i32 s6, s2, s15
	s_mul_hi_u32 s7, s2, s14
	v_readlane_b32 s13, v46, 17
	s_add_i32 s6, s7, s6
	s_mul_i32 s3, s3, s14
	s_add_i32 s3, s6, s3
	s_mul_i32 s6, s8, s13
	s_mul_hi_u32 s7, s8, s12
	s_add_i32 s7, s7, s6
	s_mul_i32 s6, s8, s12
	s_lshl_b64 s[6:7], s[6:7], 3
	v_readlane_b32 s8, v46, 10
	s_mul_i32 s2, s2, s14
	v_readlane_b32 s9, v46, 11
	s_add_u32 s6, s8, s6
	s_addc_u32 s7, s9, s7
	s_lshl_b64 s[2:3], s[2:3], 3
	s_add_u32 s2, s6, s2
	s_addc_u32 s3, s7, s3
	v_mov_b32_e32 v2, 0
	global_store_dwordx2 v2, v[5:6], s[2:3]
	s_mov_b64 s[6:7], exec
	v_readlane_b32 s2, v46, 20
	v_readlane_b32 s3, v46, 21
	s_and_b64 s[2:3], s[6:7], s[2:3]
	s_mov_b64 exec, s[2:3]
	s_cbranch_execz .LBB101_290
; %bb.284:
	s_mov_b64 s[2:3], 0
	v_mov_b32_e32 v4, s58
                                        ; implicit-def: $sgpr8_sgpr9
                                        ; implicit-def: $sgpr12_sgpr13
                                        ; implicit-def: $sgpr10_sgpr11
	s_branch .LBB101_286
.LBB101_285:                            ;   in Loop: Header=BB101_286 Depth=1
	s_or_b64 exec, exec, s[14:15]
	s_and_b64 s[14:15], exec, s[12:13]
	s_or_b64 s[2:3], s[14:15], s[2:3]
	s_andn2_b64 s[8:9], s[8:9], exec
	s_and_b64 s[14:15], s[10:11], exec
	s_or_b64 s[8:9], s[8:9], s[14:15]
	s_andn2_b64 exec, exec, s[2:3]
	s_cbranch_execz .LBB101_288
.LBB101_286:                            ; =>This Inner Loop Header: Depth=1
	v_mov_b32_e32 v3, v1
	v_mov_b32_e32 v2, v0
	v_mul_lo_u32 v7, v3, s38
	v_mul_lo_u32 v8, v2, s39
	v_mad_u64_u32 v[0:1], s[14:15], v2, s38, 0
	s_or_b64 s[10:11], s[10:11], exec
	s_or_b64 s[12:13], s[12:13], exec
	v_add3_u32 v1, v1, v8, v7
	v_lshlrev_b64 v[0:1], 3, v[0:1]
	v_add_co_u32_e32 v0, vcc, s33, v0
	v_addc_co_u32_e32 v1, vcc, v4, v1, vcc
	global_load_dwordx2 v[0:1], v[0:1], off
	s_waitcnt vmcnt(0)
	v_cmp_ne_u64_e32 vcc, v[0:1], v[5:6]
                                        ; implicit-def: $vgpr0_vgpr1
	s_and_saveexec_b64 s[14:15], vcc
	s_cbranch_execz .LBB101_285
; %bb.287:                              ;   in Loop: Header=BB101_286 Depth=1
	v_add_co_u32_e32 v0, vcc, s35, v2
	v_addc_co_u32_e32 v1, vcc, 0, v3, vcc
	v_cmp_le_u64_e32 vcc, s[20:21], v[0:1]
	s_andn2_b64 s[12:13], s[12:13], exec
	s_and_b64 s[16:17], vcc, exec
	s_andn2_b64 s[10:11], s[10:11], exec
	s_or_b64 s[12:13], s[12:13], s[16:17]
	s_branch .LBB101_285
.LBB101_288:
	s_or_b64 exec, exec, s[2:3]
	s_and_saveexec_b64 s[2:3], s[8:9]
	s_xor_b64 s[2:3], exec, s[2:3]
	s_cbranch_execz .LBB101_290
; %bb.289:
	v_readlane_b32 s8, v46, 0
	v_readlane_b32 s2, v46, 2
	;; [unrolled: 1-line block ×4, first 2 shown]
	s_mov_b32 s10, s2
	s_mul_i32 s2, s2, s9
	s_mul_hi_u32 s3, s10, s8
	s_add_i32 s3, s3, s2
	s_mul_i32 s2, s10, s8
	v_readlane_b32 s12, v46, 12
	s_sub_u32 s2, s34, s2
	v_readlane_b32 s14, v46, 14
	v_readlane_b32 s15, v46, 15
	s_subb_u32 s3, 0, s3
	s_mul_i32 s8, s2, s15
	s_mul_hi_u32 s9, s2, s14
	v_readlane_b32 s13, v46, 13
	s_add_i32 s8, s9, s8
	s_mul_i32 s3, s3, s14
	s_add_i32 s3, s8, s3
	s_mul_i32 s8, s10, s13
	s_mul_hi_u32 s9, s10, s12
	s_add_i32 s9, s9, s8
	s_mul_i32 s8, s10, s12
	s_lshl_b64 s[8:9], s[8:9], 3
	v_readlane_b32 s10, v46, 8
	s_mul_i32 s2, s2, s14
	v_readlane_b32 s11, v46, 9
	s_add_u32 s8, s10, s8
	s_addc_u32 s9, s11, s9
	s_lshl_b64 s[2:3], s[2:3], 3
	s_add_u32 s2, s8, s2
	s_addc_u32 s3, s9, s3
	v_mov_b32_e32 v0, 0
	global_store_dwordx2 v0, v[2:3], s[2:3]
.LBB101_290:
	s_or_b64 exec, exec, s[6:7]
.LBB101_291:
	s_or_saveexec_b64 s[2:3], s[4:5]
	s_mov_b64 s[4:5], 0
	s_xor_b64 exec, exec, s[2:3]
	s_cbranch_execnz .LBB101_294
.LBB101_292:
	s_or_b64 exec, exec, s[2:3]
	s_and_b64 s[4:5], s[4:5], exec
	s_andn2_saveexec_b64 s[0:1], s[0:1]
	s_cbranch_execz .LBB101_277
.LBB101_293:
	s_or_b64 s[4:5], s[4:5], exec
	s_trap 2
	s_or_b64 exec, exec, s[0:1]
	s_and_saveexec_b64 s[0:1], s[4:5]
	s_cbranch_execnz .LBB101_278
	s_branch .LBB101_279
.LBB101_294:
	s_mov_b64 s[4:5], exec
	s_trap 2
	s_branch .LBB101_292
	.section	.rodata,"a",@progbits
	.p2align	6, 0x0
	.amdhsa_kernel _ZN2at6native12_GLOBAL__N_112gatherMedianIlmLi2EEEvNS_4cuda6detail10TensorInfoIT_T0_EENS5_IlS7_EENS5_IKS6_S7_EES7_S7_S7_b
		.amdhsa_group_segment_fixed_size 5152
		.amdhsa_private_segment_fixed_size 0
		.amdhsa_kernarg_size 1536
		.amdhsa_user_sgpr_count 6
		.amdhsa_user_sgpr_private_segment_buffer 1
		.amdhsa_user_sgpr_dispatch_ptr 0
		.amdhsa_user_sgpr_queue_ptr 0
		.amdhsa_user_sgpr_kernarg_segment_ptr 1
		.amdhsa_user_sgpr_dispatch_id 0
		.amdhsa_user_sgpr_flat_scratch_init 0
		.amdhsa_user_sgpr_private_segment_size 0
		.amdhsa_uses_dynamic_stack 0
		.amdhsa_system_sgpr_private_segment_wavefront_offset 0
		.amdhsa_system_sgpr_workgroup_id_x 1
		.amdhsa_system_sgpr_workgroup_id_y 1
		.amdhsa_system_sgpr_workgroup_id_z 1
		.amdhsa_system_sgpr_workgroup_info 0
		.amdhsa_system_vgpr_workitem_id 0
		.amdhsa_next_free_vgpr 47
		.amdhsa_next_free_sgpr 96
		.amdhsa_reserve_vcc 1
		.amdhsa_reserve_flat_scratch 0
		.amdhsa_float_round_mode_32 0
		.amdhsa_float_round_mode_16_64 0
		.amdhsa_float_denorm_mode_32 3
		.amdhsa_float_denorm_mode_16_64 3
		.amdhsa_dx10_clamp 1
		.amdhsa_ieee_mode 1
		.amdhsa_fp16_overflow 0
		.amdhsa_exception_fp_ieee_invalid_op 0
		.amdhsa_exception_fp_denorm_src 0
		.amdhsa_exception_fp_ieee_div_zero 0
		.amdhsa_exception_fp_ieee_overflow 0
		.amdhsa_exception_fp_ieee_underflow 0
		.amdhsa_exception_fp_ieee_inexact 0
		.amdhsa_exception_int_div_zero 0
	.end_amdhsa_kernel
	.section	.text._ZN2at6native12_GLOBAL__N_112gatherMedianIlmLi2EEEvNS_4cuda6detail10TensorInfoIT_T0_EENS5_IlS7_EENS5_IKS6_S7_EES7_S7_S7_b,"axG",@progbits,_ZN2at6native12_GLOBAL__N_112gatherMedianIlmLi2EEEvNS_4cuda6detail10TensorInfoIT_T0_EENS5_IlS7_EENS5_IKS6_S7_EES7_S7_S7_b,comdat
.Lfunc_end101:
	.size	_ZN2at6native12_GLOBAL__N_112gatherMedianIlmLi2EEEvNS_4cuda6detail10TensorInfoIT_T0_EENS5_IlS7_EENS5_IKS6_S7_EES7_S7_S7_b, .Lfunc_end101-_ZN2at6native12_GLOBAL__N_112gatherMedianIlmLi2EEEvNS_4cuda6detail10TensorInfoIT_T0_EENS5_IlS7_EENS5_IKS6_S7_EES7_S7_S7_b
                                        ; -- End function
	.set _ZN2at6native12_GLOBAL__N_112gatherMedianIlmLi2EEEvNS_4cuda6detail10TensorInfoIT_T0_EENS5_IlS7_EENS5_IKS6_S7_EES7_S7_S7_b.num_vgpr, 47
	.set _ZN2at6native12_GLOBAL__N_112gatherMedianIlmLi2EEEvNS_4cuda6detail10TensorInfoIT_T0_EENS5_IlS7_EENS5_IKS6_S7_EES7_S7_S7_b.num_agpr, 0
	.set _ZN2at6native12_GLOBAL__N_112gatherMedianIlmLi2EEEvNS_4cuda6detail10TensorInfoIT_T0_EENS5_IlS7_EENS5_IKS6_S7_EES7_S7_S7_b.numbered_sgpr, 96
	.set _ZN2at6native12_GLOBAL__N_112gatherMedianIlmLi2EEEvNS_4cuda6detail10TensorInfoIT_T0_EENS5_IlS7_EENS5_IKS6_S7_EES7_S7_S7_b.num_named_barrier, 0
	.set _ZN2at6native12_GLOBAL__N_112gatherMedianIlmLi2EEEvNS_4cuda6detail10TensorInfoIT_T0_EENS5_IlS7_EENS5_IKS6_S7_EES7_S7_S7_b.private_seg_size, 0
	.set _ZN2at6native12_GLOBAL__N_112gatherMedianIlmLi2EEEvNS_4cuda6detail10TensorInfoIT_T0_EENS5_IlS7_EENS5_IKS6_S7_EES7_S7_S7_b.uses_vcc, 1
	.set _ZN2at6native12_GLOBAL__N_112gatherMedianIlmLi2EEEvNS_4cuda6detail10TensorInfoIT_T0_EENS5_IlS7_EENS5_IKS6_S7_EES7_S7_S7_b.uses_flat_scratch, 0
	.set _ZN2at6native12_GLOBAL__N_112gatherMedianIlmLi2EEEvNS_4cuda6detail10TensorInfoIT_T0_EENS5_IlS7_EENS5_IKS6_S7_EES7_S7_S7_b.has_dyn_sized_stack, 0
	.set _ZN2at6native12_GLOBAL__N_112gatherMedianIlmLi2EEEvNS_4cuda6detail10TensorInfoIT_T0_EENS5_IlS7_EENS5_IKS6_S7_EES7_S7_S7_b.has_recursion, 0
	.set _ZN2at6native12_GLOBAL__N_112gatherMedianIlmLi2EEEvNS_4cuda6detail10TensorInfoIT_T0_EENS5_IlS7_EENS5_IKS6_S7_EES7_S7_S7_b.has_indirect_call, 0
	.section	.AMDGPU.csdata,"",@progbits
; Kernel info:
; codeLenInByte = 14944
; TotalNumSgprs: 100
; NumVgprs: 47
; ScratchSize: 0
; MemoryBound: 0
; FloatMode: 240
; IeeeMode: 1
; LDSByteSize: 5152 bytes/workgroup (compile time only)
; SGPRBlocks: 12
; VGPRBlocks: 11
; NumSGPRsForWavesPerEU: 100
; NumVGPRsForWavesPerEU: 47
; Occupancy: 5
; WaveLimiterHint : 1
; COMPUTE_PGM_RSRC2:SCRATCH_EN: 0
; COMPUTE_PGM_RSRC2:USER_SGPR: 6
; COMPUTE_PGM_RSRC2:TRAP_HANDLER: 0
; COMPUTE_PGM_RSRC2:TGID_X_EN: 1
; COMPUTE_PGM_RSRC2:TGID_Y_EN: 1
; COMPUTE_PGM_RSRC2:TGID_Z_EN: 1
; COMPUTE_PGM_RSRC2:TIDIG_COMP_CNT: 0
	.section	.text._ZN2at6native12_GLOBAL__N_112gatherMedianIlmLi3EEEvNS_4cuda6detail10TensorInfoIT_T0_EENS5_IlS7_EENS5_IKS6_S7_EES7_S7_S7_b,"axG",@progbits,_ZN2at6native12_GLOBAL__N_112gatherMedianIlmLi3EEEvNS_4cuda6detail10TensorInfoIT_T0_EENS5_IlS7_EENS5_IKS6_S7_EES7_S7_S7_b,comdat
	.globl	_ZN2at6native12_GLOBAL__N_112gatherMedianIlmLi3EEEvNS_4cuda6detail10TensorInfoIT_T0_EENS5_IlS7_EENS5_IKS6_S7_EES7_S7_S7_b ; -- Begin function _ZN2at6native12_GLOBAL__N_112gatherMedianIlmLi3EEEvNS_4cuda6detail10TensorInfoIT_T0_EENS5_IlS7_EENS5_IKS6_S7_EES7_S7_S7_b
	.p2align	8
	.type	_ZN2at6native12_GLOBAL__N_112gatherMedianIlmLi3EEEvNS_4cuda6detail10TensorInfoIT_T0_EENS5_IlS7_EENS5_IKS6_S7_EES7_S7_S7_b,@function
_ZN2at6native12_GLOBAL__N_112gatherMedianIlmLi3EEEvNS_4cuda6detail10TensorInfoIT_T0_EENS5_IlS7_EENS5_IKS6_S7_EES7_S7_S7_b: ; @_ZN2at6native12_GLOBAL__N_112gatherMedianIlmLi3EEEvNS_4cuda6detail10TensorInfoIT_T0_EENS5_IlS7_EENS5_IKS6_S7_EES7_S7_S7_b
; %bb.0:
	s_load_dwordx2 s[34:35], s[4:5], 0x500
	s_load_dwordx4 s[20:23], s[4:5], 0x4e0
	s_add_u32 s36, s4, 0x500
	s_addc_u32 s37, s5, 0
	s_mov_b32 s19, 0
	s_waitcnt lgkmcnt(0)
	s_mul_i32 s0, s35, s8
	s_add_i32 s0, s0, s7
	s_mul_i32 s0, s0, s34
	s_add_i32 s18, s0, s6
	v_mov_b32_e32 v1, s18
	v_mov_b32_e32 v2, s19
	v_cmp_le_u64_e32 vcc, s[22:23], v[1:2]
	s_cbranch_vccnz .LBB102_285
; %bb.1:
	s_load_dwordx4 s[12:15], s[4:5], 0x10
	s_mov_b64 s[16:17], 0
	s_mov_b64 s[10:11], 0
	s_waitcnt lgkmcnt(0)
	v_mov_b32_e32 v1, s14
	v_mov_b32_e32 v2, s15
	v_cmp_lt_u64_e32 vcc, s[18:19], v[1:2]
	s_cbranch_vccnz .LBB102_3
; %bb.2:
	v_cvt_f32_u32_e32 v1, s14
	s_sub_i32 s0, 0, s14
	s_mov_b32 s11, 0
	v_rcp_iflag_f32_e32 v1, v1
	v_mul_f32_e32 v1, 0x4f7ffffe, v1
	v_cvt_u32_f32_e32 v1, v1
	v_readfirstlane_b32 s1, v1
	s_mul_i32 s0, s0, s1
	s_mul_hi_u32 s0, s1, s0
	s_add_i32 s1, s1, s0
	s_mul_hi_u32 s0, s18, s1
	s_mul_i32 s2, s0, s14
	s_sub_i32 s2, s18, s2
	s_add_i32 s1, s0, 1
	s_sub_i32 s3, s2, s14
	s_cmp_ge_u32 s2, s14
	s_cselect_b32 s0, s1, s0
	s_cselect_b32 s2, s3, s2
	s_add_i32 s1, s0, 1
	s_cmp_ge_u32 s2, s14
	s_cselect_b32 s10, s1, s0
.LBB102_3:
	s_load_dwordx4 s[68:71], s[4:5], 0x1b0
	v_mov_b32_e32 v1, s12
	v_mov_b32_e32 v2, s13
	v_cmp_lt_u64_e32 vcc, s[10:11], v[1:2]
	s_cbranch_vccnz .LBB102_5
; %bb.4:
	v_cvt_f32_u32_e32 v1, s12
	s_sub_i32 s0, 0, s12
	v_rcp_iflag_f32_e32 v1, v1
	v_mul_f32_e32 v1, 0x4f7ffffe, v1
	v_cvt_u32_f32_e32 v1, v1
	v_readfirstlane_b32 s1, v1
	s_mul_i32 s0, s0, s1
	s_mul_hi_u32 s0, s1, s0
	s_add_i32 s1, s1, s0
	s_mul_hi_u32 s0, s10, s1
	s_mul_i32 s2, s0, s12
	s_sub_i32 s2, s10, s2
	s_add_i32 s1, s0, 1
	s_sub_i32 s3, s2, s12
	s_cmp_ge_u32 s2, s12
	s_cselect_b32 s0, s1, s0
	s_cselect_b32 s2, s3, s2
	s_add_i32 s1, s0, 1
	s_cmp_ge_u32 s2, s12
	s_cselect_b32 s16, s1, s0
.LBB102_5:
	s_waitcnt lgkmcnt(0)
	v_mov_b32_e32 v1, s70
	v_mov_b32_e32 v2, s71
	v_cmp_lt_u64_e32 vcc, s[18:19], v[1:2]
	s_mov_b64 s[0:1], 0
                                        ; implicit-def: $vgpr46 : SGPR spill to VGPR lane
	v_writelane_b32 v46, s0, 0
	v_writelane_b32 v46, s1, 1
	s_mov_b64 s[0:1], 0
	s_cbranch_vccnz .LBB102_7
; %bb.6:
	v_cvt_f32_u32_e32 v1, s70
	s_sub_i32 s0, 0, s70
	s_mov_b32 s9, 0
	v_rcp_iflag_f32_e32 v1, v1
	v_mul_f32_e32 v1, 0x4f7ffffe, v1
	v_cvt_u32_f32_e32 v1, v1
	v_readfirstlane_b32 s1, v1
	s_mul_i32 s0, s0, s1
	s_mul_hi_u32 s0, s1, s0
	s_add_i32 s1, s1, s0
	s_mul_hi_u32 s0, s18, s1
	s_mul_i32 s2, s0, s70
	s_sub_i32 s2, s18, s2
	s_add_i32 s1, s0, 1
	s_sub_i32 s3, s2, s70
	s_cmp_ge_u32 s2, s70
	s_cselect_b32 s0, s1, s0
	s_cselect_b32 s2, s3, s2
	s_add_i32 s1, s0, 1
	s_cmp_ge_u32 s2, s70
	s_cselect_b32 s8, s1, s0
	s_mov_b64 s[0:1], s[8:9]
.LBB102_7:
	v_writelane_b32 v46, s16, 2
	v_writelane_b32 v46, s17, 3
	;; [unrolled: 1-line block ×7, first 2 shown]
	s_load_dwordx4 s[8:11], s[4:5], 0x350
	v_mov_b32_e32 v1, s68
	v_writelane_b32 v46, s15, 9
	v_mov_b32_e32 v2, s69
	v_writelane_b32 v46, s0, 10
	v_cmp_lt_u64_e32 vcc, s[0:1], v[1:2]
	v_writelane_b32 v46, s1, 11
	s_cbranch_vccnz .LBB102_9
; %bb.8:
	v_cvt_f32_u32_e32 v1, s68
	s_sub_i32 s0, 0, s68
	v_readlane_b32 s12, v46, 10
	v_readlane_b32 s13, v46, 11
	v_rcp_iflag_f32_e32 v1, v1
	v_mul_f32_e32 v1, 0x4f7ffffe, v1
	v_cvt_u32_f32_e32 v1, v1
	v_readfirstlane_b32 s1, v1
	s_mul_i32 s0, s0, s1
	s_mul_hi_u32 s0, s1, s0
	s_add_i32 s1, s1, s0
	s_mul_hi_u32 s0, s12, s1
	s_mul_i32 s2, s0, s68
	s_sub_i32 s2, s12, s2
	s_add_i32 s1, s0, 1
	s_sub_i32 s3, s2, s68
	s_cmp_ge_u32 s2, s68
	s_cselect_b32 s0, s1, s0
	s_cselect_b32 s2, s3, s2
	s_add_i32 s1, s0, 1
	s_cmp_ge_u32 s2, s68
	s_cselect_b32 s0, s1, s0
	v_writelane_b32 v46, s0, 0
	v_writelane_b32 v46, s1, 1
.LBB102_9:
	s_load_dwordx2 s[48:49], s[4:5], 0x4f0
	s_waitcnt lgkmcnt(0)
	v_mov_b32_e32 v1, s10
	v_mov_b32_e32 v2, s11
	v_cmp_lt_u64_e32 vcc, s[18:19], v[1:2]
	s_mov_b64 s[2:3], 0
	s_mov_b64 s[16:17], 0
	s_cbranch_vccnz .LBB102_11
; %bb.10:
	v_cvt_f32_u32_e32 v1, s10
	s_sub_i32 s0, 0, s10
	s_mov_b32 s17, 0
	v_rcp_iflag_f32_e32 v1, v1
	v_mul_f32_e32 v1, 0x4f7ffffe, v1
	v_cvt_u32_f32_e32 v1, v1
	v_readfirstlane_b32 s1, v1
	s_mul_i32 s0, s0, s1
	s_mul_hi_u32 s0, s1, s0
	s_add_i32 s1, s1, s0
	s_mul_hi_u32 s0, s18, s1
	s_mul_i32 s3, s0, s10
	s_sub_i32 s3, s18, s3
	s_add_i32 s1, s0, 1
	s_sub_i32 s7, s3, s10
	s_cmp_ge_u32 s3, s10
	s_cselect_b32 s0, s1, s0
	s_cselect_b32 s3, s7, s3
	s_add_i32 s1, s0, 1
	s_cmp_ge_u32 s3, s10
	s_cselect_b32 s16, s1, s0
.LBB102_11:
	v_mov_b32_e32 v1, s8
	v_mov_b32_e32 v2, s9
	v_cmp_lt_u64_e32 vcc, s[16:17], v[1:2]
	s_cbranch_vccnz .LBB102_13
; %bb.12:
	v_cvt_f32_u32_e32 v1, s8
	s_sub_i32 s0, 0, s8
	v_rcp_iflag_f32_e32 v1, v1
	v_mul_f32_e32 v1, 0x4f7ffffe, v1
	v_cvt_u32_f32_e32 v1, v1
	v_readfirstlane_b32 s1, v1
	s_mul_i32 s0, s0, s1
	s_mul_hi_u32 s0, s1, s0
	s_add_i32 s1, s1, s0
	s_mul_hi_u32 s0, s16, s1
	s_mul_i32 s2, s0, s8
	s_sub_i32 s2, s16, s2
	s_add_i32 s1, s0, 1
	s_sub_i32 s3, s2, s8
	s_cmp_ge_u32 s2, s8
	s_cselect_b32 s0, s1, s0
	s_cselect_b32 s2, s3, s2
	s_add_i32 s1, s0, 1
	s_cmp_ge_u32 s2, s8
	s_cselect_b32 s2, s1, s0
.LBB102_13:
	s_load_dwordx2 s[24:25], s[4:5], 0x420
	s_load_dwordx4 s[12:15], s[4:5], 0x410
	v_cmp_eq_u32_e64 s[0:1], 0, v0
	s_and_saveexec_b64 s[22:23], s[0:1]
; %bb.14:
	v_mov_b32_e32 v1, 0
	v_mov_b32_e32 v2, v1
	ds_write_b64 v1, v[1:2] offset:5136
; %bb.15:
	s_or_b64 exec, exec, s[22:23]
	s_load_dwordx2 s[26:27], s[4:5], 0x280
	s_load_dwordx4 s[28:31], s[4:5], 0x270
	v_mov_b32_e32 v1, 0
	s_load_dwordx2 s[22:23], s[4:5], 0x340
	s_load_dword s3, s[4:5], 0x4f8
	s_waitcnt lgkmcnt(0)
	v_writelane_b32 v46, s26, 12
	v_writelane_b32 v46, s27, 13
	;; [unrolled: 1-line block ×4, first 2 shown]
	s_load_dwordx2 s[26:27], s[4:5], 0xe0
	s_waitcnt lgkmcnt(0)
	s_barrier
	s_barrier
	ds_read_b64 v[1:2], v1 offset:5136
	v_writelane_b32 v46, s30, 16
	v_writelane_b32 v46, s31, 17
	s_load_dwordx4 s[28:31], s[4:5], 0xd0
	v_writelane_b32 v46, s26, 18
	v_writelane_b32 v46, s27, 19
	s_bitcmp1_b32 s3, 0
	s_waitcnt lgkmcnt(0)
	v_cmp_gt_i64_e32 vcc, 1, v[1:2]
	v_writelane_b32 v46, s28, 20
	s_cselect_b64 s[26:27], -1, 0
	v_writelane_b32 v46, s29, 21
	s_or_b64 s[26:27], s[26:27], vcc
	v_mov_b32_e32 v26, s21
	v_writelane_b32 v46, s30, 22
	s_andn2_b64 vcc, exec, s[26:27]
	v_mov_b32_e32 v25, s20
	v_writelane_b32 v46, s31, 23
	s_cbranch_vccnz .LBB102_17
; %bb.16:
	v_not_b32_e32 v1, v1
	v_not_b32_e32 v2, v2
	v_mov_b32_e32 v3, s21
	v_add_co_u32_e32 v1, vcc, s20, v1
	v_addc_co_u32_e32 v2, vcc, v3, v2, vcc
	v_lshrrev_b64 v[1:2], 1, v[1:2]
	v_add_co_u32_e32 v25, vcc, 1, v1
	v_addc_co_u32_e32 v26, vcc, 0, v2, vcc
.LBB102_17:
	s_load_dwordx2 s[26:27], s[4:5], 0x1a0
	s_waitcnt lgkmcnt(0)
	v_writelane_b32 v46, s26, 24
	s_load_dwordx2 s[4:5], s[4:5], 0x0
	v_writelane_b32 v46, s27, 25
	s_waitcnt lgkmcnt(0)
	v_writelane_b32 v46, s4, 26
	v_writelane_b32 v46, s5, 27
	s_and_saveexec_b64 s[4:5], s[0:1]
	s_cbranch_execz .LBB102_19
; %bb.18:
	v_mov_b32_e32 v1, 0
	v_mov_b32_e32 v3, s20
	;; [unrolled: 1-line block ×4, first 2 shown]
	ds_write_b32 v1, v1 offset:5144
	ds_write_b128 v1, v[1:4] offset:5120
.LBB102_19:
	s_or_b64 exec, exec, s[4:5]
	s_mul_i32 s3, s16, s11
	s_mul_hi_u32 s4, s16, s10
	s_add_i32 s4, s4, s3
	s_mul_i32 s3, s16, s10
	s_sub_u32 s3, s18, s3
	s_subb_u32 s4, 0, s4
	s_mul_i32 s5, s3, s25
	s_mul_hi_u32 s7, s3, s24
	s_add_i32 s5, s7, s5
	s_mul_i32 s4, s4, s24
	s_add_i32 s5, s5, s4
	s_mul_i32 s4, s3, s24
	s_mul_i32 s3, s2, s9
	s_mul_hi_u32 s7, s2, s8
	s_add_i32 s7, s7, s3
	s_mul_i32 s3, s2, s8
	s_sub_u32 s3, s16, s3
	s_subb_u32 s7, s17, s7
	s_mul_i32 s8, s3, s15
	s_mul_hi_u32 s9, s3, s14
	s_add_i32 s8, s9, s8
	s_mul_i32 s7, s7, s14
	s_add_i32 s9, s8, s7
	s_mul_i32 s8, s3, s14
	s_mul_i32 s3, s2, s13
	s_mul_hi_u32 s7, s2, s12
	s_add_i32 s3, s7, s3
	s_mul_i32 s2, s2, s12
	s_lshl_b64 s[2:3], s[2:3], 3
	s_add_u32 s7, s22, s2
	s_addc_u32 s10, s23, s3
	s_lshl_b64 s[2:3], s[8:9], 3
	s_add_u32 s7, s7, s2
	s_addc_u32 s8, s10, s3
	s_lshl_b64 s[2:3], s[4:5], 3
	v_mov_b32_e32 v16, 0
	s_add_u32 s19, s7, s2
	v_mov_b32_e32 v1, v16
	s_addc_u32 s28, s8, s3
	v_cmp_gt_u64_e64 s[2:3], s[20:21], v[0:1]
	v_mbcnt_lo_u32_b32 v2, -1, 0
	v_writelane_b32 v46, s2, 28
	v_writelane_b32 v46, s3, 29
	v_mbcnt_hi_u32_b32 v31, -1, v2
	v_mad_u64_u32 v[2:3], s[2:3], s48, v0, 0
	s_waitcnt lgkmcnt(0)
	s_barrier
	v_mad_u64_u32 v[3:4], s[2:3], s49, v0, v[3:4]
	v_mov_b32_e32 v4, 0x180
	v_mov_b32_e32 v5, 0
	v_cmp_gt_u64_e64 s[2:3], s[20:21], v[4:5]
	v_writelane_b32 v46, s2, 30
	v_writelane_b32 v46, s3, 31
	s_load_dword s2, s[36:37], 0xc
	v_cmp_gt_u32_e32 vcc, 64, v0
	v_cmp_gt_i32_e64 s[8:9], 4, v31
	s_and_b64 s[60:61], vcc, s[8:9]
	v_lshlrev_b64 v[2:3], 3, v[2:3]
	s_waitcnt lgkmcnt(0)
	s_and_b32 s33, s2, 0xffff
	s_bfe_u32 s2, s2, 0xa0006
	s_cmp_gt_u32 s33, 63
	s_cselect_b64 s[62:63], -1, 0
	s_add_u32 s29, s33, -1
	s_addc_u32 s30, 0, -1
	s_add_u32 s31, s29, s20
	s_addc_u32 s65, s30, s21
	s_cmp_lt_u32 s6, s34
	s_cselect_b32 s3, 12, 18
	s_add_u32 s66, s36, s3
	s_addc_u32 s67, s37, 0
	s_add_i32 s3, s2, -1
	v_mov_b32_e32 v34, s28
	v_add_co_u32_e32 v17, vcc, s19, v2
	s_bfe_u32 s6, s33, 0x30006
	s_and_b32 s3, s3, 0xffff
	v_addc_co_u32_e32 v18, vcc, v34, v3, vcc
	v_lshlrev_b64 v[2:3], v31, -1
	s_cmp_gt_u32 s3, 6
	s_cselect_b64 s[8:9], -1, 0
	v_not_b32_e32 v37, v2
	v_lshrrev_b32_e32 v2, 1, v0
	v_writelane_b32 v46, s8, 32
	s_and_b32 s2, s2, 0x3f8
	v_and_b32_e32 v2, 0x1e0, v2
	v_writelane_b32 v46, s9, 33
	s_cmp_lg_u32 s6, 0
	v_lshlrev_b32_e32 v32, 3, v0
	v_lshlrev_b32_e32 v4, 2, v31
	v_or_b32_e32 v38, 0xc00, v2
	v_writelane_b32 v46, s6, 34
	s_cselect_b64 s[6:7], -1, 0
	v_mov_b32_e32 v2, 0xc00
	v_mov_b32_e32 v5, 0
	;; [unrolled: 1-line block ×4, first 2 shown]
	s_mov_b32 s59, 0
	v_cmp_eq_u32_e64 s[4:5], 0, v31
	v_cmp_gt_u32_e64 s[16:17], 2, v0
	v_add_u32_e32 v33, 0xc00, v32
	v_lshlrev_b32_e32 v19, 2, v0
	v_mov_b32_e32 v20, v16
	v_and_b32_e32 v35, 0x100, v4
	v_not_b32_e32 v36, v3
	v_writelane_b32 v46, s6, 35
	v_lshlrev_b32_e32 v39, 5, v0
	v_lshl_or_b32 v40, v31, 3, v2
	s_lshl_b32 s3, s33, 3
	s_mov_b32 s8, 62
	s_mov_b64 s[72:73], 0
	v_mov_b32_e32 v6, 0
	v_mov_b32_e32 v22, 0
	;; [unrolled: 1-line block ×4, first 2 shown]
	s_mov_b32 s9, 0
	v_mov_b32_e32 v2, 1
	v_writelane_b32 v46, s7, 36
                                        ; implicit-def: $sgpr74_sgpr75
                                        ; implicit-def: $sgpr78_sgpr79
                                        ; implicit-def: $sgpr76_sgpr77
                                        ; implicit-def: $sgpr82_sgpr83
                                        ; implicit-def: $sgpr84_sgpr85
                                        ; implicit-def: $sgpr80_sgpr81
	s_branch .LBB102_23
.LBB102_20:                             ;   in Loop: Header=BB102_23 Depth=1
	s_or_b64 exec, exec, s[24:25]
	s_and_b64 s[12:13], s[12:13], exec
	s_andn2_b64 s[92:93], s[92:93], exec
	s_andn2_b64 s[6:7], s[6:7], exec
	s_orn2_b64 s[86:87], s[22:23], exec
.LBB102_21:                             ;   in Loop: Header=BB102_23 Depth=1
	s_or_b64 exec, exec, s[10:11]
	s_andn2_b64 s[10:11], s[80:81], exec
	s_and_b64 s[12:13], s[12:13], exec
	s_or_b64 s[80:81], s[10:11], s[12:13]
	s_andn2_b64 s[10:11], s[84:85], exec
	s_and_b64 s[12:13], s[92:93], exec
	s_or_b64 s[84:85], s[10:11], s[12:13]
	;; [unrolled: 3-line block ×3, first 2 shown]
	s_orn2_b64 s[6:7], s[86:87], exec
.LBB102_22:                             ;   in Loop: Header=BB102_23 Depth=1
	s_or_b64 exec, exec, s[14:15]
	s_and_b64 s[6:7], exec, s[6:7]
	s_or_b64 s[72:73], s[6:7], s[72:73]
	s_andn2_b64 s[6:7], s[76:77], exec
	s_and_b64 s[10:11], s[80:81], exec
	s_or_b64 s[76:77], s[6:7], s[10:11]
	s_andn2_b64 s[6:7], s[78:79], exec
	s_and_b64 s[10:11], s[84:85], exec
	;; [unrolled: 3-line block ×3, first 2 shown]
	v_mov_b32_e32 v26, v12
	s_or_b64 s[74:75], s[6:7], s[10:11]
	v_mov_b32_e32 v25, v11
	s_andn2_b64 exec, exec, s[72:73]
	s_cbranch_execz .LBB102_281
.LBB102_23:                             ; =>This Loop Header: Depth=1
                                        ;     Child Loop BB102_29 Depth 2
                                        ;     Child Loop BB102_42 Depth 2
	;; [unrolled: 1-line block ×16, first 2 shown]
	ds_read_b128 v[7:10], v16 offset:5120
	s_waitcnt lgkmcnt(0)
	v_readfirstlane_b32 s87, v8
	v_readfirstlane_b32 s86, v7
	s_cmp_lg_u64 s[86:87], 0
	s_cbranch_scc1 .LBB102_50
; %bb.24:                               ;   in Loop: Header=BB102_23 Depth=1
	v_readlane_b32 s6, v46, 30
	v_readlane_b32 s7, v46, 31
	s_and_b64 vcc, exec, s[6:7]
	s_cbranch_vccz .LBB102_37
; %bb.25:                               ;   in Loop: Header=BB102_23 Depth=1
	s_mov_b64 s[6:7], 0x181
	v_cmp_gt_u64_e32 vcc, s[6:7], v[9:10]
	s_mov_b64 s[12:13], 0
	s_mov_b64 s[6:7], 0
	s_cbranch_vccz .LBB102_38
; %bb.26:                               ;   in Loop: Header=BB102_23 Depth=1
	s_mov_b64 s[14:15], exec
	v_readlane_b32 s6, v46, 28
	v_readlane_b32 s7, v46, 29
	s_and_b64 s[6:7], s[14:15], s[6:7]
	s_mov_b64 exec, s[6:7]
	s_cbranch_execz .LBB102_148
; %bb.27:                               ;   in Loop: Header=BB102_23 Depth=1
	global_load_dwordx2 v[3:4], v[17:18], off
	global_load_ushort v11, v16, s[66:67]
	v_mov_b32_e32 v8, v1
	s_mov_b64 s[22:23], 0
	v_mov_b32_e32 v7, v0
	s_branch .LBB102_29
.LBB102_28:                             ;   in Loop: Header=BB102_29 Depth=2
	s_or_b64 exec, exec, s[6:7]
	s_waitcnt vmcnt(0)
	v_mov_b32_e32 v3, v9
	v_mov_b32_e32 v4, v10
	s_andn2_b64 exec, exec, s[22:23]
	s_cbranch_execz .LBB102_148
.LBB102_29:                             ;   Parent Loop BB102_23 Depth=1
                                        ; =>  This Inner Loop Header: Depth=2
	s_waitcnt vmcnt(0)
	v_add_co_u32_sdwa v7, vcc, v7, v11 dst_sel:DWORD dst_unused:UNUSED_PAD src0_sel:DWORD src1_sel:WORD_0
	v_addc_co_u32_e32 v8, vcc, 0, v8, vcc
	v_cmp_gt_u64_e64 s[6:7], s[20:21], v[7:8]
	v_cmp_le_u64_e32 vcc, s[20:21], v[7:8]
	v_mov_b32_e32 v9, 0
	v_mov_b32_e32 v10, 0
	s_and_saveexec_b64 s[10:11], s[6:7]
	s_cbranch_execz .LBB102_31
; %bb.30:                               ;   in Loop: Header=BB102_29 Depth=2
	s_waitcnt lgkmcnt(0)
	v_mul_lo_u32 v12, v8, s48
	v_mul_lo_u32 v13, v7, s49
	v_mad_u64_u32 v[9:10], s[6:7], v7, s48, 0
	v_add3_u32 v10, v10, v13, v12
	v_lshlrev_b64 v[9:10], 3, v[9:10]
	v_add_co_u32_e64 v9, s[6:7], s19, v9
	v_addc_co_u32_e64 v10, s[6:7], v34, v10, s[6:7]
	global_load_dwordx2 v[9:10], v[9:10], off
.LBB102_31:                             ;   in Loop: Header=BB102_29 Depth=2
	s_or_b64 exec, exec, s[10:11]
	s_waitcnt lgkmcnt(0)
	v_xor_b32_e32 v12, 0x80000000, v4
	v_and_b32_e32 v13, v12, v24
	v_and_b32_e32 v12, v3, v23
	v_cmp_eq_u64_e64 s[10:11], v[12:13], v[21:22]
	v_mov_b32_e32 v12, 0
	s_cmp_lg_u64 s[10:11], 0
	s_cselect_b64 s[6:7], -1, 0
	s_and_b64 s[6:7], s[4:5], s[6:7]
	s_and_saveexec_b64 s[24:25], s[6:7]
	s_cbranch_execz .LBB102_35
; %bb.32:                               ;   in Loop: Header=BB102_29 Depth=2
	s_mov_b64 s[34:35], exec
	v_mbcnt_lo_u32_b32 v12, s34, 0
	v_mbcnt_hi_u32_b32 v12, s35, v12
	s_bcnt1_i32_b64 s36, s[10:11]
	v_cmp_eq_u32_e64 s[6:7], 0, v12
                                        ; implicit-def: $vgpr13
	s_and_saveexec_b64 s[26:27], s[6:7]
; %bb.33:                               ;   in Loop: Header=BB102_29 Depth=2
	s_bcnt1_i32_b64 s6, s[34:35]
	s_mul_i32 s6, s36, s6
	v_mov_b32_e32 v13, s6
	ds_add_rtn_u32 v13, v16, v13 offset:5144
; %bb.34:                               ;   in Loop: Header=BB102_29 Depth=2
	s_or_b64 exec, exec, s[26:27]
	s_waitcnt lgkmcnt(0)
	v_readfirstlane_b32 s6, v13
	v_mov_b32_e32 v13, s6
	v_mad_u32_u24 v12, s36, v12, v13
.LBB102_35:                             ;   in Loop: Header=BB102_29 Depth=2
	s_or_b64 exec, exec, s[24:25]
	ds_bpermute_b32 v12, v35, v12
	s_and_b64 s[6:7], exec, vcc
	s_or_b64 s[22:23], s[6:7], s[22:23]
	s_and_saveexec_b64 s[6:7], s[10:11]
	s_cbranch_execz .LBB102_28
; %bb.36:                               ;   in Loop: Header=BB102_29 Depth=2
	v_and_b32_e32 v14, s10, v37
	v_and_b32_e32 v13, s11, v36
	v_bcnt_u32_b32 v14, v14, 0
	v_bcnt_u32_b32 v13, v13, v14
	v_lshlrev_b32_e32 v13, 3, v13
	s_waitcnt lgkmcnt(0)
	v_lshl_add_u32 v12, v12, 3, v13
	ds_write_b64 v12, v[3:4]
	s_branch .LBB102_28
.LBB102_37:                             ;   in Loop: Header=BB102_23 Depth=1
	s_mov_b64 s[12:13], -1
	s_mov_b64 s[6:7], 0
.LBB102_38:                             ;   in Loop: Header=BB102_23 Depth=1
	s_and_b64 vcc, exec, s[12:13]
	s_cbranch_vccz .LBB102_48
.LBB102_39:                             ;   in Loop: Header=BB102_23 Depth=1
	s_mov_b64 s[6:7], exec
	v_readlane_b32 s10, v46, 28
	v_readlane_b32 s11, v46, 29
	s_and_b64 s[10:11], s[6:7], s[10:11]
	s_mov_b64 exec, s[10:11]
	s_cbranch_execz .LBB102_45
; %bb.40:                               ;   in Loop: Header=BB102_23 Depth=1
	global_load_ushort v7, v16, s[66:67]
	global_load_dwordx2 v[3:4], v[17:18], off
	s_waitcnt vmcnt(1)
	v_and_b32_e32 v13, 0xffff, v7
	v_add_u32_e32 v15, v13, v0
	v_cmp_gt_u64_e32 vcc, s[20:21], v[15:16]
	v_mov_b32_e32 v7, v0
	s_and_saveexec_b64 s[10:11], vcc
	s_cbranch_execz .LBB102_44
; %bb.41:                               ;   in Loop: Header=BB102_23 Depth=1
	v_mov_b32_e32 v11, v15
	v_mov_b32_e32 v8, v1
	s_mov_b64 s[12:13], 0
	v_mov_b32_e32 v12, v16
	v_mov_b32_e32 v7, v0
.LBB102_42:                             ;   Parent Loop BB102_23 Depth=1
                                        ; =>  This Inner Loop Header: Depth=2
	v_mov_b32_e32 v15, v12
	v_mov_b32_e32 v14, v11
	v_mul_lo_u32 v10, v15, s48
	v_mul_lo_u32 v11, v14, s49
	v_mad_u64_u32 v[8:9], s[14:15], v14, s48, 0
	v_mov_b32_e32 v12, s28
	v_lshlrev_b32_e32 v7, 3, v7
	v_add3_u32 v9, v9, v11, v10
	v_lshlrev_b64 v[8:9], 3, v[8:9]
	s_waitcnt vmcnt(0)
	ds_write_b64 v7, v[3:4]
	v_add_co_u32_e32 v8, vcc, s19, v8
	v_addc_co_u32_e32 v9, vcc, v12, v9, vcc
	global_load_dwordx2 v[9:10], v[8:9], off
	v_add_co_u32_e32 v11, vcc, v14, v13
	v_addc_co_u32_e32 v12, vcc, 0, v15, vcc
	v_cmp_le_u64_e32 vcc, s[20:21], v[11:12]
	v_mov_b32_e32 v7, v14
	s_or_b64 s[12:13], vcc, s[12:13]
	v_mov_b32_e32 v8, v15
	s_waitcnt vmcnt(0)
	v_mov_b32_e32 v3, v9
	v_mov_b32_e32 v4, v10
	s_andn2_b64 exec, exec, s[12:13]
	s_cbranch_execnz .LBB102_42
; %bb.43:                               ;   in Loop: Header=BB102_23 Depth=1
	s_or_b64 exec, exec, s[12:13]
	v_mov_b32_e32 v3, v9
	v_sub_u32_e32 v7, v11, v13
	v_mov_b32_e32 v4, v10
.LBB102_44:                             ;   in Loop: Header=BB102_23 Depth=1
	s_or_b64 exec, exec, s[10:11]
	v_lshlrev_b32_e32 v7, 3, v7
	s_waitcnt vmcnt(0)
	ds_write_b64 v7, v[3:4]
.LBB102_45:                             ;   in Loop: Header=BB102_23 Depth=1
	s_or_b64 exec, exec, s[6:7]
	s_waitcnt lgkmcnt(0)
	s_barrier
	s_and_saveexec_b64 s[6:7], s[0:1]
; %bb.46:                               ;   in Loop: Header=BB102_23 Depth=1
	v_mov_b32_e32 v3, s20
	v_mov_b32_e32 v4, s21
	ds_write_b64 v16, v[3:4] offset:5120
; %bb.47:                               ;   in Loop: Header=BB102_23 Depth=1
	s_or_b64 exec, exec, s[6:7]
	s_mov_b64 s[6:7], -1
	s_waitcnt lgkmcnt(0)
	s_barrier
.LBB102_48:                             ;   in Loop: Header=BB102_23 Depth=1
	s_mov_b64 s[86:87], 0
	s_and_b64 vcc, exec, s[6:7]
	s_cbranch_vccz .LBB102_50
; %bb.49:                               ;   in Loop: Header=BB102_23 Depth=1
	ds_read_b64 v[3:4], v16 offset:5120
	s_waitcnt lgkmcnt(0)
	v_readfirstlane_b32 s86, v3
.LBB102_50:                             ;   in Loop: Header=BB102_23 Depth=1
	s_cmp_lt_i32 s86, 1
	s_mov_b64 s[6:7], -1
                                        ; implicit-def: $vgpr13_vgpr14
                                        ; implicit-def: $vgpr9_vgpr10
	s_cbranch_scc1 .LBB102_60
; %bb.51:                               ;   in Loop: Header=BB102_23 Depth=1
	s_and_b64 vcc, exec, s[6:7]
	s_cbranch_vccnz .LBB102_74
.LBB102_52:                             ;   in Loop: Header=BB102_23 Depth=1
	s_lshl_b32 s10, s9, 6
	s_and_saveexec_b64 s[6:7], s[4:5]
	s_cbranch_execz .LBB102_54
.LBB102_53:                             ;   in Loop: Header=BB102_23 Depth=1
	v_lshl_add_u32 v3, s10, 3, v38
	ds_write_b128 v3, v[7:10]
	ds_write_b128 v3, v[11:14] offset:16
.LBB102_54:                             ;   in Loop: Header=BB102_23 Depth=1
	s_or_b64 exec, exec, s[6:7]
	s_waitcnt lgkmcnt(0)
	s_barrier
	s_and_saveexec_b64 s[6:7], s[60:61]
	s_cbranch_execz .LBB102_89
; %bb.55:                               ;   in Loop: Header=BB102_23 Depth=1
	v_mov_b32_e32 v3, 0
	v_mov_b32_e32 v4, 0
	s_andn2_b64 vcc, exec, s[62:63]
	s_cbranch_vccnz .LBB102_88
; %bb.56:                               ;   in Loop: Header=BB102_23 Depth=1
	v_readlane_b32 s12, v46, 32
	v_readlane_b32 s13, v46, 33
	s_andn2_b64 vcc, exec, s[12:13]
	s_cbranch_vccnz .LBB102_84
; %bb.57:                               ;   in Loop: Header=BB102_23 Depth=1
	v_mov_b32_e32 v3, 0
	v_lshl_add_u32 v7, s9, 9, v40
	v_mov_b32_e32 v4, 0
	s_mov_b32 s11, 0
.LBB102_58:                             ;   Parent Loop BB102_23 Depth=1
                                        ; =>  This Inner Loop Header: Depth=2
	ds_read2_b64 v[8:11], v7 offset1:4
	ds_read2_b64 v[12:15], v7 offset0:8 offset1:12
	ds_read2_b64 v[27:30], v7 offset0:16 offset1:20
	;; [unrolled: 1-line block ×3, first 2 shown]
	s_add_i32 s11, s11, 8
	s_waitcnt lgkmcnt(3)
	v_add_co_u32_e32 v3, vcc, v8, v3
	v_addc_co_u32_e32 v4, vcc, v9, v4, vcc
	v_add_co_u32_e32 v3, vcc, v10, v3
	v_addc_co_u32_e32 v4, vcc, v11, v4, vcc
	s_waitcnt lgkmcnt(2)
	v_add_co_u32_e32 v3, vcc, v12, v3
	v_addc_co_u32_e32 v4, vcc, v13, v4, vcc
	v_add_co_u32_e32 v3, vcc, v14, v3
	v_addc_co_u32_e32 v4, vcc, v15, v4, vcc
	s_waitcnt lgkmcnt(1)
	v_add_co_u32_e32 v3, vcc, v27, v3
	v_addc_co_u32_e32 v4, vcc, v28, v4, vcc
	v_add_co_u32_e32 v3, vcc, v29, v3
	v_addc_co_u32_e32 v4, vcc, v30, v4, vcc
	s_waitcnt lgkmcnt(0)
	v_add_co_u32_e32 v3, vcc, v42, v3
	v_addc_co_u32_e32 v4, vcc, v43, v4, vcc
	v_add_co_u32_e32 v3, vcc, v44, v3
	v_add_u32_e32 v7, 0x100, v7
	s_cmp_eq_u32 s2, s11
	v_addc_co_u32_e32 v4, vcc, v45, v4, vcc
	s_cbranch_scc0 .LBB102_58
; %bb.59:                               ;   in Loop: Header=BB102_23 Depth=1
	s_mov_b32 s11, s2
	s_branch .LBB102_85
.LBB102_60:                             ;   in Loop: Header=BB102_23 Depth=1
	global_load_ushort v42, v16, s[66:67]
	s_mov_b32 s6, s59
	s_waitcnt vmcnt(0)
	v_readfirstlane_b32 s7, v42
	s_and_b32 s7, 0xffff, s7
	s_lshl_b32 s22, s7, 2
	s_mov_b32 s7, s21
	s_cmp_lg_u64 s[6:7], 0
	s_cbranch_scc0 .LBB102_83
; %bb.61:                               ;   in Loop: Header=BB102_23 Depth=1
	v_cvt_f32_u32_e32 v3, s22
	s_sub_u32 s10, 0, s22
	s_subb_u32 s11, 0, 0
	v_mac_f32_e32 v3, 0, v41
	v_rcp_f32_e32 v3, v3
	v_mul_f32_e32 v3, 0x5f7ffffc, v3
	v_mul_f32_e32 v4, 0x2f800000, v3
	v_trunc_f32_e32 v4, v4
	v_mac_f32_e32 v3, 0xcf800000, v4
	v_cvt_u32_f32_e32 v4, v4
	v_cvt_u32_f32_e32 v3, v3
	v_readfirstlane_b32 s12, v4
	v_readfirstlane_b32 s6, v3
	s_mul_i32 s7, s10, s12
	s_mul_hi_u32 s14, s10, s6
	s_mul_i32 s13, s11, s6
	s_add_i32 s7, s14, s7
	s_mul_i32 s15, s10, s6
	s_add_i32 s7, s7, s13
	s_mul_hi_u32 s14, s6, s15
	s_mul_i32 s23, s6, s7
	s_mul_hi_u32 s13, s6, s7
	s_add_u32 s14, s14, s23
	s_addc_u32 s13, 0, s13
	s_mul_hi_u32 s24, s12, s15
	s_mul_i32 s15, s12, s15
	s_add_u32 s14, s14, s15
	s_mul_hi_u32 s23, s12, s7
	s_addc_u32 s13, s13, s24
	s_addc_u32 s14, s23, 0
	s_mul_i32 s7, s12, s7
	s_add_u32 s7, s13, s7
	s_addc_u32 s13, 0, s14
	s_add_u32 s14, s6, s7
	s_cselect_b64 s[6:7], -1, 0
	s_cmp_lg_u64 s[6:7], 0
	s_addc_u32 s12, s12, s13
	s_mul_i32 s6, s10, s12
	s_mul_hi_u32 s7, s10, s14
	s_add_i32 s6, s7, s6
	s_mul_i32 s11, s11, s14
	s_add_i32 s6, s6, s11
	s_mul_i32 s10, s10, s14
	s_mul_hi_u32 s11, s12, s10
	s_mul_i32 s13, s12, s10
	s_mul_i32 s23, s14, s6
	s_mul_hi_u32 s10, s14, s10
	s_mul_hi_u32 s15, s14, s6
	s_add_u32 s10, s10, s23
	s_addc_u32 s15, 0, s15
	s_add_u32 s10, s10, s13
	s_mul_hi_u32 s7, s12, s6
	s_addc_u32 s10, s15, s11
	s_addc_u32 s7, s7, 0
	s_mul_i32 s6, s12, s6
	s_add_u32 s6, s10, s6
	s_addc_u32 s10, 0, s7
	s_add_u32 s11, s14, s6
	s_cselect_b64 s[6:7], -1, 0
	s_cmp_lg_u64 s[6:7], 0
	s_addc_u32 s6, s12, s10
	s_mul_i32 s10, s20, s6
	s_mul_hi_u32 s12, s20, s11
	s_mul_hi_u32 s7, s20, s6
	s_add_u32 s10, s12, s10
	s_addc_u32 s7, 0, s7
	s_mul_hi_u32 s13, s21, s11
	s_mul_i32 s11, s21, s11
	s_add_u32 s10, s10, s11
	s_mul_hi_u32 s12, s21, s6
	s_addc_u32 s7, s7, s13
	s_addc_u32 s10, s12, 0
	s_mul_i32 s6, s21, s6
	s_add_u32 s6, s7, s6
	s_addc_u32 s7, 0, s10
	s_mul_i32 s7, s22, s7
	s_mul_hi_u32 s10, s22, s6
	s_add_i32 s10, s10, s7
	s_mul_i32 s6, s22, s6
	s_sub_u32 s11, s20, s6
	s_cselect_b64 s[6:7], -1, 0
	s_cmp_lg_u64 s[6:7], 0
	s_subb_u32 s10, s21, s10
	s_sub_u32 s12, s11, s22
	s_cselect_b64 s[6:7], -1, 0
	s_cmp_lg_u64 s[6:7], 0
	s_subb_u32 s13, s10, 0
	;; [unrolled: 4-line block ×3, first 2 shown]
	s_cmp_ge_u32 s12, s22
	s_cselect_b32 s7, -1, 0
	s_cmp_eq_u32 s13, 0
	s_cselect_b32 s7, s7, -1
	s_cmp_lg_u32 s7, 0
	s_cselect_b32 s6, s6, s13
	s_cselect_b32 s12, s14, s12
	s_cmp_ge_u32 s11, s22
	s_cselect_b32 s7, -1, 0
	s_cmp_eq_u32 s10, 0
	s_cselect_b32 s7, s7, -1
	s_cmp_lg_u32 s7, 0
	s_cselect_b32 s7, s6, s10
	s_cselect_b32 s6, s12, s11
	s_cbranch_execnz .LBB102_63
.LBB102_62:                             ;   in Loop: Header=BB102_23 Depth=1
	v_cvt_f32_u32_e32 v3, s22
	s_sub_i32 s6, 0, s22
	v_rcp_iflag_f32_e32 v3, v3
	v_mul_f32_e32 v3, 0x4f7ffffe, v3
	v_cvt_u32_f32_e32 v3, v3
	v_readfirstlane_b32 s7, v3
	s_mul_i32 s6, s6, s7
	s_mul_hi_u32 s6, s7, s6
	s_add_i32 s7, s7, s6
	s_mul_hi_u32 s6, s20, s7
	s_mul_i32 s6, s6, s22
	s_sub_i32 s6, s20, s6
	s_sub_i32 s7, s6, s22
	s_cmp_ge_u32 s6, s22
	s_cselect_b32 s6, s7, s6
	s_sub_i32 s7, s6, s22
	s_cmp_ge_u32 s6, s22
	s_cselect_b32 s58, s7, s6
	s_mov_b64 s[6:7], s[58:59]
.LBB102_63:                             ;   in Loop: Header=BB102_23 Depth=1
	s_sub_u32 s36, s20, s6
	s_subb_u32 s37, s21, s7
	v_cmp_gt_u64_e32 vcc, s[36:37], v[19:20]
	v_mov_b32_e32 v7, 0
	v_mov_b32_e32 v9, 0
	;; [unrolled: 1-line block ×8, first 2 shown]
	s_and_saveexec_b64 s[38:39], vcc
	s_cbranch_execz .LBB102_67
; %bb.64:                               ;   in Loop: Header=BB102_23 Depth=1
	v_mov_b32_e32 v3, v19
	s_mov_b64 s[50:51], 0
	s_mov_b64 s[52:53], 0
	;; [unrolled: 1-line block ×5, first 2 shown]
	v_mov_b32_e32 v4, v20
.LBB102_65:                             ;   Parent Loop BB102_23 Depth=1
                                        ; =>  This Inner Loop Header: Depth=2
	v_mul_lo_u32 v9, v4, s48
	v_mul_lo_u32 v10, v3, s49
	v_mad_u64_u32 v[7:8], s[6:7], v3, s48, 0
	s_lshl_b64 s[6:7], s[48:49], 3
	v_add3_u32 v8, v8, v10, v9
	v_lshlrev_b64 v[7:8], 3, v[7:8]
	v_mov_b32_e32 v9, s28
	v_add_co_u32_e32 v7, vcc, s19, v7
	v_addc_co_u32_e32 v8, vcc, v9, v8, vcc
	global_load_dwordx2 v[13:14], v[7:8], off
	v_add_co_u32_e32 v7, vcc, s6, v7
	v_mov_b32_e32 v9, s7
	v_addc_co_u32_e32 v8, vcc, v8, v9, vcc
	global_load_dwordx2 v[27:28], v[7:8], off
	v_add_co_u32_e32 v7, vcc, s6, v7
	v_addc_co_u32_e32 v8, vcc, v8, v9, vcc
	global_load_dwordx2 v[11:12], v[7:8], off
	v_add_co_u32_e32 v7, vcc, s6, v7
	v_addc_co_u32_e32 v8, vcc, v8, v9, vcc
	global_load_dwordx2 v[9:10], v[7:8], off
	s_waitcnt vmcnt(3)
	v_xor_b32_e32 v14, 0x80000000, v14
	v_and_b32_e32 v8, v14, v24
	v_and_b32_e32 v7, v13, v23
	v_cmp_eq_u64_e32 vcc, v[7:8], v[21:22]
	s_waitcnt vmcnt(2)
	v_xor_b32_e32 v28, 0x80000000, v28
	v_and_b32_e32 v8, v28, v24
	v_and_b32_e32 v7, v27, v23
	v_cmp_eq_u64_e64 s[10:11], v[7:8], v[21:22]
	s_waitcnt vmcnt(1)
	v_xor_b32_e32 v12, 0x80000000, v12
	v_and_b32_e32 v8, v12, v24
	v_and_b32_e32 v7, v11, v23
	v_cmp_eq_u64_e64 s[12:13], v[7:8], v[21:22]
	v_lshrrev_b64 v[11:12], s8, v[11:12]
	s_waitcnt vmcnt(0)
	v_xor_b32_e32 v10, 0x80000000, v10
	v_and_b32_e32 v8, v10, v24
	v_and_b32_e32 v7, v9, v23
	v_cmp_eq_u64_e64 s[14:15], v[7:8], v[21:22]
	v_lshrrev_b64 v[7:8], s8, v[13:14]
	v_and_b32_e32 v11, 3, v11
	v_and_b32_e32 v15, 3, v7
	v_lshrrev_b64 v[7:8], s8, v[27:28]
	v_cmp_eq_u64_e64 s[6:7], 0, v[15:16]
	v_and_b32_e32 v7, 3, v7
	v_mov_b32_e32 v8, v16
	s_and_b64 s[24:25], vcc, s[6:7]
	v_cmp_eq_u64_e64 s[6:7], 0, v[7:8]
	v_mov_b32_e32 v12, v16
	v_lshrrev_b64 v[9:10], s8, v[9:10]
	s_and_b64 s[26:27], s[10:11], s[6:7]
	v_cmp_eq_u64_e64 s[6:7], 0, v[11:12]
	v_and_b32_e32 v9, 3, v9
	v_mov_b32_e32 v10, v16
	s_and_b64 s[34:35], s[12:13], s[6:7]
	v_cmp_eq_u64_e64 s[6:7], 0, v[9:10]
	v_cndmask_b32_e64 v13, 0, 1, s[24:25]
	s_and_b64 s[40:41], s[14:15], s[6:7]
	v_cmp_ne_u32_e64 s[6:7], 0, v13
	v_cndmask_b32_e64 v13, 0, 1, s[26:27]
	s_bcnt1_i32_b64 s23, s[6:7]
	v_cmp_ne_u32_e64 s[6:7], 0, v13
	v_cndmask_b32_e64 v13, 0, 1, s[34:35]
	s_bcnt1_i32_b64 s24, s[6:7]
	;; [unrolled: 3-line block ×3, first 2 shown]
	v_cmp_ne_u32_e64 s[6:7], 0, v13
	s_bcnt1_i32_b64 s6, s[6:7]
	s_add_u32 s7, s23, s92
	s_addc_u32 s23, 0, s93
	s_add_u32 s7, s7, s24
	s_addc_u32 s23, s23, 0
	;; [unrolled: 2-line block ×3, first 2 shown]
	s_add_u32 s92, s7, s6
	v_cmp_eq_u64_e64 s[6:7], 1, v[15:16]
	s_addc_u32 s93, s23, 0
	s_and_b64 s[24:25], vcc, s[6:7]
	v_cmp_eq_u64_e64 s[6:7], 1, v[7:8]
	v_cndmask_b32_e64 v13, 0, 1, s[24:25]
	s_and_b64 s[26:27], s[10:11], s[6:7]
	v_cmp_eq_u64_e64 s[6:7], 1, v[11:12]
	s_and_b64 s[34:35], s[12:13], s[6:7]
	v_cmp_eq_u64_e64 s[6:7], 1, v[9:10]
	s_and_b64 s[40:41], s[14:15], s[6:7]
	v_cmp_ne_u32_e64 s[6:7], 0, v13
	v_cndmask_b32_e64 v13, 0, 1, s[26:27]
	s_bcnt1_i32_b64 s23, s[6:7]
	v_cmp_ne_u32_e64 s[6:7], 0, v13
	v_cndmask_b32_e64 v13, 0, 1, s[34:35]
	s_bcnt1_i32_b64 s24, s[6:7]
	;; [unrolled: 3-line block ×3, first 2 shown]
	v_cmp_ne_u32_e64 s[6:7], 0, v13
	s_bcnt1_i32_b64 s6, s[6:7]
	s_add_u32 s7, s23, s90
	s_addc_u32 s23, 0, s91
	s_add_u32 s7, s7, s24
	s_addc_u32 s23, s23, 0
	;; [unrolled: 2-line block ×3, first 2 shown]
	s_add_u32 s90, s7, s6
	v_cmp_eq_u64_e64 s[6:7], 2, v[15:16]
	s_addc_u32 s91, s23, 0
	s_and_b64 s[24:25], vcc, s[6:7]
	v_cmp_eq_u64_e64 s[6:7], 2, v[7:8]
	v_cndmask_b32_e64 v13, 0, 1, s[24:25]
	s_and_b64 s[26:27], s[10:11], s[6:7]
	v_cmp_eq_u64_e64 s[6:7], 2, v[11:12]
	s_and_b64 s[34:35], s[12:13], s[6:7]
	v_cmp_eq_u64_e64 s[6:7], 2, v[9:10]
	s_and_b64 s[40:41], s[14:15], s[6:7]
	v_cmp_ne_u32_e64 s[6:7], 0, v13
	v_cndmask_b32_e64 v13, 0, 1, s[26:27]
	s_bcnt1_i32_b64 s23, s[6:7]
	v_cmp_ne_u32_e64 s[6:7], 0, v13
	v_cndmask_b32_e64 v13, 0, 1, s[34:35]
	s_bcnt1_i32_b64 s24, s[6:7]
	;; [unrolled: 3-line block ×3, first 2 shown]
	v_cmp_ne_u32_e64 s[6:7], 0, v13
	s_bcnt1_i32_b64 s6, s[6:7]
	s_add_u32 s7, s23, s88
	s_addc_u32 s23, 0, s89
	s_add_u32 s7, s7, s24
	s_addc_u32 s23, s23, 0
	s_add_u32 s7, s7, s25
	s_addc_u32 s23, s23, 0
	s_add_u32 s88, s7, s6
	v_cmp_eq_u64_e64 s[6:7], 3, v[15:16]
	s_addc_u32 s89, s23, 0
	s_and_b64 s[6:7], vcc, s[6:7]
	v_cmp_eq_u64_e32 vcc, 3, v[7:8]
	v_cndmask_b32_e64 v7, 0, 1, s[6:7]
	s_and_b64 s[10:11], s[10:11], vcc
	v_cmp_eq_u64_e32 vcc, 3, v[11:12]
	v_mov_b32_e32 v11, s88
	s_and_b64 s[12:13], s[12:13], vcc
	v_cmp_eq_u64_e32 vcc, 3, v[9:10]
	v_mov_b32_e32 v9, s90
	s_and_b64 s[14:15], s[14:15], vcc
	v_cmp_ne_u32_e32 vcc, 0, v7
	v_cndmask_b32_e64 v7, 0, 1, s[10:11]
	s_bcnt1_i32_b64 s6, vcc
	v_cmp_ne_u32_e32 vcc, 0, v7
	v_cndmask_b32_e64 v7, 0, 1, s[12:13]
	s_bcnt1_i32_b64 s7, vcc
	v_cmp_ne_u32_e32 vcc, 0, v7
	v_cndmask_b32_e64 v7, 0, 1, s[14:15]
	s_bcnt1_i32_b64 s10, vcc
	v_cmp_ne_u32_e32 vcc, 0, v7
	s_bcnt1_i32_b64 s11, vcc
	s_add_u32 s6, s6, s52
	s_addc_u32 s12, 0, s53
	s_add_u32 s6, s6, s7
	s_addc_u32 s7, s12, 0
	s_add_u32 s6, s6, s10
	v_add_co_u32_e32 v3, vcc, s22, v3
	s_addc_u32 s7, s7, 0
	v_addc_co_u32_e32 v4, vcc, 0, v4, vcc
	s_add_u32 s52, s6, s11
	v_cmp_le_u64_e32 vcc, s[36:37], v[3:4]
	s_addc_u32 s53, s7, 0
	v_mov_b32_e32 v7, s92
	v_mov_b32_e32 v13, s52
	s_or_b64 s[50:51], vcc, s[50:51]
	v_mov_b32_e32 v8, s93
	v_mov_b32_e32 v10, s91
	;; [unrolled: 1-line block ×4, first 2 shown]
	s_andn2_b64 exec, exec, s[50:51]
	s_cbranch_execnz .LBB102_65
; %bb.66:                               ;   in Loop: Header=BB102_23 Depth=1
	s_or_b64 exec, exec, s[50:51]
.LBB102_67:                             ;   in Loop: Header=BB102_23 Depth=1
	s_or_b64 exec, exec, s[38:39]
	v_mov_b32_e32 v4, s37
	v_add_co_u32_e32 v3, vcc, s36, v0
	v_addc_co_u32_e32 v4, vcc, 0, v4, vcc
	v_cmp_gt_u64_e32 vcc, s[20:21], v[3:4]
	s_and_saveexec_b64 s[12:13], vcc
	s_cbranch_execz .LBB102_73
; %bb.68:                               ;   in Loop: Header=BB102_23 Depth=1
	v_mul_lo_u32 v15, v4, s48
	v_mul_lo_u32 v29, v3, s49
	v_mad_u64_u32 v[27:28], s[6:7], v3, s48, 0
	s_mov_b64 s[14:15], 0
	v_add3_u32 v28, v28, v29, v15
	v_lshlrev_b64 v[27:28], 3, v[27:28]
	v_mov_b32_e32 v15, s28
	v_add_co_u32_e32 v27, vcc, s19, v27
	v_addc_co_u32_e32 v28, vcc, v15, v28, vcc
	global_load_dwordx2 v[29:30], v[27:28], off
	s_branch .LBB102_70
.LBB102_69:                             ;   in Loop: Header=BB102_70 Depth=2
	s_or_b64 exec, exec, s[10:11]
	s_waitcnt vmcnt(0)
	v_xor_b32_e32 v30, 0x80000000, v30
	v_and_b32_e32 v44, v30, v24
	v_and_b32_e32 v43, v29, v23
	v_lshrrev_b64 v[29:30], s8, v[29:30]
	s_and_b64 s[10:11], exec, vcc
	v_and_b32_e32 v15, 3, v29
	v_cmp_eq_u64_e32 vcc, v[43:44], v[21:22]
	v_cmp_eq_u64_e64 s[6:7], 0, v[15:16]
	s_or_b64 s[14:15], s[10:11], s[14:15]
	s_and_b64 s[6:7], vcc, s[6:7]
	v_cndmask_b32_e64 v29, 0, 1, s[6:7]
	v_cmp_ne_u32_e64 s[6:7], 0, v29
	s_bcnt1_i32_b64 s10, s[6:7]
	v_cmp_eq_u64_e64 s[6:7], 1, v[15:16]
	v_add_co_u32_e64 v7, s[10:11], s10, v7
	s_and_b64 s[6:7], vcc, s[6:7]
	v_cndmask_b32_e64 v29, 0, 1, s[6:7]
	v_addc_co_u32_e64 v8, s[10:11], 0, v8, s[10:11]
	v_cmp_ne_u32_e64 s[6:7], 0, v29
	s_bcnt1_i32_b64 s10, s[6:7]
	v_cmp_eq_u64_e64 s[6:7], 2, v[15:16]
	v_add_co_u32_e64 v9, s[10:11], s10, v9
	s_and_b64 s[6:7], vcc, s[6:7]
	v_cndmask_b32_e64 v29, 0, 1, s[6:7]
	v_addc_co_u32_e64 v10, s[10:11], 0, v10, s[10:11]
	v_cmp_ne_u32_e64 s[6:7], 0, v29
	s_bcnt1_i32_b64 s10, s[6:7]
	v_cmp_eq_u64_e64 s[6:7], 3, v[15:16]
	v_add_co_u32_e64 v11, s[10:11], s10, v11
	s_and_b64 s[6:7], vcc, s[6:7]
	v_cndmask_b32_e64 v15, 0, 1, s[6:7]
	v_cmp_ne_u32_e32 vcc, 0, v15
	s_bcnt1_i32_b64 s6, vcc
	v_add_co_u32_e32 v13, vcc, s6, v13
	v_mov_b32_e32 v30, v28
	v_addc_co_u32_e64 v12, s[10:11], 0, v12, s[10:11]
	v_addc_co_u32_e32 v14, vcc, 0, v14, vcc
	v_mov_b32_e32 v29, v27
	s_andn2_b64 exec, exec, s[14:15]
	s_cbranch_execz .LBB102_72
.LBB102_70:                             ;   Parent Loop BB102_23 Depth=1
                                        ; =>  This Inner Loop Header: Depth=2
	v_add_co_u32_sdwa v3, vcc, v3, v42 dst_sel:DWORD dst_unused:UNUSED_PAD src0_sel:DWORD src1_sel:WORD_0
	v_addc_co_u32_e32 v4, vcc, 0, v4, vcc
	v_cmp_gt_u64_e64 s[6:7], s[20:21], v[3:4]
	v_cmp_le_u64_e32 vcc, s[20:21], v[3:4]
	v_mov_b32_e32 v27, 0
	v_mov_b32_e32 v28, 0
	s_and_saveexec_b64 s[10:11], s[6:7]
	s_cbranch_execz .LBB102_69
; %bb.71:                               ;   in Loop: Header=BB102_70 Depth=2
	v_mul_lo_u32 v15, v4, s48
	v_mul_lo_u32 v43, v3, s49
	v_mad_u64_u32 v[27:28], s[6:7], v3, s48, 0
	v_add3_u32 v28, v28, v43, v15
	v_lshlrev_b64 v[27:28], 3, v[27:28]
	v_mov_b32_e32 v15, s28
	v_add_co_u32_e64 v27, s[6:7], s19, v27
	v_addc_co_u32_e64 v28, s[6:7], v15, v28, s[6:7]
	global_load_dwordx2 v[27:28], v[27:28], off
	s_branch .LBB102_69
.LBB102_72:                             ;   in Loop: Header=BB102_23 Depth=1
	s_or_b64 exec, exec, s[14:15]
.LBB102_73:                             ;   in Loop: Header=BB102_23 Depth=1
	s_or_b64 exec, exec, s[12:13]
	s_branch .LBB102_52
.LBB102_74:                             ;   in Loop: Header=BB102_23 Depth=1
	global_load_ushort v27, v16, s[66:67]
	v_mov_b32_e32 v7, 0
	v_mov_b32_e32 v9, 0
	;; [unrolled: 1-line block ×8, first 2 shown]
	s_waitcnt vmcnt(0)
	v_readfirstlane_b32 s6, v27
	s_and_b32 s22, 0xffff, s6
	s_lshl_b32 s23, s22, 2
	v_cvt_f32_u32_e32 v3, s23
	s_sub_i32 s6, 0, s23
	v_rcp_iflag_f32_e32 v3, v3
	v_mul_f32_e32 v3, 0x4f7ffffe, v3
	v_cvt_u32_f32_e32 v3, v3
	v_readfirstlane_b32 s7, v3
	s_mul_i32 s6, s6, s7
	s_mul_hi_u32 s6, s7, s6
	s_add_i32 s7, s7, s6
	s_mul_hi_u32 s6, s86, s7
	s_mul_i32 s7, s6, s23
	s_sub_i32 s7, s86, s7
	s_add_i32 s10, s6, 1
	s_sub_i32 s11, s7, s23
	s_cmp_ge_u32 s7, s23
	s_cselect_b32 s6, s10, s6
	s_cselect_b32 s7, s11, s7
	s_add_i32 s10, s6, 1
	s_cmp_ge_u32 s7, s23
	s_cselect_b32 s6, s10, s6
	s_mul_hi_u32 s37, s22, s6
	s_mul_i32 s36, s22, s6
	s_lshl_b64 s[38:39], s[36:37], 2
	v_cmp_gt_u64_e32 vcc, s[38:39], v[19:20]
	s_and_saveexec_b64 s[50:51], vcc
	s_cbranch_execz .LBB102_78
; %bb.75:                               ;   in Loop: Header=BB102_23 Depth=1
	v_mov_b32_e32 v3, v19
	s_lshl_b32 s24, s22, 5
	s_mov_b64 s[52:53], 0
	v_mov_b32_e32 v28, v39
	s_mov_b64 s[88:89], 0
	s_mov_b64 s[90:91], 0
	;; [unrolled: 1-line block ×4, first 2 shown]
	v_mov_b32_e32 v4, v20
.LBB102_76:                             ;   Parent Loop BB102_23 Depth=1
                                        ; =>  This Inner Loop Header: Depth=2
	ds_read_b128 v[11:14], v28
	ds_read_b128 v[7:10], v28 offset:16
	v_add_u32_e32 v28, s24, v28
	s_waitcnt lgkmcnt(1)
	v_xor_b32_e32 v12, 0x80000000, v12
	v_and_b32_e32 v30, v12, v24
	v_and_b32_e32 v29, v11, v23
	v_lshrrev_b64 v[11:12], s8, v[11:12]
	v_xor_b32_e32 v14, 0x80000000, v14
	v_and_b32_e32 v15, 3, v11
	v_lshrrev_b64 v[11:12], s8, v[13:14]
	s_waitcnt lgkmcnt(0)
	v_xor_b32_e32 v8, 0x80000000, v8
	v_cmp_eq_u64_e32 vcc, v[29:30], v[21:22]
	v_and_b32_e32 v30, v14, v24
	v_and_b32_e32 v29, v13, v23
	v_cmp_eq_u64_e64 s[6:7], 0, v[15:16]
	v_cmp_eq_u64_e64 s[10:11], v[29:30], v[21:22]
	v_and_b32_e32 v30, v8, v24
	v_and_b32_e32 v29, v7, v23
	;; [unrolled: 1-line block ×3, first 2 shown]
	v_mov_b32_e32 v12, v16
	v_lshrrev_b64 v[7:8], s8, v[7:8]
	v_xor_b32_e32 v10, 0x80000000, v10
	s_and_b64 s[26:27], vcc, s[6:7]
	v_cmp_eq_u64_e64 s[6:7], 0, v[11:12]
	v_cmp_eq_u64_e64 s[12:13], v[29:30], v[21:22]
	v_and_b32_e32 v30, v10, v24
	v_and_b32_e32 v29, v9, v23
	v_and_b32_e32 v7, 3, v7
	v_mov_b32_e32 v8, v16
	v_lshrrev_b64 v[9:10], s8, v[9:10]
	s_and_b64 s[34:35], s[10:11], s[6:7]
	v_cmp_eq_u64_e64 s[6:7], 0, v[7:8]
	v_and_b32_e32 v9, 3, v9
	v_mov_b32_e32 v10, v16
	v_cmp_eq_u64_e64 s[14:15], v[29:30], v[21:22]
	s_and_b64 s[40:41], s[12:13], s[6:7]
	v_cmp_eq_u64_e64 s[6:7], 0, v[9:10]
	v_cndmask_b32_e64 v13, 0, 1, s[26:27]
	s_and_b64 s[42:43], s[14:15], s[6:7]
	v_cmp_ne_u32_e64 s[6:7], 0, v13
	v_cndmask_b32_e64 v13, 0, 1, s[34:35]
	s_bcnt1_i32_b64 s25, s[6:7]
	v_cmp_ne_u32_e64 s[6:7], 0, v13
	v_cndmask_b32_e64 v13, 0, 1, s[40:41]
	s_bcnt1_i32_b64 s26, s[6:7]
	;; [unrolled: 3-line block ×3, first 2 shown]
	v_cmp_ne_u32_e64 s[6:7], 0, v13
	s_bcnt1_i32_b64 s6, s[6:7]
	s_add_u32 s7, s25, s94
	s_addc_u32 s25, 0, s95
	s_add_u32 s7, s7, s26
	s_addc_u32 s25, s25, 0
	;; [unrolled: 2-line block ×3, first 2 shown]
	s_add_u32 s94, s7, s6
	v_cmp_eq_u64_e64 s[6:7], 1, v[15:16]
	s_addc_u32 s95, s25, 0
	s_and_b64 s[26:27], vcc, s[6:7]
	v_cmp_eq_u64_e64 s[6:7], 1, v[11:12]
	v_cndmask_b32_e64 v13, 0, 1, s[26:27]
	s_and_b64 s[34:35], s[10:11], s[6:7]
	v_cmp_eq_u64_e64 s[6:7], 1, v[7:8]
	s_and_b64 s[40:41], s[12:13], s[6:7]
	v_cmp_eq_u64_e64 s[6:7], 1, v[9:10]
	s_and_b64 s[42:43], s[14:15], s[6:7]
	v_cmp_ne_u32_e64 s[6:7], 0, v13
	v_cndmask_b32_e64 v13, 0, 1, s[34:35]
	s_bcnt1_i32_b64 s25, s[6:7]
	v_cmp_ne_u32_e64 s[6:7], 0, v13
	v_cndmask_b32_e64 v13, 0, 1, s[40:41]
	s_bcnt1_i32_b64 s26, s[6:7]
	;; [unrolled: 3-line block ×3, first 2 shown]
	v_cmp_ne_u32_e64 s[6:7], 0, v13
	s_bcnt1_i32_b64 s6, s[6:7]
	s_add_u32 s7, s25, s92
	s_addc_u32 s25, 0, s93
	s_add_u32 s7, s7, s26
	s_addc_u32 s25, s25, 0
	;; [unrolled: 2-line block ×3, first 2 shown]
	s_add_u32 s92, s7, s6
	v_cmp_eq_u64_e64 s[6:7], 2, v[15:16]
	s_addc_u32 s93, s25, 0
	s_and_b64 s[26:27], vcc, s[6:7]
	v_cmp_eq_u64_e64 s[6:7], 2, v[11:12]
	v_cndmask_b32_e64 v13, 0, 1, s[26:27]
	s_and_b64 s[34:35], s[10:11], s[6:7]
	v_cmp_eq_u64_e64 s[6:7], 2, v[7:8]
	s_and_b64 s[40:41], s[12:13], s[6:7]
	v_cmp_eq_u64_e64 s[6:7], 2, v[9:10]
	s_and_b64 s[42:43], s[14:15], s[6:7]
	v_cmp_ne_u32_e64 s[6:7], 0, v13
	v_cndmask_b32_e64 v13, 0, 1, s[34:35]
	s_bcnt1_i32_b64 s25, s[6:7]
	v_cmp_ne_u32_e64 s[6:7], 0, v13
	v_cndmask_b32_e64 v13, 0, 1, s[40:41]
	s_bcnt1_i32_b64 s26, s[6:7]
	;; [unrolled: 3-line block ×3, first 2 shown]
	v_cmp_ne_u32_e64 s[6:7], 0, v13
	s_bcnt1_i32_b64 s6, s[6:7]
	s_add_u32 s7, s25, s90
	s_addc_u32 s25, 0, s91
	s_add_u32 s7, s7, s26
	s_addc_u32 s25, s25, 0
	;; [unrolled: 2-line block ×3, first 2 shown]
	s_add_u32 s90, s7, s6
	v_cmp_eq_u64_e64 s[6:7], 3, v[15:16]
	s_addc_u32 s91, s25, 0
	s_and_b64 s[6:7], vcc, s[6:7]
	v_cmp_eq_u64_e32 vcc, 3, v[11:12]
	v_mov_b32_e32 v11, s90
	s_and_b64 s[10:11], s[10:11], vcc
	v_cmp_eq_u64_e32 vcc, 3, v[7:8]
	v_cndmask_b32_e64 v7, 0, 1, s[6:7]
	s_and_b64 s[12:13], s[12:13], vcc
	v_cmp_eq_u64_e32 vcc, 3, v[9:10]
	v_mov_b32_e32 v9, s92
	s_and_b64 s[14:15], s[14:15], vcc
	v_cmp_ne_u32_e32 vcc, 0, v7
	v_cndmask_b32_e64 v7, 0, 1, s[10:11]
	s_bcnt1_i32_b64 s6, vcc
	v_cmp_ne_u32_e32 vcc, 0, v7
	v_cndmask_b32_e64 v7, 0, 1, s[12:13]
	s_bcnt1_i32_b64 s7, vcc
	;; [unrolled: 3-line block ×3, first 2 shown]
	v_cmp_ne_u32_e32 vcc, 0, v7
	s_bcnt1_i32_b64 s11, vcc
	s_add_u32 s6, s6, s88
	s_addc_u32 s12, 0, s89
	s_add_u32 s6, s6, s7
	s_addc_u32 s7, s12, 0
	s_add_u32 s6, s6, s10
	v_add_co_u32_e32 v3, vcc, s23, v3
	s_addc_u32 s7, s7, 0
	v_addc_co_u32_e32 v4, vcc, 0, v4, vcc
	s_add_u32 s88, s6, s11
	v_cmp_le_u64_e32 vcc, s[38:39], v[3:4]
	s_addc_u32 s89, s7, 0
	v_mov_b32_e32 v7, s94
	v_mov_b32_e32 v13, s88
	s_or_b64 s[52:53], vcc, s[52:53]
	v_mov_b32_e32 v8, s95
	v_mov_b32_e32 v10, s93
	;; [unrolled: 1-line block ×4, first 2 shown]
	s_andn2_b64 exec, exec, s[52:53]
	s_cbranch_execnz .LBB102_76
; %bb.77:                               ;   in Loop: Header=BB102_23 Depth=1
	s_or_b64 exec, exec, s[52:53]
.LBB102_78:                             ;   in Loop: Header=BB102_23 Depth=1
	s_or_b64 exec, exec, s[50:51]
	v_mov_b32_e32 v4, s39
	v_add_co_u32_e32 v3, vcc, s38, v0
	s_and_b32 s58, s86, 0x7fffffff
	v_addc_co_u32_e32 v4, vcc, 0, v4, vcc
	v_cmp_gt_u64_e32 vcc, s[58:59], v[3:4]
	s_and_saveexec_b64 s[10:11], vcc
	s_cbranch_execz .LBB102_82
; %bb.79:                               ;   in Loop: Header=BB102_23 Depth=1
	v_lshl_add_u32 v28, s36, 5, v32
	s_lshl_b32 s14, s22, 3
	s_mov_b64 s[12:13], 0
.LBB102_80:                             ;   Parent Loop BB102_23 Depth=1
                                        ; =>  This Inner Loop Header: Depth=2
	ds_read_b64 v[29:30], v28
	v_add_u32_e32 v28, s14, v28
	s_waitcnt lgkmcnt(0)
	v_xor_b32_e32 v30, 0x80000000, v30
	v_and_b32_e32 v43, v30, v24
	v_and_b32_e32 v42, v29, v23
	v_lshrrev_b64 v[29:30], s8, v[29:30]
	v_cmp_eq_u64_e32 vcc, v[42:43], v[21:22]
	v_and_b32_e32 v15, 3, v29
	v_cmp_eq_u64_e64 s[6:7], 0, v[15:16]
	s_and_b64 s[6:7], vcc, s[6:7]
	v_cndmask_b32_e64 v29, 0, 1, s[6:7]
	v_cmp_ne_u32_e64 s[6:7], 0, v29
	s_bcnt1_i32_b64 s6, s[6:7]
	v_add_co_u32_e64 v7, s[6:7], s6, v7
	v_addc_co_u32_e64 v8, s[6:7], 0, v8, s[6:7]
	v_cmp_eq_u64_e64 s[6:7], 1, v[15:16]
	s_and_b64 s[6:7], vcc, s[6:7]
	v_cndmask_b32_e64 v29, 0, 1, s[6:7]
	v_cmp_ne_u32_e64 s[6:7], 0, v29
	s_bcnt1_i32_b64 s6, s[6:7]
	v_add_co_u32_e64 v9, s[6:7], s6, v9
	v_addc_co_u32_e64 v10, s[6:7], 0, v10, s[6:7]
	;; [unrolled: 7-line block ×3, first 2 shown]
	v_cmp_eq_u64_e64 s[6:7], 3, v[15:16]
	s_and_b64 s[6:7], vcc, s[6:7]
	v_cndmask_b32_e64 v15, 0, 1, s[6:7]
	v_cmp_ne_u32_e32 vcc, 0, v15
	s_bcnt1_i32_b64 s6, vcc
	v_add_co_u32_e32 v13, vcc, s6, v13
	v_addc_co_u32_e32 v14, vcc, 0, v14, vcc
	v_add_co_u32_sdwa v3, vcc, v3, v27 dst_sel:DWORD dst_unused:UNUSED_PAD src0_sel:DWORD src1_sel:WORD_0
	v_addc_co_u32_e32 v4, vcc, 0, v4, vcc
	v_cmp_le_u64_e32 vcc, s[58:59], v[3:4]
	s_or_b64 s[12:13], vcc, s[12:13]
	s_andn2_b64 exec, exec, s[12:13]
	s_cbranch_execnz .LBB102_80
; %bb.81:                               ;   in Loop: Header=BB102_23 Depth=1
	s_or_b64 exec, exec, s[12:13]
.LBB102_82:                             ;   in Loop: Header=BB102_23 Depth=1
	s_or_b64 exec, exec, s[10:11]
	s_lshl_b32 s10, s9, 6
	s_and_saveexec_b64 s[6:7], s[4:5]
	s_cbranch_execnz .LBB102_53
	s_branch .LBB102_54
.LBB102_83:                             ;   in Loop: Header=BB102_23 Depth=1
                                        ; implicit-def: $sgpr6_sgpr7
	s_branch .LBB102_62
.LBB102_84:                             ;   in Loop: Header=BB102_23 Depth=1
	v_mov_b32_e32 v3, 0
	v_mov_b32_e32 v4, 0
	s_mov_b32 s11, 0
.LBB102_85:                             ;   in Loop: Header=BB102_23 Depth=1
	v_readlane_b32 s12, v46, 35
	v_readlane_b32 s13, v46, 36
	s_andn2_b64 vcc, exec, s[12:13]
	s_cbranch_vccnz .LBB102_88
; %bb.86:                               ;   in Loop: Header=BB102_23 Depth=1
	s_lshl_b32 s12, s9, 9
	s_lshl_b32 s11, s11, 5
	s_add_i32 s12, s12, s11
	v_add_u32_e32 v7, s12, v40
	v_readlane_b32 s11, v46, 34
.LBB102_87:                             ;   Parent Loop BB102_23 Depth=1
                                        ; =>  This Inner Loop Header: Depth=2
	ds_read_b64 v[8:9], v7
	s_add_i32 s11, s11, -1
	v_add_u32_e32 v7, 32, v7
	s_cmp_lg_u32 s11, 0
	s_waitcnt lgkmcnt(0)
	v_add_co_u32_e32 v3, vcc, v8, v3
	v_addc_co_u32_e32 v4, vcc, v9, v4, vcc
	s_cbranch_scc1 .LBB102_87
.LBB102_88:                             ;   in Loop: Header=BB102_23 Depth=1
	v_add_lshl_u32 v7, s10, v31, 3
	ds_write_b64 v7, v[3:4] offset:3072
.LBB102_89:                             ;   in Loop: Header=BB102_23 Depth=1
	s_or_b64 exec, exec, s[6:7]
	s_lshl_b32 s6, s10, 3
	v_mov_b32_e32 v3, s6
	s_waitcnt lgkmcnt(0)
	s_barrier
	ds_read_b128 v[11:14], v3 offset:3088
	ds_read_b128 v[7:10], v3 offset:3072
	v_cmp_eq_u64_e64 s[6:7], 1, v[25:26]
	s_lshl_b64 s[12:13], 3, s8
	s_not_b64 s[94:95], s[12:13]
	s_waitcnt lgkmcnt(1)
	v_readfirstlane_b32 s90, v11
	s_waitcnt lgkmcnt(0)
	v_cmp_eq_u64_e32 vcc, 1, v[7:8]
	v_readfirstlane_b32 s91, v12
	v_readfirstlane_b32 s10, v13
	;; [unrolled: 1-line block ×3, first 2 shown]
	s_and_b64 s[36:37], vcc, s[6:7]
	s_mov_b64 s[6:7], -1
	s_mov_b64 s[22:23], -1
                                        ; implicit-def: $sgpr38_sgpr39
                                        ; implicit-def: $sgpr34_sgpr35
	s_and_saveexec_b64 s[14:15], s[36:37]
	s_cbranch_execz .LBB102_121
; %bb.90:                               ;   in Loop: Header=BB102_23 Depth=1
	ds_read_b64 v[3:4], v16 offset:5120
	s_waitcnt lgkmcnt(0)
	s_barrier
	v_readfirstlane_b32 s42, v3
	v_readfirstlane_b32 s43, v4
	s_and_saveexec_b64 s[22:23], s[16:17]
; %bb.91:                               ;   in Loop: Header=BB102_23 Depth=1
	v_mov_b32_e32 v15, v16
	ds_write_b64 v33, v[15:16]
; %bb.92:                               ;   in Loop: Header=BB102_23 Depth=1
	s_or_b64 exec, exec, s[22:23]
	v_and_b32_e32 v22, s95, v22
	v_and_b32_e32 v21, s94, v21
	v_or_b32_e32 v24, s13, v24
	v_or_b32_e32 v23, s12, v23
	s_mov_b64 s[34:35], -1
	s_mov_b64 s[38:39], 0
	s_cmp_eq_u64 s[42:43], 0
	s_mov_b64 s[40:41], 0
	s_mov_b64 s[22:23], -1
	s_waitcnt lgkmcnt(0)
	s_barrier
                                        ; implicit-def: $vgpr5_vgpr6
	s_cbranch_scc1 .LBB102_106
; %bb.93:                               ;   in Loop: Header=BB102_23 Depth=1
	s_add_u32 s26, s42, s29
	s_addc_u32 s41, s43, s30
	s_mov_b32 s40, s59
	s_cmp_lg_u64 s[40:41], 0
	s_cbranch_scc0 .LBB102_147
; %bb.94:                               ;   in Loop: Header=BB102_23 Depth=1
	v_cvt_f32_u32_e32 v3, s33
	s_sub_u32 s24, 0, s33
	s_subb_u32 s25, 0, 0
	v_mac_f32_e32 v3, 0, v41
	v_rcp_f32_e32 v3, v3
	v_mul_f32_e32 v3, 0x5f7ffffc, v3
	v_mul_f32_e32 v4, 0x2f800000, v3
	v_trunc_f32_e32 v4, v4
	v_mac_f32_e32 v3, 0xcf800000, v4
	v_cvt_u32_f32_e32 v4, v4
	v_cvt_u32_f32_e32 v3, v3
	v_readfirstlane_b32 s27, v4
	v_readfirstlane_b32 s22, v3
	s_mul_i32 s23, s24, s27
	s_mul_hi_u32 s44, s24, s22
	s_mul_i32 s40, s25, s22
	s_add_i32 s23, s44, s23
	s_mul_i32 s45, s24, s22
	s_add_i32 s23, s23, s40
	s_mul_hi_u32 s44, s22, s45
	s_mul_i32 s46, s22, s23
	s_mul_hi_u32 s40, s22, s23
	s_add_u32 s44, s44, s46
	s_addc_u32 s40, 0, s40
	s_mul_hi_u32 s47, s27, s45
	s_mul_i32 s45, s27, s45
	s_add_u32 s44, s44, s45
	s_mul_hi_u32 s46, s27, s23
	s_addc_u32 s40, s40, s47
	s_addc_u32 s44, s46, 0
	s_mul_i32 s23, s27, s23
	s_add_u32 s23, s40, s23
	s_addc_u32 s40, 0, s44
	s_add_u32 s44, s22, s23
	s_cselect_b64 s[22:23], -1, 0
	s_cmp_lg_u64 s[22:23], 0
	s_addc_u32 s27, s27, s40
	s_mul_i32 s22, s24, s27
	s_mul_hi_u32 s23, s24, s44
	s_add_i32 s22, s23, s22
	s_mul_i32 s25, s25, s44
	s_add_i32 s22, s22, s25
	s_mul_i32 s24, s24, s44
	s_mul_hi_u32 s25, s27, s24
	s_mul_i32 s40, s27, s24
	s_mul_i32 s46, s44, s22
	s_mul_hi_u32 s24, s44, s24
	s_mul_hi_u32 s45, s44, s22
	s_add_u32 s24, s24, s46
	s_addc_u32 s45, 0, s45
	s_add_u32 s24, s24, s40
	s_mul_hi_u32 s23, s27, s22
	s_addc_u32 s24, s45, s25
	s_addc_u32 s23, s23, 0
	s_mul_i32 s22, s27, s22
	s_add_u32 s22, s24, s22
	s_addc_u32 s24, 0, s23
	s_add_u32 s25, s44, s22
	s_cselect_b64 s[22:23], -1, 0
	s_cmp_lg_u64 s[22:23], 0
	s_addc_u32 s22, s27, s24
	s_mul_i32 s24, s26, s22
	s_mul_hi_u32 s27, s26, s25
	s_mul_hi_u32 s23, s26, s22
	s_add_u32 s24, s27, s24
	s_addc_u32 s23, 0, s23
	s_mul_hi_u32 s40, s41, s25
	s_mul_i32 s25, s41, s25
	s_add_u32 s24, s24, s25
	s_mul_hi_u32 s27, s41, s22
	s_addc_u32 s23, s23, s40
	s_addc_u32 s24, s27, 0
	s_mul_i32 s22, s41, s22
	s_add_u32 s22, s23, s22
	s_addc_u32 s23, 0, s24
	s_mul_i32 s23, s33, s23
	s_mul_hi_u32 s24, s33, s22
	s_add_i32 s24, s24, s23
	s_mul_i32 s22, s33, s22
	s_sub_u32 s25, s26, s22
	s_cselect_b64 s[22:23], -1, 0
	s_cmp_lg_u64 s[22:23], 0
	s_subb_u32 s24, s41, s24
	s_sub_u32 s27, s25, s33
	s_cselect_b64 s[22:23], -1, 0
	s_cmp_lg_u64 s[22:23], 0
	s_subb_u32 s40, s24, 0
	;; [unrolled: 4-line block ×3, first 2 shown]
	s_cmp_ge_u32 s27, s33
	s_cselect_b32 s23, -1, 0
	s_cmp_eq_u32 s40, 0
	s_cselect_b32 s23, s23, -1
	s_cmp_lg_u32 s23, 0
	s_cselect_b32 s22, s22, s40
	s_cselect_b32 s27, s44, s27
	s_cmp_ge_u32 s25, s33
	s_cselect_b32 s23, -1, 0
	s_cmp_eq_u32 s24, 0
	s_cselect_b32 s23, s23, -1
	s_cmp_lg_u32 s23, 0
	s_cselect_b32 s23, s22, s24
	s_cselect_b32 s22, s27, s25
	s_cbranch_execnz .LBB102_96
.LBB102_95:                             ;   in Loop: Header=BB102_23 Depth=1
	v_cvt_f32_u32_e32 v3, s33
	s_sub_i32 s22, 0, s33
	v_rcp_iflag_f32_e32 v3, v3
	v_mul_f32_e32 v3, 0x4f7ffffe, v3
	v_cvt_u32_f32_e32 v3, v3
	v_readfirstlane_b32 s23, v3
	s_mul_i32 s22, s22, s23
	s_mul_hi_u32 s22, s23, s22
	s_add_i32 s23, s23, s22
	s_mul_hi_u32 s22, s26, s23
	s_mul_i32 s22, s22, s33
	s_sub_i32 s22, s26, s22
	s_sub_i32 s23, s22, s33
	s_cmp_ge_u32 s22, s33
	s_cselect_b32 s22, s23, s22
	s_sub_i32 s23, s22, s33
	s_cmp_ge_u32 s22, s33
	s_cselect_b32 s58, s23, s22
	s_mov_b64 s[22:23], s[58:59]
.LBB102_96:                             ;   in Loop: Header=BB102_23 Depth=1
	s_sub_u32 s24, s26, s22
	s_subb_u32 s25, s41, s23
	v_cmp_gt_u64_e32 vcc, s[24:25], v[0:1]
	s_mov_b64 s[22:23], 0
	s_mov_b64 s[40:41], 0
                                        ; implicit-def: $vgpr5_vgpr6
	s_and_saveexec_b64 s[44:45], vcc
	s_cbranch_execz .LBB102_105
; %bb.97:                               ;   in Loop: Header=BB102_23 Depth=1
	v_mov_b32_e32 v12, v1
	s_mov_b64 s[26:27], 0
	v_mov_b32_e32 v13, v32
	v_mov_b32_e32 v11, v0
                                        ; implicit-def: $sgpr40_sgpr41
	s_branch .LBB102_100
.LBB102_98:                             ;   in Loop: Header=BB102_100 Depth=2
	s_or_b64 exec, exec, s[46:47]
	s_waitcnt lgkmcnt(0)
	s_barrier
	ds_read_b128 v[3:6], v16 offset:3072
	s_mov_b64 s[46:47], -1
	s_mov_b64 s[50:51], -1
	s_waitcnt lgkmcnt(0)
	s_barrier
	v_cmp_ne_u64_e32 vcc, 0, v[3:4]
	s_cbranch_vccz .LBB102_103
.LBB102_99:                             ;   in Loop: Header=BB102_100 Depth=2
	s_and_b64 s[46:47], exec, s[46:47]
	s_or_b64 s[26:27], s[46:47], s[26:27]
	s_andn2_b64 s[40:41], s[40:41], exec
	s_and_b64 s[46:47], s[50:51], exec
	s_or_b64 s[40:41], s[40:41], s[46:47]
	s_andn2_b64 exec, exec, s[26:27]
	s_cbranch_execz .LBB102_104
.LBB102_100:                            ;   Parent Loop BB102_23 Depth=1
                                        ; =>  This Inner Loop Header: Depth=2
	v_cmp_gt_u64_e32 vcc, s[42:43], v[11:12]
	s_and_saveexec_b64 s[46:47], vcc
	s_cbranch_execz .LBB102_98
; %bb.101:                              ;   in Loop: Header=BB102_100 Depth=2
	ds_read_b64 v[4:5], v13
	s_waitcnt lgkmcnt(0)
	v_xor_b32_e32 v3, 0x80000000, v5
	v_and_b32_e32 v15, v3, v24
	v_and_b32_e32 v14, v4, v23
	v_cmp_eq_u64_e32 vcc, v[14:15], v[21:22]
	s_and_b64 exec, exec, vcc
	s_cbranch_execz .LBB102_98
; %bb.102:                              ;   in Loop: Header=BB102_100 Depth=2
	v_mov_b32_e32 v3, v16
	ds_write_b128 v16, v[2:5] offset:3072
	s_branch .LBB102_98
.LBB102_103:                            ;   in Loop: Header=BB102_100 Depth=2
	v_add_co_u32_e32 v11, vcc, s33, v11
	v_addc_co_u32_e32 v12, vcc, 0, v12, vcc
	v_cmp_le_u64_e32 vcc, s[24:25], v[11:12]
	v_add_u32_e32 v13, s3, v13
	s_mov_b64 s[50:51], 0
	s_orn2_b64 s[46:47], vcc, exec
	s_branch .LBB102_99
.LBB102_104:                            ;   in Loop: Header=BB102_23 Depth=1
	s_or_b64 exec, exec, s[26:27]
	s_and_b64 s[40:41], s[40:41], exec
.LBB102_105:                            ;   in Loop: Header=BB102_23 Depth=1
	s_or_b64 exec, exec, s[44:45]
.LBB102_106:                            ;   in Loop: Header=BB102_23 Depth=1
	s_and_b64 vcc, exec, s[22:23]
	s_cbranch_vccz .LBB102_120
; %bb.107:                              ;   in Loop: Header=BB102_23 Depth=1
	s_mov_b32 s64, s59
	s_cmp_lg_u64 s[64:65], 0
	s_cbranch_scc0 .LBB102_151
; %bb.108:                              ;   in Loop: Header=BB102_23 Depth=1
	v_cvt_f32_u32_e32 v3, s33
	s_sub_u32 s24, 0, s33
	s_subb_u32 s25, 0, 0
	v_mac_f32_e32 v3, 0, v41
	v_rcp_f32_e32 v3, v3
	v_mul_f32_e32 v3, 0x5f7ffffc, v3
	v_mul_f32_e32 v4, 0x2f800000, v3
	v_trunc_f32_e32 v4, v4
	v_mac_f32_e32 v3, 0xcf800000, v4
	v_cvt_u32_f32_e32 v4, v4
	v_cvt_u32_f32_e32 v3, v3
	v_readfirstlane_b32 s26, v4
	v_readfirstlane_b32 s22, v3
	s_mul_i32 s23, s24, s26
	s_mul_hi_u32 s34, s24, s22
	s_mul_i32 s27, s25, s22
	s_add_i32 s23, s34, s23
	s_mul_i32 s35, s24, s22
	s_add_i32 s23, s23, s27
	s_mul_hi_u32 s34, s22, s35
	s_mul_i32 s38, s22, s23
	s_mul_hi_u32 s27, s22, s23
	s_add_u32 s34, s34, s38
	s_addc_u32 s27, 0, s27
	s_mul_hi_u32 s39, s26, s35
	s_mul_i32 s35, s26, s35
	s_add_u32 s34, s34, s35
	s_mul_hi_u32 s38, s26, s23
	s_addc_u32 s27, s27, s39
	s_addc_u32 s34, s38, 0
	s_mul_i32 s23, s26, s23
	s_add_u32 s23, s27, s23
	s_addc_u32 s27, 0, s34
	s_add_u32 s34, s22, s23
	s_cselect_b64 s[22:23], -1, 0
	s_cmp_lg_u64 s[22:23], 0
	s_addc_u32 s26, s26, s27
	s_mul_i32 s22, s24, s26
	s_mul_hi_u32 s23, s24, s34
	s_add_i32 s22, s23, s22
	s_mul_i32 s25, s25, s34
	s_add_i32 s22, s22, s25
	s_mul_i32 s24, s24, s34
	s_mul_hi_u32 s25, s26, s24
	s_mul_i32 s27, s26, s24
	s_mul_i32 s38, s34, s22
	s_mul_hi_u32 s24, s34, s24
	s_mul_hi_u32 s35, s34, s22
	s_add_u32 s24, s24, s38
	s_addc_u32 s35, 0, s35
	s_add_u32 s24, s24, s27
	s_mul_hi_u32 s23, s26, s22
	s_addc_u32 s24, s35, s25
	s_addc_u32 s23, s23, 0
	s_mul_i32 s22, s26, s22
	s_add_u32 s22, s24, s22
	s_addc_u32 s24, 0, s23
	s_add_u32 s25, s34, s22
	s_cselect_b64 s[22:23], -1, 0
	s_cmp_lg_u64 s[22:23], 0
	s_addc_u32 s22, s26, s24
	s_mul_i32 s24, s31, s22
	s_mul_hi_u32 s26, s31, s25
	s_mul_hi_u32 s23, s31, s22
	s_add_u32 s24, s26, s24
	s_addc_u32 s23, 0, s23
	s_mul_hi_u32 s27, s65, s25
	s_mul_i32 s25, s65, s25
	s_add_u32 s24, s24, s25
	s_mul_hi_u32 s26, s65, s22
	s_addc_u32 s23, s23, s27
	s_addc_u32 s24, s26, 0
	s_mul_i32 s22, s65, s22
	s_add_u32 s22, s23, s22
	s_addc_u32 s23, 0, s24
	s_mul_i32 s23, s33, s23
	s_mul_hi_u32 s24, s33, s22
	s_add_i32 s24, s24, s23
	s_mul_i32 s22, s33, s22
	s_sub_u32 s25, s31, s22
	s_cselect_b64 s[22:23], -1, 0
	s_cmp_lg_u64 s[22:23], 0
	s_subb_u32 s24, s65, s24
	s_sub_u32 s26, s25, s33
	s_cselect_b64 s[22:23], -1, 0
	s_cmp_lg_u64 s[22:23], 0
	s_subb_u32 s27, s24, 0
	;; [unrolled: 4-line block ×3, first 2 shown]
	s_cmp_ge_u32 s26, s33
	s_cselect_b32 s23, -1, 0
	s_cmp_eq_u32 s27, 0
	s_cselect_b32 s23, s23, -1
	s_cmp_lg_u32 s23, 0
	s_cselect_b32 s22, s22, s27
	s_cselect_b32 s26, s34, s26
	s_cmp_ge_u32 s25, s33
	s_cselect_b32 s23, -1, 0
	s_cmp_eq_u32 s24, 0
	s_cselect_b32 s23, s23, -1
	s_cmp_lg_u32 s23, 0
	s_cselect_b32 s23, s22, s24
	s_cselect_b32 s22, s26, s25
	s_cbranch_execnz .LBB102_110
.LBB102_109:                            ;   in Loop: Header=BB102_23 Depth=1
	v_cvt_f32_u32_e32 v3, s33
	s_sub_i32 s22, 0, s33
	v_rcp_iflag_f32_e32 v3, v3
	v_mul_f32_e32 v3, 0x4f7ffffe, v3
	v_cvt_u32_f32_e32 v3, v3
	v_readfirstlane_b32 s23, v3
	s_mul_i32 s22, s22, s23
	s_mul_hi_u32 s22, s23, s22
	s_add_i32 s23, s23, s22
	s_mul_hi_u32 s22, s31, s23
	s_mul_i32 s22, s22, s33
	s_sub_i32 s22, s31, s22
	s_sub_i32 s23, s22, s33
	s_cmp_ge_u32 s22, s33
	s_cselect_b32 s22, s23, s22
	s_sub_i32 s23, s22, s33
	s_cmp_ge_u32 s22, s33
	s_cselect_b32 s58, s23, s22
	s_mov_b64 s[22:23], s[58:59]
.LBB102_110:                            ;   in Loop: Header=BB102_23 Depth=1
	s_sub_u32 s34, s31, s22
	s_subb_u32 s35, s65, s23
	v_cmp_gt_u64_e32 vcc, s[34:35], v[0:1]
                                        ; implicit-def: $vgpr5_vgpr6
	s_and_saveexec_b64 s[22:23], vcc
	s_cbranch_execz .LBB102_119
; %bb.111:                              ;   in Loop: Header=BB102_23 Depth=1
	v_mov_b32_e32 v12, v1
	s_mov_b64 s[26:27], 0
	v_mov_b32_e32 v11, v0
                                        ; implicit-def: $sgpr24_sgpr25
	s_branch .LBB102_114
.LBB102_112:                            ;   in Loop: Header=BB102_114 Depth=2
	s_or_b64 exec, exec, s[38:39]
	s_waitcnt lgkmcnt(0)
	s_barrier
	ds_read_b128 v[3:6], v16 offset:3072
	s_mov_b64 s[42:43], -1
	s_mov_b64 s[38:39], -1
	s_waitcnt lgkmcnt(0)
	s_barrier
	v_cmp_ne_u64_e32 vcc, 0, v[3:4]
	s_cbranch_vccz .LBB102_117
.LBB102_113:                            ;   in Loop: Header=BB102_114 Depth=2
	s_and_b64 s[42:43], exec, s[42:43]
	s_or_b64 s[26:27], s[42:43], s[26:27]
	s_andn2_b64 s[24:25], s[24:25], exec
	s_and_b64 s[38:39], s[38:39], exec
	s_or_b64 s[24:25], s[24:25], s[38:39]
	s_andn2_b64 exec, exec, s[26:27]
	s_cbranch_execz .LBB102_118
.LBB102_114:                            ;   Parent Loop BB102_23 Depth=1
                                        ; =>  This Inner Loop Header: Depth=2
	v_cmp_gt_u64_e32 vcc, s[20:21], v[11:12]
	s_and_saveexec_b64 s[38:39], vcc
	s_cbranch_execz .LBB102_112
; %bb.115:                              ;   in Loop: Header=BB102_114 Depth=2
	v_mul_lo_u32 v5, v12, s48
	v_mul_lo_u32 v6, v11, s49
	v_mad_u64_u32 v[3:4], s[42:43], v11, s48, 0
	v_add3_u32 v4, v4, v6, v5
	v_lshlrev_b64 v[3:4], 3, v[3:4]
	v_mov_b32_e32 v5, s28
	v_add_co_u32_e32 v3, vcc, s19, v3
	v_addc_co_u32_e32 v4, vcc, v5, v4, vcc
	global_load_dwordx2 v[4:5], v[3:4], off
	s_waitcnt vmcnt(0)
	v_xor_b32_e32 v3, 0x80000000, v5
	v_and_b32_e32 v14, v3, v24
	v_and_b32_e32 v13, v4, v23
	v_cmp_eq_u64_e32 vcc, v[13:14], v[21:22]
	s_and_b64 exec, exec, vcc
	s_cbranch_execz .LBB102_112
; %bb.116:                              ;   in Loop: Header=BB102_114 Depth=2
	v_mov_b32_e32 v3, v16
	ds_write_b128 v16, v[2:5] offset:3072
	s_branch .LBB102_112
.LBB102_117:                            ;   in Loop: Header=BB102_114 Depth=2
	v_add_co_u32_e32 v11, vcc, s33, v11
	v_addc_co_u32_e32 v12, vcc, 0, v12, vcc
	v_cmp_le_u64_e32 vcc, s[34:35], v[11:12]
	s_mov_b64 s[38:39], 0
	s_orn2_b64 s[42:43], vcc, exec
	s_branch .LBB102_113
.LBB102_118:                            ;   in Loop: Header=BB102_23 Depth=1
	s_or_b64 exec, exec, s[26:27]
	s_andn2_b64 s[26:27], s[40:41], exec
	s_and_b64 s[24:25], s[24:25], exec
	s_or_b64 s[40:41], s[26:27], s[24:25]
.LBB102_119:                            ;   in Loop: Header=BB102_23 Depth=1
	s_or_b64 exec, exec, s[22:23]
	s_mov_b64 s[34:35], 0
	s_mov_b64 s[38:39], -1
.LBB102_120:                            ;   in Loop: Header=BB102_23 Depth=1
	s_orn2_b64 s[22:23], s[40:41], exec
.LBB102_121:                            ;   in Loop: Header=BB102_23 Depth=1
	s_or_b64 exec, exec, s[14:15]
	s_andn2_b64 s[14:15], s[84:85], exec
	s_and_b64 s[24:25], s[38:39], exec
	s_or_b64 s[84:85], s[14:15], s[24:25]
	s_andn2_b64 s[14:15], s[82:83], exec
	s_and_b64 s[24:25], s[34:35], exec
	s_andn2_b64 s[80:81], s[80:81], exec
	s_or_b64 s[82:83], s[14:15], s[24:25]
                                        ; implicit-def: $vgpr11_vgpr12
	s_and_saveexec_b64 s[14:15], s[22:23]
	s_cbranch_execz .LBB102_22
; %bb.122:                              ;   in Loop: Header=BB102_23 Depth=1
	v_mov_b32_e32 v11, 1
	s_xor_b64 s[22:23], s[36:37], -1
	v_mov_b32_e32 v13, 1
	v_mov_b32_e32 v12, 0
	s_mov_b64 s[24:25], 0
	s_and_saveexec_b64 s[6:7], s[22:23]
	s_cbranch_execz .LBB102_131
; %bb.123:                              ;   in Loop: Header=BB102_23 Depth=1
	v_cmp_le_u64_e32 vcc, v[25:26], v[7:8]
	s_and_saveexec_b64 s[22:23], vcc
	s_xor_b64 s[22:23], exec, s[22:23]
	s_cbranch_execz .LBB102_128
; %bb.124:                              ;   in Loop: Header=BB102_23 Depth=1
	ds_read_b64 v[3:4], v16 offset:5120
	v_and_b32_e32 v22, s95, v22
	v_and_b32_e32 v21, s94, v21
	v_or_b32_e32 v24, s13, v24
	v_or_b32_e32 v23, s12, v23
	s_waitcnt lgkmcnt(0)
	v_cmp_ne_u64_e32 vcc, 0, v[3:4]
	s_cbranch_vccnz .LBB102_128
; %bb.125:                              ;   in Loop: Header=BB102_23 Depth=1
	s_and_saveexec_b64 s[24:25], s[0:1]
; %bb.126:                              ;   in Loop: Header=BB102_23 Depth=1
	ds_write_b64 v16, v[7:8] offset:5128
; %bb.127:                              ;   in Loop: Header=BB102_23 Depth=1
	s_or_b64 exec, exec, s[24:25]
	s_waitcnt lgkmcnt(0)
	s_barrier
.LBB102_128:                            ;   in Loop: Header=BB102_23 Depth=1
	s_or_saveexec_b64 s[22:23], s[22:23]
	s_mov_b64 s[24:25], 0
	v_mov_b32_e32 v13, 8
	s_xor_b64 exec, exec, s[22:23]
; %bb.129:                              ;   in Loop: Header=BB102_23 Depth=1
	v_sub_co_u32_e32 v25, vcc, v25, v7
	v_subb_co_u32_e32 v26, vcc, v26, v8, vcc
	v_mov_b32_e32 v13, 0
	s_mov_b64 s[24:25], exec
; %bb.130:                              ;   in Loop: Header=BB102_23 Depth=1
	s_or_b64 exec, exec, s[22:23]
	v_mov_b32_e32 v11, v25
	s_and_b64 s[24:25], s[24:25], exec
	v_mov_b32_e32 v12, v26
.LBB102_131:                            ;   in Loop: Header=BB102_23 Depth=1
	s_or_b64 exec, exec, s[6:7]
	s_mov_b64 s[86:87], -1
	s_mov_b64 s[22:23], -1
                                        ; implicit-def: $sgpr6_sgpr7
                                        ; implicit-def: $sgpr92_sgpr93
	s_and_saveexec_b64 s[26:27], s[24:25]
	s_xor_b64 s[88:89], exec, s[26:27]
	s_cbranch_execz .LBB102_276
; %bb.132:                              ;   in Loop: Header=BB102_23 Depth=1
	v_cmp_eq_u64_e32 vcc, 1, v[9:10]
	v_cmp_eq_u64_e64 s[6:7], 1, v[11:12]
                                        ; implicit-def: $sgpr92_sgpr93
	s_and_b64 s[36:37], vcc, s[6:7]
                                        ; implicit-def: $sgpr6_sgpr7
	s_and_saveexec_b64 s[34:35], s[36:37]
	s_cbranch_execz .LBB102_169
; %bb.133:                              ;   in Loop: Header=BB102_23 Depth=1
	ds_read_b64 v[3:4], v16 offset:5120
	s_waitcnt lgkmcnt(0)
	s_barrier
	v_readfirstlane_b32 s40, v3
	v_readfirstlane_b32 s41, v4
	s_and_saveexec_b64 s[6:7], s[16:17]
; %bb.134:                              ;   in Loop: Header=BB102_23 Depth=1
	v_mov_b32_e32 v15, v16
	ds_write_b64 v33, v[15:16]
; %bb.135:                              ;   in Loop: Header=BB102_23 Depth=1
	s_or_b64 exec, exec, s[6:7]
	s_lshl_b64 s[6:7], 1, s8
	v_and_b32_e32 v3, s95, v22
	v_and_b32_e32 v4, s94, v21
	v_or_b32_e32 v22, s7, v3
	v_or_b32_e32 v21, s6, v4
	;; [unrolled: 1-line block ×4, first 2 shown]
	s_mov_b64 s[6:7], -1
	s_mov_b64 s[92:93], 0
	s_cmp_eq_u64 s[40:41], 0
	s_mov_b64 s[38:39], 0
	s_mov_b64 s[42:43], -1
	s_waitcnt lgkmcnt(0)
	s_barrier
                                        ; implicit-def: $vgpr5_vgpr6
	s_cbranch_scc1 .LBB102_154
; %bb.136:                              ;   in Loop: Header=BB102_23 Depth=1
	s_add_u32 s26, s40, s29
	s_addc_u32 s39, s41, s30
	s_mov_b32 s38, s59
	s_cmp_lg_u64 s[38:39], 0
	s_cbranch_scc0 .LBB102_196
; %bb.137:                              ;   in Loop: Header=BB102_23 Depth=1
	v_cvt_f32_u32_e32 v3, s33
	s_sub_u32 s24, 0, s33
	s_subb_u32 s25, 0, 0
	v_mac_f32_e32 v3, 0, v41
	v_rcp_f32_e32 v3, v3
	v_mul_f32_e32 v3, 0x5f7ffffc, v3
	v_mul_f32_e32 v4, 0x2f800000, v3
	v_trunc_f32_e32 v4, v4
	v_mac_f32_e32 v3, 0xcf800000, v4
	v_cvt_u32_f32_e32 v4, v4
	v_cvt_u32_f32_e32 v3, v3
	v_readfirstlane_b32 s27, v4
	v_readfirstlane_b32 s22, v3
	s_mul_i32 s23, s24, s27
	s_mul_hi_u32 s42, s24, s22
	s_mul_i32 s38, s25, s22
	s_add_i32 s23, s42, s23
	s_mul_i32 s43, s24, s22
	s_add_i32 s23, s23, s38
	s_mul_hi_u32 s42, s22, s43
	s_mul_i32 s44, s22, s23
	s_mul_hi_u32 s38, s22, s23
	s_add_u32 s42, s42, s44
	s_addc_u32 s38, 0, s38
	s_mul_hi_u32 s45, s27, s43
	s_mul_i32 s43, s27, s43
	s_add_u32 s42, s42, s43
	s_mul_hi_u32 s44, s27, s23
	s_addc_u32 s38, s38, s45
	s_addc_u32 s42, s44, 0
	s_mul_i32 s23, s27, s23
	s_add_u32 s23, s38, s23
	s_addc_u32 s38, 0, s42
	s_add_u32 s42, s22, s23
	s_cselect_b64 s[22:23], -1, 0
	s_cmp_lg_u64 s[22:23], 0
	s_addc_u32 s27, s27, s38
	s_mul_i32 s22, s24, s27
	s_mul_hi_u32 s23, s24, s42
	s_add_i32 s22, s23, s22
	s_mul_i32 s25, s25, s42
	s_add_i32 s22, s22, s25
	s_mul_i32 s24, s24, s42
	s_mul_hi_u32 s25, s27, s24
	s_mul_i32 s38, s27, s24
	s_mul_i32 s44, s42, s22
	s_mul_hi_u32 s24, s42, s24
	s_mul_hi_u32 s43, s42, s22
	s_add_u32 s24, s24, s44
	s_addc_u32 s43, 0, s43
	s_add_u32 s24, s24, s38
	s_mul_hi_u32 s23, s27, s22
	s_addc_u32 s24, s43, s25
	s_addc_u32 s23, s23, 0
	s_mul_i32 s22, s27, s22
	s_add_u32 s22, s24, s22
	s_addc_u32 s24, 0, s23
	s_add_u32 s25, s42, s22
	s_cselect_b64 s[22:23], -1, 0
	s_cmp_lg_u64 s[22:23], 0
	s_addc_u32 s22, s27, s24
	s_mul_i32 s24, s26, s22
	s_mul_hi_u32 s27, s26, s25
	s_mul_hi_u32 s23, s26, s22
	s_add_u32 s24, s27, s24
	s_addc_u32 s23, 0, s23
	s_mul_hi_u32 s38, s39, s25
	s_mul_i32 s25, s39, s25
	s_add_u32 s24, s24, s25
	s_mul_hi_u32 s27, s39, s22
	s_addc_u32 s23, s23, s38
	s_addc_u32 s24, s27, 0
	s_mul_i32 s22, s39, s22
	s_add_u32 s22, s23, s22
	s_addc_u32 s23, 0, s24
	s_mul_i32 s23, s33, s23
	s_mul_hi_u32 s24, s33, s22
	s_add_i32 s24, s24, s23
	s_mul_i32 s22, s33, s22
	s_sub_u32 s25, s26, s22
	s_cselect_b64 s[22:23], -1, 0
	s_cmp_lg_u64 s[22:23], 0
	s_subb_u32 s24, s39, s24
	s_sub_u32 s27, s25, s33
	s_cselect_b64 s[22:23], -1, 0
	s_cmp_lg_u64 s[22:23], 0
	s_subb_u32 s38, s24, 0
	;; [unrolled: 4-line block ×3, first 2 shown]
	s_cmp_ge_u32 s27, s33
	s_cselect_b32 s23, -1, 0
	s_cmp_eq_u32 s38, 0
	s_cselect_b32 s23, s23, -1
	s_cmp_lg_u32 s23, 0
	s_cselect_b32 s22, s22, s38
	s_cselect_b32 s27, s42, s27
	s_cmp_ge_u32 s25, s33
	s_cselect_b32 s23, -1, 0
	s_cmp_eq_u32 s24, 0
	s_cselect_b32 s23, s23, -1
	s_cmp_lg_u32 s23, 0
	s_cselect_b32 s23, s22, s24
	s_cselect_b32 s22, s27, s25
	s_cbranch_execnz .LBB102_139
.LBB102_138:                            ;   in Loop: Header=BB102_23 Depth=1
	v_cvt_f32_u32_e32 v3, s33
	s_sub_i32 s22, 0, s33
	v_rcp_iflag_f32_e32 v3, v3
	v_mul_f32_e32 v3, 0x4f7ffffe, v3
	v_cvt_u32_f32_e32 v3, v3
	v_readfirstlane_b32 s23, v3
	s_mul_i32 s22, s22, s23
	s_mul_hi_u32 s22, s23, s22
	s_add_i32 s23, s23, s22
	s_mul_hi_u32 s22, s26, s23
	s_mul_i32 s22, s22, s33
	s_sub_i32 s22, s26, s22
	s_sub_i32 s23, s22, s33
	s_cmp_ge_u32 s22, s33
	s_cselect_b32 s22, s23, s22
	s_sub_i32 s23, s22, s33
	s_cmp_ge_u32 s22, s33
	s_cselect_b32 s58, s23, s22
	s_mov_b64 s[22:23], s[58:59]
.LBB102_139:                            ;   in Loop: Header=BB102_23 Depth=1
	s_sub_u32 s44, s26, s22
	s_subb_u32 s45, s39, s23
	v_cmp_gt_u64_e32 vcc, s[44:45], v[0:1]
	s_mov_b64 s[42:43], 0
	s_mov_b64 s[38:39], 0
                                        ; implicit-def: $vgpr5_vgpr6
	s_and_saveexec_b64 s[22:23], vcc
	s_cbranch_execz .LBB102_153
; %bb.140:                              ;   in Loop: Header=BB102_23 Depth=1
	v_mov_b32_e32 v8, v1
	s_mov_b64 s[24:25], 0
	v_mov_b32_e32 v14, v32
	v_mov_b32_e32 v7, v0
                                        ; implicit-def: $sgpr26_sgpr27
	s_branch .LBB102_143
.LBB102_141:                            ;   in Loop: Header=BB102_143 Depth=2
	s_or_b64 exec, exec, s[38:39]
	s_waitcnt lgkmcnt(0)
	s_barrier
	ds_read_b128 v[3:6], v16 offset:3072
	s_mov_b64 s[38:39], -1
	s_mov_b64 s[46:47], -1
	s_waitcnt lgkmcnt(0)
	s_barrier
	v_cmp_ne_u64_e32 vcc, 0, v[3:4]
	s_cbranch_vccz .LBB102_146
.LBB102_142:                            ;   in Loop: Header=BB102_143 Depth=2
	s_and_b64 s[38:39], exec, s[38:39]
	s_or_b64 s[24:25], s[38:39], s[24:25]
	s_andn2_b64 s[26:27], s[26:27], exec
	s_and_b64 s[38:39], s[46:47], exec
	s_or_b64 s[26:27], s[26:27], s[38:39]
	s_andn2_b64 exec, exec, s[24:25]
	s_cbranch_execz .LBB102_152
.LBB102_143:                            ;   Parent Loop BB102_23 Depth=1
                                        ; =>  This Inner Loop Header: Depth=2
	v_cmp_gt_u64_e32 vcc, s[40:41], v[7:8]
	s_and_saveexec_b64 s[38:39], vcc
	s_cbranch_execz .LBB102_141
; %bb.144:                              ;   in Loop: Header=BB102_143 Depth=2
	ds_read_b64 v[4:5], v14
	s_waitcnt lgkmcnt(0)
	v_xor_b32_e32 v3, 0x80000000, v5
	v_and_b32_e32 v26, v3, v24
	v_and_b32_e32 v25, v4, v23
	v_cmp_eq_u64_e32 vcc, v[25:26], v[21:22]
	s_and_b64 exec, exec, vcc
	s_cbranch_execz .LBB102_141
; %bb.145:                              ;   in Loop: Header=BB102_143 Depth=2
	v_mov_b32_e32 v3, v16
	ds_write_b128 v16, v[2:5] offset:3072
	s_branch .LBB102_141
.LBB102_146:                            ;   in Loop: Header=BB102_143 Depth=2
	v_add_co_u32_e32 v7, vcc, s33, v7
	v_addc_co_u32_e32 v8, vcc, 0, v8, vcc
	v_cmp_le_u64_e32 vcc, s[44:45], v[7:8]
	v_add_u32_e32 v14, s3, v14
	s_mov_b64 s[46:47], 0
	s_orn2_b64 s[38:39], vcc, exec
	s_branch .LBB102_142
.LBB102_147:                            ;   in Loop: Header=BB102_23 Depth=1
                                        ; implicit-def: $sgpr22_sgpr23
	s_branch .LBB102_95
.LBB102_148:                            ;   in Loop: Header=BB102_23 Depth=1
	s_or_b64 exec, exec, s[14:15]
	s_waitcnt lgkmcnt(0)
	s_barrier
	s_and_saveexec_b64 s[6:7], s[0:1]
	s_cbranch_execz .LBB102_150
; %bb.149:                              ;   in Loop: Header=BB102_23 Depth=1
	ds_read_b32 v3, v16 offset:5144
	s_waitcnt lgkmcnt(0)
	v_ashrrev_i32_e32 v4, 31, v3
	ds_write_b64 v16, v[3:4] offset:5120
.LBB102_150:                            ;   in Loop: Header=BB102_23 Depth=1
	s_or_b64 exec, exec, s[6:7]
	s_waitcnt lgkmcnt(0)
	s_barrier
	s_mov_b64 s[6:7], -1
	s_and_b64 vcc, exec, s[12:13]
	s_cbranch_vccnz .LBB102_39
	s_branch .LBB102_48
.LBB102_151:                            ;   in Loop: Header=BB102_23 Depth=1
                                        ; implicit-def: $sgpr22_sgpr23
	s_branch .LBB102_109
.LBB102_152:                            ;   in Loop: Header=BB102_23 Depth=1
	s_or_b64 exec, exec, s[24:25]
	s_and_b64 s[38:39], s[26:27], exec
.LBB102_153:                            ;   in Loop: Header=BB102_23 Depth=1
	s_or_b64 exec, exec, s[22:23]
.LBB102_154:                            ;   in Loop: Header=BB102_23 Depth=1
	s_and_b64 vcc, exec, s[42:43]
	s_cbranch_vccz .LBB102_168
; %bb.155:                              ;   in Loop: Header=BB102_23 Depth=1
	s_mov_b32 s64, s59
	s_cmp_lg_u64 s[64:65], 0
	s_cbranch_scc0 .LBB102_197
; %bb.156:                              ;   in Loop: Header=BB102_23 Depth=1
	v_cvt_f32_u32_e32 v3, s33
	s_sub_u32 s22, 0, s33
	s_subb_u32 s23, 0, 0
	v_mac_f32_e32 v3, 0, v41
	v_rcp_f32_e32 v3, v3
	v_mul_f32_e32 v3, 0x5f7ffffc, v3
	v_mul_f32_e32 v4, 0x2f800000, v3
	v_trunc_f32_e32 v4, v4
	v_mac_f32_e32 v3, 0xcf800000, v4
	v_cvt_u32_f32_e32 v4, v4
	v_cvt_u32_f32_e32 v3, v3
	v_readfirstlane_b32 s24, v4
	v_readfirstlane_b32 s6, v3
	s_mul_i32 s7, s22, s24
	s_mul_hi_u32 s26, s22, s6
	s_mul_i32 s25, s23, s6
	s_add_i32 s7, s26, s7
	s_mul_i32 s27, s22, s6
	s_add_i32 s7, s7, s25
	s_mul_hi_u32 s26, s6, s27
	s_mul_i32 s40, s6, s7
	s_mul_hi_u32 s25, s6, s7
	s_add_u32 s26, s26, s40
	s_addc_u32 s25, 0, s25
	s_mul_hi_u32 s41, s24, s27
	s_mul_i32 s27, s24, s27
	s_add_u32 s26, s26, s27
	s_mul_hi_u32 s40, s24, s7
	s_addc_u32 s25, s25, s41
	s_addc_u32 s26, s40, 0
	s_mul_i32 s7, s24, s7
	s_add_u32 s7, s25, s7
	s_addc_u32 s25, 0, s26
	s_add_u32 s26, s6, s7
	s_cselect_b64 s[6:7], -1, 0
	s_cmp_lg_u64 s[6:7], 0
	s_addc_u32 s24, s24, s25
	s_mul_i32 s6, s22, s24
	s_mul_hi_u32 s7, s22, s26
	s_add_i32 s6, s7, s6
	s_mul_i32 s23, s23, s26
	s_add_i32 s6, s6, s23
	s_mul_i32 s22, s22, s26
	s_mul_hi_u32 s23, s24, s22
	s_mul_i32 s25, s24, s22
	s_mul_i32 s40, s26, s6
	s_mul_hi_u32 s22, s26, s22
	s_mul_hi_u32 s27, s26, s6
	s_add_u32 s22, s22, s40
	s_addc_u32 s27, 0, s27
	s_add_u32 s22, s22, s25
	s_mul_hi_u32 s7, s24, s6
	s_addc_u32 s22, s27, s23
	s_addc_u32 s7, s7, 0
	s_mul_i32 s6, s24, s6
	s_add_u32 s6, s22, s6
	s_addc_u32 s22, 0, s7
	s_add_u32 s23, s26, s6
	s_cselect_b64 s[6:7], -1, 0
	s_cmp_lg_u64 s[6:7], 0
	s_addc_u32 s6, s24, s22
	s_mul_i32 s22, s31, s6
	s_mul_hi_u32 s24, s31, s23
	s_mul_hi_u32 s7, s31, s6
	s_add_u32 s22, s24, s22
	s_addc_u32 s7, 0, s7
	s_mul_hi_u32 s25, s65, s23
	s_mul_i32 s23, s65, s23
	s_add_u32 s22, s22, s23
	s_mul_hi_u32 s24, s65, s6
	s_addc_u32 s7, s7, s25
	s_addc_u32 s22, s24, 0
	s_mul_i32 s6, s65, s6
	s_add_u32 s6, s7, s6
	s_addc_u32 s7, 0, s22
	s_mul_i32 s7, s33, s7
	s_mul_hi_u32 s22, s33, s6
	s_add_i32 s22, s22, s7
	s_mul_i32 s6, s33, s6
	s_sub_u32 s23, s31, s6
	s_cselect_b64 s[6:7], -1, 0
	s_cmp_lg_u64 s[6:7], 0
	s_subb_u32 s22, s65, s22
	s_sub_u32 s24, s23, s33
	s_cselect_b64 s[6:7], -1, 0
	s_cmp_lg_u64 s[6:7], 0
	s_subb_u32 s25, s22, 0
	s_sub_u32 s26, s24, s33
	s_cselect_b64 s[6:7], -1, 0
	s_cmp_lg_u64 s[6:7], 0
	s_subb_u32 s6, s25, 0
	s_cmp_ge_u32 s24, s33
	s_cselect_b32 s7, -1, 0
	s_cmp_eq_u32 s25, 0
	s_cselect_b32 s7, s7, -1
	s_cmp_lg_u32 s7, 0
	s_cselect_b32 s6, s6, s25
	s_cselect_b32 s24, s26, s24
	s_cmp_ge_u32 s23, s33
	s_cselect_b32 s7, -1, 0
	s_cmp_eq_u32 s22, 0
	s_cselect_b32 s7, s7, -1
	s_cmp_lg_u32 s7, 0
	s_cselect_b32 s7, s6, s22
	s_cselect_b32 s6, s24, s23
	s_cbranch_execnz .LBB102_158
.LBB102_157:                            ;   in Loop: Header=BB102_23 Depth=1
	v_cvt_f32_u32_e32 v3, s33
	s_sub_i32 s6, 0, s33
	v_rcp_iflag_f32_e32 v3, v3
	v_mul_f32_e32 v3, 0x4f7ffffe, v3
	v_cvt_u32_f32_e32 v3, v3
	v_readfirstlane_b32 s7, v3
	s_mul_i32 s6, s6, s7
	s_mul_hi_u32 s6, s7, s6
	s_add_i32 s7, s7, s6
	s_mul_hi_u32 s6, s31, s7
	s_mul_i32 s6, s6, s33
	s_sub_i32 s6, s31, s6
	s_sub_i32 s7, s6, s33
	s_cmp_ge_u32 s6, s33
	s_cselect_b32 s6, s7, s6
	s_sub_i32 s7, s6, s33
	s_cmp_ge_u32 s6, s33
	s_cselect_b32 s58, s7, s6
	s_mov_b64 s[6:7], s[58:59]
.LBB102_158:                            ;   in Loop: Header=BB102_23 Depth=1
	s_sub_u32 s22, s31, s6
	s_subb_u32 s23, s65, s7
	v_cmp_gt_u64_e32 vcc, s[22:23], v[0:1]
                                        ; implicit-def: $vgpr5_vgpr6
	s_and_saveexec_b64 s[6:7], vcc
	s_cbranch_execz .LBB102_167
; %bb.159:                              ;   in Loop: Header=BB102_23 Depth=1
	v_mov_b32_e32 v8, v1
	s_mov_b64 s[24:25], 0
	v_mov_b32_e32 v7, v0
                                        ; implicit-def: $sgpr26_sgpr27
	s_branch .LBB102_162
.LBB102_160:                            ;   in Loop: Header=BB102_162 Depth=2
	s_or_b64 exec, exec, s[40:41]
	s_waitcnt lgkmcnt(0)
	s_barrier
	ds_read_b128 v[3:6], v16 offset:3072
	s_mov_b64 s[42:43], -1
	s_mov_b64 s[40:41], -1
	s_waitcnt lgkmcnt(0)
	s_barrier
	v_cmp_eq_u64_e32 vcc, 0, v[3:4]
	s_cbranch_vccnz .LBB102_165
.LBB102_161:                            ;   in Loop: Header=BB102_162 Depth=2
	s_and_b64 s[42:43], exec, s[42:43]
	s_or_b64 s[24:25], s[42:43], s[24:25]
	s_andn2_b64 s[26:27], s[26:27], exec
	s_and_b64 s[40:41], s[40:41], exec
	s_or_b64 s[26:27], s[26:27], s[40:41]
	s_andn2_b64 exec, exec, s[24:25]
	s_cbranch_execz .LBB102_166
.LBB102_162:                            ;   Parent Loop BB102_23 Depth=1
                                        ; =>  This Inner Loop Header: Depth=2
	v_cmp_gt_u64_e32 vcc, s[20:21], v[7:8]
	s_and_saveexec_b64 s[40:41], vcc
	s_cbranch_execz .LBB102_160
; %bb.163:                              ;   in Loop: Header=BB102_162 Depth=2
	v_mul_lo_u32 v5, v8, s48
	v_mul_lo_u32 v6, v7, s49
	v_mad_u64_u32 v[3:4], s[42:43], v7, s48, 0
	v_add3_u32 v4, v4, v6, v5
	v_lshlrev_b64 v[3:4], 3, v[3:4]
	v_mov_b32_e32 v5, s28
	v_add_co_u32_e32 v3, vcc, s19, v3
	v_addc_co_u32_e32 v4, vcc, v5, v4, vcc
	global_load_dwordx2 v[4:5], v[3:4], off
	s_waitcnt vmcnt(0)
	v_xor_b32_e32 v3, 0x80000000, v5
	v_and_b32_e32 v15, v3, v24
	v_and_b32_e32 v14, v4, v23
	v_cmp_eq_u64_e32 vcc, v[14:15], v[21:22]
	s_and_b64 exec, exec, vcc
	s_cbranch_execz .LBB102_160
; %bb.164:                              ;   in Loop: Header=BB102_162 Depth=2
	v_mov_b32_e32 v3, v16
	ds_write_b128 v16, v[2:5] offset:3072
	s_branch .LBB102_160
.LBB102_165:                            ;   in Loop: Header=BB102_162 Depth=2
	v_add_co_u32_e32 v7, vcc, s33, v7
	v_addc_co_u32_e32 v8, vcc, 0, v8, vcc
	v_cmp_le_u64_e32 vcc, s[22:23], v[7:8]
	s_mov_b64 s[40:41], 0
	s_orn2_b64 s[42:43], vcc, exec
	s_branch .LBB102_161
.LBB102_166:                            ;   in Loop: Header=BB102_23 Depth=1
	s_or_b64 exec, exec, s[24:25]
	s_andn2_b64 s[22:23], s[38:39], exec
	s_and_b64 s[24:25], s[26:27], exec
	s_or_b64 s[38:39], s[22:23], s[24:25]
.LBB102_167:                            ;   in Loop: Header=BB102_23 Depth=1
	s_or_b64 exec, exec, s[6:7]
	s_mov_b64 s[6:7], 0
	s_mov_b64 s[92:93], -1
.LBB102_168:                            ;   in Loop: Header=BB102_23 Depth=1
	s_orn2_b64 s[22:23], s[38:39], exec
.LBB102_169:                            ;   in Loop: Header=BB102_23 Depth=1
	s_or_b64 exec, exec, s[34:35]
	s_mov_b64 s[24:25], 0
	s_and_saveexec_b64 s[52:53], s[22:23]
	s_cbranch_execz .LBB102_275
; %bb.170:                              ;   in Loop: Header=BB102_23 Depth=1
	v_mov_b32_e32 v7, 1
	s_xor_b64 s[22:23], s[36:37], -1
	v_mov_b32_e32 v13, 1
	v_mov_b32_e32 v8, 0
	s_and_saveexec_b64 s[34:35], s[22:23]
	s_cbranch_execz .LBB102_180
; %bb.171:                              ;   in Loop: Header=BB102_23 Depth=1
	v_cmp_le_u64_e32 vcc, v[11:12], v[9:10]
	s_and_saveexec_b64 s[22:23], vcc
	s_xor_b64 s[22:23], exec, s[22:23]
	s_cbranch_execz .LBB102_177
; %bb.172:                              ;   in Loop: Header=BB102_23 Depth=1
	s_lshl_b64 s[24:25], 1, s8
	v_and_b32_e32 v3, s95, v22
	v_and_b32_e32 v4, s94, v21
	v_or_b32_e32 v22, s25, v3
	v_or_b32_e32 v21, s24, v4
	ds_read_b64 v[3:4], v16 offset:5120
	v_or_b32_e32 v24, s13, v24
	v_or_b32_e32 v23, s12, v23
	s_waitcnt lgkmcnt(0)
	v_cmp_ne_u64_e32 vcc, 0, v[3:4]
	s_cbranch_vccnz .LBB102_176
; %bb.173:                              ;   in Loop: Header=BB102_23 Depth=1
	s_and_saveexec_b64 s[24:25], s[0:1]
; %bb.174:                              ;   in Loop: Header=BB102_23 Depth=1
	ds_write_b64 v16, v[9:10] offset:5128
; %bb.175:                              ;   in Loop: Header=BB102_23 Depth=1
	s_or_b64 exec, exec, s[24:25]
	s_waitcnt lgkmcnt(0)
	s_barrier
.LBB102_176:                            ;   in Loop: Header=BB102_23 Depth=1
                                        ; implicit-def: $vgpr7_vgpr8_vgpr9_vgpr10
.LBB102_177:                            ;   in Loop: Header=BB102_23 Depth=1
	s_or_saveexec_b64 s[22:23], s[22:23]
	s_mov_b64 s[24:25], 0
	v_mov_b32_e32 v13, 8
	s_xor_b64 exec, exec, s[22:23]
; %bb.178:                              ;   in Loop: Header=BB102_23 Depth=1
	v_sub_co_u32_e32 v11, vcc, v11, v9
	v_subb_co_u32_e32 v12, vcc, v12, v10, vcc
	v_mov_b32_e32 v13, 0
	s_mov_b64 s[24:25], exec
; %bb.179:                              ;   in Loop: Header=BB102_23 Depth=1
	s_or_b64 exec, exec, s[22:23]
	v_mov_b32_e32 v7, v11
	s_and_b64 s[24:25], s[24:25], exec
	v_mov_b32_e32 v8, v12
.LBB102_180:                            ;   in Loop: Header=BB102_23 Depth=1
	s_or_b64 exec, exec, s[34:35]
	s_mov_b64 s[22:23], -1
                                        ; implicit-def: $sgpr36_sgpr37
                                        ; implicit-def: $sgpr38_sgpr39
	s_and_saveexec_b64 s[50:51], s[24:25]
	s_cbranch_execz .LBB102_274
; %bb.181:                              ;   in Loop: Header=BB102_23 Depth=1
	s_cmp_eq_u64 s[90:91], 1
	v_cmp_eq_u64_e32 vcc, 1, v[7:8]
	s_cselect_b64 s[22:23], -1, 0
	s_and_b64 s[34:35], s[22:23], vcc
	s_mov_b64 s[22:23], -1
                                        ; implicit-def: $sgpr38_sgpr39
                                        ; implicit-def: $sgpr36_sgpr37
	s_and_saveexec_b64 s[56:57], s[34:35]
	s_cbranch_execz .LBB102_215
; %bb.182:                              ;   in Loop: Header=BB102_23 Depth=1
	ds_read_b64 v[3:4], v16 offset:5120
	s_waitcnt lgkmcnt(0)
	s_barrier
	v_readfirstlane_b32 s42, v3
	v_readfirstlane_b32 s43, v4
	s_and_saveexec_b64 s[22:23], s[16:17]
; %bb.183:                              ;   in Loop: Header=BB102_23 Depth=1
	v_mov_b32_e32 v15, v16
	ds_write_b64 v33, v[15:16]
; %bb.184:                              ;   in Loop: Header=BB102_23 Depth=1
	s_or_b64 exec, exec, s[22:23]
	s_lshl_b64 s[22:23], 2, s8
	v_and_b32_e32 v3, s95, v22
	v_and_b32_e32 v4, s94, v21
	v_or_b32_e32 v22, s23, v3
	v_or_b32_e32 v21, s22, v4
	;; [unrolled: 1-line block ×4, first 2 shown]
	s_mov_b64 s[36:37], -1
	s_mov_b64 s[38:39], 0
	s_cmp_eq_u64 s[42:43], 0
	s_mov_b64 s[40:41], 0
	s_mov_b64 s[46:47], -1
	s_waitcnt lgkmcnt(0)
	s_barrier
                                        ; implicit-def: $vgpr5_vgpr6
	s_cbranch_scc1 .LBB102_200
; %bb.185:                              ;   in Loop: Header=BB102_23 Depth=1
	s_add_u32 s26, s42, s29
	s_addc_u32 s41, s43, s30
	s_mov_b32 s40, s59
	s_cmp_lg_u64 s[40:41], 0
	s_cbranch_scc0 .LBB102_241
; %bb.186:                              ;   in Loop: Header=BB102_23 Depth=1
	v_cvt_f32_u32_e32 v3, s33
	s_sub_u32 s24, 0, s33
	s_subb_u32 s25, 0, 0
	v_mac_f32_e32 v3, 0, v41
	v_rcp_f32_e32 v3, v3
	v_mul_f32_e32 v3, 0x5f7ffffc, v3
	v_mul_f32_e32 v4, 0x2f800000, v3
	v_trunc_f32_e32 v4, v4
	v_mac_f32_e32 v3, 0xcf800000, v4
	v_cvt_u32_f32_e32 v4, v4
	v_cvt_u32_f32_e32 v3, v3
	v_readfirstlane_b32 s27, v4
	v_readfirstlane_b32 s22, v3
	s_mul_i32 s23, s24, s27
	s_mul_hi_u32 s44, s24, s22
	s_mul_i32 s40, s25, s22
	s_add_i32 s23, s44, s23
	s_mul_i32 s45, s24, s22
	s_add_i32 s23, s23, s40
	s_mul_hi_u32 s44, s22, s45
	s_mul_i32 s46, s22, s23
	s_mul_hi_u32 s40, s22, s23
	s_add_u32 s44, s44, s46
	s_addc_u32 s40, 0, s40
	s_mul_hi_u32 s47, s27, s45
	s_mul_i32 s45, s27, s45
	s_add_u32 s44, s44, s45
	s_mul_hi_u32 s46, s27, s23
	s_addc_u32 s40, s40, s47
	s_addc_u32 s44, s46, 0
	s_mul_i32 s23, s27, s23
	s_add_u32 s23, s40, s23
	s_addc_u32 s40, 0, s44
	s_add_u32 s44, s22, s23
	s_cselect_b64 s[22:23], -1, 0
	s_cmp_lg_u64 s[22:23], 0
	s_addc_u32 s27, s27, s40
	s_mul_i32 s22, s24, s27
	s_mul_hi_u32 s23, s24, s44
	s_add_i32 s22, s23, s22
	s_mul_i32 s25, s25, s44
	s_add_i32 s22, s22, s25
	s_mul_i32 s24, s24, s44
	s_mul_hi_u32 s25, s27, s24
	s_mul_i32 s40, s27, s24
	s_mul_i32 s46, s44, s22
	s_mul_hi_u32 s24, s44, s24
	s_mul_hi_u32 s45, s44, s22
	s_add_u32 s24, s24, s46
	s_addc_u32 s45, 0, s45
	s_add_u32 s24, s24, s40
	s_mul_hi_u32 s23, s27, s22
	s_addc_u32 s24, s45, s25
	s_addc_u32 s23, s23, 0
	s_mul_i32 s22, s27, s22
	s_add_u32 s22, s24, s22
	s_addc_u32 s24, 0, s23
	s_add_u32 s25, s44, s22
	s_cselect_b64 s[22:23], -1, 0
	s_cmp_lg_u64 s[22:23], 0
	s_addc_u32 s22, s27, s24
	s_mul_i32 s24, s26, s22
	s_mul_hi_u32 s27, s26, s25
	s_mul_hi_u32 s23, s26, s22
	s_add_u32 s24, s27, s24
	s_addc_u32 s23, 0, s23
	s_mul_hi_u32 s40, s41, s25
	s_mul_i32 s25, s41, s25
	s_add_u32 s24, s24, s25
	s_mul_hi_u32 s27, s41, s22
	s_addc_u32 s23, s23, s40
	s_addc_u32 s24, s27, 0
	s_mul_i32 s22, s41, s22
	s_add_u32 s22, s23, s22
	s_addc_u32 s23, 0, s24
	s_mul_i32 s23, s33, s23
	s_mul_hi_u32 s24, s33, s22
	s_add_i32 s24, s24, s23
	s_mul_i32 s22, s33, s22
	s_sub_u32 s25, s26, s22
	s_cselect_b64 s[22:23], -1, 0
	s_cmp_lg_u64 s[22:23], 0
	s_subb_u32 s24, s41, s24
	s_sub_u32 s27, s25, s33
	s_cselect_b64 s[22:23], -1, 0
	s_cmp_lg_u64 s[22:23], 0
	s_subb_u32 s40, s24, 0
	s_sub_u32 s44, s27, s33
	s_cselect_b64 s[22:23], -1, 0
	s_cmp_lg_u64 s[22:23], 0
	s_subb_u32 s22, s40, 0
	s_cmp_ge_u32 s27, s33
	s_cselect_b32 s23, -1, 0
	s_cmp_eq_u32 s40, 0
	s_cselect_b32 s23, s23, -1
	s_cmp_lg_u32 s23, 0
	s_cselect_b32 s22, s22, s40
	s_cselect_b32 s27, s44, s27
	s_cmp_ge_u32 s25, s33
	s_cselect_b32 s23, -1, 0
	s_cmp_eq_u32 s24, 0
	s_cselect_b32 s23, s23, -1
	s_cmp_lg_u32 s23, 0
	s_cselect_b32 s23, s22, s24
	s_cselect_b32 s22, s27, s25
	s_cbranch_execnz .LBB102_188
.LBB102_187:                            ;   in Loop: Header=BB102_23 Depth=1
	v_cvt_f32_u32_e32 v3, s33
	s_sub_i32 s22, 0, s33
	v_rcp_iflag_f32_e32 v3, v3
	v_mul_f32_e32 v3, 0x4f7ffffe, v3
	v_cvt_u32_f32_e32 v3, v3
	v_readfirstlane_b32 s23, v3
	s_mul_i32 s22, s22, s23
	s_mul_hi_u32 s22, s23, s22
	s_add_i32 s23, s23, s22
	s_mul_hi_u32 s22, s26, s23
	s_mul_i32 s22, s22, s33
	s_sub_i32 s22, s26, s22
	s_sub_i32 s23, s22, s33
	s_cmp_ge_u32 s22, s33
	s_cselect_b32 s22, s23, s22
	s_sub_i32 s23, s22, s33
	s_cmp_ge_u32 s22, s33
	s_cselect_b32 s58, s23, s22
	s_mov_b64 s[22:23], s[58:59]
.LBB102_188:                            ;   in Loop: Header=BB102_23 Depth=1
	s_sub_u32 s44, s26, s22
	s_subb_u32 s45, s41, s23
	v_cmp_gt_u64_e32 vcc, s[44:45], v[0:1]
	s_mov_b64 s[46:47], 0
	s_mov_b64 s[40:41], 0
                                        ; implicit-def: $vgpr5_vgpr6
	s_and_saveexec_b64 s[22:23], vcc
	s_cbranch_execz .LBB102_199
; %bb.189:                              ;   in Loop: Header=BB102_23 Depth=1
	v_mov_b32_e32 v10, v1
	s_mov_b64 s[24:25], 0
	v_mov_b32_e32 v11, v32
	v_mov_b32_e32 v9, v0
                                        ; implicit-def: $sgpr26_sgpr27
	s_branch .LBB102_192
.LBB102_190:                            ;   in Loop: Header=BB102_192 Depth=2
	s_or_b64 exec, exec, s[40:41]
	s_waitcnt lgkmcnt(0)
	s_barrier
	ds_read_b128 v[3:6], v16 offset:3072
	s_mov_b64 s[40:41], -1
	s_mov_b64 s[54:55], -1
	s_waitcnt lgkmcnt(0)
	s_barrier
	v_cmp_ne_u64_e32 vcc, 0, v[3:4]
	s_cbranch_vccz .LBB102_195
.LBB102_191:                            ;   in Loop: Header=BB102_192 Depth=2
	s_and_b64 s[40:41], exec, s[40:41]
	s_or_b64 s[24:25], s[40:41], s[24:25]
	s_andn2_b64 s[26:27], s[26:27], exec
	s_and_b64 s[40:41], s[54:55], exec
	s_or_b64 s[26:27], s[26:27], s[40:41]
	s_andn2_b64 exec, exec, s[24:25]
	s_cbranch_execz .LBB102_198
.LBB102_192:                            ;   Parent Loop BB102_23 Depth=1
                                        ; =>  This Inner Loop Header: Depth=2
	v_cmp_gt_u64_e32 vcc, s[42:43], v[9:10]
	s_and_saveexec_b64 s[40:41], vcc
	s_cbranch_execz .LBB102_190
; %bb.193:                              ;   in Loop: Header=BB102_192 Depth=2
	ds_read_b64 v[4:5], v11
	s_waitcnt lgkmcnt(0)
	v_xor_b32_e32 v3, 0x80000000, v5
	v_and_b32_e32 v15, v3, v24
	v_and_b32_e32 v14, v4, v23
	v_cmp_eq_u64_e32 vcc, v[14:15], v[21:22]
	s_and_b64 exec, exec, vcc
	s_cbranch_execz .LBB102_190
; %bb.194:                              ;   in Loop: Header=BB102_192 Depth=2
	v_mov_b32_e32 v3, v16
	ds_write_b128 v16, v[2:5] offset:3072
	s_branch .LBB102_190
.LBB102_195:                            ;   in Loop: Header=BB102_192 Depth=2
	v_add_co_u32_e32 v9, vcc, s33, v9
	v_addc_co_u32_e32 v10, vcc, 0, v10, vcc
	v_cmp_le_u64_e32 vcc, s[44:45], v[9:10]
	v_add_u32_e32 v11, s3, v11
	s_mov_b64 s[54:55], 0
	s_orn2_b64 s[40:41], vcc, exec
	s_branch .LBB102_191
.LBB102_196:                            ;   in Loop: Header=BB102_23 Depth=1
                                        ; implicit-def: $sgpr22_sgpr23
	s_branch .LBB102_138
.LBB102_197:                            ;   in Loop: Header=BB102_23 Depth=1
                                        ; implicit-def: $sgpr6_sgpr7
	s_branch .LBB102_157
.LBB102_198:                            ;   in Loop: Header=BB102_23 Depth=1
	s_or_b64 exec, exec, s[24:25]
	s_and_b64 s[40:41], s[26:27], exec
.LBB102_199:                            ;   in Loop: Header=BB102_23 Depth=1
	s_or_b64 exec, exec, s[22:23]
.LBB102_200:                            ;   in Loop: Header=BB102_23 Depth=1
	s_and_b64 vcc, exec, s[46:47]
	s_cbranch_vccz .LBB102_214
; %bb.201:                              ;   in Loop: Header=BB102_23 Depth=1
	s_mov_b32 s64, s59
	s_cmp_lg_u64 s[64:65], 0
	s_cbranch_scc0 .LBB102_242
; %bb.202:                              ;   in Loop: Header=BB102_23 Depth=1
	v_cvt_f32_u32_e32 v3, s33
	s_sub_u32 s24, 0, s33
	s_subb_u32 s25, 0, 0
	v_mac_f32_e32 v3, 0, v41
	v_rcp_f32_e32 v3, v3
	v_mul_f32_e32 v3, 0x5f7ffffc, v3
	v_mul_f32_e32 v4, 0x2f800000, v3
	v_trunc_f32_e32 v4, v4
	v_mac_f32_e32 v3, 0xcf800000, v4
	v_cvt_u32_f32_e32 v4, v4
	v_cvt_u32_f32_e32 v3, v3
	v_readfirstlane_b32 s26, v4
	v_readfirstlane_b32 s22, v3
	s_mul_i32 s23, s24, s26
	s_mul_hi_u32 s36, s24, s22
	s_mul_i32 s27, s25, s22
	s_add_i32 s23, s36, s23
	s_mul_i32 s37, s24, s22
	s_add_i32 s23, s23, s27
	s_mul_hi_u32 s36, s22, s37
	s_mul_i32 s38, s22, s23
	s_mul_hi_u32 s27, s22, s23
	s_add_u32 s36, s36, s38
	s_addc_u32 s27, 0, s27
	s_mul_hi_u32 s39, s26, s37
	s_mul_i32 s37, s26, s37
	s_add_u32 s36, s36, s37
	s_mul_hi_u32 s38, s26, s23
	s_addc_u32 s27, s27, s39
	s_addc_u32 s36, s38, 0
	s_mul_i32 s23, s26, s23
	s_add_u32 s23, s27, s23
	s_addc_u32 s27, 0, s36
	s_add_u32 s36, s22, s23
	s_cselect_b64 s[22:23], -1, 0
	s_cmp_lg_u64 s[22:23], 0
	s_addc_u32 s26, s26, s27
	s_mul_i32 s22, s24, s26
	s_mul_hi_u32 s23, s24, s36
	s_add_i32 s22, s23, s22
	s_mul_i32 s25, s25, s36
	s_add_i32 s22, s22, s25
	s_mul_i32 s24, s24, s36
	s_mul_hi_u32 s25, s26, s24
	s_mul_i32 s27, s26, s24
	s_mul_i32 s38, s36, s22
	s_mul_hi_u32 s24, s36, s24
	s_mul_hi_u32 s37, s36, s22
	s_add_u32 s24, s24, s38
	s_addc_u32 s37, 0, s37
	s_add_u32 s24, s24, s27
	s_mul_hi_u32 s23, s26, s22
	s_addc_u32 s24, s37, s25
	s_addc_u32 s23, s23, 0
	s_mul_i32 s22, s26, s22
	s_add_u32 s22, s24, s22
	s_addc_u32 s24, 0, s23
	s_add_u32 s25, s36, s22
	s_cselect_b64 s[22:23], -1, 0
	s_cmp_lg_u64 s[22:23], 0
	s_addc_u32 s22, s26, s24
	s_mul_i32 s24, s31, s22
	s_mul_hi_u32 s26, s31, s25
	s_mul_hi_u32 s23, s31, s22
	s_add_u32 s24, s26, s24
	s_addc_u32 s23, 0, s23
	s_mul_hi_u32 s27, s65, s25
	s_mul_i32 s25, s65, s25
	s_add_u32 s24, s24, s25
	s_mul_hi_u32 s26, s65, s22
	s_addc_u32 s23, s23, s27
	s_addc_u32 s24, s26, 0
	s_mul_i32 s22, s65, s22
	s_add_u32 s22, s23, s22
	s_addc_u32 s23, 0, s24
	s_mul_i32 s23, s33, s23
	s_mul_hi_u32 s24, s33, s22
	s_add_i32 s24, s24, s23
	s_mul_i32 s22, s33, s22
	s_sub_u32 s25, s31, s22
	s_cselect_b64 s[22:23], -1, 0
	s_cmp_lg_u64 s[22:23], 0
	s_subb_u32 s24, s65, s24
	s_sub_u32 s26, s25, s33
	s_cselect_b64 s[22:23], -1, 0
	s_cmp_lg_u64 s[22:23], 0
	s_subb_u32 s27, s24, 0
	s_sub_u32 s36, s26, s33
	s_cselect_b64 s[22:23], -1, 0
	s_cmp_lg_u64 s[22:23], 0
	s_subb_u32 s22, s27, 0
	s_cmp_ge_u32 s26, s33
	s_cselect_b32 s23, -1, 0
	s_cmp_eq_u32 s27, 0
	s_cselect_b32 s23, s23, -1
	s_cmp_lg_u32 s23, 0
	s_cselect_b32 s22, s22, s27
	s_cselect_b32 s26, s36, s26
	s_cmp_ge_u32 s25, s33
	s_cselect_b32 s23, -1, 0
	s_cmp_eq_u32 s24, 0
	s_cselect_b32 s23, s23, -1
	s_cmp_lg_u32 s23, 0
	s_cselect_b32 s23, s22, s24
	s_cselect_b32 s22, s26, s25
	s_cbranch_execnz .LBB102_204
.LBB102_203:                            ;   in Loop: Header=BB102_23 Depth=1
	v_cvt_f32_u32_e32 v3, s33
	s_sub_i32 s22, 0, s33
	v_rcp_iflag_f32_e32 v3, v3
	v_mul_f32_e32 v3, 0x4f7ffffe, v3
	v_cvt_u32_f32_e32 v3, v3
	v_readfirstlane_b32 s23, v3
	s_mul_i32 s22, s22, s23
	s_mul_hi_u32 s22, s23, s22
	s_add_i32 s23, s23, s22
	s_mul_hi_u32 s22, s31, s23
	s_mul_i32 s22, s22, s33
	s_sub_i32 s22, s31, s22
	s_sub_i32 s23, s22, s33
	s_cmp_ge_u32 s22, s33
	s_cselect_b32 s22, s23, s22
	s_sub_i32 s23, s22, s33
	s_cmp_ge_u32 s22, s33
	s_cselect_b32 s58, s23, s22
	s_mov_b64 s[22:23], s[58:59]
.LBB102_204:                            ;   in Loop: Header=BB102_23 Depth=1
	s_sub_u32 s36, s31, s22
	s_subb_u32 s37, s65, s23
	v_cmp_gt_u64_e32 vcc, s[36:37], v[0:1]
                                        ; implicit-def: $vgpr5_vgpr6
	s_and_saveexec_b64 s[22:23], vcc
	s_cbranch_execz .LBB102_213
; %bb.205:                              ;   in Loop: Header=BB102_23 Depth=1
	v_mov_b32_e32 v10, v1
	s_mov_b64 s[24:25], 0
	v_mov_b32_e32 v9, v0
                                        ; implicit-def: $sgpr26_sgpr27
	s_branch .LBB102_208
.LBB102_206:                            ;   in Loop: Header=BB102_208 Depth=2
	s_or_b64 exec, exec, s[38:39]
	s_waitcnt lgkmcnt(0)
	s_barrier
	ds_read_b128 v[3:6], v16 offset:3072
	s_mov_b64 s[42:43], -1
	s_mov_b64 s[38:39], -1
	s_waitcnt lgkmcnt(0)
	s_barrier
	v_cmp_eq_u64_e32 vcc, 0, v[3:4]
	s_cbranch_vccnz .LBB102_211
.LBB102_207:                            ;   in Loop: Header=BB102_208 Depth=2
	s_and_b64 s[42:43], exec, s[42:43]
	s_or_b64 s[24:25], s[42:43], s[24:25]
	s_andn2_b64 s[26:27], s[26:27], exec
	s_and_b64 s[38:39], s[38:39], exec
	s_or_b64 s[26:27], s[26:27], s[38:39]
	s_andn2_b64 exec, exec, s[24:25]
	s_cbranch_execz .LBB102_212
.LBB102_208:                            ;   Parent Loop BB102_23 Depth=1
                                        ; =>  This Inner Loop Header: Depth=2
	v_cmp_gt_u64_e32 vcc, s[20:21], v[9:10]
	s_and_saveexec_b64 s[38:39], vcc
	s_cbranch_execz .LBB102_206
; %bb.209:                              ;   in Loop: Header=BB102_208 Depth=2
	v_mul_lo_u32 v5, v10, s48
	v_mul_lo_u32 v6, v9, s49
	v_mad_u64_u32 v[3:4], s[42:43], v9, s48, 0
	v_add3_u32 v4, v4, v6, v5
	v_lshlrev_b64 v[3:4], 3, v[3:4]
	v_mov_b32_e32 v5, s28
	v_add_co_u32_e32 v3, vcc, s19, v3
	v_addc_co_u32_e32 v4, vcc, v5, v4, vcc
	global_load_dwordx2 v[4:5], v[3:4], off
	s_waitcnt vmcnt(0)
	v_xor_b32_e32 v3, 0x80000000, v5
	v_and_b32_e32 v12, v3, v24
	v_and_b32_e32 v11, v4, v23
	v_cmp_eq_u64_e32 vcc, v[11:12], v[21:22]
	s_and_b64 exec, exec, vcc
	s_cbranch_execz .LBB102_206
; %bb.210:                              ;   in Loop: Header=BB102_208 Depth=2
	v_mov_b32_e32 v3, v16
	ds_write_b128 v16, v[2:5] offset:3072
	s_branch .LBB102_206
.LBB102_211:                            ;   in Loop: Header=BB102_208 Depth=2
	v_add_co_u32_e32 v9, vcc, s33, v9
	v_addc_co_u32_e32 v10, vcc, 0, v10, vcc
	v_cmp_le_u64_e32 vcc, s[36:37], v[9:10]
	s_mov_b64 s[38:39], 0
	s_orn2_b64 s[42:43], vcc, exec
	s_branch .LBB102_207
.LBB102_212:                            ;   in Loop: Header=BB102_23 Depth=1
	s_or_b64 exec, exec, s[24:25]
	s_andn2_b64 s[24:25], s[40:41], exec
	s_and_b64 s[26:27], s[26:27], exec
	s_or_b64 s[40:41], s[24:25], s[26:27]
.LBB102_213:                            ;   in Loop: Header=BB102_23 Depth=1
	s_or_b64 exec, exec, s[22:23]
	s_mov_b64 s[36:37], 0
	s_mov_b64 s[38:39], -1
.LBB102_214:                            ;   in Loop: Header=BB102_23 Depth=1
	s_orn2_b64 s[22:23], s[40:41], exec
.LBB102_215:                            ;   in Loop: Header=BB102_23 Depth=1
	s_or_b64 exec, exec, s[56:57]
	s_mov_b64 s[24:25], 0
	s_and_saveexec_b64 s[56:57], s[22:23]
	s_cbranch_execz .LBB102_273
; %bb.216:                              ;   in Loop: Header=BB102_23 Depth=1
	v_mov_b32_e32 v9, 1
	s_xor_b64 s[22:23], s[34:35], -1
	v_mov_b32_e32 v13, 1
	v_mov_b32_e32 v10, 0
	s_and_saveexec_b64 s[34:35], s[22:23]
	s_cbranch_execz .LBB102_225
; %bb.217:                              ;   in Loop: Header=BB102_23 Depth=1
	v_cmp_ge_u64_e32 vcc, s[90:91], v[7:8]
	s_and_saveexec_b64 s[22:23], vcc
	s_xor_b64 s[22:23], exec, s[22:23]
	s_cbranch_execz .LBB102_222
; %bb.218:                              ;   in Loop: Header=BB102_23 Depth=1
	s_lshl_b64 s[24:25], 2, s8
	v_and_b32_e32 v3, s95, v22
	v_and_b32_e32 v4, s94, v21
	v_or_b32_e32 v22, s25, v3
	v_or_b32_e32 v21, s24, v4
	ds_read_b64 v[3:4], v16 offset:5120
	v_or_b32_e32 v24, s13, v24
	v_or_b32_e32 v23, s12, v23
	s_waitcnt lgkmcnt(0)
	v_cmp_ne_u64_e32 vcc, 0, v[3:4]
	s_cbranch_vccnz .LBB102_222
; %bb.219:                              ;   in Loop: Header=BB102_23 Depth=1
	s_and_saveexec_b64 s[24:25], s[0:1]
; %bb.220:                              ;   in Loop: Header=BB102_23 Depth=1
	v_mov_b32_e32 v3, s90
	v_mov_b32_e32 v4, s91
	ds_write_b64 v16, v[3:4] offset:5128
; %bb.221:                              ;   in Loop: Header=BB102_23 Depth=1
	s_or_b64 exec, exec, s[24:25]
	s_waitcnt lgkmcnt(0)
	s_barrier
.LBB102_222:                            ;   in Loop: Header=BB102_23 Depth=1
	s_or_saveexec_b64 s[22:23], s[22:23]
	s_mov_b64 s[24:25], 0
	v_mov_b32_e32 v13, 8
	s_xor_b64 exec, exec, s[22:23]
; %bb.223:                              ;   in Loop: Header=BB102_23 Depth=1
	v_subrev_co_u32_e32 v7, vcc, s90, v7
	v_mov_b32_e32 v3, s91
	v_subb_co_u32_e32 v8, vcc, v8, v3, vcc
	v_mov_b32_e32 v13, 0
	s_mov_b64 s[24:25], exec
; %bb.224:                              ;   in Loop: Header=BB102_23 Depth=1
	s_or_b64 exec, exec, s[22:23]
	v_mov_b32_e32 v10, v8
	s_and_b64 s[24:25], s[24:25], exec
	v_mov_b32_e32 v9, v7
.LBB102_225:                            ;   in Loop: Header=BB102_23 Depth=1
	s_or_b64 exec, exec, s[34:35]
	s_mov_b64 s[22:23], -1
                                        ; implicit-def: $sgpr40_sgpr41
                                        ; implicit-def: $sgpr54_sgpr55
	s_and_saveexec_b64 s[90:91], s[24:25]
	s_cbranch_execz .LBB102_272
; %bb.226:                              ;   in Loop: Header=BB102_23 Depth=1
	s_cmp_eq_u64 s[10:11], 1
	v_cmp_eq_u64_e32 vcc, 1, v[9:10]
	s_cselect_b64 s[22:23], -1, 0
	s_and_b64 s[34:35], s[22:23], vcc
	s_mov_b64 s[22:23], -1
                                        ; implicit-def: $sgpr40_sgpr41
                                        ; implicit-def: $sgpr54_sgpr55
	s_and_saveexec_b64 s[94:95], s[34:35]
	s_cbranch_execz .LBB102_260
; %bb.227:                              ;   in Loop: Header=BB102_23 Depth=1
	ds_read_b64 v[3:4], v16 offset:5120
	s_waitcnt lgkmcnt(0)
	s_barrier
	v_readfirstlane_b32 s46, v3
	v_readfirstlane_b32 s47, v4
	s_and_saveexec_b64 s[22:23], s[16:17]
; %bb.228:                              ;   in Loop: Header=BB102_23 Depth=1
	v_mov_b32_e32 v15, v16
	ds_write_b64 v33, v[15:16]
; %bb.229:                              ;   in Loop: Header=BB102_23 Depth=1
	s_or_b64 exec, exec, s[22:23]
	v_or_b32_e32 v22, s13, v22
	v_or_b32_e32 v21, s12, v21
	;; [unrolled: 1-line block ×4, first 2 shown]
	s_mov_b64 s[54:55], -1
	s_mov_b64 s[40:41], 0
	s_cmp_eq_u64 s[46:47], 0
	s_mov_b64 s[42:43], 0
	s_mov_b64 s[22:23], -1
	s_waitcnt lgkmcnt(0)
	s_barrier
                                        ; implicit-def: $vgpr5_vgpr6
	s_cbranch_scc1 .LBB102_245
; %bb.230:                              ;   in Loop: Header=BB102_23 Depth=1
	s_add_u32 s26, s46, s29
	s_addc_u32 s43, s47, s30
	s_mov_b32 s42, s59
	s_cmp_lg_u64 s[42:43], 0
	s_cbranch_scc0 .LBB102_279
; %bb.231:                              ;   in Loop: Header=BB102_23 Depth=1
	v_cvt_f32_u32_e32 v3, s33
	s_sub_u32 s24, 0, s33
	s_subb_u32 s25, 0, 0
	v_mac_f32_e32 v3, 0, v41
	v_rcp_f32_e32 v3, v3
	v_mul_f32_e32 v3, 0x5f7ffffc, v3
	v_mul_f32_e32 v4, 0x2f800000, v3
	v_trunc_f32_e32 v4, v4
	v_mac_f32_e32 v3, 0xcf800000, v4
	v_cvt_u32_f32_e32 v4, v4
	v_cvt_u32_f32_e32 v3, v3
	v_readfirstlane_b32 s27, v4
	v_readfirstlane_b32 s22, v3
	s_mul_i32 s23, s24, s27
	s_mul_hi_u32 s44, s24, s22
	s_mul_i32 s42, s25, s22
	s_add_i32 s23, s44, s23
	s_mul_i32 s45, s24, s22
	s_add_i32 s23, s23, s42
	s_mul_hi_u32 s44, s22, s45
	s_mul_i32 s58, s22, s23
	s_mul_hi_u32 s42, s22, s23
	s_add_u32 s44, s44, s58
	s_addc_u32 s42, 0, s42
	s_mul_hi_u32 s64, s27, s45
	s_mul_i32 s45, s27, s45
	s_add_u32 s44, s44, s45
	s_mul_hi_u32 s58, s27, s23
	s_addc_u32 s42, s42, s64
	s_addc_u32 s44, s58, 0
	s_mul_i32 s23, s27, s23
	s_add_u32 s23, s42, s23
	s_addc_u32 s42, 0, s44
	s_add_u32 s44, s22, s23
	s_cselect_b64 s[22:23], -1, 0
	s_cmp_lg_u64 s[22:23], 0
	s_addc_u32 s27, s27, s42
	s_mul_i32 s22, s24, s27
	s_mul_hi_u32 s23, s24, s44
	s_add_i32 s22, s23, s22
	s_mul_i32 s25, s25, s44
	s_add_i32 s22, s22, s25
	s_mul_i32 s24, s24, s44
	s_mul_hi_u32 s25, s27, s24
	s_mul_i32 s42, s27, s24
	s_mul_i32 s58, s44, s22
	s_mul_hi_u32 s24, s44, s24
	s_mul_hi_u32 s45, s44, s22
	s_add_u32 s24, s24, s58
	s_addc_u32 s45, 0, s45
	s_add_u32 s24, s24, s42
	s_mul_hi_u32 s23, s27, s22
	s_addc_u32 s24, s45, s25
	s_addc_u32 s23, s23, 0
	s_mul_i32 s22, s27, s22
	s_add_u32 s22, s24, s22
	s_addc_u32 s24, 0, s23
	s_add_u32 s25, s44, s22
	s_cselect_b64 s[22:23], -1, 0
	s_cmp_lg_u64 s[22:23], 0
	s_addc_u32 s22, s27, s24
	s_mul_i32 s24, s26, s22
	s_mul_hi_u32 s27, s26, s25
	s_mul_hi_u32 s23, s26, s22
	s_add_u32 s24, s27, s24
	s_addc_u32 s23, 0, s23
	s_mul_hi_u32 s42, s43, s25
	s_mul_i32 s25, s43, s25
	s_add_u32 s24, s24, s25
	s_mul_hi_u32 s27, s43, s22
	s_addc_u32 s23, s23, s42
	s_addc_u32 s24, s27, 0
	s_mul_i32 s22, s43, s22
	s_add_u32 s22, s23, s22
	s_addc_u32 s23, 0, s24
	s_mul_i32 s23, s33, s23
	s_mul_hi_u32 s24, s33, s22
	s_add_i32 s24, s24, s23
	s_mul_i32 s22, s33, s22
	s_sub_u32 s25, s26, s22
	s_cselect_b64 s[22:23], -1, 0
	s_cmp_lg_u64 s[22:23], 0
	s_subb_u32 s24, s43, s24
	s_sub_u32 s27, s25, s33
	s_cselect_b64 s[22:23], -1, 0
	s_cmp_lg_u64 s[22:23], 0
	s_subb_u32 s42, s24, 0
	;; [unrolled: 4-line block ×3, first 2 shown]
	s_cmp_ge_u32 s27, s33
	s_cselect_b32 s23, -1, 0
	s_cmp_eq_u32 s42, 0
	s_cselect_b32 s23, s23, -1
	s_cmp_lg_u32 s23, 0
	s_cselect_b32 s22, s22, s42
	s_cselect_b32 s27, s44, s27
	s_cmp_ge_u32 s25, s33
	s_cselect_b32 s23, -1, 0
	s_cmp_eq_u32 s24, 0
	s_cselect_b32 s23, s23, -1
	s_cmp_lg_u32 s23, 0
	s_cselect_b32 s23, s22, s24
	s_cselect_b32 s22, s27, s25
	s_cbranch_execnz .LBB102_233
.LBB102_232:                            ;   in Loop: Header=BB102_23 Depth=1
	v_cvt_f32_u32_e32 v3, s33
	s_sub_i32 s22, 0, s33
	v_rcp_iflag_f32_e32 v3, v3
	v_mul_f32_e32 v3, 0x4f7ffffe, v3
	v_cvt_u32_f32_e32 v3, v3
	v_readfirstlane_b32 s23, v3
	s_mul_i32 s22, s22, s23
	s_mul_hi_u32 s22, s23, s22
	s_add_i32 s23, s23, s22
	s_mul_hi_u32 s22, s26, s23
	s_mul_i32 s22, s22, s33
	s_sub_i32 s22, s26, s22
	s_sub_i32 s23, s22, s33
	s_cmp_ge_u32 s22, s33
	s_cselect_b32 s22, s23, s22
	s_sub_i32 s23, s22, s33
	s_cmp_ge_u32 s22, s33
	s_cselect_b32 s58, s23, s22
	s_mov_b64 s[22:23], s[58:59]
.LBB102_233:                            ;   in Loop: Header=BB102_23 Depth=1
	s_sub_u32 s24, s26, s22
	s_subb_u32 s25, s43, s23
	v_cmp_gt_u64_e32 vcc, s[24:25], v[0:1]
	s_mov_b64 s[22:23], 0
	s_mov_b64 s[42:43], 0
                                        ; implicit-def: $vgpr5_vgpr6
	s_and_saveexec_b64 s[44:45], vcc
	s_cbranch_execz .LBB102_244
; %bb.234:                              ;   in Loop: Header=BB102_23 Depth=1
	v_writelane_b32 v46, s68, 37
	v_writelane_b32 v46, s69, 38
	v_mov_b32_e32 v8, v1
	v_writelane_b32 v46, s70, 39
	s_mov_b64 s[26:27], 0
	v_mov_b32_e32 v11, v32
	v_mov_b32_e32 v7, v0
	v_writelane_b32 v46, s71, 40
                                        ; implicit-def: $sgpr42_sgpr43
	s_branch .LBB102_237
.LBB102_235:                            ;   in Loop: Header=BB102_237 Depth=2
	s_or_b64 exec, exec, s[68:69]
	s_waitcnt lgkmcnt(0)
	s_barrier
	ds_read_b128 v[3:6], v16 offset:3072
	s_mov_b64 s[68:69], -1
	s_mov_b64 s[70:71], -1
	s_waitcnt lgkmcnt(0)
	s_barrier
	v_cmp_ne_u64_e32 vcc, 0, v[3:4]
	s_cbranch_vccz .LBB102_240
.LBB102_236:                            ;   in Loop: Header=BB102_237 Depth=2
	s_and_b64 s[68:69], exec, s[68:69]
	s_or_b64 s[26:27], s[68:69], s[26:27]
	s_andn2_b64 s[42:43], s[42:43], exec
	s_and_b64 s[68:69], s[70:71], exec
	s_or_b64 s[42:43], s[42:43], s[68:69]
	s_andn2_b64 exec, exec, s[26:27]
	s_cbranch_execz .LBB102_243
.LBB102_237:                            ;   Parent Loop BB102_23 Depth=1
                                        ; =>  This Inner Loop Header: Depth=2
	v_cmp_gt_u64_e32 vcc, s[46:47], v[7:8]
	s_and_saveexec_b64 s[68:69], vcc
	s_cbranch_execz .LBB102_235
; %bb.238:                              ;   in Loop: Header=BB102_237 Depth=2
	ds_read_b64 v[4:5], v11
	s_waitcnt lgkmcnt(0)
	v_xor_b32_e32 v3, 0x80000000, v5
	v_and_b32_e32 v15, v3, v24
	v_and_b32_e32 v14, v4, v23
	v_cmp_eq_u64_e32 vcc, v[14:15], v[21:22]
	s_and_b64 exec, exec, vcc
	s_cbranch_execz .LBB102_235
; %bb.239:                              ;   in Loop: Header=BB102_237 Depth=2
	v_mov_b32_e32 v3, v16
	ds_write_b128 v16, v[2:5] offset:3072
	s_branch .LBB102_235
.LBB102_240:                            ;   in Loop: Header=BB102_237 Depth=2
	v_add_co_u32_e32 v7, vcc, s33, v7
	v_addc_co_u32_e32 v8, vcc, 0, v8, vcc
	v_cmp_le_u64_e32 vcc, s[24:25], v[7:8]
	v_add_u32_e32 v11, s3, v11
	s_mov_b64 s[70:71], 0
	s_orn2_b64 s[68:69], vcc, exec
	s_branch .LBB102_236
.LBB102_241:                            ;   in Loop: Header=BB102_23 Depth=1
                                        ; implicit-def: $sgpr22_sgpr23
	s_branch .LBB102_187
.LBB102_242:                            ;   in Loop: Header=BB102_23 Depth=1
                                        ; implicit-def: $sgpr22_sgpr23
	s_branch .LBB102_203
.LBB102_243:                            ;   in Loop: Header=BB102_23 Depth=1
	s_or_b64 exec, exec, s[26:27]
	v_readlane_b32 s68, v46, 37
	s_and_b64 s[42:43], s[42:43], exec
	v_readlane_b32 s69, v46, 38
	v_readlane_b32 s70, v46, 39
	;; [unrolled: 1-line block ×3, first 2 shown]
.LBB102_244:                            ;   in Loop: Header=BB102_23 Depth=1
	s_or_b64 exec, exec, s[44:45]
.LBB102_245:                            ;   in Loop: Header=BB102_23 Depth=1
	s_and_b64 vcc, exec, s[22:23]
	s_cbranch_vccz .LBB102_259
; %bb.246:                              ;   in Loop: Header=BB102_23 Depth=1
	s_mov_b32 s64, s59
	s_cmp_lg_u64 s[64:65], 0
	s_cbranch_scc0 .LBB102_280
; %bb.247:                              ;   in Loop: Header=BB102_23 Depth=1
	v_cvt_f32_u32_e32 v3, s33
	s_sub_u32 s24, 0, s33
	s_subb_u32 s25, 0, 0
	v_mac_f32_e32 v3, 0, v41
	v_rcp_f32_e32 v3, v3
	v_mul_f32_e32 v3, 0x5f7ffffc, v3
	v_mul_f32_e32 v4, 0x2f800000, v3
	v_trunc_f32_e32 v4, v4
	v_mac_f32_e32 v3, 0xcf800000, v4
	v_cvt_u32_f32_e32 v4, v4
	v_cvt_u32_f32_e32 v3, v3
	v_readfirstlane_b32 s26, v4
	v_readfirstlane_b32 s22, v3
	s_mul_i32 s23, s24, s26
	s_mul_hi_u32 s40, s24, s22
	s_mul_i32 s27, s25, s22
	s_add_i32 s23, s40, s23
	s_mul_i32 s41, s24, s22
	s_add_i32 s23, s23, s27
	s_mul_hi_u32 s40, s22, s41
	s_mul_i32 s44, s22, s23
	s_mul_hi_u32 s27, s22, s23
	s_add_u32 s40, s40, s44
	s_addc_u32 s27, 0, s27
	s_mul_hi_u32 s45, s26, s41
	s_mul_i32 s41, s26, s41
	s_add_u32 s40, s40, s41
	s_mul_hi_u32 s44, s26, s23
	s_addc_u32 s27, s27, s45
	s_addc_u32 s40, s44, 0
	s_mul_i32 s23, s26, s23
	s_add_u32 s23, s27, s23
	s_addc_u32 s27, 0, s40
	s_add_u32 s40, s22, s23
	s_cselect_b64 s[22:23], -1, 0
	s_cmp_lg_u64 s[22:23], 0
	s_addc_u32 s26, s26, s27
	s_mul_i32 s22, s24, s26
	s_mul_hi_u32 s23, s24, s40
	s_add_i32 s22, s23, s22
	s_mul_i32 s25, s25, s40
	s_add_i32 s22, s22, s25
	s_mul_i32 s24, s24, s40
	s_mul_hi_u32 s25, s26, s24
	s_mul_i32 s27, s26, s24
	s_mul_i32 s44, s40, s22
	s_mul_hi_u32 s24, s40, s24
	s_mul_hi_u32 s41, s40, s22
	s_add_u32 s24, s24, s44
	s_addc_u32 s41, 0, s41
	s_add_u32 s24, s24, s27
	s_mul_hi_u32 s23, s26, s22
	s_addc_u32 s24, s41, s25
	s_addc_u32 s23, s23, 0
	s_mul_i32 s22, s26, s22
	s_add_u32 s22, s24, s22
	s_addc_u32 s24, 0, s23
	s_add_u32 s25, s40, s22
	s_cselect_b64 s[22:23], -1, 0
	s_cmp_lg_u64 s[22:23], 0
	s_addc_u32 s22, s26, s24
	s_mul_i32 s24, s31, s22
	s_mul_hi_u32 s26, s31, s25
	s_mul_hi_u32 s23, s31, s22
	s_add_u32 s24, s26, s24
	s_addc_u32 s23, 0, s23
	s_mul_hi_u32 s27, s65, s25
	s_mul_i32 s25, s65, s25
	s_add_u32 s24, s24, s25
	s_mul_hi_u32 s26, s65, s22
	s_addc_u32 s23, s23, s27
	s_addc_u32 s24, s26, 0
	s_mul_i32 s22, s65, s22
	s_add_u32 s22, s23, s22
	s_addc_u32 s23, 0, s24
	s_mul_i32 s23, s33, s23
	s_mul_hi_u32 s24, s33, s22
	s_add_i32 s24, s24, s23
	s_mul_i32 s22, s33, s22
	s_sub_u32 s25, s31, s22
	s_cselect_b64 s[22:23], -1, 0
	s_cmp_lg_u64 s[22:23], 0
	s_subb_u32 s24, s65, s24
	s_sub_u32 s26, s25, s33
	s_cselect_b64 s[22:23], -1, 0
	s_cmp_lg_u64 s[22:23], 0
	s_subb_u32 s27, s24, 0
	;; [unrolled: 4-line block ×3, first 2 shown]
	s_cmp_ge_u32 s26, s33
	s_cselect_b32 s23, -1, 0
	s_cmp_eq_u32 s27, 0
	s_cselect_b32 s23, s23, -1
	s_cmp_lg_u32 s23, 0
	s_cselect_b32 s22, s22, s27
	s_cselect_b32 s26, s40, s26
	s_cmp_ge_u32 s25, s33
	s_cselect_b32 s23, -1, 0
	s_cmp_eq_u32 s24, 0
	s_cselect_b32 s23, s23, -1
	s_cmp_lg_u32 s23, 0
	s_cselect_b32 s23, s22, s24
	s_cselect_b32 s22, s26, s25
	s_cbranch_execnz .LBB102_249
.LBB102_248:                            ;   in Loop: Header=BB102_23 Depth=1
	v_cvt_f32_u32_e32 v3, s33
	s_sub_i32 s22, 0, s33
	v_rcp_iflag_f32_e32 v3, v3
	v_mul_f32_e32 v3, 0x4f7ffffe, v3
	v_cvt_u32_f32_e32 v3, v3
	v_readfirstlane_b32 s23, v3
	s_mul_i32 s22, s22, s23
	s_mul_hi_u32 s22, s23, s22
	s_add_i32 s23, s23, s22
	s_mul_hi_u32 s22, s31, s23
	s_mul_i32 s22, s22, s33
	s_sub_i32 s22, s31, s22
	s_sub_i32 s23, s22, s33
	s_cmp_ge_u32 s22, s33
	s_cselect_b32 s22, s23, s22
	s_sub_i32 s23, s22, s33
	s_cmp_ge_u32 s22, s33
	s_cselect_b32 s58, s23, s22
	s_mov_b64 s[22:23], s[58:59]
.LBB102_249:                            ;   in Loop: Header=BB102_23 Depth=1
	s_sub_u32 s40, s31, s22
	s_subb_u32 s41, s65, s23
	v_cmp_gt_u64_e32 vcc, s[40:41], v[0:1]
                                        ; implicit-def: $vgpr5_vgpr6
	s_and_saveexec_b64 s[22:23], vcc
	s_cbranch_execz .LBB102_258
; %bb.250:                              ;   in Loop: Header=BB102_23 Depth=1
	v_mov_b32_e32 v8, v1
	s_mov_b64 s[24:25], 0
	v_mov_b32_e32 v7, v0
                                        ; implicit-def: $sgpr26_sgpr27
	s_branch .LBB102_253
.LBB102_251:                            ;   in Loop: Header=BB102_253 Depth=2
	s_or_b64 exec, exec, s[44:45]
	s_waitcnt lgkmcnt(0)
	s_barrier
	ds_read_b128 v[3:6], v16 offset:3072
	s_mov_b64 s[46:47], -1
	s_mov_b64 s[44:45], -1
	s_waitcnt lgkmcnt(0)
	s_barrier
	v_cmp_eq_u64_e32 vcc, 0, v[3:4]
	s_cbranch_vccnz .LBB102_256
.LBB102_252:                            ;   in Loop: Header=BB102_253 Depth=2
	s_and_b64 s[46:47], exec, s[46:47]
	s_or_b64 s[24:25], s[46:47], s[24:25]
	s_andn2_b64 s[26:27], s[26:27], exec
	s_and_b64 s[44:45], s[44:45], exec
	s_or_b64 s[26:27], s[26:27], s[44:45]
	s_andn2_b64 exec, exec, s[24:25]
	s_cbranch_execz .LBB102_257
.LBB102_253:                            ;   Parent Loop BB102_23 Depth=1
                                        ; =>  This Inner Loop Header: Depth=2
	v_cmp_gt_u64_e32 vcc, s[20:21], v[7:8]
	s_and_saveexec_b64 s[44:45], vcc
	s_cbranch_execz .LBB102_251
; %bb.254:                              ;   in Loop: Header=BB102_253 Depth=2
	v_mul_lo_u32 v5, v8, s48
	v_mul_lo_u32 v6, v7, s49
	v_mad_u64_u32 v[3:4], s[46:47], v7, s48, 0
	v_add3_u32 v4, v4, v6, v5
	v_lshlrev_b64 v[3:4], 3, v[3:4]
	v_mov_b32_e32 v5, s28
	v_add_co_u32_e32 v3, vcc, s19, v3
	v_addc_co_u32_e32 v4, vcc, v5, v4, vcc
	global_load_dwordx2 v[4:5], v[3:4], off
	s_waitcnt vmcnt(0)
	v_xor_b32_e32 v3, 0x80000000, v5
	v_and_b32_e32 v12, v3, v24
	v_and_b32_e32 v11, v4, v23
	v_cmp_eq_u64_e32 vcc, v[11:12], v[21:22]
	s_and_b64 exec, exec, vcc
	s_cbranch_execz .LBB102_251
; %bb.255:                              ;   in Loop: Header=BB102_253 Depth=2
	v_mov_b32_e32 v3, v16
	ds_write_b128 v16, v[2:5] offset:3072
	s_branch .LBB102_251
.LBB102_256:                            ;   in Loop: Header=BB102_253 Depth=2
	v_add_co_u32_e32 v7, vcc, s33, v7
	v_addc_co_u32_e32 v8, vcc, 0, v8, vcc
	v_cmp_le_u64_e32 vcc, s[40:41], v[7:8]
	s_mov_b64 s[44:45], 0
	s_orn2_b64 s[46:47], vcc, exec
	s_branch .LBB102_252
.LBB102_257:                            ;   in Loop: Header=BB102_23 Depth=1
	s_or_b64 exec, exec, s[24:25]
	s_andn2_b64 s[24:25], s[42:43], exec
	s_and_b64 s[26:27], s[26:27], exec
	s_or_b64 s[42:43], s[24:25], s[26:27]
.LBB102_258:                            ;   in Loop: Header=BB102_23 Depth=1
	s_or_b64 exec, exec, s[22:23]
	s_mov_b64 s[54:55], 0
	s_mov_b64 s[40:41], -1
.LBB102_259:                            ;   in Loop: Header=BB102_23 Depth=1
	s_orn2_b64 s[22:23], s[42:43], exec
.LBB102_260:                            ;   in Loop: Header=BB102_23 Depth=1
	s_or_b64 exec, exec, s[94:95]
	s_mov_b64 s[24:25], 0
	s_and_saveexec_b64 s[42:43], s[22:23]
	s_cbranch_execz .LBB102_271
; %bb.261:                              ;   in Loop: Header=BB102_23 Depth=1
	v_mov_b32_e32 v3, 1
	s_xor_b64 s[22:23], s[34:35], -1
	v_mov_b32_e32 v4, 0
	v_mov_b32_e32 v13, 1
	s_and_saveexec_b64 s[34:35], s[22:23]
	s_cbranch_execz .LBB102_270
; %bb.262:                              ;   in Loop: Header=BB102_23 Depth=1
	v_cmp_ge_u64_e32 vcc, s[10:11], v[9:10]
	s_and_saveexec_b64 s[22:23], vcc
	s_xor_b64 s[22:23], exec, s[22:23]
	s_cbranch_execz .LBB102_267
; %bb.263:                              ;   in Loop: Header=BB102_23 Depth=1
	ds_read_b64 v[3:4], v16 offset:5120
	v_or_b32_e32 v22, s13, v22
	v_or_b32_e32 v21, s12, v21
	;; [unrolled: 1-line block ×4, first 2 shown]
	s_waitcnt lgkmcnt(0)
	v_cmp_ne_u64_e32 vcc, 0, v[3:4]
	s_cbranch_vccnz .LBB102_267
; %bb.264:                              ;   in Loop: Header=BB102_23 Depth=1
	s_and_saveexec_b64 s[12:13], s[0:1]
; %bb.265:                              ;   in Loop: Header=BB102_23 Depth=1
	v_mov_b32_e32 v3, s10
	v_mov_b32_e32 v4, s11
	ds_write_b64 v16, v[3:4] offset:5128
; %bb.266:                              ;   in Loop: Header=BB102_23 Depth=1
	s_or_b64 exec, exec, s[12:13]
	s_waitcnt lgkmcnt(0)
	s_barrier
.LBB102_267:                            ;   in Loop: Header=BB102_23 Depth=1
	s_andn2_saveexec_b64 s[12:13], s[22:23]
; %bb.268:                              ;   in Loop: Header=BB102_23 Depth=1
	v_mov_b32_e32 v3, s11
	v_subrev_co_u32_e32 v9, vcc, s10, v9
	v_subb_co_u32_e32 v10, vcc, v10, v3, vcc
; %bb.269:                              ;   in Loop: Header=BB102_23 Depth=1
	s_or_b64 exec, exec, s[12:13]
	v_mov_b32_e32 v3, v9
	v_mov_b32_e32 v13, 8
	;; [unrolled: 1-line block ×3, first 2 shown]
.LBB102_270:                            ;   in Loop: Header=BB102_23 Depth=1
	s_or_b64 exec, exec, s[34:35]
	v_mov_b32_e32 v10, v4
	s_mov_b64 s[24:25], exec
	v_mov_b32_e32 v9, v3
.LBB102_271:                            ;   in Loop: Header=BB102_23 Depth=1
	s_or_b64 exec, exec, s[42:43]
	s_orn2_b64 s[22:23], s[24:25], exec
.LBB102_272:                            ;   in Loop: Header=BB102_23 Depth=1
	s_or_b64 exec, exec, s[90:91]
	s_andn2_b64 s[10:11], s[38:39], exec
	s_and_b64 s[12:13], s[40:41], exec
	s_or_b64 s[38:39], s[10:11], s[12:13]
	s_andn2_b64 s[10:11], s[36:37], exec
	s_and_b64 s[12:13], s[54:55], exec
	v_mov_b32_e32 v7, v9
	s_or_b64 s[36:37], s[10:11], s[12:13]
	s_and_b64 s[24:25], s[22:23], exec
	v_mov_b32_e32 v8, v10
.LBB102_273:                            ;   in Loop: Header=BB102_23 Depth=1
	s_or_b64 exec, exec, s[56:57]
	s_orn2_b64 s[22:23], s[24:25], exec
.LBB102_274:                            ;   in Loop: Header=BB102_23 Depth=1
	s_or_b64 exec, exec, s[50:51]
	s_andn2_b64 s[10:11], s[92:93], exec
	s_and_b64 s[12:13], s[38:39], exec
	s_or_b64 s[92:93], s[10:11], s[12:13]
	s_andn2_b64 s[6:7], s[6:7], exec
	s_and_b64 s[10:11], s[36:37], exec
	v_mov_b32_e32 v12, v8
	s_or_b64 s[6:7], s[6:7], s[10:11]
	s_and_b64 s[24:25], s[22:23], exec
	v_mov_b32_e32 v11, v7
.LBB102_275:                            ;   in Loop: Header=BB102_23 Depth=1
	s_or_b64 exec, exec, s[52:53]
	s_orn2_b64 s[22:23], s[24:25], exec
.LBB102_276:                            ;   in Loop: Header=BB102_23 Depth=1
	s_or_b64 exec, exec, s[88:89]
	s_mov_b64 s[12:13], 0
	s_and_saveexec_b64 s[10:11], s[22:23]
	s_xor_b64 s[10:11], exec, s[10:11]
	s_cbranch_execz .LBB102_21
; %bb.277:                              ;   in Loop: Header=BB102_23 Depth=1
	v_and_b32_e32 v3, 7, v13
	v_cmp_eq_u32_e32 vcc, 0, v3
	s_mov_b64 s[22:23], -1
	s_mov_b64 s[12:13], -1
	s_and_saveexec_b64 s[24:25], vcc
	s_cbranch_execz .LBB102_20
; %bb.278:                              ;   in Loop: Header=BB102_23 Depth=1
	s_xor_b32 s9, s9, 1
	s_add_i32 s26, s8, -2
	s_cmp_eq_u32 s8, 0
	s_cselect_b64 s[22:23], -1, 0
	s_xor_b64 s[12:13], exec, -1
	s_orn2_b64 s[22:23], s[22:23], exec
	s_mov_b32 s8, s26
	s_branch .LBB102_20
.LBB102_279:                            ;   in Loop: Header=BB102_23 Depth=1
                                        ; implicit-def: $sgpr22_sgpr23
	s_branch .LBB102_232
.LBB102_280:                            ;   in Loop: Header=BB102_23 Depth=1
                                        ; implicit-def: $sgpr22_sgpr23
	s_branch .LBB102_248
.LBB102_281:
	s_or_b64 exec, exec, s[72:73]
	s_xor_b64 s[8:9], s[78:79], -1
	s_xor_b64 s[0:1], s[74:75], -1
	;; [unrolled: 1-line block ×3, first 2 shown]
	s_mov_b64 s[4:5], 0
	s_and_saveexec_b64 s[2:3], s[0:1]
	s_xor_b64 s[0:1], exec, s[2:3]
	s_cbranch_execnz .LBB102_286
; %bb.282:
	s_andn2_saveexec_b64 s[0:1], s[0:1]
	s_cbranch_execnz .LBB102_299
.LBB102_283:
	s_or_b64 exec, exec, s[0:1]
	s_and_saveexec_b64 s[0:1], s[4:5]
.LBB102_284:
	; divergent unreachable
.LBB102_285:
	s_endpgm
.LBB102_286:
	s_and_saveexec_b64 s[2:3], s[8:9]
	s_xor_b64 s[4:5], exec, s[2:3]
	s_cbranch_execz .LBB102_297
; %bb.287:
	s_and_saveexec_b64 s[2:3], s[6:7]
	s_xor_b64 s[6:7], exec, s[2:3]
; %bb.288:
	v_xor_b32_e32 v22, 0x80000000, v22
	v_mov_b32_e32 v5, v21
	v_mov_b32_e32 v6, v22
; %bb.289:
	s_or_b64 exec, exec, s[6:7]
	v_readlane_b32 s8, v46, 6
	v_readlane_b32 s2, v46, 2
	;; [unrolled: 1-line block ×4, first 2 shown]
	s_mov_b32 s14, s2
	s_mul_i32 s2, s2, s9
	s_mul_hi_u32 s3, s14, s8
	s_add_i32 s3, s3, s2
	s_mul_i32 s2, s14, s8
	v_readlane_b32 s12, v46, 4
	v_readlane_b32 s24, v46, 20
	;; [unrolled: 1-line block ×3, first 2 shown]
	s_sub_u32 s2, s12, s2
	v_readlane_b32 s26, v46, 22
	v_readlane_b32 s27, v46, 23
	s_subb_u32 s3, s13, s3
	s_mul_i32 s6, s2, s27
	s_mul_hi_u32 s7, s2, s26
	v_readlane_b32 s10, v46, 8
	v_readlane_b32 s11, v46, 9
	;; [unrolled: 1-line block ×3, first 2 shown]
	s_add_i32 s6, s7, s6
	s_mul_i32 s3, s3, s26
	s_add_i32 s3, s6, s3
	s_mul_i32 s6, s14, s25
	s_mul_hi_u32 s7, s14, s24
	s_mul_i32 s8, s12, s11
	s_mul_hi_u32 s9, s12, s10
	s_add_i32 s7, s7, s6
	s_add_i32 s9, s9, s8
	s_mul_i32 s8, s12, s10
	v_readlane_b32 s12, v46, 18
	s_sub_u32 s8, s18, s8
	v_readlane_b32 s13, v46, 19
	s_subb_u32 s9, 0, s9
	s_mul_i32 s10, s8, s13
	s_mul_hi_u32 s11, s8, s12
	s_mul_i32 s6, s14, s24
	s_add_i32 s10, s11, s10
	s_mul_i32 s9, s9, s12
	s_add_i32 s9, s10, s9
	s_lshl_b64 s[6:7], s[6:7], 3
	v_readlane_b32 s10, v46, 26
	s_mul_i32 s2, s2, s26
	v_readlane_b32 s11, v46, 27
	s_add_u32 s6, s10, s6
	s_addc_u32 s7, s11, s7
	s_lshl_b64 s[2:3], s[2:3], 3
	s_mul_i32 s8, s8, s12
	s_add_u32 s6, s6, s2
	s_addc_u32 s7, s7, s3
	s_lshl_b64 s[2:3], s[8:9], 3
	s_add_u32 s2, s6, s2
	s_addc_u32 s3, s7, s3
	v_mov_b32_e32 v2, 0
	global_store_dwordx2 v2, v[5:6], s[2:3]
	s_mov_b64 s[6:7], exec
	v_readlane_b32 s2, v46, 28
	v_readlane_b32 s3, v46, 29
	s_and_b64 s[2:3], s[6:7], s[2:3]
	s_mov_b64 exec, s[2:3]
	s_cbranch_execz .LBB102_296
; %bb.290:
	s_mov_b64 s[2:3], 0
	v_mov_b32_e32 v4, s28
                                        ; implicit-def: $sgpr8_sgpr9
                                        ; implicit-def: $sgpr12_sgpr13
                                        ; implicit-def: $sgpr10_sgpr11
	s_branch .LBB102_292
.LBB102_291:                            ;   in Loop: Header=BB102_292 Depth=1
	s_or_b64 exec, exec, s[14:15]
	s_and_b64 s[14:15], exec, s[12:13]
	s_or_b64 s[2:3], s[14:15], s[2:3]
	s_andn2_b64 s[8:9], s[8:9], exec
	s_and_b64 s[14:15], s[10:11], exec
	s_or_b64 s[8:9], s[8:9], s[14:15]
	s_andn2_b64 exec, exec, s[2:3]
	s_cbranch_execz .LBB102_294
.LBB102_292:                            ; =>This Inner Loop Header: Depth=1
	v_mov_b32_e32 v3, v1
	v_mov_b32_e32 v2, v0
	v_mul_lo_u32 v7, v3, s48
	v_mul_lo_u32 v8, v2, s49
	v_mad_u64_u32 v[0:1], s[14:15], v2, s48, 0
	s_or_b64 s[10:11], s[10:11], exec
	s_or_b64 s[12:13], s[12:13], exec
	v_add3_u32 v1, v1, v8, v7
	v_lshlrev_b64 v[0:1], 3, v[0:1]
	v_add_co_u32_e32 v0, vcc, s19, v0
	v_addc_co_u32_e32 v1, vcc, v4, v1, vcc
	global_load_dwordx2 v[0:1], v[0:1], off
	s_waitcnt vmcnt(0)
	v_cmp_ne_u64_e32 vcc, v[0:1], v[5:6]
                                        ; implicit-def: $vgpr0_vgpr1
	s_and_saveexec_b64 s[14:15], vcc
	s_cbranch_execz .LBB102_291
; %bb.293:                              ;   in Loop: Header=BB102_292 Depth=1
	v_add_co_u32_e32 v0, vcc, s33, v2
	v_addc_co_u32_e32 v1, vcc, 0, v3, vcc
	v_cmp_le_u64_e32 vcc, s[20:21], v[0:1]
	s_andn2_b64 s[12:13], s[12:13], exec
	s_and_b64 s[16:17], vcc, exec
	s_andn2_b64 s[10:11], s[10:11], exec
	s_or_b64 s[12:13], s[12:13], s[16:17]
	s_branch .LBB102_291
.LBB102_294:
	s_or_b64 exec, exec, s[2:3]
	s_and_saveexec_b64 s[2:3], s[8:9]
	s_xor_b64 s[2:3], exec, s[2:3]
	s_cbranch_execz .LBB102_296
; %bb.295:
	v_readlane_b32 s2, v46, 0
	v_readlane_b32 s3, v46, 1
	s_mov_b32 s10, s2
	s_mul_i32 s2, s2, s69
	s_mul_hi_u32 s3, s10, s68
	s_add_i32 s3, s3, s2
	s_mul_i32 s2, s10, s68
	v_readlane_b32 s12, v46, 10
	v_readlane_b32 s20, v46, 14
	;; [unrolled: 1-line block ×3, first 2 shown]
	s_sub_u32 s2, s12, s2
	v_readlane_b32 s22, v46, 16
	v_readlane_b32 s23, v46, 17
	s_subb_u32 s3, s13, s3
	s_mul_i32 s8, s2, s23
	s_mul_hi_u32 s9, s2, s22
	v_readlane_b32 s21, v46, 15
	s_add_i32 s8, s9, s8
	s_mul_i32 s3, s3, s22
	s_add_i32 s3, s8, s3
	s_mul_i32 s8, s10, s21
	s_mul_hi_u32 s9, s10, s20
	s_add_i32 s9, s9, s8
	s_mul_i32 s8, s10, s20
	s_mul_i32 s10, s12, s71
	s_mul_hi_u32 s11, s12, s70
	s_add_i32 s11, s11, s10
	s_mul_i32 s10, s12, s70
	v_readlane_b32 s14, v46, 12
	s_sub_u32 s10, s18, s10
	v_readlane_b32 s15, v46, 13
	s_subb_u32 s11, 0, s11
	s_mul_i32 s12, s10, s15
	s_mul_hi_u32 s13, s10, s14
	s_add_i32 s12, s13, s12
	s_mul_i32 s11, s11, s14
	s_add_i32 s11, s12, s11
	s_lshl_b64 s[8:9], s[8:9], 3
	v_readlane_b32 s12, v46, 24
	s_mul_i32 s2, s2, s22
	v_readlane_b32 s13, v46, 25
	s_add_u32 s8, s12, s8
	s_addc_u32 s9, s13, s9
	s_lshl_b64 s[2:3], s[2:3], 3
	s_mul_i32 s10, s10, s14
	s_add_u32 s8, s8, s2
	s_addc_u32 s9, s9, s3
	s_lshl_b64 s[2:3], s[10:11], 3
	s_add_u32 s2, s8, s2
	s_addc_u32 s3, s9, s3
	v_mov_b32_e32 v0, 0
	global_store_dwordx2 v0, v[2:3], s[2:3]
.LBB102_296:
	s_or_b64 exec, exec, s[6:7]
.LBB102_297:
	s_or_saveexec_b64 s[2:3], s[4:5]
	s_mov_b64 s[4:5], 0
	s_xor_b64 exec, exec, s[2:3]
	s_cbranch_execnz .LBB102_300
.LBB102_298:
	s_or_b64 exec, exec, s[2:3]
	s_and_b64 s[4:5], s[4:5], exec
	s_andn2_saveexec_b64 s[0:1], s[0:1]
	s_cbranch_execz .LBB102_283
.LBB102_299:
	s_or_b64 s[4:5], s[4:5], exec
	s_trap 2
	s_or_b64 exec, exec, s[0:1]
	s_and_saveexec_b64 s[0:1], s[4:5]
	s_cbranch_execnz .LBB102_284
	s_branch .LBB102_285
.LBB102_300:
	s_mov_b64 s[4:5], exec
	s_trap 2
	s_branch .LBB102_298
	.section	.rodata,"a",@progbits
	.p2align	6, 0x0
	.amdhsa_kernel _ZN2at6native12_GLOBAL__N_112gatherMedianIlmLi3EEEvNS_4cuda6detail10TensorInfoIT_T0_EENS5_IlS7_EENS5_IKS6_S7_EES7_S7_S7_b
		.amdhsa_group_segment_fixed_size 5152
		.amdhsa_private_segment_fixed_size 0
		.amdhsa_kernarg_size 1536
		.amdhsa_user_sgpr_count 6
		.amdhsa_user_sgpr_private_segment_buffer 1
		.amdhsa_user_sgpr_dispatch_ptr 0
		.amdhsa_user_sgpr_queue_ptr 0
		.amdhsa_user_sgpr_kernarg_segment_ptr 1
		.amdhsa_user_sgpr_dispatch_id 0
		.amdhsa_user_sgpr_flat_scratch_init 0
		.amdhsa_user_sgpr_private_segment_size 0
		.amdhsa_uses_dynamic_stack 0
		.amdhsa_system_sgpr_private_segment_wavefront_offset 0
		.amdhsa_system_sgpr_workgroup_id_x 1
		.amdhsa_system_sgpr_workgroup_id_y 1
		.amdhsa_system_sgpr_workgroup_id_z 1
		.amdhsa_system_sgpr_workgroup_info 0
		.amdhsa_system_vgpr_workitem_id 0
		.amdhsa_next_free_vgpr 47
		.amdhsa_next_free_sgpr 96
		.amdhsa_reserve_vcc 1
		.amdhsa_reserve_flat_scratch 0
		.amdhsa_float_round_mode_32 0
		.amdhsa_float_round_mode_16_64 0
		.amdhsa_float_denorm_mode_32 3
		.amdhsa_float_denorm_mode_16_64 3
		.amdhsa_dx10_clamp 1
		.amdhsa_ieee_mode 1
		.amdhsa_fp16_overflow 0
		.amdhsa_exception_fp_ieee_invalid_op 0
		.amdhsa_exception_fp_denorm_src 0
		.amdhsa_exception_fp_ieee_div_zero 0
		.amdhsa_exception_fp_ieee_overflow 0
		.amdhsa_exception_fp_ieee_underflow 0
		.amdhsa_exception_fp_ieee_inexact 0
		.amdhsa_exception_int_div_zero 0
	.end_amdhsa_kernel
	.section	.text._ZN2at6native12_GLOBAL__N_112gatherMedianIlmLi3EEEvNS_4cuda6detail10TensorInfoIT_T0_EENS5_IlS7_EENS5_IKS6_S7_EES7_S7_S7_b,"axG",@progbits,_ZN2at6native12_GLOBAL__N_112gatherMedianIlmLi3EEEvNS_4cuda6detail10TensorInfoIT_T0_EENS5_IlS7_EENS5_IKS6_S7_EES7_S7_S7_b,comdat
.Lfunc_end102:
	.size	_ZN2at6native12_GLOBAL__N_112gatherMedianIlmLi3EEEvNS_4cuda6detail10TensorInfoIT_T0_EENS5_IlS7_EENS5_IKS6_S7_EES7_S7_S7_b, .Lfunc_end102-_ZN2at6native12_GLOBAL__N_112gatherMedianIlmLi3EEEvNS_4cuda6detail10TensorInfoIT_T0_EENS5_IlS7_EENS5_IKS6_S7_EES7_S7_S7_b
                                        ; -- End function
	.set _ZN2at6native12_GLOBAL__N_112gatherMedianIlmLi3EEEvNS_4cuda6detail10TensorInfoIT_T0_EENS5_IlS7_EENS5_IKS6_S7_EES7_S7_S7_b.num_vgpr, 47
	.set _ZN2at6native12_GLOBAL__N_112gatherMedianIlmLi3EEEvNS_4cuda6detail10TensorInfoIT_T0_EENS5_IlS7_EENS5_IKS6_S7_EES7_S7_S7_b.num_agpr, 0
	.set _ZN2at6native12_GLOBAL__N_112gatherMedianIlmLi3EEEvNS_4cuda6detail10TensorInfoIT_T0_EENS5_IlS7_EENS5_IKS6_S7_EES7_S7_S7_b.numbered_sgpr, 96
	.set _ZN2at6native12_GLOBAL__N_112gatherMedianIlmLi3EEEvNS_4cuda6detail10TensorInfoIT_T0_EENS5_IlS7_EENS5_IKS6_S7_EES7_S7_S7_b.num_named_barrier, 0
	.set _ZN2at6native12_GLOBAL__N_112gatherMedianIlmLi3EEEvNS_4cuda6detail10TensorInfoIT_T0_EENS5_IlS7_EENS5_IKS6_S7_EES7_S7_S7_b.private_seg_size, 0
	.set _ZN2at6native12_GLOBAL__N_112gatherMedianIlmLi3EEEvNS_4cuda6detail10TensorInfoIT_T0_EENS5_IlS7_EENS5_IKS6_S7_EES7_S7_S7_b.uses_vcc, 1
	.set _ZN2at6native12_GLOBAL__N_112gatherMedianIlmLi3EEEvNS_4cuda6detail10TensorInfoIT_T0_EENS5_IlS7_EENS5_IKS6_S7_EES7_S7_S7_b.uses_flat_scratch, 0
	.set _ZN2at6native12_GLOBAL__N_112gatherMedianIlmLi3EEEvNS_4cuda6detail10TensorInfoIT_T0_EENS5_IlS7_EENS5_IKS6_S7_EES7_S7_S7_b.has_dyn_sized_stack, 0
	.set _ZN2at6native12_GLOBAL__N_112gatherMedianIlmLi3EEEvNS_4cuda6detail10TensorInfoIT_T0_EENS5_IlS7_EENS5_IKS6_S7_EES7_S7_S7_b.has_recursion, 0
	.set _ZN2at6native12_GLOBAL__N_112gatherMedianIlmLi3EEEvNS_4cuda6detail10TensorInfoIT_T0_EENS5_IlS7_EENS5_IKS6_S7_EES7_S7_S7_b.has_indirect_call, 0
	.section	.AMDGPU.csdata,"",@progbits
; Kernel info:
; codeLenInByte = 15664
; TotalNumSgprs: 100
; NumVgprs: 47
; ScratchSize: 0
; MemoryBound: 0
; FloatMode: 240
; IeeeMode: 1
; LDSByteSize: 5152 bytes/workgroup (compile time only)
; SGPRBlocks: 12
; VGPRBlocks: 11
; NumSGPRsForWavesPerEU: 100
; NumVGPRsForWavesPerEU: 47
; Occupancy: 5
; WaveLimiterHint : 1
; COMPUTE_PGM_RSRC2:SCRATCH_EN: 0
; COMPUTE_PGM_RSRC2:USER_SGPR: 6
; COMPUTE_PGM_RSRC2:TRAP_HANDLER: 0
; COMPUTE_PGM_RSRC2:TGID_X_EN: 1
; COMPUTE_PGM_RSRC2:TGID_Y_EN: 1
; COMPUTE_PGM_RSRC2:TGID_Z_EN: 1
; COMPUTE_PGM_RSRC2:TIDIG_COMP_CNT: 0
	.section	.text._ZN2at6native12_GLOBAL__N_112gatherMedianIlmLin1EEEvNS_4cuda6detail10TensorInfoIT_T0_EENS5_IlS7_EENS5_IKS6_S7_EES7_S7_S7_b,"axG",@progbits,_ZN2at6native12_GLOBAL__N_112gatherMedianIlmLin1EEEvNS_4cuda6detail10TensorInfoIT_T0_EENS5_IlS7_EENS5_IKS6_S7_EES7_S7_S7_b,comdat
	.globl	_ZN2at6native12_GLOBAL__N_112gatherMedianIlmLin1EEEvNS_4cuda6detail10TensorInfoIT_T0_EENS5_IlS7_EENS5_IKS6_S7_EES7_S7_S7_b ; -- Begin function _ZN2at6native12_GLOBAL__N_112gatherMedianIlmLin1EEEvNS_4cuda6detail10TensorInfoIT_T0_EENS5_IlS7_EENS5_IKS6_S7_EES7_S7_S7_b
	.p2align	8
	.type	_ZN2at6native12_GLOBAL__N_112gatherMedianIlmLin1EEEvNS_4cuda6detail10TensorInfoIT_T0_EENS5_IlS7_EENS5_IKS6_S7_EES7_S7_S7_b,@function
_ZN2at6native12_GLOBAL__N_112gatherMedianIlmLin1EEEvNS_4cuda6detail10TensorInfoIT_T0_EENS5_IlS7_EENS5_IKS6_S7_EES7_S7_S7_b: ; @_ZN2at6native12_GLOBAL__N_112gatherMedianIlmLin1EEEvNS_4cuda6detail10TensorInfoIT_T0_EENS5_IlS7_EENS5_IKS6_S7_EES7_S7_S7_b
; %bb.0:
	s_load_dwordx2 s[10:11], s[4:5], 0x500
	s_load_dwordx4 s[20:23], s[4:5], 0x4e0
	s_add_u32 s12, s4, 0x500
	s_addc_u32 s13, s5, 0
	s_mov_b32 s1, 0
	s_waitcnt lgkmcnt(0)
	s_mul_i32 s0, s11, s8
	s_add_i32 s0, s0, s7
	s_mul_i32 s0, s0, s10
	s_add_i32 s0, s0, s6
	v_mov_b32_e32 v2, s1
	v_mov_b32_e32 v1, s0
	v_cmp_le_u64_e32 vcc, s[22:23], v[1:2]
	s_cbranch_vccnz .LBB103_298
; %bb.1:
	s_load_dword s2, s[4:5], 0x198
	s_load_dwordx2 s[24:25], s[4:5], 0x4f0
	s_mov_b64 s[22:23], 0
	s_mov_b64 s[28:29], s[0:1]
	s_waitcnt lgkmcnt(0)
	s_cmp_lt_i32 s2, 2
	s_cbranch_scc1 .LBB103_9
; %bb.2:
	s_add_i32 s7, s2, 1
	s_add_i32 s8, s2, -1
	s_mov_b32 s2, 0
	s_mov_b32 s9, s2
	s_lshl_b64 s[8:9], s[8:9], 3
	s_add_u32 s3, s4, s8
	s_addc_u32 s9, s5, s9
	s_add_u32 s8, s3, 8
	s_addc_u32 s9, s9, 0
	s_mov_b64 s[14:15], s[0:1]
.LBB103_3:                              ; =>This Inner Loop Header: Depth=1
	s_load_dwordx2 s[16:17], s[8:9], 0x0
	s_waitcnt lgkmcnt(0)
	s_or_b64 s[18:19], s[14:15], s[16:17]
	s_mov_b32 s3, s19
	s_cmp_lg_u64 s[2:3], 0
	s_cbranch_scc0 .LBB103_8
; %bb.4:                                ;   in Loop: Header=BB103_3 Depth=1
	v_cvt_f32_u32_e32 v1, s16
	v_cvt_f32_u32_e32 v2, s17
	s_sub_u32 s3, 0, s16
	s_subb_u32 s11, 0, s17
	v_mac_f32_e32 v1, 0x4f800000, v2
	v_rcp_f32_e32 v1, v1
	v_mul_f32_e32 v1, 0x5f7ffffc, v1
	v_mul_f32_e32 v2, 0x2f800000, v1
	v_trunc_f32_e32 v2, v2
	v_mac_f32_e32 v1, 0xcf800000, v2
	v_cvt_u32_f32_e32 v2, v2
	v_cvt_u32_f32_e32 v1, v1
	v_readfirstlane_b32 s26, v2
	v_readfirstlane_b32 s18, v1
	s_mul_i32 s19, s3, s26
	s_mul_hi_u32 s28, s3, s18
	s_mul_i32 s27, s11, s18
	s_add_i32 s19, s28, s19
	s_mul_i32 s29, s3, s18
	s_add_i32 s19, s19, s27
	s_mul_i32 s28, s18, s19
	s_mul_hi_u32 s30, s18, s29
	s_mul_hi_u32 s27, s18, s19
	s_add_u32 s28, s30, s28
	s_addc_u32 s27, 0, s27
	s_mul_hi_u32 s31, s26, s29
	s_mul_i32 s29, s26, s29
	s_add_u32 s28, s28, s29
	s_mul_hi_u32 s30, s26, s19
	s_addc_u32 s27, s27, s31
	s_addc_u32 s28, s30, 0
	s_mul_i32 s19, s26, s19
	s_add_u32 s19, s27, s19
	s_addc_u32 s27, 0, s28
	s_add_u32 s28, s18, s19
	s_cselect_b64 s[18:19], -1, 0
	s_cmp_lg_u64 s[18:19], 0
	s_addc_u32 s26, s26, s27
	s_mul_i32 s18, s3, s26
	s_mul_hi_u32 s19, s3, s28
	s_add_i32 s18, s19, s18
	s_mul_i32 s11, s11, s28
	s_add_i32 s18, s18, s11
	s_mul_i32 s3, s3, s28
	s_mul_hi_u32 s19, s26, s3
	s_mul_i32 s27, s26, s3
	s_mul_i32 s30, s28, s18
	s_mul_hi_u32 s3, s28, s3
	s_mul_hi_u32 s29, s28, s18
	s_add_u32 s3, s3, s30
	s_addc_u32 s29, 0, s29
	s_add_u32 s3, s3, s27
	s_mul_hi_u32 s11, s26, s18
	s_addc_u32 s3, s29, s19
	s_addc_u32 s11, s11, 0
	s_mul_i32 s18, s26, s18
	s_add_u32 s3, s3, s18
	s_addc_u32 s11, 0, s11
	s_add_u32 s3, s28, s3
	s_cselect_b64 s[18:19], -1, 0
	s_cmp_lg_u64 s[18:19], 0
	s_addc_u32 s11, s26, s11
	s_mul_i32 s19, s14, s11
	s_mul_hi_u32 s26, s14, s3
	s_mul_hi_u32 s18, s14, s11
	s_add_u32 s19, s26, s19
	s_addc_u32 s18, 0, s18
	s_mul_hi_u32 s27, s15, s3
	s_mul_i32 s3, s15, s3
	s_add_u32 s3, s19, s3
	s_mul_hi_u32 s26, s15, s11
	s_addc_u32 s3, s18, s27
	s_addc_u32 s18, s26, 0
	s_mul_i32 s11, s15, s11
	s_add_u32 s3, s3, s11
	s_addc_u32 s11, 0, s18
	s_mul_i32 s18, s16, s11
	s_mul_hi_u32 s19, s16, s3
	s_add_i32 s18, s19, s18
	s_mul_i32 s19, s17, s3
	s_add_i32 s28, s18, s19
	s_sub_i32 s26, s15, s28
	s_mul_i32 s18, s16, s3
	s_sub_u32 s29, s14, s18
	s_cselect_b64 s[18:19], -1, 0
	s_cmp_lg_u64 s[18:19], 0
	s_subb_u32 s30, s26, s17
	s_sub_u32 s31, s29, s16
	s_cselect_b64 s[26:27], -1, 0
	s_cmp_lg_u64 s[26:27], 0
	s_subb_u32 s26, s30, 0
	s_cmp_ge_u32 s26, s17
	s_cselect_b32 s27, -1, 0
	s_cmp_ge_u32 s31, s16
	s_cselect_b32 s30, -1, 0
	s_cmp_eq_u32 s26, s17
	s_cselect_b32 s26, s30, s27
	s_add_u32 s27, s3, 1
	s_addc_u32 s30, s11, 0
	s_add_u32 s31, s3, 2
	s_addc_u32 s33, s11, 0
	s_cmp_lg_u32 s26, 0
	s_cselect_b32 s26, s31, s27
	s_cselect_b32 s27, s33, s30
	s_cmp_lg_u64 s[18:19], 0
	s_subb_u32 s18, s15, s28
	s_cmp_ge_u32 s18, s17
	s_cselect_b32 s19, -1, 0
	s_cmp_ge_u32 s29, s16
	s_cselect_b32 s28, -1, 0
	s_cmp_eq_u32 s18, s17
	s_cselect_b32 s18, s28, s19
	s_cmp_lg_u32 s18, 0
	s_cselect_b32 s29, s27, s11
	s_cselect_b32 s28, s26, s3
	s_cbranch_execnz .LBB103_6
.LBB103_5:                              ;   in Loop: Header=BB103_3 Depth=1
	v_cvt_f32_u32_e32 v1, s16
	s_sub_i32 s3, 0, s16
	s_mov_b32 s29, s2
	v_rcp_iflag_f32_e32 v1, v1
	v_mul_f32_e32 v1, 0x4f7ffffe, v1
	v_cvt_u32_f32_e32 v1, v1
	v_readfirstlane_b32 s11, v1
	s_mul_i32 s3, s3, s11
	s_mul_hi_u32 s3, s11, s3
	s_add_i32 s11, s11, s3
	s_mul_hi_u32 s3, s14, s11
	s_mul_i32 s18, s3, s16
	s_sub_i32 s18, s14, s18
	s_add_i32 s11, s3, 1
	s_sub_i32 s19, s18, s16
	s_cmp_ge_u32 s18, s16
	s_cselect_b32 s3, s11, s3
	s_cselect_b32 s18, s19, s18
	s_add_i32 s11, s3, 1
	s_cmp_ge_u32 s18, s16
	s_cselect_b32 s28, s11, s3
.LBB103_6:                              ;   in Loop: Header=BB103_3 Depth=1
	s_mul_i32 s3, s28, s17
	s_mul_hi_u32 s11, s28, s16
	s_load_dwordx2 s[18:19], s[8:9], 0xc8
	s_add_i32 s3, s11, s3
	s_mul_i32 s11, s29, s16
	s_add_i32 s3, s3, s11
	s_mul_i32 s11, s28, s16
	s_sub_u32 s11, s14, s11
	s_subb_u32 s3, s15, s3
	s_waitcnt lgkmcnt(0)
	s_mul_i32 s3, s18, s3
	s_mul_hi_u32 s14, s18, s11
	s_add_i32 s3, s14, s3
	s_mul_i32 s14, s19, s11
	s_add_i32 s3, s3, s14
	s_mul_i32 s11, s18, s11
	s_add_u32 s22, s11, s22
	s_addc_u32 s23, s3, s23
	s_add_i32 s7, s7, -1
	s_add_u32 s8, s8, -8
	s_addc_u32 s9, s9, -1
	s_cmp_gt_u32 s7, 2
	s_cbranch_scc0 .LBB103_9
; %bb.7:                                ;   in Loop: Header=BB103_3 Depth=1
	s_mov_b64 s[14:15], s[28:29]
	s_branch .LBB103_3
.LBB103_8:                              ;   in Loop: Header=BB103_3 Depth=1
                                        ; implicit-def: $sgpr28_sgpr29
	s_branch .LBB103_5
.LBB103_9:
	s_load_dword s8, s[4:5], 0x338
	s_load_dwordx2 s[62:63], s[4:5], 0xd0
	s_add_u32 s2, s4, 0x1a0
	s_addc_u32 s3, s5, 0
	s_mov_b64 s[26:27], 0
	s_waitcnt lgkmcnt(0)
	s_cmp_lt_i32 s8, 2
	s_mov_b64 s[34:35], s[0:1]
	s_cbranch_scc1 .LBB103_17
; %bb.10:
	s_add_i32 s7, s8, 1
	s_add_i32 s14, s8, -1
	s_mov_b32 s8, 0
	s_mov_b32 s15, s8
	s_lshl_b64 s[14:15], s[14:15], 3
	s_add_u32 s9, s2, s14
	s_addc_u32 s11, s3, s15
	s_add_u32 s14, s9, 8
	s_addc_u32 s15, s11, 0
	s_mov_b64 s[16:17], s[0:1]
.LBB103_11:                             ; =>This Inner Loop Header: Depth=1
	s_load_dwordx2 s[18:19], s[14:15], 0x0
	s_waitcnt lgkmcnt(0)
	s_or_b64 s[30:31], s[16:17], s[18:19]
	s_mov_b32 s9, s31
	s_cmp_lg_u64 s[8:9], 0
	s_cbranch_scc0 .LBB103_16
; %bb.12:                               ;   in Loop: Header=BB103_11 Depth=1
	v_cvt_f32_u32_e32 v1, s18
	v_cvt_f32_u32_e32 v2, s19
	s_sub_u32 s9, 0, s18
	s_subb_u32 s11, 0, s19
	v_mac_f32_e32 v1, 0x4f800000, v2
	v_rcp_f32_e32 v1, v1
	v_mul_f32_e32 v1, 0x5f7ffffc, v1
	v_mul_f32_e32 v2, 0x2f800000, v1
	v_trunc_f32_e32 v2, v2
	v_mac_f32_e32 v1, 0xcf800000, v2
	v_cvt_u32_f32_e32 v2, v2
	v_cvt_u32_f32_e32 v1, v1
	v_readfirstlane_b32 s33, v2
	v_readfirstlane_b32 s30, v1
	s_mul_i32 s31, s9, s33
	s_mul_hi_u32 s35, s9, s30
	s_mul_i32 s34, s11, s30
	s_add_i32 s31, s35, s31
	s_mul_i32 s36, s9, s30
	s_add_i32 s31, s31, s34
	s_mul_i32 s35, s30, s31
	s_mul_hi_u32 s37, s30, s36
	s_mul_hi_u32 s34, s30, s31
	s_add_u32 s35, s37, s35
	s_addc_u32 s34, 0, s34
	s_mul_hi_u32 s38, s33, s36
	s_mul_i32 s36, s33, s36
	s_add_u32 s35, s35, s36
	s_mul_hi_u32 s37, s33, s31
	s_addc_u32 s34, s34, s38
	s_addc_u32 s35, s37, 0
	s_mul_i32 s31, s33, s31
	s_add_u32 s31, s34, s31
	s_addc_u32 s34, 0, s35
	s_add_u32 s35, s30, s31
	s_cselect_b64 s[30:31], -1, 0
	s_cmp_lg_u64 s[30:31], 0
	s_addc_u32 s33, s33, s34
	s_mul_i32 s30, s9, s33
	s_mul_hi_u32 s31, s9, s35
	s_add_i32 s30, s31, s30
	s_mul_i32 s11, s11, s35
	s_add_i32 s30, s30, s11
	s_mul_i32 s9, s9, s35
	s_mul_hi_u32 s31, s33, s9
	s_mul_i32 s34, s33, s9
	s_mul_i32 s37, s35, s30
	s_mul_hi_u32 s9, s35, s9
	s_mul_hi_u32 s36, s35, s30
	s_add_u32 s9, s9, s37
	s_addc_u32 s36, 0, s36
	s_add_u32 s9, s9, s34
	s_mul_hi_u32 s11, s33, s30
	s_addc_u32 s9, s36, s31
	s_addc_u32 s11, s11, 0
	s_mul_i32 s30, s33, s30
	s_add_u32 s9, s9, s30
	s_addc_u32 s11, 0, s11
	s_add_u32 s9, s35, s9
	s_cselect_b64 s[30:31], -1, 0
	s_cmp_lg_u64 s[30:31], 0
	s_addc_u32 s11, s33, s11
	s_mul_i32 s31, s16, s11
	s_mul_hi_u32 s33, s16, s9
	s_mul_hi_u32 s30, s16, s11
	s_add_u32 s31, s33, s31
	s_addc_u32 s30, 0, s30
	s_mul_hi_u32 s34, s17, s9
	s_mul_i32 s9, s17, s9
	s_add_u32 s9, s31, s9
	s_mul_hi_u32 s33, s17, s11
	s_addc_u32 s9, s30, s34
	s_addc_u32 s30, s33, 0
	s_mul_i32 s11, s17, s11
	s_add_u32 s9, s9, s11
	s_addc_u32 s11, 0, s30
	s_mul_i32 s30, s18, s11
	s_mul_hi_u32 s31, s18, s9
	s_add_i32 s30, s31, s30
	s_mul_i32 s31, s19, s9
	s_add_i32 s33, s30, s31
	s_sub_i32 s34, s17, s33
	s_mul_i32 s30, s18, s9
	s_sub_u32 s36, s16, s30
	s_cselect_b64 s[30:31], -1, 0
	s_cmp_lg_u64 s[30:31], 0
	s_subb_u32 s37, s34, s19
	s_sub_u32 s38, s36, s18
	s_cselect_b64 s[34:35], -1, 0
	s_cmp_lg_u64 s[34:35], 0
	s_subb_u32 s34, s37, 0
	s_cmp_ge_u32 s34, s19
	s_cselect_b32 s35, -1, 0
	s_cmp_ge_u32 s38, s18
	s_cselect_b32 s37, -1, 0
	s_cmp_eq_u32 s34, s19
	s_cselect_b32 s34, s37, s35
	s_add_u32 s35, s9, 1
	s_addc_u32 s37, s11, 0
	s_add_u32 s38, s9, 2
	s_addc_u32 s39, s11, 0
	s_cmp_lg_u32 s34, 0
	s_cselect_b32 s34, s38, s35
	s_cselect_b32 s35, s39, s37
	s_cmp_lg_u64 s[30:31], 0
	s_subb_u32 s30, s17, s33
	s_cmp_ge_u32 s30, s19
	s_cselect_b32 s31, -1, 0
	s_cmp_ge_u32 s36, s18
	s_cselect_b32 s33, -1, 0
	s_cmp_eq_u32 s30, s19
	s_cselect_b32 s30, s33, s31
	s_cmp_lg_u32 s30, 0
	s_cselect_b32 s35, s35, s11
	s_cselect_b32 s34, s34, s9
	s_cbranch_execnz .LBB103_14
.LBB103_13:                             ;   in Loop: Header=BB103_11 Depth=1
	v_cvt_f32_u32_e32 v1, s18
	s_sub_i32 s9, 0, s18
	s_mov_b32 s35, s8
	v_rcp_iflag_f32_e32 v1, v1
	v_mul_f32_e32 v1, 0x4f7ffffe, v1
	v_cvt_u32_f32_e32 v1, v1
	v_readfirstlane_b32 s11, v1
	s_mul_i32 s9, s9, s11
	s_mul_hi_u32 s9, s11, s9
	s_add_i32 s11, s11, s9
	s_mul_hi_u32 s9, s16, s11
	s_mul_i32 s30, s9, s18
	s_sub_i32 s30, s16, s30
	s_add_i32 s11, s9, 1
	s_sub_i32 s31, s30, s18
	s_cmp_ge_u32 s30, s18
	s_cselect_b32 s9, s11, s9
	s_cselect_b32 s30, s31, s30
	s_add_i32 s11, s9, 1
	s_cmp_ge_u32 s30, s18
	s_cselect_b32 s34, s11, s9
.LBB103_14:                             ;   in Loop: Header=BB103_11 Depth=1
	s_mul_i32 s9, s34, s19
	s_mul_hi_u32 s11, s34, s18
	s_load_dwordx2 s[30:31], s[14:15], 0xc8
	s_add_i32 s9, s11, s9
	s_mul_i32 s11, s35, s18
	s_add_i32 s9, s9, s11
	s_mul_i32 s11, s34, s18
	s_sub_u32 s11, s16, s11
	s_subb_u32 s9, s17, s9
	s_waitcnt lgkmcnt(0)
	s_mul_i32 s9, s30, s9
	s_mul_hi_u32 s16, s30, s11
	s_add_i32 s9, s16, s9
	s_mul_i32 s16, s31, s11
	s_add_i32 s9, s9, s16
	s_mul_i32 s11, s30, s11
	s_add_u32 s26, s11, s26
	s_addc_u32 s27, s9, s27
	s_add_i32 s7, s7, -1
	s_add_u32 s14, s14, -8
	s_addc_u32 s15, s15, -1
	s_cmp_gt_u32 s7, 2
	s_cbranch_scc0 .LBB103_17
; %bb.15:                               ;   in Loop: Header=BB103_11 Depth=1
	s_mov_b64 s[16:17], s[34:35]
	s_branch .LBB103_11
.LBB103_16:                             ;   in Loop: Header=BB103_11 Depth=1
                                        ; implicit-def: $sgpr34_sgpr35
	s_branch .LBB103_13
.LBB103_17:
	s_load_dword s8, s[4:5], 0x4d8
	s_load_dwordx2 s[14:15], s[2:3], 0xd0
	s_add_u32 s9, s4, 0x340
                                        ; implicit-def: $vgpr57 : SGPR spill to VGPR lane
	s_addc_u32 s11, s5, 0
                                        ; kill: killed $sgpr2 killed $sgpr3
	s_mov_b64 s[2:3], 0
	s_waitcnt lgkmcnt(0)
	s_cmp_lt_i32 s8, 2
	v_writelane_b32 v57, s14, 0
	v_writelane_b32 v57, s15, 1
	s_cbranch_scc1 .LBB103_25
; %bb.18:
	s_add_i32 s7, s8, 1
	s_add_i32 s2, s8, -1
	s_mov_b32 s8, 0
	s_mov_b32 s3, s8
	s_lshl_b64 s[2:3], s[2:3], 3
	s_add_u32 s2, s9, s2
	s_addc_u32 s3, s11, s3
	s_add_u32 s14, s2, 8
	s_addc_u32 s15, s3, 0
	s_mov_b64 s[2:3], 0
.LBB103_19:                             ; =>This Inner Loop Header: Depth=1
	s_load_dwordx2 s[16:17], s[14:15], 0x0
	s_waitcnt lgkmcnt(0)
	s_or_b64 s[18:19], s[0:1], s[16:17]
	s_mov_b32 s9, s19
	s_cmp_lg_u64 s[8:9], 0
	s_cbranch_scc0 .LBB103_24
; %bb.20:                               ;   in Loop: Header=BB103_19 Depth=1
	v_cvt_f32_u32_e32 v1, s16
	v_cvt_f32_u32_e32 v2, s17
	s_sub_u32 s9, 0, s16
	s_subb_u32 s11, 0, s17
	v_mac_f32_e32 v1, 0x4f800000, v2
	v_rcp_f32_e32 v1, v1
	v_mul_f32_e32 v1, 0x5f7ffffc, v1
	v_mul_f32_e32 v2, 0x2f800000, v1
	v_trunc_f32_e32 v2, v2
	v_mac_f32_e32 v1, 0xcf800000, v2
	v_cvt_u32_f32_e32 v2, v2
	v_cvt_u32_f32_e32 v1, v1
	v_readfirstlane_b32 s30, v2
	v_readfirstlane_b32 s18, v1
	s_mul_i32 s19, s9, s30
	s_mul_hi_u32 s33, s9, s18
	s_mul_i32 s31, s11, s18
	s_add_i32 s19, s33, s19
	s_mul_i32 s36, s9, s18
	s_add_i32 s19, s19, s31
	s_mul_i32 s33, s18, s19
	s_mul_hi_u32 s37, s18, s36
	s_mul_hi_u32 s31, s18, s19
	s_add_u32 s33, s37, s33
	s_addc_u32 s31, 0, s31
	s_mul_hi_u32 s38, s30, s36
	s_mul_i32 s36, s30, s36
	s_add_u32 s33, s33, s36
	s_mul_hi_u32 s37, s30, s19
	s_addc_u32 s31, s31, s38
	s_addc_u32 s33, s37, 0
	s_mul_i32 s19, s30, s19
	s_add_u32 s19, s31, s19
	s_addc_u32 s31, 0, s33
	s_add_u32 s33, s18, s19
	s_cselect_b64 s[18:19], -1, 0
	s_cmp_lg_u64 s[18:19], 0
	s_addc_u32 s30, s30, s31
	s_mul_i32 s18, s9, s30
	s_mul_hi_u32 s19, s9, s33
	s_add_i32 s18, s19, s18
	s_mul_i32 s11, s11, s33
	s_add_i32 s18, s18, s11
	s_mul_i32 s9, s9, s33
	s_mul_hi_u32 s19, s30, s9
	s_mul_i32 s31, s30, s9
	s_mul_i32 s37, s33, s18
	s_mul_hi_u32 s9, s33, s9
	s_mul_hi_u32 s36, s33, s18
	s_add_u32 s9, s9, s37
	s_addc_u32 s36, 0, s36
	s_add_u32 s9, s9, s31
	s_mul_hi_u32 s11, s30, s18
	s_addc_u32 s9, s36, s19
	s_addc_u32 s11, s11, 0
	s_mul_i32 s18, s30, s18
	s_add_u32 s9, s9, s18
	s_addc_u32 s11, 0, s11
	s_add_u32 s9, s33, s9
	s_cselect_b64 s[18:19], -1, 0
	s_cmp_lg_u64 s[18:19], 0
	s_addc_u32 s11, s30, s11
	s_mul_i32 s19, s0, s11
	s_mul_hi_u32 s30, s0, s9
	s_mul_hi_u32 s18, s0, s11
	s_add_u32 s19, s30, s19
	s_addc_u32 s18, 0, s18
	s_mul_hi_u32 s31, s1, s9
	s_mul_i32 s9, s1, s9
	s_add_u32 s9, s19, s9
	s_mul_hi_u32 s30, s1, s11
	s_addc_u32 s9, s18, s31
	s_addc_u32 s18, s30, 0
	s_mul_i32 s11, s1, s11
	s_add_u32 s9, s9, s11
	s_addc_u32 s11, 0, s18
	s_mul_i32 s18, s16, s11
	s_mul_hi_u32 s19, s16, s9
	s_add_i32 s18, s19, s18
	s_mul_i32 s19, s17, s9
	s_add_i32 s33, s18, s19
	s_sub_i32 s30, s1, s33
	s_mul_i32 s18, s16, s9
	s_sub_u32 s36, s0, s18
	s_cselect_b64 s[18:19], -1, 0
	s_cmp_lg_u64 s[18:19], 0
	s_subb_u32 s37, s30, s17
	s_sub_u32 s38, s36, s16
	s_cselect_b64 s[30:31], -1, 0
	s_cmp_lg_u64 s[30:31], 0
	s_subb_u32 s30, s37, 0
	s_cmp_ge_u32 s30, s17
	s_cselect_b32 s31, -1, 0
	s_cmp_ge_u32 s38, s16
	s_cselect_b32 s37, -1, 0
	s_cmp_eq_u32 s30, s17
	s_cselect_b32 s30, s37, s31
	s_add_u32 s31, s9, 1
	s_addc_u32 s37, s11, 0
	s_add_u32 s38, s9, 2
	s_addc_u32 s39, s11, 0
	s_cmp_lg_u32 s30, 0
	s_cselect_b32 s30, s38, s31
	s_cselect_b32 s31, s39, s37
	s_cmp_lg_u64 s[18:19], 0
	s_subb_u32 s18, s1, s33
	s_cmp_ge_u32 s18, s17
	s_cselect_b32 s19, -1, 0
	s_cmp_ge_u32 s36, s16
	s_cselect_b32 s33, -1, 0
	s_cmp_eq_u32 s18, s17
	s_cselect_b32 s18, s33, s19
	s_cmp_lg_u32 s18, 0
	s_cselect_b32 s19, s31, s11
	s_cselect_b32 s18, s30, s9
	s_cbranch_execnz .LBB103_22
.LBB103_21:                             ;   in Loop: Header=BB103_19 Depth=1
	v_cvt_f32_u32_e32 v1, s16
	s_sub_i32 s9, 0, s16
	v_rcp_iflag_f32_e32 v1, v1
	v_mul_f32_e32 v1, 0x4f7ffffe, v1
	v_cvt_u32_f32_e32 v1, v1
	v_readfirstlane_b32 s11, v1
	s_mul_i32 s9, s9, s11
	s_mul_hi_u32 s9, s11, s9
	s_add_i32 s11, s11, s9
	s_mul_hi_u32 s9, s0, s11
	s_mul_i32 s18, s9, s16
	s_sub_i32 s18, s0, s18
	s_add_i32 s11, s9, 1
	s_sub_i32 s19, s18, s16
	s_cmp_ge_u32 s18, s16
	s_cselect_b32 s9, s11, s9
	s_cselect_b32 s18, s19, s18
	s_add_i32 s11, s9, 1
	s_cmp_ge_u32 s18, s16
	s_cselect_b32 s18, s11, s9
	s_mov_b32 s19, s8
.LBB103_22:                             ;   in Loop: Header=BB103_19 Depth=1
	s_mul_i32 s9, s18, s17
	s_mul_hi_u32 s11, s18, s16
	s_load_dwordx2 s[30:31], s[14:15], 0xc8
	s_add_i32 s9, s11, s9
	s_mul_i32 s11, s19, s16
	s_add_i32 s9, s9, s11
	s_mul_i32 s11, s18, s16
	s_sub_u32 s0, s0, s11
	s_subb_u32 s1, s1, s9
	s_waitcnt lgkmcnt(0)
	s_mul_i32 s1, s30, s1
	s_mul_hi_u32 s9, s30, s0
	s_add_i32 s1, s9, s1
	s_mul_i32 s9, s31, s0
	s_add_i32 s1, s1, s9
	s_mul_i32 s0, s30, s0
	s_add_u32 s2, s0, s2
	s_addc_u32 s3, s1, s3
	s_add_i32 s7, s7, -1
	s_add_u32 s14, s14, -8
	s_addc_u32 s15, s15, -1
	s_cmp_gt_u32 s7, 2
	s_cbranch_scc0 .LBB103_26
; %bb.23:                               ;   in Loop: Header=BB103_19 Depth=1
	s_mov_b64 s[0:1], s[18:19]
	s_branch .LBB103_19
.LBB103_24:                             ;   in Loop: Header=BB103_19 Depth=1
                                        ; implicit-def: $sgpr18_sgpr19
	s_branch .LBB103_21
.LBB103_25:
	s_mov_b64 s[18:19], s[0:1]
.LBB103_26:
	v_cmp_eq_u32_e64 s[8:9], 0, v0
	s_mov_b64 s[0:1], exec
	v_writelane_b32 v57, s8, 2
	v_writelane_b32 v57, s9, 3
	s_and_b64 s[8:9], s[0:1], s[8:9]
	s_mov_b64 exec, s[8:9]
; %bb.27:
	v_mov_b32_e32 v1, 0
	v_mov_b32_e32 v2, v1
	ds_write_b64 v1, v[1:2] offset:5136
; %bb.28:
	s_or_b64 exec, exec, s[0:1]
	v_mov_b32_e32 v1, 0
	s_load_dword s7, s[4:5], 0x4f8
	s_waitcnt lgkmcnt(0)
	s_barrier
	s_barrier
	ds_read_b64 v[1:2], v1 offset:5136
	s_load_dwordx2 s[0:1], s[4:5], 0x410
	s_load_dwordx2 s[14:15], s[4:5], 0x340
	s_bitcmp1_b32 s7, 0
	s_cselect_b64 s[8:9], -1, 0
	v_mov_b32_e32 v36, s21
	s_waitcnt lgkmcnt(0)
	v_cmp_gt_i64_e32 vcc, 1, v[1:2]
	v_mov_b32_e32 v35, s20
	s_or_b64 s[8:9], s[8:9], vcc
	s_andn2_b64 vcc, exec, s[8:9]
	s_cbranch_vccnz .LBB103_30
; %bb.29:
	v_not_b32_e32 v1, v1
	v_not_b32_e32 v2, v2
	v_mov_b32_e32 v3, s21
	v_add_co_u32_e32 v1, vcc, s20, v1
	v_addc_co_u32_e32 v2, vcc, v3, v2, vcc
	v_lshrrev_b64 v[1:2], 1, v[1:2]
	v_add_co_u32_e32 v35, vcc, 1, v1
	v_addc_co_u32_e32 v36, vcc, 0, v2, vcc
.LBB103_30:
	s_load_dwordx2 s[8:9], s[4:5], 0x0
                                        ; kill: killed $sgpr4 killed $sgpr5
	s_waitcnt lgkmcnt(0)
	v_writelane_b32 v57, s8, 4
	v_writelane_b32 v57, s9, 5
	s_load_dwordx2 s[8:9], s[4:5], 0x1a0
	s_waitcnt lgkmcnt(0)
	v_writelane_b32 v57, s8, 6
	v_writelane_b32 v57, s9, 7
	s_mov_b64 s[4:5], exec
	v_readlane_b32 s8, v57, 2
	v_readlane_b32 s9, v57, 3
	s_and_b64 s[8:9], s[4:5], s[8:9]
	s_mov_b64 exec, s[8:9]
	s_cbranch_execz .LBB103_32
; %bb.31:
	v_mov_b32_e32 v1, 0
	v_mov_b32_e32 v3, s20
	;; [unrolled: 1-line block ×4, first 2 shown]
	ds_write_b32 v1, v1 offset:5144
	ds_write_b128 v1, v[1:4] offset:5120
.LBB103_32:
	s_or_b64 exec, exec, s[4:5]
	s_mul_i32 s4, s0, s19
	s_mul_hi_u32 s5, s0, s18
	s_add_i32 s4, s5, s4
	s_mul_i32 s1, s1, s18
	v_mov_b32_e32 v16, 0
	s_add_i32 s1, s4, s1
	s_mul_i32 s0, s0, s18
	v_mov_b32_e32 v1, v16
	s_lshl_b64 s[18:19], s[0:1], 3
	v_cmp_gt_u64_e64 s[0:1], s[20:21], v[0:1]
	s_add_u32 s30, s14, s18
	v_mbcnt_lo_u32_b32 v2, -1, 0
	s_addc_u32 s31, s15, s19
	s_lshl_b64 s[42:43], s[2:3], 3
	v_writelane_b32 v57, s0, 8
	v_mbcnt_hi_u32_b32 v45, -1, v2
	s_add_u32 s50, s30, s42
	v_writelane_b32 v57, s1, 9
	v_cmp_gt_u32_e32 vcc, 64, v0
	v_cmp_gt_i32_e64 s[8:9], 4, v45
	v_mad_u64_u32 v[2:3], s[0:1], s24, v0, 0
	s_addc_u32 s51, s31, s43
	s_and_b64 s[0:1], vcc, s[8:9]
	v_writelane_b32 v57, s0, 10
	v_writelane_b32 v57, s1, 11
	v_cmp_gt_u32_e64 s[0:1], 2, v0
	v_writelane_b32 v57, s0, 12
	v_writelane_b32 v57, s1, 13
	v_mad_u64_u32 v[3:4], s[0:1], s25, v0, v[3:4]
	v_mov_b32_e32 v4, 0x180
	v_mov_b32_e32 v5, 0
	v_cmp_gt_u64_e64 s[0:1], s[20:21], v[4:5]
	s_waitcnt lgkmcnt(0)
	v_writelane_b32 v57, s0, 14
	s_barrier
	v_writelane_b32 v57, s1, 15
	s_load_dword s0, s[12:13], 0xc
	v_lshlrev_b64 v[4:5], 3, v[2:3]
	v_mov_b32_e32 v6, s51
	v_add_co_u32_e32 v19, vcc, s50, v4
	s_waitcnt lgkmcnt(0)
	s_and_b32 s33, s0, 0xffff
	s_bfe_u32 s0, s0, 0xa0006
	s_cmp_gt_u32 s33, 63
	s_cselect_b64 s[2:3], -1, 0
	v_writelane_b32 v57, s2, 16
	s_add_u32 s1, s33, -1
	v_writelane_b32 v57, s3, 17
	s_addc_u32 s2, 0, -1
	s_add_u32 s16, s1, s20
	s_addc_u32 s53, s2, s21
	s_cmp_lt_u32 s6, s10
	v_writelane_b32 v57, s1, 18
	s_cselect_b32 s1, 12, 18
	v_addc_co_u32_e32 v20, vcc, v6, v5, vcc
	v_lshlrev_b64 v[6:7], v45, -1
	s_add_u32 s54, s12, s1
	s_addc_u32 s55, s13, 0
	s_add_i32 s1, s0, -1
	v_not_b32_e32 v48, v7
	v_not_b32_e32 v49, v6
	v_writelane_b32 v57, s2, 19
	s_bfe_u32 s2, s33, 0x30006
	s_and_b32 s1, s1, 0xffff
	v_lshlrev_b32_e32 v50, 5, v0
	v_mov_b32_e32 v6, s30
	s_cmp_gt_u32 s1, 6
	v_or_b32_e32 v9, 24, v50
	v_mov_b32_e32 v7, s31
	s_cselect_b64 s[6:7], -1, 0
	s_and_b32 s17, s0, 0x3f8
	v_mad_u64_u32 v[23:24], s[0:1], s24, v9, v[6:7]
	v_writelane_b32 v57, s6, 20
	v_writelane_b32 v57, s7, 21
	s_cmp_lg_u32 s2, 0
	v_writelane_b32 v57, s2, 22
	s_cselect_b64 s[0:1], -1, 0
	v_writelane_b32 v57, s0, 23
	s_add_u32 s2, s18, s42
	v_mov_b32_e32 v8, v24
	v_writelane_b32 v57, s1, 24
	s_addc_u32 s3, s19, s43
	v_mad_u64_u32 v[8:9], s[0:1], s25, v9, v[8:9]
	s_add_u32 s0, s14, s2
	s_addc_u32 s1, s15, s3
	v_writelane_b32 v57, s0, 25
	v_writelane_b32 v57, s1, 26
	s_lshl_b64 s[0:1], s[24:25], 3
	v_writelane_b32 v57, s0, 27
	v_writelane_b32 v57, s1, 28
	s_lshl_b64 s[0:1], s[24:25], 5
	v_mov_b32_e32 v24, v8
	v_writelane_b32 v57, s0, 29
	v_or_b32_e32 v8, 16, v50
	v_writelane_b32 v57, s1, 30
	v_mad_u64_u32 v[25:26], s[0:1], s24, v8, v[6:7]
	s_lshl_b32 s64, s33, 3
	v_lshlrev_b64 v[2:3], 5, v[2:3]
	s_add_u32 s0, s14, s42
	s_addc_u32 s1, s15, s43
	v_mov_b32_e32 v9, s31
	v_add_co_u32_e32 v27, vcc, s30, v2
	s_add_u32 s0, s0, s18
	v_addc_co_u32_e32 v28, vcc, v9, v3, vcc
	s_addc_u32 s1, s1, s19
	v_mov_b32_e32 v2, s1
	v_add_co_u32_e32 v17, vcc, s0, v4
	v_addc_co_u32_e32 v18, vcc, v2, v5, vcc
	v_mov_b32_e32 v2, v26
	v_mad_u64_u32 v[2:3], s[0:1], s25, v8, v[2:3]
	v_or_b32_e32 v3, 8, v50
	v_mad_u64_u32 v[29:30], s[0:1], s24, v3, v[6:7]
	v_mov_b32_e32 v26, v2
	v_lshlrev_b32_e32 v46, 3, v0
	v_mov_b32_e32 v2, v30
	v_mad_u64_u32 v[2:3], s[0:1], s25, v3, v[2:3]
	v_lshrrev_b32_e32 v3, 1, v0
	s_mul_i32 s0, s25, s33
	s_mul_hi_u32 s1, s24, s33
	v_lshlrev_b32_e32 v4, 2, v45
	v_and_b32_e32 v3, 0x1e0, v3
	v_mov_b32_e32 v30, v2
	v_mov_b32_e32 v2, 0xc00
	s_add_i32 s1, s1, s0
	s_mul_i32 s0, s24, s33
	v_mov_b32_e32 v31, 0
	v_mov_b32_e32 v33, 0
	v_mov_b32_e32 v5, 0
	s_mov_b32 s45, 0
	v_cmp_eq_u32_e64 s[4:5], 0, v45
	v_add_u32_e32 v47, 0xc00, v46
	v_lshlrev_b32_e32 v21, 2, v0
	v_mov_b32_e32 v22, v16
	v_and_b32_e32 v51, 0x100, v4
	v_or_b32_e32 v52, 0xc00, v3
	v_lshl_or_b32 v53, v45, 3, v2
	s_lshl_b64 s[48:49], s[0:1], 3
	s_mov_b32 s65, 62
	s_mov_b64 s[66:67], 0
	v_mov_b32_e32 v54, 0x4f800000
	s_mov_b32 s46, 0
	v_mov_b32_e32 v32, 0
	v_mov_b32_e32 v34, 0
	;; [unrolled: 1-line block ×4, first 2 shown]
                                        ; implicit-def: $sgpr68_sgpr69
                                        ; implicit-def: $sgpr72_sgpr73
                                        ; implicit-def: $sgpr70_sgpr71
                                        ; implicit-def: $sgpr76_sgpr77
                                        ; implicit-def: $sgpr78_sgpr79
                                        ; implicit-def: $sgpr74_sgpr75
	s_branch .LBB103_36
.LBB103_33:                             ;   in Loop: Header=BB103_36 Depth=1
	s_or_b64 exec, exec, s[10:11]
	s_and_b64 s[2:3], s[2:3], exec
	s_andn2_b64 s[84:85], s[84:85], exec
	s_andn2_b64 s[6:7], s[6:7], exec
	s_orn2_b64 s[18:19], s[8:9], exec
.LBB103_34:                             ;   in Loop: Header=BB103_36 Depth=1
	s_or_b64 exec, exec, s[0:1]
	s_andn2_b64 s[0:1], s[74:75], exec
	s_and_b64 s[2:3], s[2:3], exec
	s_or_b64 s[74:75], s[0:1], s[2:3]
	s_andn2_b64 s[0:1], s[78:79], exec
	s_and_b64 s[2:3], s[84:85], exec
	s_or_b64 s[78:79], s[0:1], s[2:3]
	;; [unrolled: 3-line block ×3, first 2 shown]
	s_orn2_b64 s[6:7], s[18:19], exec
.LBB103_35:                             ;   in Loop: Header=BB103_36 Depth=1
	s_or_b64 exec, exec, s[14:15]
	s_and_b64 s[0:1], exec, s[6:7]
	s_or_b64 s[66:67], s[0:1], s[66:67]
	s_andn2_b64 s[0:1], s[70:71], exec
	s_and_b64 s[2:3], s[74:75], exec
	s_or_b64 s[70:71], s[0:1], s[2:3]
	s_andn2_b64 s[0:1], s[72:73], exec
	s_and_b64 s[2:3], s[78:79], exec
	s_or_b64 s[72:73], s[0:1], s[2:3]
	s_andn2_b64 s[0:1], s[68:69], exec
	s_and_b64 s[2:3], s[76:77], exec
	v_mov_b32_e32 v36, v12
	s_or_b64 s[68:69], s[0:1], s[2:3]
	v_mov_b32_e32 v35, v11
	s_andn2_b64 exec, exec, s[66:67]
	s_cbranch_execz .LBB103_294
.LBB103_36:                             ; =>This Loop Header: Depth=1
                                        ;     Child Loop BB103_42 Depth 2
                                        ;     Child Loop BB103_55 Depth 2
	;; [unrolled: 1-line block ×16, first 2 shown]
	ds_read_b128 v[7:10], v16 offset:5120
	s_waitcnt lgkmcnt(0)
	v_readfirstlane_b32 s19, v8
	v_readfirstlane_b32 s18, v7
	s_cmp_lg_u64 s[18:19], 0
	s_cbranch_scc1 .LBB103_63
; %bb.37:                               ;   in Loop: Header=BB103_36 Depth=1
	v_readlane_b32 s0, v57, 14
	v_readlane_b32 s1, v57, 15
	s_and_b64 vcc, exec, s[0:1]
	s_cbranch_vccz .LBB103_50
; %bb.38:                               ;   in Loop: Header=BB103_36 Depth=1
	s_mov_b64 s[0:1], 0x181
	v_cmp_gt_u64_e32 vcc, s[0:1], v[9:10]
	s_mov_b64 s[12:13], 0
	s_mov_b64 s[0:1], 0
	s_cbranch_vccz .LBB103_51
; %bb.39:                               ;   in Loop: Header=BB103_36 Depth=1
	s_mov_b64 s[14:15], exec
	v_readlane_b32 s0, v57, 8
	v_readlane_b32 s1, v57, 9
	s_and_b64 s[0:1], s[14:15], s[0:1]
	s_mov_b64 exec, s[0:1]
	s_cbranch_execz .LBB103_161
; %bb.40:                               ;   in Loop: Header=BB103_36 Depth=1
	global_load_ushort v13, v16, s[54:55]
	global_load_dwordx2 v[3:4], v[19:20], off
	v_readlane_b32 s0, v57, 25
	v_readlane_b32 s1, v57, 26
	v_mov_b32_e32 v8, s1
	v_mov_b32_e32 v7, s0
	v_readlane_b32 s6, v57, 27
	v_readlane_b32 s7, v57, 28
	s_mov_b64 s[18:19], 0
	s_waitcnt vmcnt(1)
	v_readfirstlane_b32 s0, v13
	s_and_b32 s2, 0xffff, s0
	v_add_u32_e32 v9, s2, v0
	v_mad_u64_u32 v[7:8], s[0:1], s6, v9, v[7:8]
	s_mul_i32 s3, s7, s2
	s_mul_i32 s30, s6, s2
	v_mad_u64_u32 v[8:9], s[0:1], s7, v9, v[8:9]
	s_mul_hi_u32 s0, s6, s2
	v_mov_b32_e32 v10, v1
	s_add_i32 s31, s0, s3
	v_mov_b32_e32 v9, v0
	s_branch .LBB103_42
.LBB103_41:                             ;   in Loop: Header=BB103_42 Depth=2
	s_or_b64 exec, exec, s[0:1]
	v_mov_b32_e32 v3, s31
	v_add_co_u32_e32 v7, vcc, s30, v7
	v_addc_co_u32_e32 v8, vcc, v8, v3, vcc
	v_mov_b32_e32 v3, v11
	v_mov_b32_e32 v4, v12
	s_andn2_b64 exec, exec, s[18:19]
	s_cbranch_execz .LBB103_161
.LBB103_42:                             ;   Parent Loop BB103_36 Depth=1
                                        ; =>  This Inner Loop Header: Depth=2
	v_add_co_u32_sdwa v9, vcc, v9, v13 dst_sel:DWORD dst_unused:UNUSED_PAD src0_sel:DWORD src1_sel:WORD_0
	v_addc_co_u32_e32 v10, vcc, 0, v10, vcc
	v_cmp_gt_u64_e64 s[6:7], s[20:21], v[9:10]
	v_cmp_le_u64_e32 vcc, s[20:21], v[9:10]
	v_mov_b32_e32 v11, 0
	v_mov_b32_e32 v12, 0
	s_and_saveexec_b64 s[0:1], s[6:7]
	s_cbranch_execz .LBB103_44
; %bb.43:                               ;   in Loop: Header=BB103_42 Depth=2
	global_load_dwordx2 v[11:12], v[7:8], off
.LBB103_44:                             ;   in Loop: Header=BB103_42 Depth=2
	s_or_b64 exec, exec, s[0:1]
	s_waitcnt vmcnt(0) lgkmcnt(0)
	v_xor_b32_e32 v14, 0x80000000, v4
	v_and_b32_e32 v15, v14, v34
	v_and_b32_e32 v14, v3, v33
	v_cmp_eq_u64_e64 s[10:11], v[14:15], v[31:32]
	v_mov_b32_e32 v14, 0
	s_cmp_lg_u64 s[10:11], 0
	s_cselect_b64 s[0:1], -1, 0
	s_and_b64 s[2:3], s[4:5], s[0:1]
	s_and_saveexec_b64 s[0:1], s[2:3]
	s_cbranch_execz .LBB103_48
; %bb.45:                               ;   in Loop: Header=BB103_42 Depth=2
	s_mov_b64 s[8:9], exec
	v_mbcnt_lo_u32_b32 v14, s8, 0
	v_mbcnt_hi_u32_b32 v14, s9, v14
	s_bcnt1_i32_b64 s36, s[10:11]
	v_cmp_eq_u32_e64 s[6:7], 0, v14
                                        ; implicit-def: $vgpr15
	s_and_saveexec_b64 s[2:3], s[6:7]
; %bb.46:                               ;   in Loop: Header=BB103_42 Depth=2
	s_bcnt1_i32_b64 s6, s[8:9]
	s_mul_i32 s6, s36, s6
	v_mov_b32_e32 v15, s6
	ds_add_rtn_u32 v15, v16, v15 offset:5144
; %bb.47:                               ;   in Loop: Header=BB103_42 Depth=2
	s_or_b64 exec, exec, s[2:3]
	s_waitcnt lgkmcnt(0)
	v_readfirstlane_b32 s2, v15
	v_mov_b32_e32 v15, s2
	v_mad_u32_u24 v14, s36, v14, v15
.LBB103_48:                             ;   in Loop: Header=BB103_42 Depth=2
	s_or_b64 exec, exec, s[0:1]
	ds_bpermute_b32 v14, v51, v14
	s_and_b64 s[0:1], exec, vcc
	s_or_b64 s[18:19], s[0:1], s[18:19]
	s_and_saveexec_b64 s[0:1], s[10:11]
	s_cbranch_execz .LBB103_41
; %bb.49:                               ;   in Loop: Header=BB103_42 Depth=2
	v_and_b32_e32 v37, s10, v49
	v_and_b32_e32 v15, s11, v48
	v_bcnt_u32_b32 v37, v37, 0
	v_bcnt_u32_b32 v15, v15, v37
	v_lshlrev_b32_e32 v15, 3, v15
	s_waitcnt lgkmcnt(0)
	v_lshl_add_u32 v14, v14, 3, v15
	ds_write_b64 v14, v[3:4]
	s_branch .LBB103_41
.LBB103_50:                             ;   in Loop: Header=BB103_36 Depth=1
	s_mov_b64 s[12:13], -1
	s_mov_b64 s[0:1], 0
.LBB103_51:                             ;   in Loop: Header=BB103_36 Depth=1
	s_and_b64 vcc, exec, s[12:13]
	s_cbranch_vccz .LBB103_61
.LBB103_52:                             ;   in Loop: Header=BB103_36 Depth=1
	s_mov_b64 s[2:3], exec
	v_readlane_b32 s0, v57, 8
	v_readlane_b32 s1, v57, 9
	s_and_b64 s[0:1], s[2:3], s[0:1]
	s_mov_b64 exec, s[0:1]
	s_cbranch_execz .LBB103_58
; %bb.53:                               ;   in Loop: Header=BB103_36 Depth=1
	global_load_ushort v7, v16, s[54:55]
	global_load_dwordx2 v[3:4], v[19:20], off
	s_waitcnt vmcnt(1)
	v_add_u32_sdwa v15, v7, v0 dst_sel:DWORD dst_unused:UNUSED_PAD src0_sel:WORD_0 src1_sel:DWORD
	v_cmp_gt_u64_e32 vcc, s[20:21], v[15:16]
	v_readfirstlane_b32 s6, v7
	v_mov_b32_e32 v7, v0
	s_and_saveexec_b64 s[0:1], vcc
	s_cbranch_execz .LBB103_57
; %bb.54:                               ;   in Loop: Header=BB103_36 Depth=1
	v_readlane_b32 s8, v57, 25
	v_readlane_b32 s9, v57, 26
	v_mov_b32_e32 v7, s8
	v_mov_b32_e32 v8, s9
	v_readlane_b32 s12, v57, 27
	v_mad_u64_u32 v[7:8], s[8:9], s12, v15, v[7:8]
	v_readlane_b32 s13, v57, 28
	s_and_b32 s10, s6, 0xffff
	v_mad_u64_u32 v[8:9], s[6:7], s13, v15, v[8:9]
	s_mul_i32 s6, s13, s10
	s_mul_hi_u32 s7, s12, s10
	v_mov_b32_e32 v11, v15
	v_mov_b32_e32 v14, v1
	s_add_i32 s11, s7, s6
	s_mul_i32 s12, s12, s10
	s_mov_b64 s[8:9], 0
	v_mov_b32_e32 v12, v16
	v_mov_b32_e32 v13, v0
.LBB103_55:                             ;   Parent Loop BB103_36 Depth=1
                                        ; =>  This Inner Loop Header: Depth=2
	global_load_dwordx2 v[9:10], v[7:8], off
	v_mov_b32_e32 v15, v12
	v_mov_b32_e32 v14, v11
	v_lshlrev_b32_e32 v11, 3, v13
	v_mov_b32_e32 v13, s11
	v_add_co_u32_e32 v7, vcc, s12, v7
	s_waitcnt vmcnt(1)
	ds_write_b64 v11, v[3:4]
	v_add_co_u32_e64 v11, s[6:7], s10, v14
	v_addc_co_u32_e64 v12, s[6:7], 0, v15, s[6:7]
	v_addc_co_u32_e32 v8, vcc, v8, v13, vcc
	v_cmp_le_u64_e32 vcc, s[20:21], v[11:12]
	v_mov_b32_e32 v13, v14
	s_or_b64 s[8:9], vcc, s[8:9]
	v_mov_b32_e32 v14, v15
	s_waitcnt vmcnt(0)
	v_mov_b32_e32 v3, v9
	v_mov_b32_e32 v4, v10
	s_andn2_b64 exec, exec, s[8:9]
	s_cbranch_execnz .LBB103_55
; %bb.56:                               ;   in Loop: Header=BB103_36 Depth=1
	s_or_b64 exec, exec, s[8:9]
	v_mov_b32_e32 v3, v9
	v_subrev_u32_e32 v7, s10, v11
	v_mov_b32_e32 v4, v10
.LBB103_57:                             ;   in Loop: Header=BB103_36 Depth=1
	s_or_b64 exec, exec, s[0:1]
	v_lshlrev_b32_e32 v7, 3, v7
	s_waitcnt vmcnt(0)
	ds_write_b64 v7, v[3:4]
.LBB103_58:                             ;   in Loop: Header=BB103_36 Depth=1
	s_or_b64 exec, exec, s[2:3]
	s_waitcnt lgkmcnt(0)
	s_barrier
	s_mov_b64 s[0:1], exec
	v_readlane_b32 s2, v57, 2
	v_readlane_b32 s3, v57, 3
	s_and_b64 s[2:3], s[0:1], s[2:3]
	s_mov_b64 exec, s[2:3]
; %bb.59:                               ;   in Loop: Header=BB103_36 Depth=1
	v_mov_b32_e32 v3, s20
	v_mov_b32_e32 v4, s21
	ds_write_b64 v16, v[3:4] offset:5120
; %bb.60:                               ;   in Loop: Header=BB103_36 Depth=1
	s_or_b64 exec, exec, s[0:1]
	s_waitcnt lgkmcnt(0)
	s_barrier
	s_mov_b64 s[0:1], -1
.LBB103_61:                             ;   in Loop: Header=BB103_36 Depth=1
	s_mov_b64 s[18:19], 0
	s_and_b64 vcc, exec, s[0:1]
	s_cbranch_vccz .LBB103_63
; %bb.62:                               ;   in Loop: Header=BB103_36 Depth=1
	ds_read_b64 v[3:4], v16 offset:5120
	s_waitcnt lgkmcnt(0)
	v_readfirstlane_b32 s18, v3
.LBB103_63:                             ;   in Loop: Header=BB103_36 Depth=1
	s_cmp_lt_i32 s18, 1
	s_mov_b64 s[0:1], -1
                                        ; implicit-def: $vgpr13_vgpr14
                                        ; implicit-def: $vgpr9_vgpr10
	s_cbranch_scc1 .LBB103_73
; %bb.64:                               ;   in Loop: Header=BB103_36 Depth=1
	s_and_b64 vcc, exec, s[0:1]
	s_cbranch_vccnz .LBB103_87
.LBB103_65:                             ;   in Loop: Header=BB103_36 Depth=1
	s_lshl_b32 s2, s46, 6
	s_and_saveexec_b64 s[0:1], s[4:5]
	s_cbranch_execz .LBB103_67
.LBB103_66:                             ;   in Loop: Header=BB103_36 Depth=1
	v_lshl_add_u32 v3, s2, 3, v52
	ds_write_b128 v3, v[7:10]
	ds_write_b128 v3, v[11:14] offset:16
.LBB103_67:                             ;   in Loop: Header=BB103_36 Depth=1
	s_or_b64 exec, exec, s[0:1]
	s_waitcnt lgkmcnt(0)
	s_barrier
	s_mov_b64 s[6:7], exec
	v_readlane_b32 s0, v57, 10
	v_readlane_b32 s1, v57, 11
	s_and_b64 s[0:1], s[6:7], s[0:1]
	s_mov_b64 exec, s[0:1]
	s_cbranch_execz .LBB103_102
; %bb.68:                               ;   in Loop: Header=BB103_36 Depth=1
	v_readlane_b32 s0, v57, 16
	v_mov_b32_e32 v3, 0
	v_readlane_b32 s1, v57, 17
	v_mov_b32_e32 v4, 0
	s_andn2_b64 vcc, exec, s[0:1]
	s_cbranch_vccnz .LBB103_101
; %bb.69:                               ;   in Loop: Header=BB103_36 Depth=1
	v_readlane_b32 s0, v57, 20
	v_readlane_b32 s1, v57, 21
	s_andn2_b64 vcc, exec, s[0:1]
	s_cbranch_vccnz .LBB103_97
; %bb.70:                               ;   in Loop: Header=BB103_36 Depth=1
	v_mov_b32_e32 v3, 0
	v_lshl_add_u32 v7, s46, 9, v53
	v_mov_b32_e32 v4, 0
	s_mov_b32 s0, 0
.LBB103_71:                             ;   Parent Loop BB103_36 Depth=1
                                        ; =>  This Inner Loop Header: Depth=2
	ds_read2_b64 v[8:11], v7 offset1:4
	ds_read2_b64 v[12:15], v7 offset0:8 offset1:12
	ds_read2_b64 v[37:40], v7 offset0:16 offset1:20
	;; [unrolled: 1-line block ×3, first 2 shown]
	s_add_i32 s0, s0, 8
	s_waitcnt lgkmcnt(3)
	v_add_co_u32_e32 v3, vcc, v8, v3
	v_addc_co_u32_e32 v4, vcc, v9, v4, vcc
	v_add_co_u32_e32 v3, vcc, v10, v3
	v_addc_co_u32_e32 v4, vcc, v11, v4, vcc
	s_waitcnt lgkmcnt(2)
	v_add_co_u32_e32 v3, vcc, v12, v3
	v_addc_co_u32_e32 v4, vcc, v13, v4, vcc
	v_add_co_u32_e32 v3, vcc, v14, v3
	v_addc_co_u32_e32 v4, vcc, v15, v4, vcc
	;; [unrolled: 5-line block ×3, first 2 shown]
	s_waitcnt lgkmcnt(0)
	v_add_co_u32_e32 v3, vcc, v41, v3
	v_addc_co_u32_e32 v4, vcc, v42, v4, vcc
	v_add_co_u32_e32 v3, vcc, v43, v3
	v_add_u32_e32 v7, 0x100, v7
	s_cmp_eq_u32 s17, s0
	v_addc_co_u32_e32 v4, vcc, v44, v4, vcc
	s_cbranch_scc0 .LBB103_71
; %bb.72:                               ;   in Loop: Header=BB103_36 Depth=1
	s_mov_b32 s0, s17
	s_branch .LBB103_98
.LBB103_73:                             ;   in Loop: Header=BB103_36 Depth=1
	global_load_ushort v3, v16, s[54:55]
	s_mov_b32 s0, s45
	s_waitcnt vmcnt(0)
	v_readfirstlane_b32 s1, v3
	s_and_b32 s8, s1, 0xffff
	s_lshl_b32 s9, s8, 2
	s_mov_b32 s1, s21
	s_cmp_lg_u64 s[0:1], 0
	s_cbranch_scc0 .LBB103_96
; %bb.74:                               ;   in Loop: Header=BB103_36 Depth=1
	v_cvt_f32_u32_e32 v3, s9
	s_sub_u32 s2, 0, s9
	s_subb_u32 s3, 0, 0
	v_mac_f32_e32 v3, 0, v54
	v_rcp_f32_e32 v3, v3
	v_mul_f32_e32 v3, 0x5f7ffffc, v3
	v_mul_f32_e32 v4, 0x2f800000, v3
	v_trunc_f32_e32 v4, v4
	v_mac_f32_e32 v3, 0xcf800000, v4
	v_cvt_u32_f32_e32 v4, v4
	v_cvt_u32_f32_e32 v3, v3
	v_readfirstlane_b32 s6, v4
	v_readfirstlane_b32 s0, v3
	s_mul_i32 s1, s2, s6
	s_mul_hi_u32 s10, s2, s0
	s_mul_i32 s7, s3, s0
	s_add_i32 s1, s10, s1
	s_mul_i32 s11, s2, s0
	s_add_i32 s1, s1, s7
	s_mul_hi_u32 s10, s0, s11
	s_mul_i32 s12, s0, s1
	s_mul_hi_u32 s7, s0, s1
	s_add_u32 s10, s10, s12
	s_addc_u32 s7, 0, s7
	s_mul_hi_u32 s13, s6, s11
	s_mul_i32 s11, s6, s11
	s_add_u32 s10, s10, s11
	s_mul_hi_u32 s12, s6, s1
	s_addc_u32 s7, s7, s13
	s_addc_u32 s10, s12, 0
	s_mul_i32 s1, s6, s1
	s_add_u32 s1, s7, s1
	s_addc_u32 s7, 0, s10
	s_add_u32 s10, s0, s1
	s_cselect_b64 s[0:1], -1, 0
	s_cmp_lg_u64 s[0:1], 0
	s_addc_u32 s6, s6, s7
	s_mul_i32 s0, s2, s6
	s_mul_hi_u32 s1, s2, s10
	s_add_i32 s0, s1, s0
	s_mul_i32 s3, s3, s10
	s_add_i32 s0, s0, s3
	s_mul_i32 s2, s2, s10
	s_mul_hi_u32 s3, s6, s2
	s_mul_i32 s7, s6, s2
	s_mul_i32 s12, s10, s0
	s_mul_hi_u32 s2, s10, s2
	s_mul_hi_u32 s11, s10, s0
	s_add_u32 s2, s2, s12
	s_addc_u32 s11, 0, s11
	s_add_u32 s2, s2, s7
	s_mul_hi_u32 s1, s6, s0
	s_addc_u32 s2, s11, s3
	s_addc_u32 s1, s1, 0
	s_mul_i32 s0, s6, s0
	s_add_u32 s0, s2, s0
	s_addc_u32 s2, 0, s1
	s_add_u32 s3, s10, s0
	s_cselect_b64 s[0:1], -1, 0
	s_cmp_lg_u64 s[0:1], 0
	s_addc_u32 s0, s6, s2
	s_mul_i32 s2, s20, s0
	s_mul_hi_u32 s6, s20, s3
	s_mul_hi_u32 s1, s20, s0
	s_add_u32 s2, s6, s2
	s_addc_u32 s1, 0, s1
	s_mul_hi_u32 s7, s21, s3
	s_mul_i32 s3, s21, s3
	s_add_u32 s2, s2, s3
	s_mul_hi_u32 s6, s21, s0
	s_addc_u32 s1, s1, s7
	s_addc_u32 s2, s6, 0
	s_mul_i32 s0, s21, s0
	s_add_u32 s0, s1, s0
	s_addc_u32 s1, 0, s2
	s_mul_i32 s1, s9, s1
	s_mul_hi_u32 s2, s9, s0
	s_add_i32 s2, s2, s1
	s_mul_i32 s0, s9, s0
	s_sub_u32 s3, s20, s0
	s_cselect_b64 s[0:1], -1, 0
	s_cmp_lg_u64 s[0:1], 0
	s_subb_u32 s2, s21, s2
	s_sub_u32 s6, s3, s9
	s_cselect_b64 s[0:1], -1, 0
	s_cmp_lg_u64 s[0:1], 0
	s_subb_u32 s7, s2, 0
	;; [unrolled: 4-line block ×3, first 2 shown]
	s_cmp_ge_u32 s6, s9
	s_cselect_b32 s1, -1, 0
	s_cmp_eq_u32 s7, 0
	s_cselect_b32 s1, s1, -1
	s_cmp_lg_u32 s1, 0
	s_cselect_b32 s0, s0, s7
	s_cselect_b32 s6, s10, s6
	s_cmp_ge_u32 s3, s9
	s_cselect_b32 s1, -1, 0
	s_cmp_eq_u32 s2, 0
	s_cselect_b32 s1, s1, -1
	s_cmp_lg_u32 s1, 0
	s_cselect_b32 s1, s0, s2
	s_cselect_b32 s0, s6, s3
	s_cbranch_execnz .LBB103_76
.LBB103_75:                             ;   in Loop: Header=BB103_36 Depth=1
	v_cvt_f32_u32_e32 v3, s9
	s_sub_i32 s0, 0, s9
	v_rcp_iflag_f32_e32 v3, v3
	v_mul_f32_e32 v3, 0x4f7ffffe, v3
	v_cvt_u32_f32_e32 v3, v3
	v_readfirstlane_b32 s1, v3
	s_mul_i32 s0, s0, s1
	s_mul_hi_u32 s0, s1, s0
	s_add_i32 s1, s1, s0
	s_mul_hi_u32 s0, s20, s1
	s_mul_i32 s0, s0, s9
	s_sub_i32 s0, s20, s0
	s_sub_i32 s1, s0, s9
	s_cmp_ge_u32 s0, s9
	s_cselect_b32 s0, s1, s0
	s_sub_i32 s1, s0, s9
	s_cmp_ge_u32 s0, s9
	s_cselect_b32 s44, s1, s0
	s_mov_b64 s[0:1], s[44:45]
.LBB103_76:                             ;   in Loop: Header=BB103_36 Depth=1
	s_sub_u32 s80, s20, s0
	s_subb_u32 s81, s21, s1
	v_cmp_gt_u64_e32 vcc, s[80:81], v[21:22]
	v_mov_b32_e32 v7, 0
	v_mov_b32_e32 v9, 0
	v_mov_b32_e32 v11, 0
	v_mov_b32_e32 v13, 0
	v_mov_b32_e32 v8, 0
	v_mov_b32_e32 v10, 0
	v_mov_b32_e32 v12, 0
	v_mov_b32_e32 v14, 0
	s_and_saveexec_b64 s[82:83], vcc
	s_cbranch_execz .LBB103_80
; %bb.77:                               ;   in Loop: Header=BB103_36 Depth=1
	v_readlane_b32 s2, v57, 29
	v_readlane_b32 s3, v57, 30
	s_mul_i32 s0, s3, s8
	s_mul_hi_u32 s1, s2, s8
	v_mov_b32_e32 v3, v27
	v_mov_b32_e32 v38, v30
	;; [unrolled: 1-line block ×5, first 2 shown]
	s_add_i32 s0, s1, s0
	s_mul_i32 s1, s2, s8
	s_mov_b64 s[84:85], 0
	v_mov_b32_e32 v4, v28
	v_mov_b32_e32 v37, v29
	;; [unrolled: 1-line block ×4, first 2 shown]
	s_mov_b64 s[86:87], 0
	s_mov_b64 s[88:89], 0
	;; [unrolled: 1-line block ×4, first 2 shown]
	v_mov_b32_e32 v43, v21
.LBB103_78:                             ;   Parent Loop BB103_36 Depth=1
                                        ; =>  This Inner Loop Header: Depth=2
	v_add_co_u32_e32 v7, vcc, s42, v3
	v_mov_b32_e32 v12, s43
	v_addc_co_u32_e32 v8, vcc, v4, v12, vcc
	global_load_dwordx2 v[7:8], v[7:8], off
	v_add_co_u32_e32 v9, vcc, s42, v37
	v_addc_co_u32_e32 v10, vcc, v38, v12, vcc
	global_load_dwordx2 v[13:14], v[9:10], off
	v_add_co_u32_e32 v9, vcc, s42, v39
	;; [unrolled: 3-line block ×3, first 2 shown]
	v_addc_co_u32_e32 v12, vcc, v42, v12, vcc
	global_load_dwordx2 v[11:12], v[11:12], off
	s_waitcnt vmcnt(3)
	v_xor_b32_e32 v8, 0x80000000, v8
	v_and_b32_e32 v56, v8, v34
	v_and_b32_e32 v55, v7, v33
	v_lshrrev_b64 v[7:8], s65, v[7:8]
	v_cmp_eq_u64_e32 vcc, v[55:56], v[31:32]
	s_waitcnt vmcnt(2)
	v_xor_b32_e32 v14, 0x80000000, v14
	v_and_b32_e32 v15, 3, v7
	v_lshrrev_b64 v[7:8], s65, v[13:14]
	v_and_b32_e32 v56, v14, v34
	v_and_b32_e32 v55, v13, v33
	s_waitcnt vmcnt(1)
	v_xor_b32_e32 v10, 0x80000000, v10
	v_cmp_eq_u64_e64 s[6:7], 0, v[15:16]
	v_cmp_eq_u64_e64 s[10:11], v[55:56], v[31:32]
	v_and_b32_e32 v56, v10, v34
	v_and_b32_e32 v55, v9, v33
	;; [unrolled: 1-line block ×3, first 2 shown]
	v_mov_b32_e32 v8, v16
	v_lshrrev_b64 v[9:10], s65, v[9:10]
	s_waitcnt vmcnt(0)
	v_xor_b32_e32 v12, 0x80000000, v12
	s_and_b64 s[2:3], vcc, s[6:7]
	v_cmp_eq_u64_e64 s[6:7], 0, v[7:8]
	v_cmp_eq_u64_e64 s[12:13], v[55:56], v[31:32]
	v_and_b32_e32 v56, v12, v34
	v_and_b32_e32 v55, v11, v33
	;; [unrolled: 1-line block ×3, first 2 shown]
	v_mov_b32_e32 v10, v16
	v_lshrrev_b64 v[11:12], s65, v[11:12]
	s_and_b64 s[30:31], s[10:11], s[6:7]
	v_cmp_eq_u64_e64 s[6:7], 0, v[9:10]
	v_and_b32_e32 v11, 3, v11
	v_mov_b32_e32 v12, v16
	v_cmp_eq_u64_e64 s[14:15], v[55:56], v[31:32]
	s_and_b64 s[36:37], s[12:13], s[6:7]
	v_cmp_eq_u64_e64 s[6:7], 0, v[11:12]
	v_cndmask_b32_e64 v13, 0, 1, s[2:3]
	s_and_b64 s[38:39], s[14:15], s[6:7]
	v_cmp_ne_u32_e64 s[6:7], 0, v13
	v_cndmask_b32_e64 v13, 0, 1, s[30:31]
	s_bcnt1_i32_b64 s2, s[6:7]
	v_cmp_ne_u32_e64 s[6:7], 0, v13
	v_cndmask_b32_e64 v13, 0, 1, s[36:37]
	s_bcnt1_i32_b64 s3, s[6:7]
	;; [unrolled: 3-line block ×3, first 2 shown]
	v_cmp_ne_u32_e64 s[6:7], 0, v13
	s_bcnt1_i32_b64 s6, s[6:7]
	s_add_u32 s2, s2, s92
	s_addc_u32 s7, 0, s93
	s_add_u32 s2, s2, s3
	s_addc_u32 s3, s7, 0
	;; [unrolled: 2-line block ×3, first 2 shown]
	s_add_u32 s92, s2, s6
	v_cmp_eq_u64_e64 s[6:7], 1, v[15:16]
	s_addc_u32 s93, s3, 0
	s_and_b64 s[2:3], vcc, s[6:7]
	v_cmp_eq_u64_e64 s[6:7], 1, v[7:8]
	v_cndmask_b32_e64 v13, 0, 1, s[2:3]
	s_and_b64 s[30:31], s[10:11], s[6:7]
	v_cmp_eq_u64_e64 s[6:7], 1, v[9:10]
	s_and_b64 s[36:37], s[12:13], s[6:7]
	v_cmp_eq_u64_e64 s[6:7], 1, v[11:12]
	s_and_b64 s[38:39], s[14:15], s[6:7]
	v_cmp_ne_u32_e64 s[6:7], 0, v13
	v_cndmask_b32_e64 v13, 0, 1, s[30:31]
	s_bcnt1_i32_b64 s2, s[6:7]
	v_cmp_ne_u32_e64 s[6:7], 0, v13
	v_cndmask_b32_e64 v13, 0, 1, s[36:37]
	s_bcnt1_i32_b64 s3, s[6:7]
	;; [unrolled: 3-line block ×3, first 2 shown]
	v_cmp_ne_u32_e64 s[6:7], 0, v13
	s_bcnt1_i32_b64 s6, s[6:7]
	s_add_u32 s2, s2, s90
	s_addc_u32 s7, 0, s91
	s_add_u32 s2, s2, s3
	s_addc_u32 s3, s7, 0
	;; [unrolled: 2-line block ×3, first 2 shown]
	s_add_u32 s90, s2, s6
	v_cmp_eq_u64_e64 s[6:7], 2, v[15:16]
	s_addc_u32 s91, s3, 0
	s_and_b64 s[2:3], vcc, s[6:7]
	v_cmp_eq_u64_e64 s[6:7], 2, v[7:8]
	v_cndmask_b32_e64 v13, 0, 1, s[2:3]
	s_and_b64 s[30:31], s[10:11], s[6:7]
	v_cmp_eq_u64_e64 s[6:7], 2, v[9:10]
	s_and_b64 s[36:37], s[12:13], s[6:7]
	v_cmp_eq_u64_e64 s[6:7], 2, v[11:12]
	s_and_b64 s[38:39], s[14:15], s[6:7]
	v_cmp_ne_u32_e64 s[6:7], 0, v13
	v_cndmask_b32_e64 v13, 0, 1, s[30:31]
	s_bcnt1_i32_b64 s2, s[6:7]
	v_cmp_ne_u32_e64 s[6:7], 0, v13
	v_cndmask_b32_e64 v13, 0, 1, s[36:37]
	s_bcnt1_i32_b64 s3, s[6:7]
	;; [unrolled: 3-line block ×3, first 2 shown]
	v_cmp_ne_u32_e64 s[6:7], 0, v13
	s_bcnt1_i32_b64 s6, s[6:7]
	s_add_u32 s2, s2, s88
	s_addc_u32 s7, 0, s89
	s_add_u32 s2, s2, s3
	s_addc_u32 s3, s7, 0
	;; [unrolled: 2-line block ×3, first 2 shown]
	s_add_u32 s88, s2, s6
	v_cmp_eq_u64_e64 s[6:7], 3, v[15:16]
	s_addc_u32 s89, s3, 0
	s_and_b64 s[2:3], vcc, s[6:7]
	v_cmp_eq_u64_e32 vcc, 3, v[7:8]
	v_cndmask_b32_e64 v7, 0, 1, s[2:3]
	s_and_b64 s[6:7], s[10:11], vcc
	v_cmp_eq_u64_e32 vcc, 3, v[9:10]
	v_mov_b32_e32 v9, s90
	s_and_b64 s[10:11], s[12:13], vcc
	v_cmp_eq_u64_e32 vcc, 3, v[11:12]
	v_mov_b32_e32 v11, s88
	s_and_b64 s[12:13], s[14:15], vcc
	v_cmp_ne_u32_e32 vcc, 0, v7
	v_cndmask_b32_e64 v7, 0, 1, s[6:7]
	s_bcnt1_i32_b64 s2, vcc
	v_cmp_ne_u32_e32 vcc, 0, v7
	v_cndmask_b32_e64 v7, 0, 1, s[10:11]
	s_bcnt1_i32_b64 s3, vcc
	;; [unrolled: 3-line block ×3, first 2 shown]
	v_cmp_ne_u32_e32 vcc, 0, v7
	s_bcnt1_i32_b64 s7, vcc
	v_add_co_u32_e32 v43, vcc, s9, v43
	v_addc_co_u32_e32 v44, vcc, 0, v44, vcc
	v_add_co_u32_e32 v41, vcc, s1, v41
	v_mov_b32_e32 v7, s0
	v_addc_co_u32_e32 v42, vcc, v42, v7, vcc
	s_add_u32 s2, s2, s86
	v_add_co_u32_e32 v39, vcc, s1, v39
	s_addc_u32 s10, 0, s87
	v_addc_co_u32_e32 v40, vcc, v40, v7, vcc
	s_add_u32 s2, s2, s3
	v_add_co_u32_e32 v37, vcc, s1, v37
	s_addc_u32 s3, s10, 0
	;; [unrolled: 4-line block ×3, first 2 shown]
	v_addc_co_u32_e32 v4, vcc, v4, v7, vcc
	s_add_u32 s86, s2, s7
	v_cmp_le_u64_e32 vcc, s[80:81], v[43:44]
	s_addc_u32 s87, s3, 0
	v_mov_b32_e32 v7, s92
	v_mov_b32_e32 v13, s86
	s_or_b64 s[84:85], vcc, s[84:85]
	v_mov_b32_e32 v8, s93
	v_mov_b32_e32 v10, s91
	;; [unrolled: 1-line block ×4, first 2 shown]
	s_andn2_b64 exec, exec, s[84:85]
	s_cbranch_execnz .LBB103_78
; %bb.79:                               ;   in Loop: Header=BB103_36 Depth=1
	s_or_b64 exec, exec, s[84:85]
.LBB103_80:                             ;   in Loop: Header=BB103_36 Depth=1
	s_or_b64 exec, exec, s[82:83]
	v_mov_b32_e32 v4, s81
	v_add_co_u32_e32 v3, vcc, s80, v0
	v_addc_co_u32_e32 v4, vcc, 0, v4, vcc
	v_cmp_gt_u64_e32 vcc, s[20:21], v[3:4]
	s_and_saveexec_b64 s[12:13], vcc
	s_cbranch_execz .LBB103_86
; %bb.81:                               ;   in Loop: Header=BB103_36 Depth=1
	v_mul_lo_u32 v15, v4, s24
	v_mul_lo_u32 v39, v3, s25
	v_mad_u64_u32 v[37:38], s[0:1], v3, s24, 0
	s_mov_b64 s[14:15], 0
	v_add3_u32 v38, v38, v39, v15
	v_lshlrev_b64 v[37:38], 3, v[37:38]
	v_mov_b32_e32 v15, s51
	v_add_co_u32_e32 v37, vcc, s50, v37
	v_addc_co_u32_e32 v38, vcc, v15, v38, vcc
	global_load_dwordx2 v[39:40], v[37:38], off
	s_branch .LBB103_83
.LBB103_82:                             ;   in Loop: Header=BB103_83 Depth=2
	s_or_b64 exec, exec, s[0:1]
	s_waitcnt vmcnt(0)
	v_xor_b32_e32 v40, 0x80000000, v40
	v_and_b32_e32 v42, v40, v34
	v_and_b32_e32 v41, v39, v33
	v_lshrrev_b64 v[39:40], s65, v[39:40]
	s_and_b64 s[0:1], exec, vcc
	v_and_b32_e32 v15, 3, v39
	v_cmp_eq_u64_e32 vcc, v[41:42], v[31:32]
	v_cmp_eq_u64_e64 s[6:7], 0, v[15:16]
	s_or_b64 s[14:15], s[0:1], s[14:15]
	s_and_b64 s[0:1], vcc, s[6:7]
	v_cndmask_b32_e64 v39, 0, 1, s[0:1]
	v_cmp_ne_u32_e64 s[6:7], 0, v39
	s_bcnt1_i32_b64 s0, s[6:7]
	v_cmp_eq_u64_e64 s[6:7], 1, v[15:16]
	v_add_co_u32_e64 v7, s[10:11], s0, v7
	s_and_b64 s[0:1], vcc, s[6:7]
	v_cndmask_b32_e64 v39, 0, 1, s[0:1]
	v_cmp_ne_u32_e64 s[6:7], 0, v39
	s_bcnt1_i32_b64 s0, s[6:7]
	v_cmp_eq_u64_e64 s[6:7], 2, v[15:16]
	v_addc_co_u32_e64 v8, s[10:11], 0, v8, s[10:11]
	v_add_co_u32_e64 v9, s[10:11], s0, v9
	s_and_b64 s[0:1], vcc, s[6:7]
	v_cndmask_b32_e64 v39, 0, 1, s[0:1]
	v_cmp_ne_u32_e64 s[6:7], 0, v39
	s_bcnt1_i32_b64 s0, s[6:7]
	v_cmp_eq_u64_e64 s[6:7], 3, v[15:16]
	v_addc_co_u32_e64 v10, s[10:11], 0, v10, s[10:11]
	v_add_co_u32_e64 v11, s[10:11], s0, v11
	s_and_b64 s[0:1], vcc, s[6:7]
	v_cndmask_b32_e64 v15, 0, 1, s[0:1]
	v_cmp_ne_u32_e32 vcc, 0, v15
	s_bcnt1_i32_b64 s0, vcc
	v_add_co_u32_e32 v13, vcc, s0, v13
	v_mov_b32_e32 v40, v38
	v_addc_co_u32_e64 v12, s[10:11], 0, v12, s[10:11]
	v_addc_co_u32_e32 v14, vcc, 0, v14, vcc
	v_mov_b32_e32 v39, v37
	s_andn2_b64 exec, exec, s[14:15]
	s_cbranch_execz .LBB103_85
.LBB103_83:                             ;   Parent Loop BB103_36 Depth=1
                                        ; =>  This Inner Loop Header: Depth=2
	v_add_co_u32_e32 v3, vcc, s8, v3
	v_addc_co_u32_e32 v4, vcc, 0, v4, vcc
	v_cmp_gt_u64_e64 s[6:7], s[20:21], v[3:4]
	v_cmp_le_u64_e32 vcc, s[20:21], v[3:4]
	v_mov_b32_e32 v37, 0
	v_mov_b32_e32 v38, 0
	s_and_saveexec_b64 s[0:1], s[6:7]
	s_cbranch_execz .LBB103_82
; %bb.84:                               ;   in Loop: Header=BB103_83 Depth=2
	v_mul_lo_u32 v15, v4, s24
	v_mul_lo_u32 v41, v3, s25
	v_mad_u64_u32 v[37:38], s[2:3], v3, s24, 0
	v_add3_u32 v38, v38, v41, v15
	v_lshlrev_b64 v[37:38], 3, v[37:38]
	v_mov_b32_e32 v15, s51
	v_add_co_u32_e64 v37, s[6:7], s50, v37
	v_addc_co_u32_e64 v38, s[6:7], v15, v38, s[6:7]
	global_load_dwordx2 v[37:38], v[37:38], off
	s_branch .LBB103_82
.LBB103_85:                             ;   in Loop: Header=BB103_36 Depth=1
	s_or_b64 exec, exec, s[14:15]
.LBB103_86:                             ;   in Loop: Header=BB103_36 Depth=1
	s_or_b64 exec, exec, s[12:13]
	s_branch .LBB103_65
.LBB103_87:                             ;   in Loop: Header=BB103_36 Depth=1
	global_load_ushort v37, v16, s[54:55]
	v_mov_b32_e32 v7, 0
	v_mov_b32_e32 v9, 0
	;; [unrolled: 1-line block ×8, first 2 shown]
	s_waitcnt vmcnt(0)
	v_readfirstlane_b32 s0, v37
	s_and_b32 s0, 0xffff, s0
	s_lshl_b32 s1, s0, 2
	v_cvt_f32_u32_e32 v3, s1
	s_sub_i32 s2, 0, s1
	v_rcp_iflag_f32_e32 v3, v3
	v_mul_f32_e32 v3, 0x4f7ffffe, v3
	v_cvt_u32_f32_e32 v3, v3
	v_readfirstlane_b32 s3, v3
	s_mul_i32 s2, s2, s3
	s_mul_hi_u32 s2, s3, s2
	s_add_i32 s3, s3, s2
	s_mul_hi_u32 s2, s18, s3
	s_mul_i32 s3, s2, s1
	s_sub_i32 s3, s18, s3
	s_add_i32 s6, s2, 1
	s_sub_i32 s7, s3, s1
	s_cmp_ge_u32 s3, s1
	s_cselect_b32 s2, s6, s2
	s_cselect_b32 s3, s7, s3
	s_add_i32 s6, s2, 1
	s_cmp_ge_u32 s3, s1
	s_cselect_b32 s2, s6, s2
	s_mul_hi_u32 s81, s0, s2
	s_mul_i32 s80, s0, s2
	s_lshl_b64 s[82:83], s[80:81], 2
	v_cmp_gt_u64_e32 vcc, s[82:83], v[21:22]
	s_and_saveexec_b64 s[84:85], vcc
	s_cbranch_execz .LBB103_91
; %bb.88:                               ;   in Loop: Header=BB103_36 Depth=1
	v_mov_b32_e32 v3, v21
	s_lshl_b32 s2, s0, 5
	s_mov_b64 s[86:87], 0
	v_mov_b32_e32 v38, v50
	s_mov_b64 s[88:89], 0
	s_mov_b64 s[90:91], 0
	s_mov_b64 s[92:93], 0
	s_mov_b64 s[94:95], 0
	v_mov_b32_e32 v4, v22
.LBB103_89:                             ;   Parent Loop BB103_36 Depth=1
                                        ; =>  This Inner Loop Header: Depth=2
	ds_read_b128 v[11:14], v38
	ds_read_b128 v[7:10], v38 offset:16
	v_add_u32_e32 v38, s2, v38
	s_waitcnt lgkmcnt(1)
	v_xor_b32_e32 v12, 0x80000000, v12
	v_and_b32_e32 v40, v12, v34
	v_and_b32_e32 v39, v11, v33
	v_lshrrev_b64 v[11:12], s65, v[11:12]
	v_xor_b32_e32 v14, 0x80000000, v14
	v_and_b32_e32 v15, 3, v11
	v_lshrrev_b64 v[11:12], s65, v[13:14]
	s_waitcnt lgkmcnt(0)
	v_xor_b32_e32 v8, 0x80000000, v8
	v_cmp_eq_u64_e32 vcc, v[39:40], v[31:32]
	v_and_b32_e32 v40, v14, v34
	v_and_b32_e32 v39, v13, v33
	v_cmp_eq_u64_e64 s[6:7], 0, v[15:16]
	v_cmp_eq_u64_e64 s[10:11], v[39:40], v[31:32]
	v_and_b32_e32 v40, v8, v34
	v_and_b32_e32 v39, v7, v33
	;; [unrolled: 1-line block ×3, first 2 shown]
	v_mov_b32_e32 v12, v16
	v_lshrrev_b64 v[7:8], s65, v[7:8]
	v_xor_b32_e32 v10, 0x80000000, v10
	s_and_b64 s[8:9], vcc, s[6:7]
	v_cmp_eq_u64_e64 s[6:7], 0, v[11:12]
	v_cmp_eq_u64_e64 s[12:13], v[39:40], v[31:32]
	v_and_b32_e32 v40, v10, v34
	v_and_b32_e32 v39, v9, v33
	;; [unrolled: 1-line block ×3, first 2 shown]
	v_mov_b32_e32 v8, v16
	v_lshrrev_b64 v[9:10], s65, v[9:10]
	s_and_b64 s[30:31], s[10:11], s[6:7]
	v_cmp_eq_u64_e64 s[6:7], 0, v[7:8]
	v_and_b32_e32 v9, 3, v9
	v_mov_b32_e32 v10, v16
	v_cmp_eq_u64_e64 s[14:15], v[39:40], v[31:32]
	s_and_b64 s[36:37], s[12:13], s[6:7]
	v_cmp_eq_u64_e64 s[6:7], 0, v[9:10]
	v_cndmask_b32_e64 v13, 0, 1, s[8:9]
	s_and_b64 s[38:39], s[14:15], s[6:7]
	v_cmp_ne_u32_e64 s[6:7], 0, v13
	v_cndmask_b32_e64 v13, 0, 1, s[30:31]
	s_bcnt1_i32_b64 s3, s[6:7]
	v_cmp_ne_u32_e64 s[6:7], 0, v13
	v_cndmask_b32_e64 v13, 0, 1, s[36:37]
	s_bcnt1_i32_b64 s8, s[6:7]
	;; [unrolled: 3-line block ×3, first 2 shown]
	v_cmp_ne_u32_e64 s[6:7], 0, v13
	s_bcnt1_i32_b64 s6, s[6:7]
	s_add_u32 s3, s3, s94
	s_addc_u32 s7, 0, s95
	s_add_u32 s3, s3, s8
	s_addc_u32 s7, s7, 0
	;; [unrolled: 2-line block ×4, first 2 shown]
	v_cmp_eq_u64_e64 s[6:7], 1, v[15:16]
	s_and_b64 s[8:9], vcc, s[6:7]
	v_cmp_eq_u64_e64 s[6:7], 1, v[11:12]
	v_cndmask_b32_e64 v13, 0, 1, s[8:9]
	s_and_b64 s[30:31], s[10:11], s[6:7]
	v_cmp_eq_u64_e64 s[6:7], 1, v[7:8]
	s_and_b64 s[36:37], s[12:13], s[6:7]
	v_cmp_eq_u64_e64 s[6:7], 1, v[9:10]
	s_and_b64 s[38:39], s[14:15], s[6:7]
	v_cmp_ne_u32_e64 s[6:7], 0, v13
	v_cndmask_b32_e64 v13, 0, 1, s[30:31]
	s_bcnt1_i32_b64 s3, s[6:7]
	v_cmp_ne_u32_e64 s[6:7], 0, v13
	v_cndmask_b32_e64 v13, 0, 1, s[36:37]
	s_bcnt1_i32_b64 s8, s[6:7]
	;; [unrolled: 3-line block ×3, first 2 shown]
	v_cmp_ne_u32_e64 s[6:7], 0, v13
	s_bcnt1_i32_b64 s6, s[6:7]
	s_add_u32 s3, s3, s92
	s_addc_u32 s7, 0, s93
	s_add_u32 s3, s3, s8
	s_addc_u32 s7, s7, 0
	;; [unrolled: 2-line block ×4, first 2 shown]
	v_cmp_eq_u64_e64 s[6:7], 2, v[15:16]
	s_and_b64 s[8:9], vcc, s[6:7]
	v_cmp_eq_u64_e64 s[6:7], 2, v[11:12]
	v_cndmask_b32_e64 v13, 0, 1, s[8:9]
	s_and_b64 s[30:31], s[10:11], s[6:7]
	v_cmp_eq_u64_e64 s[6:7], 2, v[7:8]
	s_and_b64 s[36:37], s[12:13], s[6:7]
	v_cmp_eq_u64_e64 s[6:7], 2, v[9:10]
	s_and_b64 s[38:39], s[14:15], s[6:7]
	v_cmp_ne_u32_e64 s[6:7], 0, v13
	v_cndmask_b32_e64 v13, 0, 1, s[30:31]
	s_bcnt1_i32_b64 s3, s[6:7]
	v_cmp_ne_u32_e64 s[6:7], 0, v13
	v_cndmask_b32_e64 v13, 0, 1, s[36:37]
	s_bcnt1_i32_b64 s8, s[6:7]
	;; [unrolled: 3-line block ×3, first 2 shown]
	v_cmp_ne_u32_e64 s[6:7], 0, v13
	s_bcnt1_i32_b64 s6, s[6:7]
	s_add_u32 s3, s3, s90
	s_addc_u32 s7, 0, s91
	s_add_u32 s3, s3, s8
	s_addc_u32 s7, s7, 0
	;; [unrolled: 2-line block ×4, first 2 shown]
	v_cmp_eq_u64_e64 s[6:7], 3, v[15:16]
	s_and_b64 s[6:7], vcc, s[6:7]
	v_cmp_eq_u64_e32 vcc, 3, v[11:12]
	v_mov_b32_e32 v11, s90
	s_and_b64 s[8:9], s[10:11], vcc
	v_cmp_eq_u64_e32 vcc, 3, v[7:8]
	v_cndmask_b32_e64 v7, 0, 1, s[6:7]
	s_and_b64 s[10:11], s[12:13], vcc
	v_cmp_eq_u64_e32 vcc, 3, v[9:10]
	v_mov_b32_e32 v9, s92
	s_and_b64 s[12:13], s[14:15], vcc
	v_cmp_ne_u32_e32 vcc, 0, v7
	v_cndmask_b32_e64 v7, 0, 1, s[8:9]
	s_bcnt1_i32_b64 s3, vcc
	v_cmp_ne_u32_e32 vcc, 0, v7
	v_cndmask_b32_e64 v7, 0, 1, s[10:11]
	s_bcnt1_i32_b64 s6, vcc
	;; [unrolled: 3-line block ×3, first 2 shown]
	v_cmp_ne_u32_e32 vcc, 0, v7
	s_bcnt1_i32_b64 s8, vcc
	s_add_u32 s3, s3, s88
	s_addc_u32 s9, 0, s89
	s_add_u32 s3, s3, s6
	s_addc_u32 s6, s9, 0
	s_add_u32 s3, s3, s7
	v_add_co_u32_e32 v3, vcc, s1, v3
	s_addc_u32 s6, s6, 0
	v_addc_co_u32_e32 v4, vcc, 0, v4, vcc
	s_add_u32 s88, s3, s8
	v_cmp_le_u64_e32 vcc, s[82:83], v[3:4]
	s_addc_u32 s89, s6, 0
	v_mov_b32_e32 v7, s94
	v_mov_b32_e32 v13, s88
	s_or_b64 s[86:87], vcc, s[86:87]
	v_mov_b32_e32 v8, s95
	v_mov_b32_e32 v10, s93
	;; [unrolled: 1-line block ×4, first 2 shown]
	s_andn2_b64 exec, exec, s[86:87]
	s_cbranch_execnz .LBB103_89
; %bb.90:                               ;   in Loop: Header=BB103_36 Depth=1
	s_or_b64 exec, exec, s[86:87]
.LBB103_91:                             ;   in Loop: Header=BB103_36 Depth=1
	s_or_b64 exec, exec, s[84:85]
	v_mov_b32_e32 v4, s83
	v_add_co_u32_e32 v3, vcc, s82, v0
	s_and_b32 s44, s18, 0x7fffffff
	v_addc_co_u32_e32 v4, vcc, 0, v4, vcc
	v_cmp_gt_u64_e32 vcc, s[44:45], v[3:4]
	s_and_saveexec_b64 s[30:31], vcc
	s_cbranch_execz .LBB103_95
; %bb.92:                               ;   in Loop: Header=BB103_36 Depth=1
	v_lshl_add_u32 v38, s80, 5, v46
	s_lshl_b32 s0, s0, 3
	s_mov_b64 s[36:37], 0
.LBB103_93:                             ;   Parent Loop BB103_36 Depth=1
                                        ; =>  This Inner Loop Header: Depth=2
	ds_read_b64 v[39:40], v38
	v_add_co_u32_sdwa v3, vcc, v3, v37 dst_sel:DWORD dst_unused:UNUSED_PAD src0_sel:DWORD src1_sel:WORD_0
	v_addc_co_u32_e32 v4, vcc, 0, v4, vcc
	s_waitcnt lgkmcnt(0)
	v_xor_b32_e32 v40, 0x80000000, v40
	v_and_b32_e32 v41, v39, v33
	v_and_b32_e32 v42, v40, v34
	v_lshrrev_b64 v[39:40], s65, v[39:40]
	v_cmp_eq_u64_e64 s[6:7], v[41:42], v[31:32]
	v_and_b32_e32 v15, 3, v39
	v_cmp_eq_u64_e64 s[10:11], 0, v[15:16]
	v_cmp_eq_u64_e64 s[12:13], 1, v[15:16]
	;; [unrolled: 1-line block ×3, first 2 shown]
	s_and_b64 s[2:3], s[6:7], s[10:11]
	v_cmp_eq_u64_e64 s[18:19], 3, v[15:16]
	v_cndmask_b32_e64 v15, 0, 1, s[2:3]
	s_and_b64 s[2:3], s[6:7], s[12:13]
	v_cndmask_b32_e64 v39, 0, 1, s[2:3]
	s_and_b64 s[2:3], s[6:7], s[14:15]
	;; [unrolled: 2-line block ×3, first 2 shown]
	v_cmp_ne_u32_e64 s[6:7], 0, v15
	s_bcnt1_i32_b64 s1, s[6:7]
	v_cmp_ne_u32_e64 s[10:11], 0, v39
	v_add_co_u32_e64 v7, s[6:7], s1, v7
	v_cndmask_b32_e64 v41, 0, 1, s[2:3]
	s_bcnt1_i32_b64 s2, s[10:11]
	v_addc_co_u32_e64 v8, s[6:7], 0, v8, s[6:7]
	v_cmp_le_u64_e32 vcc, s[44:45], v[3:4]
	v_cmp_ne_u32_e64 s[12:13], 0, v40
	v_cmp_ne_u32_e64 s[14:15], 0, v41
	v_add_co_u32_e64 v9, s[6:7], s2, v9
	s_bcnt1_i32_b64 s3, s[12:13]
	s_bcnt1_i32_b64 s8, s[14:15]
	v_addc_co_u32_e64 v10, s[6:7], 0, v10, s[6:7]
	v_add_co_u32_e64 v11, s[6:7], s3, v11
	s_or_b64 s[36:37], vcc, s[36:37]
	v_add_co_u32_e32 v13, vcc, s8, v13
	v_add_u32_e32 v38, s0, v38
	v_addc_co_u32_e64 v12, s[6:7], 0, v12, s[6:7]
	v_addc_co_u32_e32 v14, vcc, 0, v14, vcc
	s_andn2_b64 exec, exec, s[36:37]
	s_cbranch_execnz .LBB103_93
; %bb.94:                               ;   in Loop: Header=BB103_36 Depth=1
	s_or_b64 exec, exec, s[36:37]
.LBB103_95:                             ;   in Loop: Header=BB103_36 Depth=1
	s_or_b64 exec, exec, s[30:31]
	s_lshl_b32 s2, s46, 6
	s_and_saveexec_b64 s[0:1], s[4:5]
	s_cbranch_execnz .LBB103_66
	s_branch .LBB103_67
.LBB103_96:                             ;   in Loop: Header=BB103_36 Depth=1
                                        ; implicit-def: $sgpr0_sgpr1
	s_branch .LBB103_75
.LBB103_97:                             ;   in Loop: Header=BB103_36 Depth=1
	v_mov_b32_e32 v3, 0
	v_mov_b32_e32 v4, 0
	s_mov_b32 s0, 0
.LBB103_98:                             ;   in Loop: Header=BB103_36 Depth=1
	v_readlane_b32 s8, v57, 23
	v_readlane_b32 s9, v57, 24
	s_andn2_b64 vcc, exec, s[8:9]
	s_cbranch_vccnz .LBB103_101
; %bb.99:                               ;   in Loop: Header=BB103_36 Depth=1
	s_lshl_b32 s1, s46, 9
	s_lshl_b32 s0, s0, 5
	s_add_i32 s1, s1, s0
	v_add_u32_e32 v7, s1, v53
	v_readlane_b32 s0, v57, 22
.LBB103_100:                            ;   Parent Loop BB103_36 Depth=1
                                        ; =>  This Inner Loop Header: Depth=2
	ds_read_b64 v[8:9], v7
	s_add_i32 s0, s0, -1
	v_add_u32_e32 v7, 32, v7
	s_cmp_lg_u32 s0, 0
	s_waitcnt lgkmcnt(0)
	v_add_co_u32_e32 v3, vcc, v8, v3
	v_addc_co_u32_e32 v4, vcc, v9, v4, vcc
	s_cbranch_scc1 .LBB103_100
.LBB103_101:                            ;   in Loop: Header=BB103_36 Depth=1
	v_add_lshl_u32 v7, s2, v45, 3
	ds_write_b64 v7, v[3:4] offset:3072
.LBB103_102:                            ;   in Loop: Header=BB103_36 Depth=1
	s_or_b64 exec, exec, s[6:7]
	s_lshl_b32 s0, s2, 3
	v_mov_b32_e32 v3, s0
	s_waitcnt lgkmcnt(0)
	s_barrier
	ds_read_b128 v[11:14], v3 offset:3088
	ds_read_b128 v[7:10], v3 offset:3072
	v_cmp_eq_u64_e64 s[6:7], 1, v[35:36]
	s_lshl_b64 s[12:13], 3, s65
	s_not_b64 s[86:87], s[12:13]
	s_waitcnt lgkmcnt(1)
	v_readfirstlane_b32 s82, v11
	s_waitcnt lgkmcnt(0)
	v_cmp_eq_u64_e32 vcc, 1, v[7:8]
	v_readfirstlane_b32 s83, v12
	v_readfirstlane_b32 s10, v13
	;; [unrolled: 1-line block ×3, first 2 shown]
	s_and_b64 s[18:19], vcc, s[6:7]
	s_mov_b64 s[6:7], -1
	s_mov_b64 s[0:1], -1
                                        ; implicit-def: $sgpr36_sgpr37
                                        ; implicit-def: $sgpr30_sgpr31
	s_and_saveexec_b64 s[14:15], s[18:19]
	s_cbranch_execz .LBB103_134
; %bb.103:                              ;   in Loop: Header=BB103_36 Depth=1
	ds_read_b64 v[3:4], v16 offset:5120
	s_waitcnt lgkmcnt(0)
	s_barrier
	v_readfirstlane_b32 s40, v3
	v_readfirstlane_b32 s41, v4
	s_mov_b64 s[0:1], exec
	v_readlane_b32 s2, v57, 12
	v_readlane_b32 s3, v57, 13
	s_and_b64 s[2:3], s[0:1], s[2:3]
	s_mov_b64 exec, s[2:3]
; %bb.104:                              ;   in Loop: Header=BB103_36 Depth=1
	v_mov_b32_e32 v15, v16
	ds_write_b64 v47, v[15:16]
; %bb.105:                              ;   in Loop: Header=BB103_36 Depth=1
	s_or_b64 exec, exec, s[0:1]
	v_and_b32_e32 v32, s87, v32
	v_and_b32_e32 v31, s86, v31
	v_or_b32_e32 v34, s13, v34
	v_or_b32_e32 v33, s12, v33
	s_mov_b64 s[30:31], -1
	s_mov_b64 s[36:37], 0
	s_cmp_eq_u64 s[40:41], 0
	s_mov_b64 s[38:39], 0
	s_mov_b64 s[56:57], -1
	s_waitcnt lgkmcnt(0)
	s_barrier
                                        ; implicit-def: $vgpr5_vgpr6
	s_cbranch_scc1 .LBB103_119
; %bb.106:                              ;   in Loop: Header=BB103_36 Depth=1
	v_readlane_b32 s0, v57, 18
	s_add_u32 s8, s40, s0
	v_readlane_b32 s0, v57, 19
	s_addc_u32 s39, s41, s0
	s_mov_b32 s38, s45
	s_cmp_lg_u64 s[38:39], 0
	s_cbranch_scc0 .LBB103_160
; %bb.107:                              ;   in Loop: Header=BB103_36 Depth=1
	v_cvt_f32_u32_e32 v3, s33
	s_sub_u32 s2, 0, s33
	s_subb_u32 s3, 0, 0
	v_mac_f32_e32 v3, 0, v54
	v_rcp_f32_e32 v3, v3
	v_mul_f32_e32 v3, 0x5f7ffffc, v3
	v_mul_f32_e32 v4, 0x2f800000, v3
	v_trunc_f32_e32 v4, v4
	v_mac_f32_e32 v3, 0xcf800000, v4
	v_cvt_u32_f32_e32 v4, v4
	v_cvt_u32_f32_e32 v3, v3
	v_readfirstlane_b32 s9, v4
	v_readfirstlane_b32 s0, v3
	s_mul_i32 s1, s2, s9
	s_mul_hi_u32 s44, s2, s0
	s_mul_i32 s38, s3, s0
	s_add_i32 s1, s44, s1
	s_mul_i32 s47, s2, s0
	s_add_i32 s1, s1, s38
	s_mul_hi_u32 s44, s0, s47
	s_mul_i32 s52, s0, s1
	s_mul_hi_u32 s38, s0, s1
	s_add_u32 s44, s44, s52
	s_addc_u32 s38, 0, s38
	s_mul_hi_u32 s56, s9, s47
	s_mul_i32 s47, s9, s47
	s_add_u32 s44, s44, s47
	s_mul_hi_u32 s52, s9, s1
	s_addc_u32 s38, s38, s56
	s_addc_u32 s44, s52, 0
	s_mul_i32 s1, s9, s1
	s_add_u32 s1, s38, s1
	s_addc_u32 s38, 0, s44
	s_add_u32 s44, s0, s1
	s_cselect_b64 s[0:1], -1, 0
	s_cmp_lg_u64 s[0:1], 0
	s_addc_u32 s9, s9, s38
	s_mul_i32 s0, s2, s9
	s_mul_hi_u32 s1, s2, s44
	s_add_i32 s0, s1, s0
	s_mul_i32 s3, s3, s44
	s_add_i32 s0, s0, s3
	s_mul_i32 s2, s2, s44
	s_mul_hi_u32 s3, s9, s2
	s_mul_i32 s38, s9, s2
	s_mul_i32 s52, s44, s0
	s_mul_hi_u32 s2, s44, s2
	s_mul_hi_u32 s47, s44, s0
	s_add_u32 s2, s2, s52
	s_addc_u32 s47, 0, s47
	s_add_u32 s2, s2, s38
	s_mul_hi_u32 s1, s9, s0
	s_addc_u32 s2, s47, s3
	s_addc_u32 s1, s1, 0
	s_mul_i32 s0, s9, s0
	s_add_u32 s0, s2, s0
	s_addc_u32 s2, 0, s1
	s_add_u32 s3, s44, s0
	s_cselect_b64 s[0:1], -1, 0
	s_cmp_lg_u64 s[0:1], 0
	s_addc_u32 s0, s9, s2
	s_mul_i32 s2, s8, s0
	s_mul_hi_u32 s9, s8, s3
	s_mul_hi_u32 s1, s8, s0
	s_add_u32 s2, s9, s2
	s_addc_u32 s1, 0, s1
	s_mul_hi_u32 s38, s39, s3
	s_mul_i32 s3, s39, s3
	s_add_u32 s2, s2, s3
	s_mul_hi_u32 s9, s39, s0
	s_addc_u32 s1, s1, s38
	s_addc_u32 s2, s9, 0
	s_mul_i32 s0, s39, s0
	s_add_u32 s0, s1, s0
	s_addc_u32 s1, 0, s2
	s_mul_i32 s1, s33, s1
	s_mul_hi_u32 s2, s33, s0
	s_add_i32 s2, s2, s1
	s_mul_i32 s0, s33, s0
	s_sub_u32 s3, s8, s0
	s_cselect_b64 s[0:1], -1, 0
	s_cmp_lg_u64 s[0:1], 0
	s_subb_u32 s2, s39, s2
	s_sub_u32 s9, s3, s33
	s_cselect_b64 s[0:1], -1, 0
	s_cmp_lg_u64 s[0:1], 0
	s_subb_u32 s38, s2, 0
	;; [unrolled: 4-line block ×3, first 2 shown]
	s_cmp_ge_u32 s9, s33
	s_cselect_b32 s1, -1, 0
	s_cmp_eq_u32 s38, 0
	s_cselect_b32 s1, s1, -1
	s_cmp_lg_u32 s1, 0
	s_cselect_b32 s0, s0, s38
	s_cselect_b32 s9, s44, s9
	s_cmp_ge_u32 s3, s33
	s_cselect_b32 s1, -1, 0
	s_cmp_eq_u32 s2, 0
	s_cselect_b32 s1, s1, -1
	s_cmp_lg_u32 s1, 0
	s_cselect_b32 s1, s0, s2
	s_cselect_b32 s0, s9, s3
	s_cbranch_execnz .LBB103_109
.LBB103_108:                            ;   in Loop: Header=BB103_36 Depth=1
	v_cvt_f32_u32_e32 v3, s33
	s_sub_i32 s0, 0, s33
	v_rcp_iflag_f32_e32 v3, v3
	v_mul_f32_e32 v3, 0x4f7ffffe, v3
	v_cvt_u32_f32_e32 v3, v3
	v_readfirstlane_b32 s1, v3
	s_mul_i32 s0, s0, s1
	s_mul_hi_u32 s0, s1, s0
	s_add_i32 s1, s1, s0
	s_mul_hi_u32 s0, s8, s1
	s_mul_i32 s0, s0, s33
	s_sub_i32 s0, s8, s0
	s_sub_i32 s1, s0, s33
	s_cmp_ge_u32 s0, s33
	s_cselect_b32 s0, s1, s0
	s_sub_i32 s1, s0, s33
	s_cmp_ge_u32 s0, s33
	s_cselect_b32 s44, s1, s0
	s_mov_b64 s[0:1], s[44:45]
.LBB103_109:                            ;   in Loop: Header=BB103_36 Depth=1
	s_sub_u32 s8, s8, s0
	s_subb_u32 s9, s39, s1
	v_cmp_gt_u64_e32 vcc, s[8:9], v[0:1]
	s_mov_b64 s[56:57], 0
	s_mov_b64 s[38:39], 0
                                        ; implicit-def: $vgpr5_vgpr6
	s_and_saveexec_b64 s[2:3], vcc
	s_cbranch_execz .LBB103_118
; %bb.110:                              ;   in Loop: Header=BB103_36 Depth=1
	v_mov_b32_e32 v12, v1
	v_mov_b32_e32 v13, v46
	;; [unrolled: 1-line block ×3, first 2 shown]
                                        ; implicit-def: $sgpr0_sgpr1
	s_branch .LBB103_113
.LBB103_111:                            ;   in Loop: Header=BB103_113 Depth=2
	s_or_b64 exec, exec, s[58:59]
	s_waitcnt lgkmcnt(0)
	s_barrier
	ds_read_b128 v[3:6], v16 offset:3072
	s_mov_b64 s[58:59], -1
	s_mov_b64 s[60:61], -1
	s_waitcnt lgkmcnt(0)
	s_barrier
	v_cmp_ne_u64_e32 vcc, 0, v[3:4]
	s_cbranch_vccz .LBB103_116
.LBB103_112:                            ;   in Loop: Header=BB103_113 Depth=2
	s_and_b64 s[58:59], exec, s[58:59]
	s_or_b64 s[38:39], s[58:59], s[38:39]
	s_andn2_b64 s[0:1], s[0:1], exec
	s_and_b64 s[58:59], s[60:61], exec
	s_or_b64 s[0:1], s[0:1], s[58:59]
	s_andn2_b64 exec, exec, s[38:39]
	s_cbranch_execz .LBB103_117
.LBB103_113:                            ;   Parent Loop BB103_36 Depth=1
                                        ; =>  This Inner Loop Header: Depth=2
	v_cmp_gt_u64_e32 vcc, s[40:41], v[11:12]
	s_and_saveexec_b64 s[58:59], vcc
	s_cbranch_execz .LBB103_111
; %bb.114:                              ;   in Loop: Header=BB103_113 Depth=2
	ds_read_b64 v[4:5], v13
	s_waitcnt lgkmcnt(0)
	v_xor_b32_e32 v3, 0x80000000, v5
	v_and_b32_e32 v15, v3, v34
	v_and_b32_e32 v14, v4, v33
	v_cmp_eq_u64_e32 vcc, v[14:15], v[31:32]
	s_and_b64 exec, exec, vcc
	s_cbranch_execz .LBB103_111
; %bb.115:                              ;   in Loop: Header=BB103_113 Depth=2
	v_mov_b32_e32 v3, v16
	ds_write_b128 v16, v[2:5] offset:3072
	s_branch .LBB103_111
.LBB103_116:                            ;   in Loop: Header=BB103_113 Depth=2
	v_add_co_u32_e32 v11, vcc, s33, v11
	v_addc_co_u32_e32 v12, vcc, 0, v12, vcc
	v_cmp_le_u64_e32 vcc, s[8:9], v[11:12]
	v_add_u32_e32 v13, s64, v13
	s_mov_b64 s[60:61], 0
	s_orn2_b64 s[58:59], vcc, exec
	s_branch .LBB103_112
.LBB103_117:                            ;   in Loop: Header=BB103_36 Depth=1
	s_or_b64 exec, exec, s[38:39]
	s_and_b64 s[38:39], s[0:1], exec
.LBB103_118:                            ;   in Loop: Header=BB103_36 Depth=1
	s_or_b64 exec, exec, s[2:3]
.LBB103_119:                            ;   in Loop: Header=BB103_36 Depth=1
	s_and_b64 vcc, exec, s[56:57]
	s_cbranch_vccz .LBB103_133
; %bb.120:                              ;   in Loop: Header=BB103_36 Depth=1
	s_mov_b32 s52, s45
	s_cmp_lg_u64 s[52:53], 0
	s_cbranch_scc0 .LBB103_164
; %bb.121:                              ;   in Loop: Header=BB103_36 Depth=1
	v_cvt_f32_u32_e32 v3, s33
	s_sub_u32 s2, 0, s33
	s_subb_u32 s3, 0, 0
	v_mac_f32_e32 v3, 0, v54
	v_rcp_f32_e32 v3, v3
	v_mul_f32_e32 v3, 0x5f7ffffc, v3
	v_mul_f32_e32 v4, 0x2f800000, v3
	v_trunc_f32_e32 v4, v4
	v_mac_f32_e32 v3, 0xcf800000, v4
	v_cvt_u32_f32_e32 v4, v4
	v_cvt_u32_f32_e32 v3, v3
	v_readfirstlane_b32 s8, v4
	v_readfirstlane_b32 s0, v3
	s_mul_i32 s1, s2, s8
	s_mul_hi_u32 s30, s2, s0
	s_mul_i32 s9, s3, s0
	s_add_i32 s1, s30, s1
	s_mul_i32 s31, s2, s0
	s_add_i32 s1, s1, s9
	s_mul_hi_u32 s30, s0, s31
	s_mul_i32 s36, s0, s1
	s_mul_hi_u32 s9, s0, s1
	s_add_u32 s30, s30, s36
	s_addc_u32 s9, 0, s9
	s_mul_hi_u32 s37, s8, s31
	s_mul_i32 s31, s8, s31
	s_add_u32 s30, s30, s31
	s_mul_hi_u32 s36, s8, s1
	s_addc_u32 s9, s9, s37
	s_addc_u32 s30, s36, 0
	s_mul_i32 s1, s8, s1
	s_add_u32 s1, s9, s1
	s_addc_u32 s9, 0, s30
	s_add_u32 s30, s0, s1
	s_cselect_b64 s[0:1], -1, 0
	s_cmp_lg_u64 s[0:1], 0
	s_addc_u32 s8, s8, s9
	s_mul_i32 s0, s2, s8
	s_mul_hi_u32 s1, s2, s30
	s_add_i32 s0, s1, s0
	s_mul_i32 s3, s3, s30
	s_add_i32 s0, s0, s3
	s_mul_i32 s2, s2, s30
	s_mul_hi_u32 s3, s8, s2
	s_mul_i32 s9, s8, s2
	s_mul_i32 s36, s30, s0
	s_mul_hi_u32 s2, s30, s2
	s_mul_hi_u32 s31, s30, s0
	s_add_u32 s2, s2, s36
	s_addc_u32 s31, 0, s31
	s_add_u32 s2, s2, s9
	s_mul_hi_u32 s1, s8, s0
	s_addc_u32 s2, s31, s3
	s_addc_u32 s1, s1, 0
	s_mul_i32 s0, s8, s0
	s_add_u32 s0, s2, s0
	s_addc_u32 s2, 0, s1
	s_add_u32 s3, s30, s0
	s_cselect_b64 s[0:1], -1, 0
	s_cmp_lg_u64 s[0:1], 0
	s_addc_u32 s0, s8, s2
	s_mul_i32 s2, s16, s0
	s_mul_hi_u32 s8, s16, s3
	s_mul_hi_u32 s1, s16, s0
	s_add_u32 s2, s8, s2
	s_addc_u32 s1, 0, s1
	s_mul_hi_u32 s9, s53, s3
	s_mul_i32 s3, s53, s3
	s_add_u32 s2, s2, s3
	s_mul_hi_u32 s8, s53, s0
	s_addc_u32 s1, s1, s9
	s_addc_u32 s2, s8, 0
	s_mul_i32 s0, s53, s0
	s_add_u32 s0, s1, s0
	s_addc_u32 s1, 0, s2
	s_mul_i32 s1, s33, s1
	s_mul_hi_u32 s2, s33, s0
	s_add_i32 s2, s2, s1
	s_mul_i32 s0, s33, s0
	s_sub_u32 s3, s16, s0
	s_cselect_b64 s[0:1], -1, 0
	s_cmp_lg_u64 s[0:1], 0
	s_subb_u32 s2, s53, s2
	s_sub_u32 s8, s3, s33
	s_cselect_b64 s[0:1], -1, 0
	s_cmp_lg_u64 s[0:1], 0
	s_subb_u32 s9, s2, 0
	;; [unrolled: 4-line block ×3, first 2 shown]
	s_cmp_ge_u32 s8, s33
	s_cselect_b32 s1, -1, 0
	s_cmp_eq_u32 s9, 0
	s_cselect_b32 s1, s1, -1
	s_cmp_lg_u32 s1, 0
	s_cselect_b32 s0, s0, s9
	s_cselect_b32 s8, s30, s8
	s_cmp_ge_u32 s3, s33
	s_cselect_b32 s1, -1, 0
	s_cmp_eq_u32 s2, 0
	s_cselect_b32 s1, s1, -1
	s_cmp_lg_u32 s1, 0
	s_cselect_b32 s1, s0, s2
	s_cselect_b32 s0, s8, s3
	s_cbranch_execnz .LBB103_123
.LBB103_122:                            ;   in Loop: Header=BB103_36 Depth=1
	v_cvt_f32_u32_e32 v3, s33
	s_sub_i32 s0, 0, s33
	v_rcp_iflag_f32_e32 v3, v3
	v_mul_f32_e32 v3, 0x4f7ffffe, v3
	v_cvt_u32_f32_e32 v3, v3
	v_readfirstlane_b32 s1, v3
	s_mul_i32 s0, s0, s1
	s_mul_hi_u32 s0, s1, s0
	s_add_i32 s1, s1, s0
	s_mul_hi_u32 s0, s16, s1
	s_mul_i32 s0, s0, s33
	s_sub_i32 s0, s16, s0
	s_sub_i32 s1, s0, s33
	s_cmp_ge_u32 s0, s33
	s_cselect_b32 s0, s1, s0
	s_sub_i32 s1, s0, s33
	s_cmp_ge_u32 s0, s33
	s_cselect_b32 s44, s1, s0
	s_mov_b64 s[0:1], s[44:45]
.LBB103_123:                            ;   in Loop: Header=BB103_36 Depth=1
	s_sub_u32 s36, s16, s0
	s_subb_u32 s37, s53, s1
	v_cmp_gt_u64_e32 vcc, s[36:37], v[0:1]
                                        ; implicit-def: $vgpr5_vgpr6
	s_and_saveexec_b64 s[30:31], vcc
	s_cbranch_execz .LBB103_132
; %bb.124:                              ;   in Loop: Header=BB103_36 Depth=1
	v_mov_b32_e32 v11, v17
	v_mov_b32_e32 v14, v1
	s_mov_b64 s[8:9], 0
	v_mov_b32_e32 v12, v18
	v_mov_b32_e32 v13, v0
                                        ; implicit-def: $sgpr2_sgpr3
	s_branch .LBB103_127
.LBB103_125:                            ;   in Loop: Header=BB103_127 Depth=2
	s_or_b64 exec, exec, s[0:1]
	s_waitcnt lgkmcnt(0)
	s_barrier
	ds_read_b128 v[3:6], v16 offset:3072
	s_mov_b64 s[0:1], -1
	s_mov_b64 s[40:41], -1
	s_waitcnt lgkmcnt(0)
	s_barrier
	v_cmp_ne_u64_e32 vcc, 0, v[3:4]
	s_cbranch_vccz .LBB103_130
.LBB103_126:                            ;   in Loop: Header=BB103_127 Depth=2
	s_and_b64 s[0:1], exec, s[0:1]
	s_or_b64 s[8:9], s[0:1], s[8:9]
	s_andn2_b64 s[0:1], s[2:3], exec
	s_and_b64 s[2:3], s[40:41], exec
	s_or_b64 s[2:3], s[0:1], s[2:3]
	s_andn2_b64 exec, exec, s[8:9]
	s_cbranch_execz .LBB103_131
.LBB103_127:                            ;   Parent Loop BB103_36 Depth=1
                                        ; =>  This Inner Loop Header: Depth=2
	v_cmp_gt_u64_e32 vcc, s[20:21], v[13:14]
	s_and_saveexec_b64 s[0:1], vcc
	s_cbranch_execz .LBB103_125
; %bb.128:                              ;   in Loop: Header=BB103_127 Depth=2
	global_load_dwordx2 v[4:5], v[11:12], off
	s_waitcnt vmcnt(0)
	v_xor_b32_e32 v3, 0x80000000, v5
	v_and_b32_e32 v38, v3, v34
	v_and_b32_e32 v37, v4, v33
	v_cmp_eq_u64_e32 vcc, v[37:38], v[31:32]
	s_and_b64 exec, exec, vcc
	s_cbranch_execz .LBB103_125
; %bb.129:                              ;   in Loop: Header=BB103_127 Depth=2
	v_mov_b32_e32 v3, v16
	ds_write_b128 v16, v[2:5] offset:3072
	s_branch .LBB103_125
.LBB103_130:                            ;   in Loop: Header=BB103_127 Depth=2
	v_add_co_u32_e32 v13, vcc, s33, v13
	v_addc_co_u32_e32 v14, vcc, 0, v14, vcc
	v_mov_b32_e32 v3, s49
	v_add_co_u32_e32 v11, vcc, s48, v11
	v_addc_co_u32_e32 v12, vcc, v12, v3, vcc
	v_cmp_le_u64_e32 vcc, s[36:37], v[13:14]
	s_mov_b64 s[40:41], 0
	s_orn2_b64 s[0:1], vcc, exec
	s_branch .LBB103_126
.LBB103_131:                            ;   in Loop: Header=BB103_36 Depth=1
	s_or_b64 exec, exec, s[8:9]
	s_andn2_b64 s[0:1], s[38:39], exec
	s_and_b64 s[2:3], s[2:3], exec
	s_or_b64 s[38:39], s[0:1], s[2:3]
.LBB103_132:                            ;   in Loop: Header=BB103_36 Depth=1
	s_or_b64 exec, exec, s[30:31]
	s_mov_b64 s[30:31], 0
	s_mov_b64 s[36:37], -1
.LBB103_133:                            ;   in Loop: Header=BB103_36 Depth=1
	s_orn2_b64 s[0:1], s[38:39], exec
.LBB103_134:                            ;   in Loop: Header=BB103_36 Depth=1
	s_or_b64 exec, exec, s[14:15]
	s_andn2_b64 s[2:3], s[78:79], exec
	s_and_b64 s[8:9], s[36:37], exec
	s_or_b64 s[78:79], s[2:3], s[8:9]
	s_andn2_b64 s[2:3], s[76:77], exec
	s_and_b64 s[8:9], s[30:31], exec
	s_andn2_b64 s[74:75], s[74:75], exec
	s_or_b64 s[76:77], s[2:3], s[8:9]
                                        ; implicit-def: $vgpr11_vgpr12
	s_and_saveexec_b64 s[14:15], s[0:1]
	s_cbranch_execz .LBB103_35
; %bb.135:                              ;   in Loop: Header=BB103_36 Depth=1
	v_mov_b32_e32 v11, 1
	s_xor_b64 s[0:1], s[18:19], -1
	v_mov_b32_e32 v37, 1
	v_mov_b32_e32 v12, 0
	s_mov_b64 s[2:3], 0
	s_and_saveexec_b64 s[6:7], s[0:1]
	s_cbranch_execz .LBB103_144
; %bb.136:                              ;   in Loop: Header=BB103_36 Depth=1
	v_cmp_le_u64_e32 vcc, v[35:36], v[7:8]
	s_and_saveexec_b64 s[0:1], vcc
	s_xor_b64 s[0:1], exec, s[0:1]
	s_cbranch_execz .LBB103_141
; %bb.137:                              ;   in Loop: Header=BB103_36 Depth=1
	ds_read_b64 v[3:4], v16 offset:5120
	v_and_b32_e32 v32, s87, v32
	v_and_b32_e32 v31, s86, v31
	v_or_b32_e32 v34, s13, v34
	v_or_b32_e32 v33, s12, v33
	s_waitcnt lgkmcnt(0)
	v_cmp_ne_u64_e32 vcc, 0, v[3:4]
	s_cbranch_vccnz .LBB103_141
; %bb.138:                              ;   in Loop: Header=BB103_36 Depth=1
	s_mov_b64 s[2:3], exec
	v_readlane_b32 s8, v57, 2
	v_readlane_b32 s9, v57, 3
	s_and_b64 s[8:9], s[2:3], s[8:9]
	s_mov_b64 exec, s[8:9]
; %bb.139:                              ;   in Loop: Header=BB103_36 Depth=1
	ds_write_b64 v16, v[7:8] offset:5128
; %bb.140:                              ;   in Loop: Header=BB103_36 Depth=1
	s_or_b64 exec, exec, s[2:3]
	s_waitcnt lgkmcnt(0)
	s_barrier
.LBB103_141:                            ;   in Loop: Header=BB103_36 Depth=1
	s_or_saveexec_b64 s[0:1], s[0:1]
	s_mov_b64 s[2:3], 0
	v_mov_b32_e32 v37, 8
	s_xor_b64 exec, exec, s[0:1]
; %bb.142:                              ;   in Loop: Header=BB103_36 Depth=1
	v_sub_co_u32_e32 v35, vcc, v35, v7
	s_mov_b64 s[2:3], exec
	v_subb_co_u32_e32 v36, vcc, v36, v8, vcc
	v_mov_b32_e32 v37, 0
; %bb.143:                              ;   in Loop: Header=BB103_36 Depth=1
	s_or_b64 exec, exec, s[0:1]
	v_mov_b32_e32 v11, v35
	s_and_b64 s[2:3], s[2:3], exec
	v_mov_b32_e32 v12, v36
.LBB103_144:                            ;   in Loop: Header=BB103_36 Depth=1
	s_or_b64 exec, exec, s[6:7]
	s_mov_b64 s[18:19], -1
	s_mov_b64 s[0:1], -1
                                        ; implicit-def: $sgpr6_sgpr7
                                        ; implicit-def: $sgpr84_sgpr85
	s_and_saveexec_b64 s[8:9], s[2:3]
	s_xor_b64 s[80:81], exec, s[8:9]
	s_cbranch_execz .LBB103_289
; %bb.145:                              ;   in Loop: Header=BB103_36 Depth=1
	v_cmp_eq_u64_e32 vcc, 1, v[9:10]
	v_cmp_eq_u64_e64 s[6:7], 1, v[11:12]
                                        ; implicit-def: $sgpr84_sgpr85
	s_and_b64 s[38:39], vcc, s[6:7]
                                        ; implicit-def: $sgpr6_sgpr7
	s_and_saveexec_b64 s[36:37], s[38:39]
	s_cbranch_execz .LBB103_182
; %bb.146:                              ;   in Loop: Header=BB103_36 Depth=1
	ds_read_b64 v[3:4], v16 offset:5120
	s_waitcnt lgkmcnt(0)
	s_barrier
	v_readfirstlane_b32 s40, v3
	v_readfirstlane_b32 s41, v4
	s_mov_b64 s[0:1], exec
	v_readlane_b32 s2, v57, 12
	v_readlane_b32 s3, v57, 13
	s_and_b64 s[2:3], s[0:1], s[2:3]
	s_mov_b64 exec, s[2:3]
; %bb.147:                              ;   in Loop: Header=BB103_36 Depth=1
	v_mov_b32_e32 v15, v16
	ds_write_b64 v47, v[15:16]
; %bb.148:                              ;   in Loop: Header=BB103_36 Depth=1
	s_or_b64 exec, exec, s[0:1]
	s_lshl_b64 s[0:1], 1, s65
	v_and_b32_e32 v3, s87, v32
	v_and_b32_e32 v4, s86, v31
	v_or_b32_e32 v32, s1, v3
	v_or_b32_e32 v31, s0, v4
	;; [unrolled: 1-line block ×4, first 2 shown]
	s_mov_b64 s[6:7], -1
	s_mov_b64 s[84:85], 0
	s_cmp_eq_u64 s[40:41], 0
	s_mov_b64 s[30:31], 0
	s_mov_b64 s[56:57], -1
	s_waitcnt lgkmcnt(0)
	s_barrier
                                        ; implicit-def: $vgpr5_vgpr6
	s_cbranch_scc1 .LBB103_167
; %bb.149:                              ;   in Loop: Header=BB103_36 Depth=1
	v_readlane_b32 s0, v57, 18
	s_add_u32 s8, s40, s0
	v_readlane_b32 s0, v57, 19
	s_addc_u32 s31, s41, s0
	s_mov_b32 s30, s45
	s_cmp_lg_u64 s[30:31], 0
	s_cbranch_scc0 .LBB103_209
; %bb.150:                              ;   in Loop: Header=BB103_36 Depth=1
	v_cvt_f32_u32_e32 v3, s33
	s_sub_u32 s2, 0, s33
	s_subb_u32 s3, 0, 0
	v_mac_f32_e32 v3, 0, v54
	v_rcp_f32_e32 v3, v3
	v_mul_f32_e32 v3, 0x5f7ffffc, v3
	v_mul_f32_e32 v4, 0x2f800000, v3
	v_trunc_f32_e32 v4, v4
	v_mac_f32_e32 v3, 0xcf800000, v4
	v_cvt_u32_f32_e32 v4, v4
	v_cvt_u32_f32_e32 v3, v3
	v_readfirstlane_b32 s9, v4
	v_readfirstlane_b32 s0, v3
	s_mul_i32 s1, s2, s9
	s_mul_hi_u32 s44, s2, s0
	s_mul_i32 s30, s3, s0
	s_add_i32 s1, s44, s1
	s_mul_i32 s47, s2, s0
	s_add_i32 s1, s1, s30
	s_mul_hi_u32 s44, s0, s47
	s_mul_i32 s52, s0, s1
	s_mul_hi_u32 s30, s0, s1
	s_add_u32 s44, s44, s52
	s_addc_u32 s30, 0, s30
	s_mul_hi_u32 s56, s9, s47
	s_mul_i32 s47, s9, s47
	s_add_u32 s44, s44, s47
	s_mul_hi_u32 s52, s9, s1
	s_addc_u32 s30, s30, s56
	s_addc_u32 s44, s52, 0
	s_mul_i32 s1, s9, s1
	s_add_u32 s1, s30, s1
	s_addc_u32 s30, 0, s44
	s_add_u32 s44, s0, s1
	s_cselect_b64 s[0:1], -1, 0
	s_cmp_lg_u64 s[0:1], 0
	s_addc_u32 s9, s9, s30
	s_mul_i32 s0, s2, s9
	s_mul_hi_u32 s1, s2, s44
	s_add_i32 s0, s1, s0
	s_mul_i32 s3, s3, s44
	s_add_i32 s0, s0, s3
	s_mul_i32 s2, s2, s44
	s_mul_hi_u32 s3, s9, s2
	s_mul_i32 s30, s9, s2
	s_mul_i32 s52, s44, s0
	s_mul_hi_u32 s2, s44, s2
	s_mul_hi_u32 s47, s44, s0
	s_add_u32 s2, s2, s52
	s_addc_u32 s47, 0, s47
	s_add_u32 s2, s2, s30
	s_mul_hi_u32 s1, s9, s0
	s_addc_u32 s2, s47, s3
	s_addc_u32 s1, s1, 0
	s_mul_i32 s0, s9, s0
	s_add_u32 s0, s2, s0
	s_addc_u32 s2, 0, s1
	s_add_u32 s3, s44, s0
	s_cselect_b64 s[0:1], -1, 0
	s_cmp_lg_u64 s[0:1], 0
	s_addc_u32 s0, s9, s2
	s_mul_i32 s2, s8, s0
	s_mul_hi_u32 s9, s8, s3
	s_mul_hi_u32 s1, s8, s0
	s_add_u32 s2, s9, s2
	s_addc_u32 s1, 0, s1
	s_mul_hi_u32 s30, s31, s3
	s_mul_i32 s3, s31, s3
	s_add_u32 s2, s2, s3
	s_mul_hi_u32 s9, s31, s0
	s_addc_u32 s1, s1, s30
	s_addc_u32 s2, s9, 0
	s_mul_i32 s0, s31, s0
	s_add_u32 s0, s1, s0
	s_addc_u32 s1, 0, s2
	s_mul_i32 s1, s33, s1
	s_mul_hi_u32 s2, s33, s0
	s_add_i32 s2, s2, s1
	s_mul_i32 s0, s33, s0
	s_sub_u32 s3, s8, s0
	s_cselect_b64 s[0:1], -1, 0
	s_cmp_lg_u64 s[0:1], 0
	s_subb_u32 s2, s31, s2
	s_sub_u32 s9, s3, s33
	s_cselect_b64 s[0:1], -1, 0
	s_cmp_lg_u64 s[0:1], 0
	s_subb_u32 s30, s2, 0
	s_sub_u32 s44, s9, s33
	s_cselect_b64 s[0:1], -1, 0
	s_cmp_lg_u64 s[0:1], 0
	s_subb_u32 s0, s30, 0
	s_cmp_ge_u32 s9, s33
	s_cselect_b32 s1, -1, 0
	s_cmp_eq_u32 s30, 0
	s_cselect_b32 s1, s1, -1
	s_cmp_lg_u32 s1, 0
	s_cselect_b32 s0, s0, s30
	s_cselect_b32 s9, s44, s9
	s_cmp_ge_u32 s3, s33
	s_cselect_b32 s1, -1, 0
	s_cmp_eq_u32 s2, 0
	s_cselect_b32 s1, s1, -1
	s_cmp_lg_u32 s1, 0
	s_cselect_b32 s1, s0, s2
	s_cselect_b32 s0, s9, s3
	s_cbranch_execnz .LBB103_152
.LBB103_151:                            ;   in Loop: Header=BB103_36 Depth=1
	v_cvt_f32_u32_e32 v3, s33
	s_sub_i32 s0, 0, s33
	v_rcp_iflag_f32_e32 v3, v3
	v_mul_f32_e32 v3, 0x4f7ffffe, v3
	v_cvt_u32_f32_e32 v3, v3
	v_readfirstlane_b32 s1, v3
	s_mul_i32 s0, s0, s1
	s_mul_hi_u32 s0, s1, s0
	s_add_i32 s1, s1, s0
	s_mul_hi_u32 s0, s8, s1
	s_mul_i32 s0, s0, s33
	s_sub_i32 s0, s8, s0
	s_sub_i32 s1, s0, s33
	s_cmp_ge_u32 s0, s33
	s_cselect_b32 s0, s1, s0
	s_sub_i32 s1, s0, s33
	s_cmp_ge_u32 s0, s33
	s_cselect_b32 s44, s1, s0
	s_mov_b64 s[0:1], s[44:45]
.LBB103_152:                            ;   in Loop: Header=BB103_36 Depth=1
	s_sub_u32 s2, s8, s0
	s_subb_u32 s3, s31, s1
	v_cmp_gt_u64_e32 vcc, s[2:3], v[0:1]
	s_mov_b64 s[56:57], 0
	s_mov_b64 s[30:31], 0
                                        ; implicit-def: $vgpr5_vgpr6
	s_and_saveexec_b64 s[58:59], vcc
	s_cbranch_execz .LBB103_166
; %bb.153:                              ;   in Loop: Header=BB103_36 Depth=1
	v_mov_b32_e32 v8, v1
	s_mov_b64 s[8:9], 0
	v_mov_b32_e32 v13, v46
	v_mov_b32_e32 v7, v0
                                        ; implicit-def: $sgpr30_sgpr31
	s_branch .LBB103_156
.LBB103_154:                            ;   in Loop: Header=BB103_156 Depth=2
	s_or_b64 exec, exec, s[0:1]
	s_waitcnt lgkmcnt(0)
	s_barrier
	ds_read_b128 v[3:6], v16 offset:3072
	s_mov_b64 s[0:1], -1
	s_mov_b64 s[60:61], -1
	s_waitcnt lgkmcnt(0)
	s_barrier
	v_cmp_ne_u64_e32 vcc, 0, v[3:4]
	s_cbranch_vccz .LBB103_159
.LBB103_155:                            ;   in Loop: Header=BB103_156 Depth=2
	s_and_b64 s[0:1], exec, s[0:1]
	s_or_b64 s[8:9], s[0:1], s[8:9]
	s_andn2_b64 s[0:1], s[30:31], exec
	s_and_b64 s[30:31], s[60:61], exec
	s_or_b64 s[30:31], s[0:1], s[30:31]
	s_andn2_b64 exec, exec, s[8:9]
	s_cbranch_execz .LBB103_165
.LBB103_156:                            ;   Parent Loop BB103_36 Depth=1
                                        ; =>  This Inner Loop Header: Depth=2
	v_cmp_gt_u64_e32 vcc, s[40:41], v[7:8]
	s_and_saveexec_b64 s[0:1], vcc
	s_cbranch_execz .LBB103_154
; %bb.157:                              ;   in Loop: Header=BB103_156 Depth=2
	ds_read_b64 v[4:5], v13
	s_waitcnt lgkmcnt(0)
	v_xor_b32_e32 v3, 0x80000000, v5
	v_and_b32_e32 v15, v3, v34
	v_and_b32_e32 v14, v4, v33
	v_cmp_eq_u64_e32 vcc, v[14:15], v[31:32]
	s_and_b64 exec, exec, vcc
	s_cbranch_execz .LBB103_154
; %bb.158:                              ;   in Loop: Header=BB103_156 Depth=2
	v_mov_b32_e32 v3, v16
	ds_write_b128 v16, v[2:5] offset:3072
	s_branch .LBB103_154
.LBB103_159:                            ;   in Loop: Header=BB103_156 Depth=2
	v_add_co_u32_e32 v7, vcc, s33, v7
	v_addc_co_u32_e32 v8, vcc, 0, v8, vcc
	v_cmp_le_u64_e32 vcc, s[2:3], v[7:8]
	v_add_u32_e32 v13, s64, v13
	s_mov_b64 s[60:61], 0
	s_orn2_b64 s[0:1], vcc, exec
	s_branch .LBB103_155
.LBB103_160:                            ;   in Loop: Header=BB103_36 Depth=1
                                        ; implicit-def: $sgpr0_sgpr1
	s_branch .LBB103_108
.LBB103_161:                            ;   in Loop: Header=BB103_36 Depth=1
	s_or_b64 exec, exec, s[14:15]
	s_waitcnt lgkmcnt(0)
	s_barrier
	s_mov_b64 s[0:1], exec
	v_readlane_b32 s2, v57, 2
	v_readlane_b32 s3, v57, 3
	s_and_b64 s[2:3], s[0:1], s[2:3]
	s_mov_b64 exec, s[2:3]
	s_cbranch_execz .LBB103_163
; %bb.162:                              ;   in Loop: Header=BB103_36 Depth=1
	ds_read_b32 v3, v16 offset:5144
	s_waitcnt lgkmcnt(0)
	v_ashrrev_i32_e32 v4, 31, v3
	ds_write_b64 v16, v[3:4] offset:5120
.LBB103_163:                            ;   in Loop: Header=BB103_36 Depth=1
	s_or_b64 exec, exec, s[0:1]
	s_waitcnt lgkmcnt(0)
	s_barrier
	s_mov_b64 s[0:1], -1
	s_and_b64 vcc, exec, s[12:13]
	s_cbranch_vccnz .LBB103_52
	s_branch .LBB103_61
.LBB103_164:                            ;   in Loop: Header=BB103_36 Depth=1
                                        ; implicit-def: $sgpr0_sgpr1
	s_branch .LBB103_122
.LBB103_165:                            ;   in Loop: Header=BB103_36 Depth=1
	s_or_b64 exec, exec, s[8:9]
	s_and_b64 s[30:31], s[30:31], exec
.LBB103_166:                            ;   in Loop: Header=BB103_36 Depth=1
	s_or_b64 exec, exec, s[58:59]
.LBB103_167:                            ;   in Loop: Header=BB103_36 Depth=1
	s_and_b64 vcc, exec, s[56:57]
	s_cbranch_vccz .LBB103_181
; %bb.168:                              ;   in Loop: Header=BB103_36 Depth=1
	s_mov_b32 s52, s45
	s_cmp_lg_u64 s[52:53], 0
	s_cbranch_scc0 .LBB103_210
; %bb.169:                              ;   in Loop: Header=BB103_36 Depth=1
	v_cvt_f32_u32_e32 v3, s33
	s_sub_u32 s2, 0, s33
	s_subb_u32 s3, 0, 0
	v_mac_f32_e32 v3, 0, v54
	v_rcp_f32_e32 v3, v3
	v_mul_f32_e32 v3, 0x5f7ffffc, v3
	v_mul_f32_e32 v4, 0x2f800000, v3
	v_trunc_f32_e32 v4, v4
	v_mac_f32_e32 v3, 0xcf800000, v4
	v_cvt_u32_f32_e32 v4, v4
	v_cvt_u32_f32_e32 v3, v3
	v_readfirstlane_b32 s6, v4
	v_readfirstlane_b32 s0, v3
	s_mul_i32 s1, s2, s6
	s_mul_hi_u32 s8, s2, s0
	s_mul_i32 s7, s3, s0
	s_add_i32 s1, s8, s1
	s_mul_i32 s9, s2, s0
	s_add_i32 s1, s1, s7
	s_mul_hi_u32 s8, s0, s9
	s_mul_i32 s40, s0, s1
	s_mul_hi_u32 s7, s0, s1
	s_add_u32 s8, s8, s40
	s_addc_u32 s7, 0, s7
	s_mul_hi_u32 s41, s6, s9
	s_mul_i32 s9, s6, s9
	s_add_u32 s8, s8, s9
	s_mul_hi_u32 s40, s6, s1
	s_addc_u32 s7, s7, s41
	s_addc_u32 s8, s40, 0
	s_mul_i32 s1, s6, s1
	s_add_u32 s1, s7, s1
	s_addc_u32 s7, 0, s8
	s_add_u32 s8, s0, s1
	s_cselect_b64 s[0:1], -1, 0
	s_cmp_lg_u64 s[0:1], 0
	s_addc_u32 s6, s6, s7
	s_mul_i32 s0, s2, s6
	s_mul_hi_u32 s1, s2, s8
	s_add_i32 s0, s1, s0
	s_mul_i32 s3, s3, s8
	s_add_i32 s0, s0, s3
	s_mul_i32 s2, s2, s8
	s_mul_hi_u32 s3, s6, s2
	s_mul_i32 s7, s6, s2
	s_mul_i32 s40, s8, s0
	s_mul_hi_u32 s2, s8, s2
	s_mul_hi_u32 s9, s8, s0
	s_add_u32 s2, s2, s40
	s_addc_u32 s9, 0, s9
	s_add_u32 s2, s2, s7
	s_mul_hi_u32 s1, s6, s0
	s_addc_u32 s2, s9, s3
	s_addc_u32 s1, s1, 0
	s_mul_i32 s0, s6, s0
	s_add_u32 s0, s2, s0
	s_addc_u32 s2, 0, s1
	s_add_u32 s3, s8, s0
	s_cselect_b64 s[0:1], -1, 0
	s_cmp_lg_u64 s[0:1], 0
	s_addc_u32 s0, s6, s2
	s_mul_i32 s2, s16, s0
	s_mul_hi_u32 s6, s16, s3
	s_mul_hi_u32 s1, s16, s0
	s_add_u32 s2, s6, s2
	s_addc_u32 s1, 0, s1
	s_mul_hi_u32 s7, s53, s3
	s_mul_i32 s3, s53, s3
	s_add_u32 s2, s2, s3
	s_mul_hi_u32 s6, s53, s0
	s_addc_u32 s1, s1, s7
	s_addc_u32 s2, s6, 0
	s_mul_i32 s0, s53, s0
	s_add_u32 s0, s1, s0
	s_addc_u32 s1, 0, s2
	s_mul_i32 s1, s33, s1
	s_mul_hi_u32 s2, s33, s0
	s_add_i32 s2, s2, s1
	s_mul_i32 s0, s33, s0
	s_sub_u32 s3, s16, s0
	s_cselect_b64 s[0:1], -1, 0
	s_cmp_lg_u64 s[0:1], 0
	s_subb_u32 s2, s53, s2
	s_sub_u32 s6, s3, s33
	s_cselect_b64 s[0:1], -1, 0
	s_cmp_lg_u64 s[0:1], 0
	s_subb_u32 s7, s2, 0
	s_sub_u32 s8, s6, s33
	s_cselect_b64 s[0:1], -1, 0
	s_cmp_lg_u64 s[0:1], 0
	s_subb_u32 s0, s7, 0
	s_cmp_ge_u32 s6, s33
	s_cselect_b32 s1, -1, 0
	s_cmp_eq_u32 s7, 0
	s_cselect_b32 s1, s1, -1
	s_cmp_lg_u32 s1, 0
	s_cselect_b32 s0, s0, s7
	s_cselect_b32 s6, s8, s6
	s_cmp_ge_u32 s3, s33
	s_cselect_b32 s1, -1, 0
	s_cmp_eq_u32 s2, 0
	s_cselect_b32 s1, s1, -1
	s_cmp_lg_u32 s1, 0
	s_cselect_b32 s1, s0, s2
	s_cselect_b32 s0, s6, s3
	s_cbranch_execnz .LBB103_171
.LBB103_170:                            ;   in Loop: Header=BB103_36 Depth=1
	v_cvt_f32_u32_e32 v3, s33
	s_sub_i32 s0, 0, s33
	v_rcp_iflag_f32_e32 v3, v3
	v_mul_f32_e32 v3, 0x4f7ffffe, v3
	v_cvt_u32_f32_e32 v3, v3
	v_readfirstlane_b32 s1, v3
	s_mul_i32 s0, s0, s1
	s_mul_hi_u32 s0, s1, s0
	s_add_i32 s1, s1, s0
	s_mul_hi_u32 s0, s16, s1
	s_mul_i32 s0, s0, s33
	s_sub_i32 s0, s16, s0
	s_sub_i32 s1, s0, s33
	s_cmp_ge_u32 s0, s33
	s_cselect_b32 s0, s1, s0
	s_sub_i32 s1, s0, s33
	s_cmp_ge_u32 s0, s33
	s_cselect_b32 s44, s1, s0
	s_mov_b64 s[0:1], s[44:45]
.LBB103_171:                            ;   in Loop: Header=BB103_36 Depth=1
	s_sub_u32 s40, s16, s0
	s_subb_u32 s41, s53, s1
	v_cmp_gt_u64_e32 vcc, s[40:41], v[0:1]
                                        ; implicit-def: $vgpr5_vgpr6
	s_and_saveexec_b64 s[6:7], vcc
	s_cbranch_execz .LBB103_180
; %bb.172:                              ;   in Loop: Header=BB103_36 Depth=1
	v_mov_b32_e32 v7, v17
	v_mov_b32_e32 v14, v1
	s_mov_b64 s[2:3], 0
	v_mov_b32_e32 v8, v18
	v_mov_b32_e32 v13, v0
                                        ; implicit-def: $sgpr8_sgpr9
	s_branch .LBB103_175
.LBB103_173:                            ;   in Loop: Header=BB103_175 Depth=2
	s_or_b64 exec, exec, s[0:1]
	s_waitcnt lgkmcnt(0)
	s_barrier
	ds_read_b128 v[3:6], v16 offset:3072
	s_mov_b64 s[0:1], -1
	s_mov_b64 s[56:57], -1
	s_waitcnt lgkmcnt(0)
	s_barrier
	v_cmp_eq_u64_e32 vcc, 0, v[3:4]
	s_cbranch_vccnz .LBB103_178
.LBB103_174:                            ;   in Loop: Header=BB103_175 Depth=2
	s_and_b64 s[0:1], exec, s[0:1]
	s_or_b64 s[2:3], s[0:1], s[2:3]
	s_andn2_b64 s[0:1], s[8:9], exec
	s_and_b64 s[8:9], s[56:57], exec
	s_or_b64 s[8:9], s[0:1], s[8:9]
	s_andn2_b64 exec, exec, s[2:3]
	s_cbranch_execz .LBB103_179
.LBB103_175:                            ;   Parent Loop BB103_36 Depth=1
                                        ; =>  This Inner Loop Header: Depth=2
	v_cmp_gt_u64_e32 vcc, s[20:21], v[13:14]
	s_and_saveexec_b64 s[0:1], vcc
	s_cbranch_execz .LBB103_173
; %bb.176:                              ;   in Loop: Header=BB103_175 Depth=2
	global_load_dwordx2 v[4:5], v[7:8], off
	s_waitcnt vmcnt(0)
	v_xor_b32_e32 v3, 0x80000000, v5
	v_and_b32_e32 v36, v3, v34
	v_and_b32_e32 v35, v4, v33
	v_cmp_eq_u64_e32 vcc, v[35:36], v[31:32]
	s_and_b64 exec, exec, vcc
	s_cbranch_execz .LBB103_173
; %bb.177:                              ;   in Loop: Header=BB103_175 Depth=2
	v_mov_b32_e32 v3, v16
	ds_write_b128 v16, v[2:5] offset:3072
	s_branch .LBB103_173
.LBB103_178:                            ;   in Loop: Header=BB103_175 Depth=2
	v_add_co_u32_e32 v13, vcc, s33, v13
	v_addc_co_u32_e32 v14, vcc, 0, v14, vcc
	v_mov_b32_e32 v3, s49
	v_add_co_u32_e32 v7, vcc, s48, v7
	v_addc_co_u32_e32 v8, vcc, v8, v3, vcc
	v_cmp_le_u64_e32 vcc, s[40:41], v[13:14]
	s_mov_b64 s[56:57], 0
	s_orn2_b64 s[0:1], vcc, exec
	s_branch .LBB103_174
.LBB103_179:                            ;   in Loop: Header=BB103_36 Depth=1
	s_or_b64 exec, exec, s[2:3]
	s_andn2_b64 s[0:1], s[30:31], exec
	s_and_b64 s[2:3], s[8:9], exec
	s_or_b64 s[30:31], s[0:1], s[2:3]
.LBB103_180:                            ;   in Loop: Header=BB103_36 Depth=1
	s_or_b64 exec, exec, s[6:7]
	s_mov_b64 s[6:7], 0
	s_mov_b64 s[84:85], -1
.LBB103_181:                            ;   in Loop: Header=BB103_36 Depth=1
	s_orn2_b64 s[0:1], s[30:31], exec
.LBB103_182:                            ;   in Loop: Header=BB103_36 Depth=1
	s_or_b64 exec, exec, s[36:37]
	s_mov_b64 s[2:3], 0
	s_and_saveexec_b64 s[88:89], s[0:1]
	s_cbranch_execz .LBB103_288
; %bb.183:                              ;   in Loop: Header=BB103_36 Depth=1
	v_mov_b32_e32 v7, 1
	s_xor_b64 s[0:1], s[38:39], -1
	v_mov_b32_e32 v37, 1
	v_mov_b32_e32 v8, 0
	s_and_saveexec_b64 s[30:31], s[0:1]
	s_cbranch_execz .LBB103_193
; %bb.184:                              ;   in Loop: Header=BB103_36 Depth=1
	v_cmp_le_u64_e32 vcc, v[11:12], v[9:10]
	s_and_saveexec_b64 s[0:1], vcc
	s_xor_b64 s[2:3], exec, s[0:1]
	s_cbranch_execz .LBB103_190
; %bb.185:                              ;   in Loop: Header=BB103_36 Depth=1
	s_lshl_b64 s[0:1], 1, s65
	v_and_b32_e32 v3, s87, v32
	v_and_b32_e32 v4, s86, v31
	v_or_b32_e32 v32, s1, v3
	v_or_b32_e32 v31, s0, v4
	ds_read_b64 v[3:4], v16 offset:5120
	v_or_b32_e32 v34, s13, v34
	v_or_b32_e32 v33, s12, v33
	s_waitcnt lgkmcnt(0)
	v_cmp_ne_u64_e32 vcc, 0, v[3:4]
	s_cbranch_vccnz .LBB103_189
; %bb.186:                              ;   in Loop: Header=BB103_36 Depth=1
	s_mov_b64 s[0:1], exec
	v_readlane_b32 s8, v57, 2
	v_readlane_b32 s9, v57, 3
	s_and_b64 s[8:9], s[0:1], s[8:9]
	s_mov_b64 exec, s[8:9]
; %bb.187:                              ;   in Loop: Header=BB103_36 Depth=1
	ds_write_b64 v16, v[9:10] offset:5128
; %bb.188:                              ;   in Loop: Header=BB103_36 Depth=1
	s_or_b64 exec, exec, s[0:1]
	s_waitcnt lgkmcnt(0)
	s_barrier
.LBB103_189:                            ;   in Loop: Header=BB103_36 Depth=1
                                        ; implicit-def: $vgpr7_vgpr8_vgpr9_vgpr10
.LBB103_190:                            ;   in Loop: Header=BB103_36 Depth=1
	s_or_saveexec_b64 s[0:1], s[2:3]
	s_mov_b64 s[2:3], 0
	v_mov_b32_e32 v37, 8
	s_xor_b64 exec, exec, s[0:1]
; %bb.191:                              ;   in Loop: Header=BB103_36 Depth=1
	v_sub_co_u32_e32 v11, vcc, v11, v9
	v_subb_co_u32_e32 v12, vcc, v12, v10, vcc
	v_mov_b32_e32 v37, 0
	s_mov_b64 s[2:3], exec
; %bb.192:                              ;   in Loop: Header=BB103_36 Depth=1
	s_or_b64 exec, exec, s[0:1]
	v_mov_b32_e32 v7, v11
	s_and_b64 s[2:3], s[2:3], exec
	v_mov_b32_e32 v8, v12
.LBB103_193:                            ;   in Loop: Header=BB103_36 Depth=1
	s_or_b64 exec, exec, s[30:31]
	s_mov_b64 s[0:1], -1
                                        ; implicit-def: $sgpr92_sgpr93
                                        ; implicit-def: $sgpr94_sgpr95
	s_and_saveexec_b64 s[90:91], s[2:3]
	s_cbranch_execz .LBB103_287
; %bb.194:                              ;   in Loop: Header=BB103_36 Depth=1
	s_cmp_eq_u64 s[82:83], 1
	v_cmp_eq_u64_e32 vcc, 1, v[7:8]
	s_cselect_b64 s[0:1], -1, 0
	s_and_b64 s[36:37], s[0:1], vcc
	s_mov_b64 s[0:1], -1
                                        ; implicit-def: $sgpr94_sgpr95
                                        ; implicit-def: $sgpr92_sgpr93
	s_and_saveexec_b64 s[38:39], s[36:37]
	s_cbranch_execz .LBB103_228
; %bb.195:                              ;   in Loop: Header=BB103_36 Depth=1
	ds_read_b64 v[3:4], v16 offset:5120
	s_waitcnt lgkmcnt(0)
	s_barrier
	v_readfirstlane_b32 s40, v3
	v_readfirstlane_b32 s41, v4
	s_mov_b64 s[0:1], exec
	v_readlane_b32 s2, v57, 12
	v_readlane_b32 s3, v57, 13
	s_and_b64 s[2:3], s[0:1], s[2:3]
	s_mov_b64 exec, s[2:3]
; %bb.196:                              ;   in Loop: Header=BB103_36 Depth=1
	v_mov_b32_e32 v15, v16
	ds_write_b64 v47, v[15:16]
; %bb.197:                              ;   in Loop: Header=BB103_36 Depth=1
	s_or_b64 exec, exec, s[0:1]
	s_lshl_b64 s[0:1], 2, s65
	v_and_b32_e32 v3, s87, v32
	v_and_b32_e32 v4, s86, v31
	v_or_b32_e32 v32, s1, v3
	v_or_b32_e32 v31, s0, v4
	;; [unrolled: 1-line block ×4, first 2 shown]
	s_mov_b64 s[92:93], -1
	s_mov_b64 s[94:95], 0
	s_cmp_eq_u64 s[40:41], 0
	s_mov_b64 s[30:31], 0
	s_mov_b64 s[56:57], -1
	s_waitcnt lgkmcnt(0)
	s_barrier
                                        ; implicit-def: $vgpr5_vgpr6
	s_cbranch_scc1 .LBB103_213
; %bb.198:                              ;   in Loop: Header=BB103_36 Depth=1
	v_readlane_b32 s0, v57, 18
	s_add_u32 s8, s40, s0
	v_readlane_b32 s0, v57, 19
	s_addc_u32 s31, s41, s0
	s_mov_b32 s30, s45
	s_cmp_lg_u64 s[30:31], 0
	s_cbranch_scc0 .LBB103_254
; %bb.199:                              ;   in Loop: Header=BB103_36 Depth=1
	v_cvt_f32_u32_e32 v3, s33
	s_sub_u32 s2, 0, s33
	s_subb_u32 s3, 0, 0
	v_mac_f32_e32 v3, 0, v54
	v_rcp_f32_e32 v3, v3
	v_mul_f32_e32 v3, 0x5f7ffffc, v3
	v_mul_f32_e32 v4, 0x2f800000, v3
	v_trunc_f32_e32 v4, v4
	v_mac_f32_e32 v3, 0xcf800000, v4
	v_cvt_u32_f32_e32 v4, v4
	v_cvt_u32_f32_e32 v3, v3
	v_readfirstlane_b32 s9, v4
	v_readfirstlane_b32 s0, v3
	s_mul_i32 s1, s2, s9
	s_mul_hi_u32 s44, s2, s0
	s_mul_i32 s30, s3, s0
	s_add_i32 s1, s44, s1
	s_mul_i32 s47, s2, s0
	s_add_i32 s1, s1, s30
	s_mul_hi_u32 s44, s0, s47
	s_mul_i32 s52, s0, s1
	s_mul_hi_u32 s30, s0, s1
	s_add_u32 s44, s44, s52
	s_addc_u32 s30, 0, s30
	s_mul_hi_u32 s56, s9, s47
	s_mul_i32 s47, s9, s47
	s_add_u32 s44, s44, s47
	s_mul_hi_u32 s52, s9, s1
	s_addc_u32 s30, s30, s56
	s_addc_u32 s44, s52, 0
	s_mul_i32 s1, s9, s1
	s_add_u32 s1, s30, s1
	s_addc_u32 s30, 0, s44
	s_add_u32 s44, s0, s1
	s_cselect_b64 s[0:1], -1, 0
	s_cmp_lg_u64 s[0:1], 0
	s_addc_u32 s9, s9, s30
	s_mul_i32 s0, s2, s9
	s_mul_hi_u32 s1, s2, s44
	s_add_i32 s0, s1, s0
	s_mul_i32 s3, s3, s44
	s_add_i32 s0, s0, s3
	s_mul_i32 s2, s2, s44
	s_mul_hi_u32 s3, s9, s2
	s_mul_i32 s30, s9, s2
	s_mul_i32 s52, s44, s0
	s_mul_hi_u32 s2, s44, s2
	s_mul_hi_u32 s47, s44, s0
	s_add_u32 s2, s2, s52
	s_addc_u32 s47, 0, s47
	s_add_u32 s2, s2, s30
	s_mul_hi_u32 s1, s9, s0
	s_addc_u32 s2, s47, s3
	s_addc_u32 s1, s1, 0
	s_mul_i32 s0, s9, s0
	s_add_u32 s0, s2, s0
	s_addc_u32 s2, 0, s1
	s_add_u32 s3, s44, s0
	s_cselect_b64 s[0:1], -1, 0
	s_cmp_lg_u64 s[0:1], 0
	s_addc_u32 s0, s9, s2
	s_mul_i32 s2, s8, s0
	s_mul_hi_u32 s9, s8, s3
	s_mul_hi_u32 s1, s8, s0
	s_add_u32 s2, s9, s2
	s_addc_u32 s1, 0, s1
	s_mul_hi_u32 s30, s31, s3
	s_mul_i32 s3, s31, s3
	s_add_u32 s2, s2, s3
	s_mul_hi_u32 s9, s31, s0
	s_addc_u32 s1, s1, s30
	s_addc_u32 s2, s9, 0
	s_mul_i32 s0, s31, s0
	s_add_u32 s0, s1, s0
	s_addc_u32 s1, 0, s2
	s_mul_i32 s1, s33, s1
	s_mul_hi_u32 s2, s33, s0
	s_add_i32 s2, s2, s1
	s_mul_i32 s0, s33, s0
	s_sub_u32 s3, s8, s0
	s_cselect_b64 s[0:1], -1, 0
	s_cmp_lg_u64 s[0:1], 0
	s_subb_u32 s2, s31, s2
	s_sub_u32 s9, s3, s33
	s_cselect_b64 s[0:1], -1, 0
	s_cmp_lg_u64 s[0:1], 0
	s_subb_u32 s30, s2, 0
	;; [unrolled: 4-line block ×3, first 2 shown]
	s_cmp_ge_u32 s9, s33
	s_cselect_b32 s1, -1, 0
	s_cmp_eq_u32 s30, 0
	s_cselect_b32 s1, s1, -1
	s_cmp_lg_u32 s1, 0
	s_cselect_b32 s0, s0, s30
	s_cselect_b32 s9, s44, s9
	s_cmp_ge_u32 s3, s33
	s_cselect_b32 s1, -1, 0
	s_cmp_eq_u32 s2, 0
	s_cselect_b32 s1, s1, -1
	s_cmp_lg_u32 s1, 0
	s_cselect_b32 s1, s0, s2
	s_cselect_b32 s0, s9, s3
	s_cbranch_execnz .LBB103_201
.LBB103_200:                            ;   in Loop: Header=BB103_36 Depth=1
	v_cvt_f32_u32_e32 v3, s33
	s_sub_i32 s0, 0, s33
	v_rcp_iflag_f32_e32 v3, v3
	v_mul_f32_e32 v3, 0x4f7ffffe, v3
	v_cvt_u32_f32_e32 v3, v3
	v_readfirstlane_b32 s1, v3
	s_mul_i32 s0, s0, s1
	s_mul_hi_u32 s0, s1, s0
	s_add_i32 s1, s1, s0
	s_mul_hi_u32 s0, s8, s1
	s_mul_i32 s0, s0, s33
	s_sub_i32 s0, s8, s0
	s_sub_i32 s1, s0, s33
	s_cmp_ge_u32 s0, s33
	s_cselect_b32 s0, s1, s0
	s_sub_i32 s1, s0, s33
	s_cmp_ge_u32 s0, s33
	s_cselect_b32 s44, s1, s0
	s_mov_b64 s[0:1], s[44:45]
.LBB103_201:                            ;   in Loop: Header=BB103_36 Depth=1
	s_sub_u32 s2, s8, s0
	s_subb_u32 s3, s31, s1
	v_cmp_gt_u64_e32 vcc, s[2:3], v[0:1]
	s_mov_b64 s[56:57], 0
	s_mov_b64 s[30:31], 0
                                        ; implicit-def: $vgpr5_vgpr6
	s_and_saveexec_b64 s[58:59], vcc
	s_cbranch_execz .LBB103_212
; %bb.202:                              ;   in Loop: Header=BB103_36 Depth=1
	v_mov_b32_e32 v10, v1
	s_mov_b64 s[8:9], 0
	v_mov_b32_e32 v11, v46
	v_mov_b32_e32 v9, v0
                                        ; implicit-def: $sgpr30_sgpr31
	s_branch .LBB103_205
.LBB103_203:                            ;   in Loop: Header=BB103_205 Depth=2
	s_or_b64 exec, exec, s[0:1]
	s_waitcnt lgkmcnt(0)
	s_barrier
	ds_read_b128 v[3:6], v16 offset:3072
	s_mov_b64 s[0:1], -1
	s_mov_b64 s[60:61], -1
	s_waitcnt lgkmcnt(0)
	s_barrier
	v_cmp_ne_u64_e32 vcc, 0, v[3:4]
	s_cbranch_vccz .LBB103_208
.LBB103_204:                            ;   in Loop: Header=BB103_205 Depth=2
	s_and_b64 s[0:1], exec, s[0:1]
	s_or_b64 s[8:9], s[0:1], s[8:9]
	s_andn2_b64 s[0:1], s[30:31], exec
	s_and_b64 s[30:31], s[60:61], exec
	s_or_b64 s[30:31], s[0:1], s[30:31]
	s_andn2_b64 exec, exec, s[8:9]
	s_cbranch_execz .LBB103_211
.LBB103_205:                            ;   Parent Loop BB103_36 Depth=1
                                        ; =>  This Inner Loop Header: Depth=2
	v_cmp_gt_u64_e32 vcc, s[40:41], v[9:10]
	s_and_saveexec_b64 s[0:1], vcc
	s_cbranch_execz .LBB103_203
; %bb.206:                              ;   in Loop: Header=BB103_205 Depth=2
	ds_read_b64 v[4:5], v11
	s_waitcnt lgkmcnt(0)
	v_xor_b32_e32 v3, 0x80000000, v5
	v_and_b32_e32 v13, v3, v34
	v_and_b32_e32 v12, v4, v33
	v_cmp_eq_u64_e32 vcc, v[12:13], v[31:32]
	s_and_b64 exec, exec, vcc
	s_cbranch_execz .LBB103_203
; %bb.207:                              ;   in Loop: Header=BB103_205 Depth=2
	v_mov_b32_e32 v3, v16
	ds_write_b128 v16, v[2:5] offset:3072
	s_branch .LBB103_203
.LBB103_208:                            ;   in Loop: Header=BB103_205 Depth=2
	v_add_co_u32_e32 v9, vcc, s33, v9
	v_addc_co_u32_e32 v10, vcc, 0, v10, vcc
	v_cmp_le_u64_e32 vcc, s[2:3], v[9:10]
	v_add_u32_e32 v11, s64, v11
	s_mov_b64 s[60:61], 0
	s_orn2_b64 s[0:1], vcc, exec
	s_branch .LBB103_204
.LBB103_209:                            ;   in Loop: Header=BB103_36 Depth=1
                                        ; implicit-def: $sgpr0_sgpr1
	s_branch .LBB103_151
.LBB103_210:                            ;   in Loop: Header=BB103_36 Depth=1
                                        ; implicit-def: $sgpr0_sgpr1
	s_branch .LBB103_170
.LBB103_211:                            ;   in Loop: Header=BB103_36 Depth=1
	s_or_b64 exec, exec, s[8:9]
	s_and_b64 s[30:31], s[30:31], exec
.LBB103_212:                            ;   in Loop: Header=BB103_36 Depth=1
	s_or_b64 exec, exec, s[58:59]
.LBB103_213:                            ;   in Loop: Header=BB103_36 Depth=1
	s_and_b64 vcc, exec, s[56:57]
	s_cbranch_vccz .LBB103_227
; %bb.214:                              ;   in Loop: Header=BB103_36 Depth=1
	s_mov_b32 s52, s45
	s_cmp_lg_u64 s[52:53], 0
	s_cbranch_scc0 .LBB103_255
; %bb.215:                              ;   in Loop: Header=BB103_36 Depth=1
	v_cvt_f32_u32_e32 v3, s33
	s_sub_u32 s2, 0, s33
	s_subb_u32 s3, 0, 0
	v_mac_f32_e32 v3, 0, v54
	v_rcp_f32_e32 v3, v3
	v_mul_f32_e32 v3, 0x5f7ffffc, v3
	v_mul_f32_e32 v4, 0x2f800000, v3
	v_trunc_f32_e32 v4, v4
	v_mac_f32_e32 v3, 0xcf800000, v4
	v_cvt_u32_f32_e32 v4, v4
	v_cvt_u32_f32_e32 v3, v3
	v_readfirstlane_b32 s8, v4
	v_readfirstlane_b32 s0, v3
	s_mul_i32 s1, s2, s8
	s_mul_hi_u32 s40, s2, s0
	s_mul_i32 s9, s3, s0
	s_add_i32 s1, s40, s1
	s_mul_i32 s41, s2, s0
	s_add_i32 s1, s1, s9
	s_mul_hi_u32 s40, s0, s41
	s_mul_i32 s44, s0, s1
	s_mul_hi_u32 s9, s0, s1
	s_add_u32 s40, s40, s44
	s_addc_u32 s9, 0, s9
	s_mul_hi_u32 s47, s8, s41
	s_mul_i32 s41, s8, s41
	s_add_u32 s40, s40, s41
	s_mul_hi_u32 s44, s8, s1
	s_addc_u32 s9, s9, s47
	s_addc_u32 s40, s44, 0
	s_mul_i32 s1, s8, s1
	s_add_u32 s1, s9, s1
	s_addc_u32 s9, 0, s40
	s_add_u32 s40, s0, s1
	s_cselect_b64 s[0:1], -1, 0
	s_cmp_lg_u64 s[0:1], 0
	s_addc_u32 s8, s8, s9
	s_mul_i32 s0, s2, s8
	s_mul_hi_u32 s1, s2, s40
	s_add_i32 s0, s1, s0
	s_mul_i32 s3, s3, s40
	s_add_i32 s0, s0, s3
	s_mul_i32 s2, s2, s40
	s_mul_hi_u32 s3, s8, s2
	s_mul_i32 s9, s8, s2
	s_mul_i32 s44, s40, s0
	s_mul_hi_u32 s2, s40, s2
	s_mul_hi_u32 s41, s40, s0
	s_add_u32 s2, s2, s44
	s_addc_u32 s41, 0, s41
	s_add_u32 s2, s2, s9
	s_mul_hi_u32 s1, s8, s0
	s_addc_u32 s2, s41, s3
	s_addc_u32 s1, s1, 0
	s_mul_i32 s0, s8, s0
	s_add_u32 s0, s2, s0
	s_addc_u32 s2, 0, s1
	s_add_u32 s3, s40, s0
	s_cselect_b64 s[0:1], -1, 0
	s_cmp_lg_u64 s[0:1], 0
	s_addc_u32 s0, s8, s2
	s_mul_i32 s2, s16, s0
	s_mul_hi_u32 s8, s16, s3
	s_mul_hi_u32 s1, s16, s0
	s_add_u32 s2, s8, s2
	s_addc_u32 s1, 0, s1
	s_mul_hi_u32 s9, s53, s3
	s_mul_i32 s3, s53, s3
	s_add_u32 s2, s2, s3
	s_mul_hi_u32 s8, s53, s0
	s_addc_u32 s1, s1, s9
	s_addc_u32 s2, s8, 0
	s_mul_i32 s0, s53, s0
	s_add_u32 s0, s1, s0
	s_addc_u32 s1, 0, s2
	s_mul_i32 s1, s33, s1
	s_mul_hi_u32 s2, s33, s0
	s_add_i32 s2, s2, s1
	s_mul_i32 s0, s33, s0
	s_sub_u32 s3, s16, s0
	s_cselect_b64 s[0:1], -1, 0
	s_cmp_lg_u64 s[0:1], 0
	s_subb_u32 s2, s53, s2
	s_sub_u32 s8, s3, s33
	s_cselect_b64 s[0:1], -1, 0
	s_cmp_lg_u64 s[0:1], 0
	s_subb_u32 s9, s2, 0
	;; [unrolled: 4-line block ×3, first 2 shown]
	s_cmp_ge_u32 s8, s33
	s_cselect_b32 s1, -1, 0
	s_cmp_eq_u32 s9, 0
	s_cselect_b32 s1, s1, -1
	s_cmp_lg_u32 s1, 0
	s_cselect_b32 s0, s0, s9
	s_cselect_b32 s8, s40, s8
	s_cmp_ge_u32 s3, s33
	s_cselect_b32 s1, -1, 0
	s_cmp_eq_u32 s2, 0
	s_cselect_b32 s1, s1, -1
	s_cmp_lg_u32 s1, 0
	s_cselect_b32 s1, s0, s2
	s_cselect_b32 s0, s8, s3
	s_cbranch_execnz .LBB103_217
.LBB103_216:                            ;   in Loop: Header=BB103_36 Depth=1
	v_cvt_f32_u32_e32 v3, s33
	s_sub_i32 s0, 0, s33
	v_rcp_iflag_f32_e32 v3, v3
	v_mul_f32_e32 v3, 0x4f7ffffe, v3
	v_cvt_u32_f32_e32 v3, v3
	v_readfirstlane_b32 s1, v3
	s_mul_i32 s0, s0, s1
	s_mul_hi_u32 s0, s1, s0
	s_add_i32 s1, s1, s0
	s_mul_hi_u32 s0, s16, s1
	s_mul_i32 s0, s0, s33
	s_sub_i32 s0, s16, s0
	s_sub_i32 s1, s0, s33
	s_cmp_ge_u32 s0, s33
	s_cselect_b32 s0, s1, s0
	s_sub_i32 s1, s0, s33
	s_cmp_ge_u32 s0, s33
	s_cselect_b32 s44, s1, s0
	s_mov_b64 s[0:1], s[44:45]
.LBB103_217:                            ;   in Loop: Header=BB103_36 Depth=1
	s_sub_u32 s56, s16, s0
	s_subb_u32 s57, s53, s1
	v_cmp_gt_u64_e32 vcc, s[56:57], v[0:1]
                                        ; implicit-def: $vgpr5_vgpr6
	s_and_saveexec_b64 s[40:41], vcc
	s_cbranch_execz .LBB103_226
; %bb.218:                              ;   in Loop: Header=BB103_36 Depth=1
	v_mov_b32_e32 v9, v17
	v_mov_b32_e32 v12, v1
	s_mov_b64 s[2:3], 0
	v_mov_b32_e32 v10, v18
	v_mov_b32_e32 v11, v0
                                        ; implicit-def: $sgpr8_sgpr9
	s_branch .LBB103_221
.LBB103_219:                            ;   in Loop: Header=BB103_221 Depth=2
	s_or_b64 exec, exec, s[0:1]
	s_waitcnt lgkmcnt(0)
	s_barrier
	ds_read_b128 v[3:6], v16 offset:3072
	s_mov_b64 s[0:1], -1
	s_mov_b64 s[58:59], -1
	s_waitcnt lgkmcnt(0)
	s_barrier
	v_cmp_eq_u64_e32 vcc, 0, v[3:4]
	s_cbranch_vccnz .LBB103_224
.LBB103_220:                            ;   in Loop: Header=BB103_221 Depth=2
	s_and_b64 s[0:1], exec, s[0:1]
	s_or_b64 s[2:3], s[0:1], s[2:3]
	s_andn2_b64 s[0:1], s[8:9], exec
	s_and_b64 s[8:9], s[58:59], exec
	s_or_b64 s[8:9], s[0:1], s[8:9]
	s_andn2_b64 exec, exec, s[2:3]
	s_cbranch_execz .LBB103_225
.LBB103_221:                            ;   Parent Loop BB103_36 Depth=1
                                        ; =>  This Inner Loop Header: Depth=2
	v_cmp_gt_u64_e32 vcc, s[20:21], v[11:12]
	s_and_saveexec_b64 s[0:1], vcc
	s_cbranch_execz .LBB103_219
; %bb.222:                              ;   in Loop: Header=BB103_221 Depth=2
	global_load_dwordx2 v[4:5], v[9:10], off
	s_waitcnt vmcnt(0)
	v_xor_b32_e32 v3, 0x80000000, v5
	v_and_b32_e32 v14, v3, v34
	v_and_b32_e32 v13, v4, v33
	v_cmp_eq_u64_e32 vcc, v[13:14], v[31:32]
	s_and_b64 exec, exec, vcc
	s_cbranch_execz .LBB103_219
; %bb.223:                              ;   in Loop: Header=BB103_221 Depth=2
	v_mov_b32_e32 v3, v16
	ds_write_b128 v16, v[2:5] offset:3072
	s_branch .LBB103_219
.LBB103_224:                            ;   in Loop: Header=BB103_221 Depth=2
	v_add_co_u32_e32 v11, vcc, s33, v11
	v_addc_co_u32_e32 v12, vcc, 0, v12, vcc
	v_mov_b32_e32 v3, s49
	v_add_co_u32_e32 v9, vcc, s48, v9
	v_addc_co_u32_e32 v10, vcc, v10, v3, vcc
	v_cmp_le_u64_e32 vcc, s[56:57], v[11:12]
	s_mov_b64 s[58:59], 0
	s_orn2_b64 s[0:1], vcc, exec
	s_branch .LBB103_220
.LBB103_225:                            ;   in Loop: Header=BB103_36 Depth=1
	s_or_b64 exec, exec, s[2:3]
	s_andn2_b64 s[0:1], s[30:31], exec
	s_and_b64 s[2:3], s[8:9], exec
	s_or_b64 s[30:31], s[0:1], s[2:3]
.LBB103_226:                            ;   in Loop: Header=BB103_36 Depth=1
	s_or_b64 exec, exec, s[40:41]
	s_mov_b64 s[92:93], 0
	s_mov_b64 s[94:95], -1
.LBB103_227:                            ;   in Loop: Header=BB103_36 Depth=1
	s_orn2_b64 s[0:1], s[30:31], exec
.LBB103_228:                            ;   in Loop: Header=BB103_36 Depth=1
	s_or_b64 exec, exec, s[38:39]
	s_mov_b64 s[2:3], 0
	s_and_saveexec_b64 s[38:39], s[0:1]
	s_cbranch_execz .LBB103_286
; %bb.229:                              ;   in Loop: Header=BB103_36 Depth=1
	v_mov_b32_e32 v9, 1
	s_xor_b64 s[0:1], s[36:37], -1
	v_mov_b32_e32 v37, 1
	v_mov_b32_e32 v10, 0
	s_and_saveexec_b64 s[30:31], s[0:1]
	s_cbranch_execz .LBB103_238
; %bb.230:                              ;   in Loop: Header=BB103_36 Depth=1
	v_cmp_ge_u64_e32 vcc, s[82:83], v[7:8]
	s_and_saveexec_b64 s[0:1], vcc
	s_xor_b64 s[2:3], exec, s[0:1]
	s_cbranch_execz .LBB103_235
; %bb.231:                              ;   in Loop: Header=BB103_36 Depth=1
	s_lshl_b64 s[0:1], 2, s65
	v_and_b32_e32 v3, s87, v32
	v_and_b32_e32 v4, s86, v31
	v_or_b32_e32 v32, s1, v3
	v_or_b32_e32 v31, s0, v4
	ds_read_b64 v[3:4], v16 offset:5120
	v_or_b32_e32 v34, s13, v34
	v_or_b32_e32 v33, s12, v33
	s_waitcnt lgkmcnt(0)
	v_cmp_ne_u64_e32 vcc, 0, v[3:4]
	s_cbranch_vccnz .LBB103_235
; %bb.232:                              ;   in Loop: Header=BB103_36 Depth=1
	s_mov_b64 s[0:1], exec
	v_readlane_b32 s8, v57, 2
	v_readlane_b32 s9, v57, 3
	s_and_b64 s[8:9], s[0:1], s[8:9]
	s_mov_b64 exec, s[8:9]
; %bb.233:                              ;   in Loop: Header=BB103_36 Depth=1
	v_mov_b32_e32 v3, s82
	v_mov_b32_e32 v4, s83
	ds_write_b64 v16, v[3:4] offset:5128
; %bb.234:                              ;   in Loop: Header=BB103_36 Depth=1
	s_or_b64 exec, exec, s[0:1]
	s_waitcnt lgkmcnt(0)
	s_barrier
.LBB103_235:                            ;   in Loop: Header=BB103_36 Depth=1
	s_or_saveexec_b64 s[0:1], s[2:3]
	s_mov_b64 s[2:3], 0
	v_mov_b32_e32 v37, 8
	s_xor_b64 exec, exec, s[0:1]
; %bb.236:                              ;   in Loop: Header=BB103_36 Depth=1
	v_subrev_co_u32_e32 v7, vcc, s82, v7
	v_mov_b32_e32 v3, s83
	v_subb_co_u32_e32 v8, vcc, v8, v3, vcc
	v_mov_b32_e32 v37, 0
	s_mov_b64 s[2:3], exec
; %bb.237:                              ;   in Loop: Header=BB103_36 Depth=1
	s_or_b64 exec, exec, s[0:1]
	v_mov_b32_e32 v10, v8
	s_and_b64 s[2:3], s[2:3], exec
	v_mov_b32_e32 v9, v7
.LBB103_238:                            ;   in Loop: Header=BB103_36 Depth=1
	s_or_b64 exec, exec, s[30:31]
	s_mov_b64 s[0:1], -1
                                        ; implicit-def: $sgpr30_sgpr31
                                        ; implicit-def: $sgpr40_sgpr41
	s_and_saveexec_b64 s[82:83], s[2:3]
	s_cbranch_execz .LBB103_285
; %bb.239:                              ;   in Loop: Header=BB103_36 Depth=1
	s_cmp_eq_u64 s[10:11], 1
	v_cmp_eq_u64_e32 vcc, 1, v[9:10]
	s_cselect_b64 s[0:1], -1, 0
	s_and_b64 s[36:37], s[0:1], vcc
	s_mov_b64 s[0:1], -1
                                        ; implicit-def: $sgpr30_sgpr31
                                        ; implicit-def: $sgpr40_sgpr41
	s_and_saveexec_b64 s[86:87], s[36:37]
	s_cbranch_execz .LBB103_273
; %bb.240:                              ;   in Loop: Header=BB103_36 Depth=1
	ds_read_b64 v[3:4], v16 offset:5120
	s_waitcnt lgkmcnt(0)
	s_barrier
	v_readfirstlane_b32 s56, v3
	v_readfirstlane_b32 s57, v4
	s_mov_b64 s[0:1], exec
	v_readlane_b32 s2, v57, 12
	v_readlane_b32 s3, v57, 13
	s_and_b64 s[2:3], s[0:1], s[2:3]
	s_mov_b64 exec, s[2:3]
; %bb.241:                              ;   in Loop: Header=BB103_36 Depth=1
	v_mov_b32_e32 v15, v16
	ds_write_b64 v47, v[15:16]
; %bb.242:                              ;   in Loop: Header=BB103_36 Depth=1
	s_or_b64 exec, exec, s[0:1]
	v_or_b32_e32 v32, s13, v32
	v_or_b32_e32 v31, s12, v31
	;; [unrolled: 1-line block ×4, first 2 shown]
	s_mov_b64 s[40:41], -1
	s_mov_b64 s[30:31], 0
	s_cmp_eq_u64 s[56:57], 0
	s_mov_b64 s[60:61], 0
	s_mov_b64 s[58:59], -1
	s_waitcnt lgkmcnt(0)
	s_barrier
                                        ; implicit-def: $vgpr5_vgpr6
	s_cbranch_scc1 .LBB103_258
; %bb.243:                              ;   in Loop: Header=BB103_36 Depth=1
	v_writelane_b32 v57, s36, 31
	v_writelane_b32 v57, s37, 32
	v_readlane_b32 s0, v57, 18
	s_add_u32 s8, s56, s0
	v_readlane_b32 s0, v57, 19
	s_addc_u32 s61, s57, s0
	s_mov_b32 s60, s45
	s_cmp_lg_u64 s[60:61], 0
	s_cbranch_scc0 .LBB103_292
; %bb.244:                              ;   in Loop: Header=BB103_36 Depth=1
	v_cvt_f32_u32_e32 v3, s33
	s_sub_u32 s2, 0, s33
	s_subb_u32 s3, 0, 0
	v_mac_f32_e32 v3, 0, v54
	v_rcp_f32_e32 v3, v3
	v_mul_f32_e32 v3, 0x5f7ffffc, v3
	v_mul_f32_e32 v4, 0x2f800000, v3
	v_trunc_f32_e32 v4, v4
	v_mac_f32_e32 v3, 0xcf800000, v4
	v_cvt_u32_f32_e32 v4, v4
	v_cvt_u32_f32_e32 v3, v3
	v_readfirstlane_b32 s9, v4
	v_readfirstlane_b32 s0, v3
	s_mul_i32 s1, s2, s9
	s_mul_hi_u32 s37, s2, s0
	s_mul_i32 s36, s3, s0
	s_add_i32 s1, s37, s1
	s_mul_i32 s44, s2, s0
	s_add_i32 s1, s1, s36
	s_mul_hi_u32 s37, s0, s44
	s_mul_i32 s47, s0, s1
	s_mul_hi_u32 s36, s0, s1
	s_add_u32 s37, s37, s47
	s_addc_u32 s36, 0, s36
	s_mul_hi_u32 s52, s9, s44
	s_mul_i32 s44, s9, s44
	s_add_u32 s37, s37, s44
	s_mul_hi_u32 s47, s9, s1
	s_addc_u32 s36, s36, s52
	s_addc_u32 s37, s47, 0
	s_mul_i32 s1, s9, s1
	s_add_u32 s1, s36, s1
	s_addc_u32 s36, 0, s37
	s_add_u32 s37, s0, s1
	s_cselect_b64 s[0:1], -1, 0
	s_cmp_lg_u64 s[0:1], 0
	s_addc_u32 s9, s9, s36
	s_mul_i32 s0, s2, s9
	s_mul_hi_u32 s1, s2, s37
	s_add_i32 s0, s1, s0
	s_mul_i32 s3, s3, s37
	s_add_i32 s0, s0, s3
	s_mul_i32 s2, s2, s37
	s_mul_hi_u32 s3, s9, s2
	s_mul_i32 s36, s9, s2
	s_mul_i32 s47, s37, s0
	s_mul_hi_u32 s2, s37, s2
	s_mul_hi_u32 s44, s37, s0
	s_add_u32 s2, s2, s47
	s_addc_u32 s44, 0, s44
	s_add_u32 s2, s2, s36
	s_mul_hi_u32 s1, s9, s0
	s_addc_u32 s2, s44, s3
	s_addc_u32 s1, s1, 0
	s_mul_i32 s0, s9, s0
	s_add_u32 s0, s2, s0
	s_addc_u32 s2, 0, s1
	s_add_u32 s3, s37, s0
	s_cselect_b64 s[0:1], -1, 0
	s_cmp_lg_u64 s[0:1], 0
	s_addc_u32 s0, s9, s2
	s_mul_i32 s2, s8, s0
	s_mul_hi_u32 s9, s8, s3
	s_mul_hi_u32 s1, s8, s0
	s_add_u32 s2, s9, s2
	s_addc_u32 s1, 0, s1
	s_mul_hi_u32 s36, s61, s3
	s_mul_i32 s3, s61, s3
	s_add_u32 s2, s2, s3
	s_mul_hi_u32 s9, s61, s0
	s_addc_u32 s1, s1, s36
	s_addc_u32 s2, s9, 0
	s_mul_i32 s0, s61, s0
	s_add_u32 s0, s1, s0
	s_addc_u32 s1, 0, s2
	s_mul_i32 s1, s33, s1
	s_mul_hi_u32 s2, s33, s0
	s_add_i32 s2, s2, s1
	s_mul_i32 s0, s33, s0
	s_sub_u32 s3, s8, s0
	s_cselect_b64 s[0:1], -1, 0
	s_cmp_lg_u64 s[0:1], 0
	s_subb_u32 s2, s61, s2
	s_sub_u32 s9, s3, s33
	s_cselect_b64 s[0:1], -1, 0
	s_cmp_lg_u64 s[0:1], 0
	s_subb_u32 s36, s2, 0
	s_sub_u32 s37, s9, s33
	s_cselect_b64 s[0:1], -1, 0
	s_cmp_lg_u64 s[0:1], 0
	s_subb_u32 s0, s36, 0
	s_cmp_ge_u32 s9, s33
	s_cselect_b32 s1, -1, 0
	s_cmp_eq_u32 s36, 0
	s_cselect_b32 s1, s1, -1
	s_cmp_lg_u32 s1, 0
	s_cselect_b32 s0, s0, s36
	s_cselect_b32 s9, s37, s9
	s_cmp_ge_u32 s3, s33
	s_cselect_b32 s1, -1, 0
	s_cmp_eq_u32 s2, 0
	s_cselect_b32 s1, s1, -1
	s_cmp_lg_u32 s1, 0
	s_cselect_b32 s1, s0, s2
	s_cselect_b32 s0, s9, s3
	s_cbranch_execnz .LBB103_246
.LBB103_245:                            ;   in Loop: Header=BB103_36 Depth=1
	v_cvt_f32_u32_e32 v3, s33
	s_sub_i32 s0, 0, s33
	v_rcp_iflag_f32_e32 v3, v3
	v_mul_f32_e32 v3, 0x4f7ffffe, v3
	v_cvt_u32_f32_e32 v3, v3
	v_readfirstlane_b32 s1, v3
	s_mul_i32 s0, s0, s1
	s_mul_hi_u32 s0, s1, s0
	s_add_i32 s1, s1, s0
	s_mul_hi_u32 s0, s8, s1
	s_mul_i32 s0, s0, s33
	s_sub_i32 s0, s8, s0
	s_sub_i32 s1, s0, s33
	s_cmp_ge_u32 s0, s33
	s_cselect_b32 s0, s1, s0
	s_sub_i32 s1, s0, s33
	s_cmp_ge_u32 s0, s33
	s_cselect_b32 s44, s1, s0
	s_mov_b64 s[0:1], s[44:45]
.LBB103_246:                            ;   in Loop: Header=BB103_36 Depth=1
	s_sub_u32 s8, s8, s0
	s_subb_u32 s9, s61, s1
	v_cmp_gt_u64_e32 vcc, s[8:9], v[0:1]
	s_mov_b64 s[58:59], 0
	s_mov_b64 s[60:61], 0
                                        ; implicit-def: $vgpr5_vgpr6
	s_and_saveexec_b64 s[2:3], vcc
	s_cbranch_execz .LBB103_257
; %bb.247:                              ;   in Loop: Header=BB103_36 Depth=1
	v_mov_b32_e32 v8, v1
	v_writelane_b32 v57, s62, 33
	v_mov_b32_e32 v11, v46
	v_mov_b32_e32 v7, v0
	v_writelane_b32 v57, s63, 34
                                        ; implicit-def: $sgpr0_sgpr1
	s_branch .LBB103_250
.LBB103_248:                            ;   in Loop: Header=BB103_250 Depth=2
	s_or_b64 exec, exec, s[36:37]
	s_waitcnt lgkmcnt(0)
	s_barrier
	ds_read_b128 v[3:6], v16 offset:3072
	s_mov_b64 s[36:37], -1
	s_mov_b64 s[62:63], -1
	s_waitcnt lgkmcnt(0)
	s_barrier
	v_cmp_ne_u64_e32 vcc, 0, v[3:4]
	s_cbranch_vccz .LBB103_253
.LBB103_249:                            ;   in Loop: Header=BB103_250 Depth=2
	s_and_b64 s[36:37], exec, s[36:37]
	s_or_b64 s[60:61], s[36:37], s[60:61]
	s_andn2_b64 s[0:1], s[0:1], exec
	s_and_b64 s[36:37], s[62:63], exec
	s_or_b64 s[0:1], s[0:1], s[36:37]
	s_andn2_b64 exec, exec, s[60:61]
	s_cbranch_execz .LBB103_256
.LBB103_250:                            ;   Parent Loop BB103_36 Depth=1
                                        ; =>  This Inner Loop Header: Depth=2
	v_cmp_gt_u64_e32 vcc, s[56:57], v[7:8]
	s_and_saveexec_b64 s[36:37], vcc
	s_cbranch_execz .LBB103_248
; %bb.251:                              ;   in Loop: Header=BB103_250 Depth=2
	ds_read_b64 v[4:5], v11
	s_waitcnt lgkmcnt(0)
	v_xor_b32_e32 v3, 0x80000000, v5
	v_and_b32_e32 v13, v3, v34
	v_and_b32_e32 v12, v4, v33
	v_cmp_eq_u64_e32 vcc, v[12:13], v[31:32]
	s_and_b64 exec, exec, vcc
	s_cbranch_execz .LBB103_248
; %bb.252:                              ;   in Loop: Header=BB103_250 Depth=2
	v_mov_b32_e32 v3, v16
	ds_write_b128 v16, v[2:5] offset:3072
	s_branch .LBB103_248
.LBB103_253:                            ;   in Loop: Header=BB103_250 Depth=2
	v_add_co_u32_e32 v7, vcc, s33, v7
	v_addc_co_u32_e32 v8, vcc, 0, v8, vcc
	v_cmp_le_u64_e32 vcc, s[8:9], v[7:8]
	v_add_u32_e32 v11, s64, v11
	s_mov_b64 s[62:63], 0
	s_orn2_b64 s[36:37], vcc, exec
	s_branch .LBB103_249
.LBB103_254:                            ;   in Loop: Header=BB103_36 Depth=1
                                        ; implicit-def: $sgpr0_sgpr1
	s_branch .LBB103_200
.LBB103_255:                            ;   in Loop: Header=BB103_36 Depth=1
                                        ; implicit-def: $sgpr0_sgpr1
	s_branch .LBB103_216
.LBB103_256:                            ;   in Loop: Header=BB103_36 Depth=1
	s_or_b64 exec, exec, s[60:61]
	v_readlane_b32 s62, v57, 33
	s_and_b64 s[60:61], s[0:1], exec
	v_readlane_b32 s63, v57, 34
.LBB103_257:                            ;   in Loop: Header=BB103_36 Depth=1
	s_or_b64 exec, exec, s[2:3]
	v_readlane_b32 s36, v57, 31
	v_readlane_b32 s37, v57, 32
.LBB103_258:                            ;   in Loop: Header=BB103_36 Depth=1
	s_and_b64 vcc, exec, s[58:59]
	s_cbranch_vccz .LBB103_272
; %bb.259:                              ;   in Loop: Header=BB103_36 Depth=1
	s_mov_b32 s52, s45
	s_cmp_lg_u64 s[52:53], 0
	s_cbranch_scc0 .LBB103_293
; %bb.260:                              ;   in Loop: Header=BB103_36 Depth=1
	v_cvt_f32_u32_e32 v3, s33
	s_sub_u32 s2, 0, s33
	s_subb_u32 s3, 0, 0
	s_mov_b64 s[40:41], s[36:37]
	v_mac_f32_e32 v3, 0, v54
	v_rcp_f32_e32 v3, v3
	v_mul_f32_e32 v3, 0x5f7ffffc, v3
	v_mul_f32_e32 v4, 0x2f800000, v3
	v_trunc_f32_e32 v4, v4
	v_mac_f32_e32 v3, 0xcf800000, v4
	v_cvt_u32_f32_e32 v4, v4
	v_cvt_u32_f32_e32 v3, v3
	v_readfirstlane_b32 s8, v4
	v_readfirstlane_b32 s0, v3
	s_mul_i32 s1, s2, s8
	s_mul_hi_u32 s30, s2, s0
	s_mul_i32 s9, s3, s0
	s_add_i32 s1, s30, s1
	s_mul_i32 s31, s2, s0
	s_add_i32 s1, s1, s9
	s_mul_hi_u32 s30, s0, s31
	s_mul_i32 s36, s0, s1
	s_mul_hi_u32 s9, s0, s1
	s_add_u32 s30, s30, s36
	s_addc_u32 s9, 0, s9
	s_mul_hi_u32 s37, s8, s31
	s_mul_i32 s31, s8, s31
	s_add_u32 s30, s30, s31
	s_mul_hi_u32 s36, s8, s1
	s_addc_u32 s9, s9, s37
	s_addc_u32 s30, s36, 0
	s_mul_i32 s1, s8, s1
	s_add_u32 s1, s9, s1
	s_addc_u32 s9, 0, s30
	s_add_u32 s30, s0, s1
	s_cselect_b64 s[0:1], -1, 0
	s_cmp_lg_u64 s[0:1], 0
	s_addc_u32 s8, s8, s9
	s_mul_i32 s0, s2, s8
	s_mul_hi_u32 s1, s2, s30
	s_add_i32 s0, s1, s0
	s_mul_i32 s3, s3, s30
	s_add_i32 s0, s0, s3
	s_mul_i32 s2, s2, s30
	s_mul_hi_u32 s3, s8, s2
	s_mul_i32 s9, s8, s2
	s_mul_i32 s36, s30, s0
	s_mul_hi_u32 s2, s30, s2
	s_mul_hi_u32 s31, s30, s0
	s_add_u32 s2, s2, s36
	s_addc_u32 s31, 0, s31
	s_add_u32 s2, s2, s9
	s_mul_hi_u32 s1, s8, s0
	s_addc_u32 s2, s31, s3
	s_addc_u32 s1, s1, 0
	s_mul_i32 s0, s8, s0
	s_add_u32 s0, s2, s0
	s_addc_u32 s2, 0, s1
	s_add_u32 s3, s30, s0
	s_cselect_b64 s[0:1], -1, 0
	s_cmp_lg_u64 s[0:1], 0
	s_addc_u32 s0, s8, s2
	s_mul_i32 s2, s16, s0
	s_mul_hi_u32 s8, s16, s3
	s_mul_hi_u32 s1, s16, s0
	s_add_u32 s2, s8, s2
	s_addc_u32 s1, 0, s1
	s_mul_hi_u32 s9, s53, s3
	s_mul_i32 s3, s53, s3
	s_add_u32 s2, s2, s3
	s_mul_hi_u32 s8, s53, s0
	s_addc_u32 s1, s1, s9
	s_addc_u32 s2, s8, 0
	s_mul_i32 s0, s53, s0
	s_add_u32 s0, s1, s0
	s_addc_u32 s1, 0, s2
	s_mul_i32 s1, s33, s1
	s_mul_hi_u32 s2, s33, s0
	s_add_i32 s2, s2, s1
	s_mul_i32 s0, s33, s0
	s_sub_u32 s3, s16, s0
	s_cselect_b64 s[0:1], -1, 0
	s_cmp_lg_u64 s[0:1], 0
	s_subb_u32 s2, s53, s2
	s_sub_u32 s8, s3, s33
	s_cselect_b64 s[0:1], -1, 0
	s_cmp_lg_u64 s[0:1], 0
	s_subb_u32 s9, s2, 0
	;; [unrolled: 4-line block ×3, first 2 shown]
	s_cmp_ge_u32 s8, s33
	s_cselect_b32 s1, -1, 0
	s_cmp_eq_u32 s9, 0
	s_cselect_b32 s1, s1, -1
	s_cmp_lg_u32 s1, 0
	s_cselect_b32 s0, s0, s9
	s_cselect_b32 s8, s30, s8
	s_cmp_ge_u32 s3, s33
	s_cselect_b32 s1, -1, 0
	s_cmp_eq_u32 s2, 0
	s_cselect_b32 s1, s1, -1
	s_cmp_lg_u32 s1, 0
	s_mov_b64 s[36:37], s[40:41]
	s_cselect_b32 s1, s0, s2
	s_cselect_b32 s0, s8, s3
	s_cbranch_execnz .LBB103_262
.LBB103_261:                            ;   in Loop: Header=BB103_36 Depth=1
	v_cvt_f32_u32_e32 v3, s33
	s_sub_i32 s0, 0, s33
	v_rcp_iflag_f32_e32 v3, v3
	v_mul_f32_e32 v3, 0x4f7ffffe, v3
	v_cvt_u32_f32_e32 v3, v3
	v_readfirstlane_b32 s1, v3
	s_mul_i32 s0, s0, s1
	s_mul_hi_u32 s0, s1, s0
	s_add_i32 s1, s1, s0
	s_mul_hi_u32 s0, s16, s1
	s_mul_i32 s0, s0, s33
	s_sub_i32 s0, s16, s0
	s_sub_i32 s1, s0, s33
	s_cmp_ge_u32 s0, s33
	s_cselect_b32 s0, s1, s0
	s_sub_i32 s1, s0, s33
	s_cmp_ge_u32 s0, s33
	s_cselect_b32 s44, s1, s0
	s_mov_b64 s[0:1], s[44:45]
.LBB103_262:                            ;   in Loop: Header=BB103_36 Depth=1
	s_sub_u32 s40, s16, s0
	s_subb_u32 s41, s53, s1
	v_cmp_gt_u64_e32 vcc, s[40:41], v[0:1]
                                        ; implicit-def: $vgpr5_vgpr6
	s_and_saveexec_b64 s[30:31], vcc
	s_cbranch_execz .LBB103_271
; %bb.263:                              ;   in Loop: Header=BB103_36 Depth=1
	v_mov_b32_e32 v7, v17
	v_mov_b32_e32 v12, v1
	s_mov_b64 s[56:57], s[36:37]
	s_mov_b64 s[2:3], 0
	v_mov_b32_e32 v8, v18
	v_mov_b32_e32 v11, v0
                                        ; implicit-def: $sgpr8_sgpr9
	s_branch .LBB103_266
.LBB103_264:                            ;   in Loop: Header=BB103_266 Depth=2
	s_or_b64 exec, exec, s[0:1]
	s_waitcnt lgkmcnt(0)
	s_barrier
	ds_read_b128 v[3:6], v16 offset:3072
	s_mov_b64 s[0:1], -1
	s_mov_b64 s[36:37], -1
	s_waitcnt lgkmcnt(0)
	s_barrier
	v_cmp_eq_u64_e32 vcc, 0, v[3:4]
	s_cbranch_vccnz .LBB103_269
.LBB103_265:                            ;   in Loop: Header=BB103_266 Depth=2
	s_and_b64 s[0:1], exec, s[0:1]
	s_or_b64 s[2:3], s[0:1], s[2:3]
	s_andn2_b64 s[0:1], s[8:9], exec
	s_and_b64 s[8:9], s[36:37], exec
	s_or_b64 s[8:9], s[0:1], s[8:9]
	s_andn2_b64 exec, exec, s[2:3]
	s_cbranch_execz .LBB103_270
.LBB103_266:                            ;   Parent Loop BB103_36 Depth=1
                                        ; =>  This Inner Loop Header: Depth=2
	v_cmp_gt_u64_e32 vcc, s[20:21], v[11:12]
	s_and_saveexec_b64 s[0:1], vcc
	s_cbranch_execz .LBB103_264
; %bb.267:                              ;   in Loop: Header=BB103_266 Depth=2
	global_load_dwordx2 v[4:5], v[7:8], off
	s_waitcnt vmcnt(0)
	v_xor_b32_e32 v3, 0x80000000, v5
	v_and_b32_e32 v14, v3, v34
	v_and_b32_e32 v13, v4, v33
	v_cmp_eq_u64_e32 vcc, v[13:14], v[31:32]
	s_and_b64 exec, exec, vcc
	s_cbranch_execz .LBB103_264
; %bb.268:                              ;   in Loop: Header=BB103_266 Depth=2
	v_mov_b32_e32 v3, v16
	ds_write_b128 v16, v[2:5] offset:3072
	s_branch .LBB103_264
.LBB103_269:                            ;   in Loop: Header=BB103_266 Depth=2
	v_add_co_u32_e32 v11, vcc, s33, v11
	v_addc_co_u32_e32 v12, vcc, 0, v12, vcc
	v_mov_b32_e32 v3, s49
	v_add_co_u32_e32 v7, vcc, s48, v7
	v_addc_co_u32_e32 v8, vcc, v8, v3, vcc
	v_cmp_le_u64_e32 vcc, s[40:41], v[11:12]
	s_mov_b64 s[36:37], 0
	s_orn2_b64 s[0:1], vcc, exec
	s_branch .LBB103_265
.LBB103_270:                            ;   in Loop: Header=BB103_36 Depth=1
	s_or_b64 exec, exec, s[2:3]
	s_andn2_b64 s[0:1], s[60:61], exec
	s_and_b64 s[2:3], s[8:9], exec
	s_or_b64 s[60:61], s[0:1], s[2:3]
	s_mov_b64 s[36:37], s[56:57]
.LBB103_271:                            ;   in Loop: Header=BB103_36 Depth=1
	s_or_b64 exec, exec, s[30:31]
	s_mov_b64 s[40:41], 0
	s_mov_b64 s[30:31], -1
.LBB103_272:                            ;   in Loop: Header=BB103_36 Depth=1
	s_orn2_b64 s[0:1], s[60:61], exec
.LBB103_273:                            ;   in Loop: Header=BB103_36 Depth=1
	s_or_b64 exec, exec, s[86:87]
	s_mov_b64 s[2:3], 0
	s_and_saveexec_b64 s[56:57], s[0:1]
	s_cbranch_execz .LBB103_284
; %bb.274:                              ;   in Loop: Header=BB103_36 Depth=1
	v_mov_b32_e32 v3, 1
	s_xor_b64 s[0:1], s[36:37], -1
	v_mov_b32_e32 v4, 0
	v_mov_b32_e32 v37, 1
	s_and_saveexec_b64 s[36:37], s[0:1]
	s_cbranch_execz .LBB103_283
; %bb.275:                              ;   in Loop: Header=BB103_36 Depth=1
	v_cmp_ge_u64_e32 vcc, s[10:11], v[9:10]
	s_and_saveexec_b64 s[0:1], vcc
	s_xor_b64 s[0:1], exec, s[0:1]
	s_cbranch_execz .LBB103_280
; %bb.276:                              ;   in Loop: Header=BB103_36 Depth=1
	ds_read_b64 v[3:4], v16 offset:5120
	v_or_b32_e32 v32, s13, v32
	v_or_b32_e32 v31, s12, v31
	;; [unrolled: 1-line block ×4, first 2 shown]
	s_waitcnt lgkmcnt(0)
	v_cmp_ne_u64_e32 vcc, 0, v[3:4]
	s_cbranch_vccnz .LBB103_280
; %bb.277:                              ;   in Loop: Header=BB103_36 Depth=1
	s_mov_b64 s[2:3], exec
	v_readlane_b32 s8, v57, 2
	v_readlane_b32 s9, v57, 3
	s_and_b64 s[8:9], s[2:3], s[8:9]
	s_mov_b64 exec, s[8:9]
; %bb.278:                              ;   in Loop: Header=BB103_36 Depth=1
	v_mov_b32_e32 v3, s10
	v_mov_b32_e32 v4, s11
	ds_write_b64 v16, v[3:4] offset:5128
; %bb.279:                              ;   in Loop: Header=BB103_36 Depth=1
	s_or_b64 exec, exec, s[2:3]
	s_waitcnt lgkmcnt(0)
	s_barrier
.LBB103_280:                            ;   in Loop: Header=BB103_36 Depth=1
	s_andn2_saveexec_b64 s[0:1], s[0:1]
; %bb.281:                              ;   in Loop: Header=BB103_36 Depth=1
	v_mov_b32_e32 v3, s11
	v_subrev_co_u32_e32 v9, vcc, s10, v9
	v_subb_co_u32_e32 v10, vcc, v10, v3, vcc
; %bb.282:                              ;   in Loop: Header=BB103_36 Depth=1
	s_or_b64 exec, exec, s[0:1]
	v_mov_b32_e32 v3, v9
	v_mov_b32_e32 v37, 8
	;; [unrolled: 1-line block ×3, first 2 shown]
.LBB103_283:                            ;   in Loop: Header=BB103_36 Depth=1
	s_or_b64 exec, exec, s[36:37]
	v_mov_b32_e32 v10, v4
	s_mov_b64 s[2:3], exec
	v_mov_b32_e32 v9, v3
.LBB103_284:                            ;   in Loop: Header=BB103_36 Depth=1
	s_or_b64 exec, exec, s[56:57]
	s_orn2_b64 s[0:1], s[2:3], exec
.LBB103_285:                            ;   in Loop: Header=BB103_36 Depth=1
	s_or_b64 exec, exec, s[82:83]
	s_andn2_b64 s[2:3], s[94:95], exec
	s_and_b64 s[8:9], s[30:31], exec
	s_or_b64 s[94:95], s[2:3], s[8:9]
	s_andn2_b64 s[2:3], s[92:93], exec
	s_and_b64 s[8:9], s[40:41], exec
	v_mov_b32_e32 v7, v9
	s_or_b64 s[92:93], s[2:3], s[8:9]
	s_and_b64 s[2:3], s[0:1], exec
	v_mov_b32_e32 v8, v10
.LBB103_286:                            ;   in Loop: Header=BB103_36 Depth=1
	s_or_b64 exec, exec, s[38:39]
	s_orn2_b64 s[0:1], s[2:3], exec
.LBB103_287:                            ;   in Loop: Header=BB103_36 Depth=1
	s_or_b64 exec, exec, s[90:91]
	s_andn2_b64 s[2:3], s[84:85], exec
	s_and_b64 s[8:9], s[94:95], exec
	s_or_b64 s[84:85], s[2:3], s[8:9]
	s_andn2_b64 s[2:3], s[6:7], exec
	s_and_b64 s[6:7], s[92:93], exec
	v_mov_b32_e32 v12, v8
	s_or_b64 s[6:7], s[2:3], s[6:7]
	s_and_b64 s[2:3], s[0:1], exec
	v_mov_b32_e32 v11, v7
.LBB103_288:                            ;   in Loop: Header=BB103_36 Depth=1
	s_or_b64 exec, exec, s[88:89]
	s_orn2_b64 s[0:1], s[2:3], exec
.LBB103_289:                            ;   in Loop: Header=BB103_36 Depth=1
	s_or_b64 exec, exec, s[80:81]
	s_mov_b64 s[2:3], 0
	s_and_saveexec_b64 s[8:9], s[0:1]
	s_xor_b64 s[0:1], exec, s[8:9]
	s_cbranch_execz .LBB103_34
; %bb.290:                              ;   in Loop: Header=BB103_36 Depth=1
	v_and_b32_e32 v3, 7, v37
	v_cmp_eq_u32_e32 vcc, 0, v3
	s_mov_b64 s[8:9], -1
	s_mov_b64 s[2:3], -1
	s_and_saveexec_b64 s[10:11], vcc
	s_cbranch_execz .LBB103_33
; %bb.291:                              ;   in Loop: Header=BB103_36 Depth=1
	s_xor_b32 s46, s46, 1
	s_add_i32 s12, s65, -2
	s_cmp_eq_u32 s65, 0
	s_cselect_b64 s[8:9], -1, 0
	s_xor_b64 s[2:3], exec, -1
	s_orn2_b64 s[8:9], s[8:9], exec
	s_mov_b32 s65, s12
	s_branch .LBB103_33
.LBB103_292:                            ;   in Loop: Header=BB103_36 Depth=1
                                        ; implicit-def: $sgpr0_sgpr1
	s_branch .LBB103_245
.LBB103_293:                            ;   in Loop: Header=BB103_36 Depth=1
                                        ; implicit-def: $sgpr0_sgpr1
	s_branch .LBB103_261
.LBB103_294:
	s_or_b64 exec, exec, s[66:67]
	s_xor_b64 s[4:5], s[72:73], -1
	s_xor_b64 s[0:1], s[68:69], -1
	;; [unrolled: 1-line block ×3, first 2 shown]
	s_mov_b64 s[2:3], 0
	s_and_saveexec_b64 s[8:9], s[0:1]
	s_xor_b64 s[0:1], exec, s[8:9]
	s_cbranch_execnz .LBB103_299
; %bb.295:
	s_andn2_saveexec_b64 s[0:1], s[0:1]
	s_cbranch_execnz .LBB103_312
.LBB103_296:
	s_or_b64 exec, exec, s[0:1]
	s_and_saveexec_b64 s[0:1], s[2:3]
.LBB103_297:
	; divergent unreachable
.LBB103_298:
	s_endpgm
.LBB103_299:
	s_and_saveexec_b64 s[2:3], s[4:5]
	s_xor_b64 s[4:5], exec, s[2:3]
	s_cbranch_execz .LBB103_310
; %bb.300:
	s_and_saveexec_b64 s[2:3], s[6:7]
	s_xor_b64 s[2:3], exec, s[2:3]
; %bb.301:
	v_xor_b32_e32 v32, 0x80000000, v32
	v_mov_b32_e32 v5, v31
	v_mov_b32_e32 v6, v32
; %bb.302:
	s_or_b64 exec, exec, s[2:3]
	s_mul_i32 s2, s62, s29
	s_mul_hi_u32 s3, s62, s28
	s_add_i32 s2, s3, s2
	s_mul_i32 s3, s63, s28
	s_add_i32 s3, s2, s3
	s_mul_i32 s2, s62, s28
	s_lshl_b64 s[2:3], s[2:3], 3
	v_readlane_b32 s6, v57, 4
	v_readlane_b32 s7, v57, 5
	s_add_u32 s6, s6, s2
	s_addc_u32 s7, s7, s3
	s_lshl_b64 s[2:3], s[22:23], 3
	s_add_u32 s2, s6, s2
	s_addc_u32 s3, s7, s3
	v_mov_b32_e32 v2, 0
	global_store_dwordx2 v2, v[5:6], s[2:3]
	s_mov_b64 s[6:7], exec
	v_readlane_b32 s2, v57, 8
	v_readlane_b32 s3, v57, 9
	s_and_b64 s[2:3], s[6:7], s[2:3]
	s_mov_b64 exec, s[2:3]
	s_cbranch_execz .LBB103_309
; %bb.303:
	s_mov_b64 s[2:3], 0
                                        ; implicit-def: $sgpr8_sgpr9
                                        ; implicit-def: $sgpr12_sgpr13
                                        ; implicit-def: $sgpr10_sgpr11
	s_branch .LBB103_305
.LBB103_304:                            ;   in Loop: Header=BB103_305 Depth=1
	s_or_b64 exec, exec, s[14:15]
	s_and_b64 s[14:15], exec, s[12:13]
	s_or_b64 s[2:3], s[14:15], s[2:3]
	s_andn2_b64 s[8:9], s[8:9], exec
	s_and_b64 s[14:15], s[10:11], exec
	s_or_b64 s[8:9], s[8:9], s[14:15]
	s_andn2_b64 exec, exec, s[2:3]
	s_cbranch_execz .LBB103_307
.LBB103_305:                            ; =>This Inner Loop Header: Depth=1
	global_load_dwordx2 v[7:8], v[17:18], off
	v_mov_b32_e32 v3, v1
	v_mov_b32_e32 v2, v0
	s_or_b64 s[10:11], s[10:11], exec
	s_or_b64 s[12:13], s[12:13], exec
                                        ; implicit-def: $vgpr0_vgpr1
	s_waitcnt vmcnt(0)
	v_cmp_ne_u64_e32 vcc, v[7:8], v[5:6]
	s_and_saveexec_b64 s[14:15], vcc
	s_cbranch_execz .LBB103_304
; %bb.306:                              ;   in Loop: Header=BB103_305 Depth=1
	v_add_co_u32_e32 v0, vcc, s33, v2
	v_addc_co_u32_e32 v1, vcc, 0, v3, vcc
	v_mov_b32_e32 v4, s49
	v_add_co_u32_e32 v17, vcc, s48, v17
	v_addc_co_u32_e32 v18, vcc, v18, v4, vcc
	v_cmp_le_u64_e32 vcc, s[20:21], v[0:1]
	s_andn2_b64 s[12:13], s[12:13], exec
	s_and_b64 s[16:17], vcc, exec
	s_andn2_b64 s[10:11], s[10:11], exec
	s_or_b64 s[12:13], s[12:13], s[16:17]
	s_branch .LBB103_304
.LBB103_307:
	s_or_b64 exec, exec, s[2:3]
	s_and_saveexec_b64 s[2:3], s[8:9]
	s_xor_b64 s[2:3], exec, s[2:3]
	s_cbranch_execz .LBB103_309
; %bb.308:
	v_readlane_b32 s8, v57, 0
	v_readlane_b32 s9, v57, 1
	s_mul_i32 s2, s8, s35
	s_mul_hi_u32 s3, s8, s34
	s_add_i32 s2, s3, s2
	s_mul_i32 s3, s9, s34
	s_add_i32 s3, s2, s3
	s_mul_i32 s2, s8, s34
	s_lshl_b64 s[2:3], s[2:3], 3
	v_readlane_b32 s8, v57, 6
	v_readlane_b32 s9, v57, 7
	s_add_u32 s8, s8, s2
	s_addc_u32 s9, s9, s3
	s_lshl_b64 s[2:3], s[26:27], 3
	s_add_u32 s2, s8, s2
	s_addc_u32 s3, s9, s3
	v_mov_b32_e32 v0, 0
	global_store_dwordx2 v0, v[2:3], s[2:3]
.LBB103_309:
	s_or_b64 exec, exec, s[6:7]
.LBB103_310:
	s_or_saveexec_b64 s[2:3], s[4:5]
	s_mov_b64 s[4:5], 0
	s_xor_b64 exec, exec, s[2:3]
	s_cbranch_execnz .LBB103_313
.LBB103_311:
	s_or_b64 exec, exec, s[2:3]
	s_and_b64 s[2:3], s[4:5], exec
	s_andn2_saveexec_b64 s[0:1], s[0:1]
	s_cbranch_execz .LBB103_296
.LBB103_312:
	s_or_b64 s[2:3], s[2:3], exec
	s_trap 2
	s_or_b64 exec, exec, s[0:1]
	s_and_saveexec_b64 s[0:1], s[2:3]
	s_cbranch_execnz .LBB103_297
	s_branch .LBB103_298
.LBB103_313:
	s_mov_b64 s[4:5], exec
	s_trap 2
	s_branch .LBB103_311
	.section	.rodata,"a",@progbits
	.p2align	6, 0x0
	.amdhsa_kernel _ZN2at6native12_GLOBAL__N_112gatherMedianIlmLin1EEEvNS_4cuda6detail10TensorInfoIT_T0_EENS5_IlS7_EENS5_IKS6_S7_EES7_S7_S7_b
		.amdhsa_group_segment_fixed_size 5152
		.amdhsa_private_segment_fixed_size 0
		.amdhsa_kernarg_size 1536
		.amdhsa_user_sgpr_count 6
		.amdhsa_user_sgpr_private_segment_buffer 1
		.amdhsa_user_sgpr_dispatch_ptr 0
		.amdhsa_user_sgpr_queue_ptr 0
		.amdhsa_user_sgpr_kernarg_segment_ptr 1
		.amdhsa_user_sgpr_dispatch_id 0
		.amdhsa_user_sgpr_flat_scratch_init 0
		.amdhsa_user_sgpr_private_segment_size 0
		.amdhsa_uses_dynamic_stack 0
		.amdhsa_system_sgpr_private_segment_wavefront_offset 0
		.amdhsa_system_sgpr_workgroup_id_x 1
		.amdhsa_system_sgpr_workgroup_id_y 1
		.amdhsa_system_sgpr_workgroup_id_z 1
		.amdhsa_system_sgpr_workgroup_info 0
		.amdhsa_system_vgpr_workitem_id 0
		.amdhsa_next_free_vgpr 58
		.amdhsa_next_free_sgpr 96
		.amdhsa_reserve_vcc 1
		.amdhsa_reserve_flat_scratch 0
		.amdhsa_float_round_mode_32 0
		.amdhsa_float_round_mode_16_64 0
		.amdhsa_float_denorm_mode_32 3
		.amdhsa_float_denorm_mode_16_64 3
		.amdhsa_dx10_clamp 1
		.amdhsa_ieee_mode 1
		.amdhsa_fp16_overflow 0
		.amdhsa_exception_fp_ieee_invalid_op 0
		.amdhsa_exception_fp_denorm_src 0
		.amdhsa_exception_fp_ieee_div_zero 0
		.amdhsa_exception_fp_ieee_overflow 0
		.amdhsa_exception_fp_ieee_underflow 0
		.amdhsa_exception_fp_ieee_inexact 0
		.amdhsa_exception_int_div_zero 0
	.end_amdhsa_kernel
	.section	.text._ZN2at6native12_GLOBAL__N_112gatherMedianIlmLin1EEEvNS_4cuda6detail10TensorInfoIT_T0_EENS5_IlS7_EENS5_IKS6_S7_EES7_S7_S7_b,"axG",@progbits,_ZN2at6native12_GLOBAL__N_112gatherMedianIlmLin1EEEvNS_4cuda6detail10TensorInfoIT_T0_EENS5_IlS7_EENS5_IKS6_S7_EES7_S7_S7_b,comdat
.Lfunc_end103:
	.size	_ZN2at6native12_GLOBAL__N_112gatherMedianIlmLin1EEEvNS_4cuda6detail10TensorInfoIT_T0_EENS5_IlS7_EENS5_IKS6_S7_EES7_S7_S7_b, .Lfunc_end103-_ZN2at6native12_GLOBAL__N_112gatherMedianIlmLin1EEEvNS_4cuda6detail10TensorInfoIT_T0_EENS5_IlS7_EENS5_IKS6_S7_EES7_S7_S7_b
                                        ; -- End function
	.set _ZN2at6native12_GLOBAL__N_112gatherMedianIlmLin1EEEvNS_4cuda6detail10TensorInfoIT_T0_EENS5_IlS7_EENS5_IKS6_S7_EES7_S7_S7_b.num_vgpr, 58
	.set _ZN2at6native12_GLOBAL__N_112gatherMedianIlmLin1EEEvNS_4cuda6detail10TensorInfoIT_T0_EENS5_IlS7_EENS5_IKS6_S7_EES7_S7_S7_b.num_agpr, 0
	.set _ZN2at6native12_GLOBAL__N_112gatherMedianIlmLin1EEEvNS_4cuda6detail10TensorInfoIT_T0_EENS5_IlS7_EENS5_IKS6_S7_EES7_S7_S7_b.numbered_sgpr, 96
	.set _ZN2at6native12_GLOBAL__N_112gatherMedianIlmLin1EEEvNS_4cuda6detail10TensorInfoIT_T0_EENS5_IlS7_EENS5_IKS6_S7_EES7_S7_S7_b.num_named_barrier, 0
	.set _ZN2at6native12_GLOBAL__N_112gatherMedianIlmLin1EEEvNS_4cuda6detail10TensorInfoIT_T0_EENS5_IlS7_EENS5_IKS6_S7_EES7_S7_S7_b.private_seg_size, 0
	.set _ZN2at6native12_GLOBAL__N_112gatherMedianIlmLin1EEEvNS_4cuda6detail10TensorInfoIT_T0_EENS5_IlS7_EENS5_IKS6_S7_EES7_S7_S7_b.uses_vcc, 1
	.set _ZN2at6native12_GLOBAL__N_112gatherMedianIlmLin1EEEvNS_4cuda6detail10TensorInfoIT_T0_EENS5_IlS7_EENS5_IKS6_S7_EES7_S7_S7_b.uses_flat_scratch, 0
	.set _ZN2at6native12_GLOBAL__N_112gatherMedianIlmLin1EEEvNS_4cuda6detail10TensorInfoIT_T0_EENS5_IlS7_EENS5_IKS6_S7_EES7_S7_S7_b.has_dyn_sized_stack, 0
	.set _ZN2at6native12_GLOBAL__N_112gatherMedianIlmLin1EEEvNS_4cuda6detail10TensorInfoIT_T0_EENS5_IlS7_EENS5_IKS6_S7_EES7_S7_S7_b.has_recursion, 0
	.set _ZN2at6native12_GLOBAL__N_112gatherMedianIlmLin1EEEvNS_4cuda6detail10TensorInfoIT_T0_EENS5_IlS7_EENS5_IKS6_S7_EES7_S7_S7_b.has_indirect_call, 0
	.section	.AMDGPU.csdata,"",@progbits
; Kernel info:
; codeLenInByte = 17276
; TotalNumSgprs: 100
; NumVgprs: 58
; ScratchSize: 0
; MemoryBound: 0
; FloatMode: 240
; IeeeMode: 1
; LDSByteSize: 5152 bytes/workgroup (compile time only)
; SGPRBlocks: 12
; VGPRBlocks: 14
; NumSGPRsForWavesPerEU: 100
; NumVGPRsForWavesPerEU: 58
; Occupancy: 4
; WaveLimiterHint : 1
; COMPUTE_PGM_RSRC2:SCRATCH_EN: 0
; COMPUTE_PGM_RSRC2:USER_SGPR: 6
; COMPUTE_PGM_RSRC2:TRAP_HANDLER: 0
; COMPUTE_PGM_RSRC2:TGID_X_EN: 1
; COMPUTE_PGM_RSRC2:TGID_Y_EN: 1
; COMPUTE_PGM_RSRC2:TGID_Z_EN: 1
; COMPUTE_PGM_RSRC2:TIDIG_COMP_CNT: 0
	.section	.text._ZN2at6native12_GLOBAL__N_112gatherMedianIsjLi1EEEvNS_4cuda6detail10TensorInfoIT_T0_EENS5_IlS7_EENS5_IKS6_S7_EES7_S7_S7_b,"axG",@progbits,_ZN2at6native12_GLOBAL__N_112gatherMedianIsjLi1EEEvNS_4cuda6detail10TensorInfoIT_T0_EENS5_IlS7_EENS5_IKS6_S7_EES7_S7_S7_b,comdat
	.globl	_ZN2at6native12_GLOBAL__N_112gatherMedianIsjLi1EEEvNS_4cuda6detail10TensorInfoIT_T0_EENS5_IlS7_EENS5_IKS6_S7_EES7_S7_S7_b ; -- Begin function _ZN2at6native12_GLOBAL__N_112gatherMedianIsjLi1EEEvNS_4cuda6detail10TensorInfoIT_T0_EENS5_IlS7_EENS5_IKS6_S7_EES7_S7_S7_b
	.p2align	8
	.type	_ZN2at6native12_GLOBAL__N_112gatherMedianIsjLi1EEEvNS_4cuda6detail10TensorInfoIT_T0_EENS5_IlS7_EENS5_IKS6_S7_EES7_S7_S7_b,@function
_ZN2at6native12_GLOBAL__N_112gatherMedianIsjLi1EEEvNS_4cuda6detail10TensorInfoIT_T0_EENS5_IlS7_EENS5_IKS6_S7_EES7_S7_S7_b: ; @_ZN2at6native12_GLOBAL__N_112gatherMedianIsjLi1EEEvNS_4cuda6detail10TensorInfoIT_T0_EENS5_IlS7_EENS5_IKS6_S7_EES7_S7_S7_b
; %bb.0:
	s_load_dwordx2 s[12:13], s[4:5], 0x298
	s_load_dwordx4 s[36:39], s[4:5], 0x288
	s_add_u32 s10, s4, 0x298
	s_addc_u32 s11, s5, 0
	s_waitcnt lgkmcnt(0)
	s_mul_i32 s0, s13, s8
	s_add_i32 s0, s0, s7
	s_mul_i32 s0, s0, s12
	s_add_i32 s18, s0, s6
	s_cmp_ge_u32 s18, s37
	s_cbranch_scc1 .LBB104_251
; %bb.1:
	v_cmp_eq_u32_e64 s[0:1], 0, v0
	s_and_saveexec_b64 s[2:3], s[0:1]
; %bb.2:
	v_mov_b32_e32 v1, 0
	v_mov_b32_e32 v2, v1
	ds_write_b64 v1, v[1:2] offset:4096
; %bb.3:
	s_or_b64 exec, exec, s[2:3]
	v_mov_b32_e32 v1, 0
	s_waitcnt lgkmcnt(0)
	s_barrier
	s_barrier
	ds_read_b64 v[1:2], v1 offset:4096
	s_load_dwordx2 s[2:3], s[4:5], 0x1b0
	s_bitcmp1_b32 s39, 0
	s_cselect_b64 s[16:17], -1, 0
	s_mov_b32 s7, s36
	s_waitcnt lgkmcnt(0)
	v_readfirstlane_b32 s8, v1
	v_readfirstlane_b32 s9, v2
	v_cmp_lt_i64_e64 s[14:15], s[8:9], 1
	s_or_b64 s[14:15], s[16:17], s[14:15]
	s_andn2_b64 vcc, exec, s[14:15]
	s_cbranch_vccnz .LBB104_5
; %bb.4:
	s_not_b64 s[8:9], s[8:9]
	s_add_u32 s7, s8, s36
	s_addc_u32 s9, s9, 0
	s_lshr_b32 s8, s9, 31
	s_add_u32 s8, s7, s8
	s_addc_u32 s9, s9, 0
	s_lshr_b64 s[8:9], s[8:9], 1
	s_add_i32 s7, s8, 1
.LBB104_5:
	s_load_dwordx2 s[8:9], s[4:5], 0xd8
                                        ; implicit-def: $vgpr50 : SGPR spill to VGPR lane
	s_waitcnt lgkmcnt(0)
	v_writelane_b32 v50, s8, 0
	v_writelane_b32 v50, s9, 1
	s_load_dword s13, s[4:5], 0x21c
	s_load_dwordx2 s[8:9], s[4:5], 0x0
	s_waitcnt lgkmcnt(0)
	v_writelane_b32 v50, s8, 2
	v_writelane_b32 v50, s9, 3
	s_and_saveexec_b64 s[8:9], s[0:1]
	s_cbranch_execz .LBB104_7
; %bb.6:
	v_mov_b32_e32 v1, 0
	v_mov_b32_e32 v2, s36
	ds_write_b32 v1, v1 offset:4112
	ds_write_b64 v1, v[1:2] offset:4104
.LBB104_7:
	s_or_b64 exec, exec, s[8:9]
	s_load_dword s8, s[4:5], 0x144
	s_waitcnt lgkmcnt(0)
	s_barrier
	s_mul_i32 s50, s13, s18
	v_writelane_b32 v50, s8, 4
	s_load_dword s8, s[4:5], 0x6c
	s_mov_b32 s51, 0
	v_mul_lo_u32 v5, s38, v0
                                        ; kill: killed $sgpr4 killed $sgpr5
	s_lshl_b64 s[4:5], s[50:51], 1
	s_add_u32 s39, s2, s4
	s_waitcnt lgkmcnt(0)
	v_writelane_b32 v50, s8, 5
	s_load_dword s8, s[10:11], 0xc
	v_mov_b32_e32 v7, 0
	v_writelane_b32 v50, s18, 6
	s_addc_u32 s37, s3, s5
	v_cmp_gt_u32_e64 s[2:3], s36, v0
	v_mbcnt_lo_u32_b32 v1, -1, 0
	v_mov_b32_e32 v6, v7
	v_writelane_b32 v50, s2, 7
	s_waitcnt lgkmcnt(0)
	s_and_b32 s50, s8, 0xffff
	v_mbcnt_hi_u32_b32 v21, -1, v1
	v_lshlrev_b64 v[1:2], 1, v[5:6]
	v_writelane_b32 v50, s3, 8
	s_bfe_u32 s2, s8, 0xa0006
	v_cmp_gt_u32_e32 vcc, 64, v0
	v_cmp_gt_i32_e64 s[8:9], 4, v21
	s_add_i32 s15, s50, -1
	s_lshl_b32 s14, s50, 2
	s_and_b64 s[42:43], vcc, s[8:9]
	s_add_i32 s3, s15, s36
	v_mov_b32_e32 v3, s37
	v_add_co_u32_e32 v8, vcc, s39, v1
	s_cmpk_gt_u32 s36, 0x600
	v_addc_co_u32_e32 v9, vcc, v3, v2, vcc
	v_lshlrev_b64 v[2:3], v21, -1
	s_cselect_b64 s[44:45], -1, 0
	s_cmp_gt_u32 s50, 63
	s_cselect_b64 s[46:47], -1, 0
	v_not_b32_e32 v26, v2
	v_lshrrev_b32_e32 v2, 2, v0
	s_cmp_lt_u32 s6, s12
	v_and_b32_e32 v2, 0xf0, v2
	s_cselect_b32 s6, 12, 18
	v_or_b32_e32 v27, 0xc00, v2
	s_add_u32 s8, s10, s6
	v_add_u32_e32 v2, 2, v0
	s_addc_u32 s9, s11, 0
	v_max_u32_e32 v2, s36, v2
	v_writelane_b32 v50, s8, 9
	v_xad_u32 v2, v0, -1, v2
	v_not_b32_e32 v25, v3
	v_writelane_b32 v50, s9, 10
	v_add_u32_e32 v3, -2, v2
	v_cmp_lt_u32_e64 s[8:9], 31, v2
	v_lshrrev_b32_e32 v4, 1, v3
	v_writelane_b32 v50, s8, 11
	v_add_u32_e32 v4, 1, v4
	v_writelane_b32 v50, s9, 12
	v_cmp_lt_u32_e64 s[8:9], 13, v3
	v_and_b32_e32 v12, 7, v4
	v_writelane_b32 v50, s8, 13
	v_writelane_b32 v50, s9, 14
	v_cmp_ne_u32_e64 s[8:9], 0, v12
	v_and_b32_e32 v28, -2, v2
	v_writelane_b32 v50, s8, 15
	v_writelane_b32 v50, s9, 16
	v_cmp_ne_u32_e64 s[8:9], v2, v28
	v_cvt_f32_u32_e32 v2, s14
	v_writelane_b32 v50, s8, 17
	s_add_i32 s6, s2, -1
	v_writelane_b32 v50, s9, 18
	v_rcp_iflag_f32_e32 v2, v2
	s_bfe_u32 s8, s50, 0x30006
	s_and_b32 s6, s6, 0xffff
	s_cmp_gt_u32 s6, 6
	v_mul_f32_e32 v2, 0x4f7ffffe, v2
	v_cvt_u32_f32_e32 v2, v2
	s_cselect_b64 s[10:11], -1, 0
	s_and_b32 s9, s2, 0x3f8
	v_writelane_b32 v50, s10, 19
	s_cmp_lg_u32 s8, 0
	v_readfirstlane_b32 s6, v2
	v_cvt_f32_u32_e32 v2, s50
	v_writelane_b32 v50, s11, 20
	s_cselect_b64 s[10:11], -1, 0
	s_sub_i32 s2, 0, s14
	s_mul_i32 s2, s2, s6
	s_mul_hi_u32 s2, s6, s2
	v_and_b32_e32 v30, -8, v4
	s_add_i32 s33, s6, s2
	v_rcp_iflag_f32_e32 v4, v2
	s_mul_hi_u32 s2, s36, s33
	s_mul_i32 s2, s2, s14
	s_sub_i32 s2, s36, s2
	s_sub_i32 s6, s2, s14
	v_mul_f32_e32 v4, 0x4f7ffffe, v4
	s_cmp_ge_u32 s2, s14
	v_cvt_u32_f32_e32 v4, v4
	s_cselect_b32 s2, s6, s2
	v_writelane_b32 v50, s8, 21
	s_sub_i32 s6, s2, s14
	v_writelane_b32 v50, s10, 22
	s_cmp_ge_u32 s2, s14
	v_writelane_b32 v50, s11, 23
	s_cselect_b32 s6, s6, s2
	s_sub_i32 s2, 0, s50
	v_readfirstlane_b32 s10, v4
	s_mul_i32 s2, s2, s10
	s_mul_hi_u32 s2, s10, s2
	s_sub_i32 s8, s36, s6
	s_add_i32 s2, s10, s2
	v_add_u32_e32 v31, s8, v0
	s_mul_hi_u32 s10, s3, s2
	v_mul_lo_u32 v6, v31, s38
	s_mul_i32 s10, s10, s50
	s_sub_i32 s10, s3, s10
	s_sub_i32 s11, s10, s50
	s_cmp_ge_u32 s10, s50
	v_lshlrev_b64 v[2:3], 1, v[6:7]
	s_cselect_b32 s10, s11, s10
	v_lshlrev_b32_e32 v20, 2, v0
	s_sub_i32 s11, s10, s50
	v_add_co_u32_e32 v10, vcc, s39, v2
	s_cmp_ge_u32 s10, s50
	v_mul_lo_u32 v2, s38, v20
	s_cselect_b32 s10, s11, s10
	s_sub_i32 s3, s3, s10
	v_cmp_gt_u32_e64 s[10:11], s3, v0
	v_writelane_b32 v50, s10, 24
	v_add_u32_e32 v33, s38, v2
	v_or_b32_e32 v2, 2, v20
	v_writelane_b32 v50, s11, 25
	v_mul_lo_u32 v34, s38, v2
	v_or_b32_e32 v2, 3, v20
	s_add_i32 s10, s50, s36
	v_mul_lo_u32 v35, s38, v2
	v_add_u32_e32 v2, s10, v0
	v_subrev_u32_e32 v2, s6, v2
	v_mul_lo_u32 v37, s38, v2
	v_lshlrev_b32_e32 v22, 1, v0
	v_lshlrev_b32_e32 v1, 2, v21
	v_mov_b32_e32 v6, s37
	s_mul_i32 s40, s38, s50
	v_cmp_eq_u32_e64 s[4:5], 0, v21
	v_cmp_gt_u32_e64 s[24:25], 2, v0
	v_add_u32_e32 v23, 0xc00, v22
	v_and_b32_e32 v24, 0x100, v1
	v_add_u32_e32 v29, v0, v28
	s_mov_b32 s41, s38
	v_cmp_gt_u32_e64 s[16:17], s8, v20
	v_cmp_gt_u32_e64 s[18:19], s36, v31
	v_addc_co_u32_e32 v11, vcc, v6, v3, vcc
	v_lshlrev_b32_e32 v32, 2, v12
	s_lshl_b32 s48, s40, 2
	v_lshlrev_b32_e32 v36, 2, v5
	s_lshl_b32 s49, s50, 3
	s_lshl_b32 s52, s50, 1
	v_or_b32_e32 v39, 0xc00, v1
	s_mov_b64 s[56:57], 0
	s_mov_b32 s53, 0x8000
	s_mov_b32 s54, 0x5040100
	v_lshlrev_b32_e32 v40, 3, v0
	v_mov_b32_e32 v42, 14
	v_mov_b32_e32 v45, s7
	;; [unrolled: 1-line block ×6, first 2 shown]
                                        ; implicit-def: $sgpr58_sgpr59
                                        ; implicit-def: $sgpr62_sgpr63
                                        ; implicit-def: $sgpr60_sgpr61
                                        ; implicit-def: $sgpr66_sgpr67
                                        ; implicit-def: $sgpr68_sgpr69
                                        ; implicit-def: $sgpr64_sgpr65
	s_branch .LBB104_11
.LBB104_8:                              ;   in Loop: Header=BB104_11 Depth=1
	s_or_b64 exec, exec, s[10:11]
	s_and_b64 s[70:71], s[34:35], exec
	s_andn2_b64 s[30:31], s[30:31], exec
	s_andn2_b64 s[28:29], s[28:29], exec
	s_orn2_b64 s[22:23], s[22:23], exec
.LBB104_9:                              ;   in Loop: Header=BB104_11 Depth=1
	s_or_b64 exec, exec, s[26:27]
	s_andn2_b64 s[10:11], s[64:65], exec
	s_and_b64 s[12:13], s[70:71], exec
	s_or_b64 s[64:65], s[10:11], s[12:13]
	s_andn2_b64 s[10:11], s[68:69], exec
	s_and_b64 s[12:13], s[30:31], exec
	s_or_b64 s[68:69], s[10:11], s[12:13]
	;; [unrolled: 3-line block ×3, first 2 shown]
	s_orn2_b64 s[22:23], s[22:23], exec
.LBB104_10:                             ;   in Loop: Header=BB104_11 Depth=1
	s_or_b64 exec, exec, s[6:7]
	s_and_b64 s[6:7], exec, s[22:23]
	s_or_b64 s[56:57], s[6:7], s[56:57]
	s_andn2_b64 s[6:7], s[60:61], exec
	s_and_b64 s[10:11], s[64:65], exec
	s_or_b64 s[60:61], s[6:7], s[10:11]
	s_andn2_b64 s[6:7], s[62:63], exec
	s_and_b64 s[10:11], s[68:69], exec
	s_or_b64 s[62:63], s[6:7], s[10:11]
	s_andn2_b64 s[6:7], s[58:59], exec
	s_and_b64 s[10:11], s[66:67], exec
	s_or_b64 s[58:59], s[6:7], s[10:11]
	s_mov_b32 s51, s72
	v_mov_b32_e32 v45, v4
	s_andn2_b64 exec, exec, s[56:57]
	s_cbranch_execz .LBB104_247
.LBB104_11:                             ; =>This Loop Header: Depth=1
                                        ;     Child Loop BB104_16 Depth 2
                                        ;     Child Loop BB104_37 Depth 2
	;; [unrolled: 1-line block ×18, first 2 shown]
	ds_read_b64 v[1:2], v7 offset:4104
	s_waitcnt lgkmcnt(0)
	v_readfirstlane_b32 s12, v1
	s_cmp_lg_u32 s12, 0
	s_cbranch_scc1 .LBB104_56
; %bb.12:                               ;   in Loop: Header=BB104_11 Depth=1
	s_and_b64 vcc, exec, s[44:45]
	s_cbranch_vccz .LBB104_24
; %bb.13:                               ;   in Loop: Header=BB104_11 Depth=1
	s_movk_i32 s6, 0x601
	v_cmp_gt_u32_e32 vcc, s6, v2
	s_mov_b64 s[26:27], 0
	s_mov_b64 s[6:7], 0
	s_cbranch_vccz .LBB104_25
; %bb.14:                               ;   in Loop: Header=BB104_11 Depth=1
	v_readlane_b32 s6, v50, 9
	v_readlane_b32 s7, v50, 10
	s_nop 4
	global_load_ushort v1, v7, s[6:7]
	global_load_ushort v3, v[8:9], off
	s_mov_b64 s[28:29], 0
	v_mov_b32_e32 v4, v0
	s_waitcnt vmcnt(1)
	v_add_u32_e32 v2, v0, v1
	v_mul_lo_u32 v6, s38, v2
	v_mul_lo_u32 v2, s38, v1
	s_branch .LBB104_16
.LBB104_15:                             ;   in Loop: Header=BB104_16 Depth=2
	s_or_b64 exec, exec, s[6:7]
	v_add_u32_e32 v6, v6, v2
	v_mov_b32_e32 v3, v12
	s_andn2_b64 exec, exec, s[28:29]
	s_cbranch_execz .LBB104_31
.LBB104_16:                             ;   Parent Loop BB104_11 Depth=1
                                        ; =>  This Inner Loop Header: Depth=2
	v_add_u32_e32 v4, v4, v1
	v_cmp_gt_u32_e64 s[6:7], s36, v4
	v_cmp_le_u32_e32 vcc, s36, v4
	s_waitcnt lgkmcnt(0)
	v_mov_b32_e32 v13, 0
	v_mov_b32_e32 v12, 0
	s_and_saveexec_b64 s[10:11], s[6:7]
	s_cbranch_execz .LBB104_18
; %bb.17:                               ;   in Loop: Header=BB104_16 Depth=2
	v_lshlrev_b64 v[14:15], 1, v[6:7]
	v_mov_b32_e32 v12, s37
	v_add_co_u32_e64 v14, s[6:7], s39, v14
	v_addc_co_u32_e64 v15, s[6:7], v12, v15, s[6:7]
	global_load_ushort v12, v[14:15], off
.LBB104_18:                             ;   in Loop: Header=BB104_16 Depth=2
	s_or_b64 exec, exec, s[10:11]
	s_waitcnt vmcnt(0)
	v_add_u32_sdwa v14, sext(v3), s53 dst_sel:DWORD dst_unused:UNUSED_PAD src0_sel:WORD_0 src1_sel:DWORD
	v_and_b32_e32 v14, v14, v43
	v_cmp_eq_u32_e64 s[22:23], v14, v38
	s_cmp_lg_u64 s[22:23], 0
	s_cselect_b64 s[6:7], -1, 0
	s_and_b64 s[6:7], s[4:5], s[6:7]
	s_and_saveexec_b64 s[30:31], s[6:7]
	s_cbranch_execz .LBB104_22
; %bb.19:                               ;   in Loop: Header=BB104_16 Depth=2
	s_mov_b64 s[12:13], exec
	v_mbcnt_lo_u32_b32 v13, s12, 0
	v_mbcnt_hi_u32_b32 v13, s13, v13
	s_bcnt1_i32_b64 s20, s[22:23]
	v_cmp_eq_u32_e64 s[6:7], 0, v13
                                        ; implicit-def: $vgpr14
	s_and_saveexec_b64 s[10:11], s[6:7]
; %bb.20:                               ;   in Loop: Header=BB104_16 Depth=2
	s_bcnt1_i32_b64 s6, s[12:13]
	s_mul_i32 s6, s20, s6
	v_mov_b32_e32 v14, s6
	ds_add_rtn_u32 v14, v7, v14 offset:4112
; %bb.21:                               ;   in Loop: Header=BB104_16 Depth=2
	s_or_b64 exec, exec, s[10:11]
	s_waitcnt lgkmcnt(0)
	v_readfirstlane_b32 s6, v14
	v_mov_b32_e32 v14, s6
	v_mad_u32_u24 v13, s20, v13, v14
.LBB104_22:                             ;   in Loop: Header=BB104_16 Depth=2
	s_or_b64 exec, exec, s[30:31]
	ds_bpermute_b32 v13, v24, v13
	s_and_b64 s[6:7], exec, vcc
	s_or_b64 s[28:29], s[6:7], s[28:29]
	s_and_saveexec_b64 s[6:7], s[22:23]
	s_cbranch_execz .LBB104_15
; %bb.23:                               ;   in Loop: Header=BB104_16 Depth=2
	v_and_b32_e32 v15, s22, v26
	v_and_b32_e32 v14, s23, v25
	v_bcnt_u32_b32 v15, v15, 0
	v_bcnt_u32_b32 v14, v14, v15
	v_lshlrev_b32_e32 v14, 1, v14
	s_waitcnt lgkmcnt(0)
	v_lshl_add_u32 v13, v13, 1, v14
	ds_write_b16 v13, v3
	s_branch .LBB104_15
.LBB104_24:                             ;   in Loop: Header=BB104_11 Depth=1
	s_mov_b64 s[26:27], -1
	s_mov_b64 s[6:7], 0
.LBB104_25:                             ;   in Loop: Header=BB104_11 Depth=1
	s_and_b64 vcc, exec, s[26:27]
	s_cbranch_vccz .LBB104_54
.LBB104_26:                             ;   in Loop: Header=BB104_11 Depth=1
	s_mov_b64 s[22:23], exec
	v_readlane_b32 s6, v50, 7
	v_readlane_b32 s7, v50, 8
	s_and_b64 s[6:7], s[22:23], s[6:7]
	s_mov_b64 exec, s[6:7]
	s_cbranch_execz .LBB104_51
; %bb.27:                               ;   in Loop: Header=BB104_11 Depth=1
	v_readlane_b32 s6, v50, 9
	v_readlane_b32 s7, v50, 10
	s_nop 4
	global_load_ushort v1, v7, s[6:7]
	global_load_ushort v16, v[8:9], off
	s_waitcnt vmcnt(1)
	v_add_u32_e32 v12, v0, v1
	v_readfirstlane_b32 s10, v1
	v_cmp_gt_u32_e32 vcc, s36, v12
	v_mov_b32_e32 v1, v0
	s_and_saveexec_b64 s[26:27], vcc
	s_cbranch_execz .LBB104_50
; %bb.28:                               ;   in Loop: Header=BB104_11 Depth=1
	s_mov_b64 s[6:7], 0
	s_mul_i32 s11, s38, s10
                                        ; implicit-def: $vgpr1
                                        ; implicit-def: $vgpr4
                                        ; implicit-def: $vgpr2
                                        ; implicit-def: $vgpr3
	s_mov_b64 s[12:13], exec
	v_readlane_b32 s20, v50, 11
	v_readlane_b32 s21, v50, 12
	s_and_b64 s[20:21], s[12:13], s[20:21]
	s_xor_b64 s[28:29], s[20:21], s[12:13]
	s_mov_b64 exec, s[20:21]
	s_cbranch_execnz .LBB104_34
; %bb.29:                               ;   in Loop: Header=BB104_11 Depth=1
	s_andn2_saveexec_b64 s[28:29], s[28:29]
	s_cbranch_execnz .LBB104_45
.LBB104_30:                             ;   in Loop: Header=BB104_11 Depth=1
	s_or_b64 exec, exec, s[28:29]
	s_and_saveexec_b64 s[28:29], s[6:7]
	s_cbranch_execnz .LBB104_46
	s_branch .LBB104_49
.LBB104_31:                             ;   in Loop: Header=BB104_11 Depth=1
	s_or_b64 exec, exec, s[28:29]
	s_waitcnt lgkmcnt(0)
	s_barrier
	s_and_saveexec_b64 s[6:7], s[0:1]
	s_cbranch_execz .LBB104_33
; %bb.32:                               ;   in Loop: Header=BB104_11 Depth=1
	ds_read_b32 v1, v7 offset:4112
	s_waitcnt lgkmcnt(0)
	ds_write_b32 v7, v1 offset:4104
.LBB104_33:                             ;   in Loop: Header=BB104_11 Depth=1
	s_or_b64 exec, exec, s[6:7]
	s_waitcnt lgkmcnt(0)
	s_barrier
	s_mov_b64 s[6:7], -1
	s_and_b64 vcc, exec, s[26:27]
	s_cbranch_vccnz .LBB104_26
	s_branch .LBB104_54
.LBB104_34:                             ;   in Loop: Header=BB104_11 Depth=1
	v_cvt_f32_u32_e32 v1, s10
	s_sub_i32 s7, 0, s10
	v_add_u32_e32 v3, s10, v12
	v_max_u32_e32 v3, s36, v3
	v_rcp_iflag_f32_e32 v1, v1
	s_lshl_b32 s6, s10, 1
	v_sub_u32_e32 v3, v3, v0
	v_cmp_ne_u32_e32 vcc, s6, v3
	v_mul_f32_e32 v1, 0x4f7ffffe, v1
	v_cvt_u32_f32_e32 v1, v1
	v_cndmask_b32_e64 v4, 0, 1, vcc
	v_or_b32_e32 v4, s6, v4
	v_sub_u32_e32 v3, v3, v4
	v_mul_lo_u32 v2, s7, v1
	s_not_b32 s6, s11
	s_ashr_i32 s20, s6, 31
	s_abs_i32 s12, s11
	v_mul_hi_u32 v2, v1, v2
	s_cmp_eq_u32 s10, 1
	s_mov_b64 s[30:31], -1
	v_add_u32_e32 v1, v1, v2
	v_mul_hi_u32 v1, v3, v1
	v_mul_lo_u32 v2, s38, v12
	v_mul_lo_u32 v4, v1, s10
	v_add_u32_e32 v6, 1, v1
	v_xor_b32_e32 v2, s20, v2
	v_sub_u32_e32 v3, v3, v4
	v_cmp_le_u32_e64 s[6:7], s10, v3
	v_subrev_u32_e32 v4, s10, v3
	v_cndmask_b32_e64 v1, v1, v6, s[6:7]
	v_cndmask_b32_e64 v3, v3, v4, s[6:7]
	v_add_u32_e32 v4, 1, v1
	v_cmp_le_u32_e64 s[6:7], s10, v3
	v_cndmask_b32_e64 v1, v1, v4, s[6:7]
	v_addc_co_u32_e32 v1, vcc, 0, v1, vcc
	v_mul_hi_u32 v3, s12, v1
	v_mul_lo_u32 v1, s12, v1
	s_cselect_b64 s[12:13], -1, 0
	v_cmp_eq_u32_e32 vcc, 0, v3
	v_cmp_le_u32_e64 s[6:7], v1, v2
	s_and_b64 s[12:13], vcc, s[12:13]
	s_and_b64 s[12:13], s[12:13], s[6:7]
	v_mov_b32_e32 v2, v0
                                        ; implicit-def: $vgpr1
	s_and_saveexec_b64 s[6:7], s[12:13]
	s_cbranch_execz .LBB104_44
; %bb.35:                               ;   in Loop: Header=BB104_11 Depth=1
	v_add_u32_e32 v13, 1, v12
	v_mov_b32_e32 v15, v13
	s_waitcnt vmcnt(0)
	v_lshlrev_b32_e32 v17, 16, v16
	v_mov_b32_e32 v1, 0
	v_mov_b32_e32 v14, v12
                                        ; implicit-def: $vgpr16
	s_mov_b64 s[30:31], exec
	v_readlane_b32 s12, v50, 13
	v_readlane_b32 s13, v50, 14
	s_and_b64 s[12:13], s[30:31], s[12:13]
	s_mov_b64 exec, s[12:13]
	s_cbranch_execz .LBB104_39
; %bb.36:                               ;   in Loop: Header=BB104_11 Depth=1
	v_mov_b32_e32 v15, v13
	s_mov_b32 s12, 0
	s_mov_b64 s[70:71], 0
	v_mov_b32_e32 v46, v30
	v_mov_b32_e32 v47, v22
	;; [unrolled: 1-line block ×3, first 2 shown]
.LBB104_37:                             ;   Parent Loop BB104_11 Depth=1
                                        ; =>  This Inner Loop Header: Depth=2
	v_mul_lo_u32 v6, v14, s38
	v_mul_lo_u32 v1, v15, s41
	v_mov_b32_e32 v13, s37
	v_add_u32_e32 v46, -8, v46
	v_lshlrev_b64 v[2:3], 1, v[6:7]
	s_add_i32 s12, s12, 16
	v_add_co_u32_e32 v18, vcc, s39, v2
	v_mov_b32_e32 v2, v7
	v_lshlrev_b64 v[1:2], 1, v[1:2]
	v_addc_co_u32_e32 v19, vcc, v13, v3, vcc
	v_add_co_u32_e32 v1, vcc, s39, v1
	v_addc_co_u32_e32 v2, vcc, v13, v2, vcc
	global_load_ushort v3, v[18:19], off
	s_nop 0
	global_load_ushort v18, v[1:2], off
	v_add_u32_e32 v2, 2, v15
	v_mul_lo_u32 v2, v2, s41
	s_waitcnt vmcnt(1)
	v_alignbit_b32 v1, v3, v17, 16
	v_add_u32_e32 v3, 2, v14
	v_mul_lo_u32 v6, v3, s38
	v_lshlrev_b64 v[3:4], 1, v[6:7]
	v_add_co_u32_e32 v16, vcc, s39, v3
	v_mov_b32_e32 v3, v7
	v_lshlrev_b64 v[2:3], 1, v[2:3]
	v_addc_co_u32_e32 v17, vcc, v13, v4, vcc
	v_add_co_u32_e32 v2, vcc, s39, v2
	v_addc_co_u32_e32 v3, vcc, v13, v3, vcc
	global_load_ushort v4, v[16:17], off
	global_load_ushort v19, v[2:3], off
	v_add_u32_e32 v3, 4, v15
	v_mul_lo_u32 v3, v3, s41
	s_waitcnt vmcnt(1)
	v_perm_b32 v2, v4, v18, s54
	v_add_u32_e32 v4, 4, v14
	v_mul_lo_u32 v6, v4, s38
	v_mov_b32_e32 v4, v7
	v_lshlrev_b64 v[3:4], 1, v[3:4]
	v_lshlrev_b64 v[16:17], 1, v[6:7]
	v_add_co_u32_e32 v16, vcc, s39, v16
	v_addc_co_u32_e32 v17, vcc, v13, v17, vcc
	v_add_co_u32_e32 v3, vcc, s39, v3
	v_addc_co_u32_e32 v4, vcc, v13, v4, vcc
	global_load_ushort v6, v[16:17], off
	s_nop 0
	global_load_ushort v4, v[3:4], off
	v_add_u32_e32 v16, 6, v15
	v_mul_lo_u32 v16, v16, s41
	s_waitcnt vmcnt(1)
	v_perm_b32 v3, v6, v19, s54
	v_add_u32_e32 v6, 6, v14
	v_mul_lo_u32 v6, v6, s38
	v_lshlrev_b64 v[17:18], 1, v[6:7]
	v_add_co_u32_e32 v48, vcc, s39, v17
	v_mov_b32_e32 v17, v7
	v_lshlrev_b64 v[16:17], 1, v[16:17]
	v_addc_co_u32_e32 v49, vcc, v13, v18, vcc
	v_add_co_u32_e32 v16, vcc, s39, v16
	v_addc_co_u32_e32 v17, vcc, v13, v17, vcc
	global_load_ushort v6, v[48:49], off
	global_load_ushort v18, v[16:17], off
	s_waitcnt vmcnt(1)
	v_perm_b32 v4, v6, v4, s54
	ds_write_b128 v47, v[1:4]
	v_add_u32_e32 v2, 8, v14
	v_mul_lo_u32 v6, v2, s38
	v_add_u32_e32 v1, 8, v15
	v_mul_lo_u32 v1, v1, s41
	v_lshlrev_b64 v[2:3], 1, v[6:7]
	v_add_co_u32_e32 v16, vcc, s39, v2
	v_mov_b32_e32 v2, v7
	v_lshlrev_b64 v[1:2], 1, v[1:2]
	v_addc_co_u32_e32 v17, vcc, v13, v3, vcc
	v_add_co_u32_e32 v1, vcc, s39, v1
	v_addc_co_u32_e32 v2, vcc, v13, v2, vcc
	global_load_ushort v3, v[16:17], off
	global_load_ushort v19, v[1:2], off
	v_add_u32_e32 v2, 10, v15
	v_mul_lo_u32 v2, v2, s41
	s_waitcnt vmcnt(1)
	v_perm_b32 v1, v3, v18, s54
	v_add_u32_e32 v3, 10, v14
	v_mul_lo_u32 v6, v3, s38
	v_lshlrev_b64 v[3:4], 1, v[6:7]
	v_add_co_u32_e32 v16, vcc, s39, v3
	v_mov_b32_e32 v3, v7
	v_lshlrev_b64 v[2:3], 1, v[2:3]
	v_addc_co_u32_e32 v17, vcc, v13, v4, vcc
	v_add_co_u32_e32 v2, vcc, s39, v2
	v_addc_co_u32_e32 v3, vcc, v13, v3, vcc
	global_load_ushort v4, v[16:17], off
	global_load_ushort v18, v[2:3], off
	v_add_u32_e32 v3, 12, v15
	v_mul_lo_u32 v3, v3, s41
	s_waitcnt vmcnt(1)
	v_perm_b32 v2, v4, v19, s54
	v_add_u32_e32 v4, 12, v14
	v_mul_lo_u32 v6, v4, s38
	v_mov_b32_e32 v4, v7
	v_lshlrev_b64 v[3:4], 1, v[3:4]
	v_mov_b32_e32 v19, v7
	v_lshlrev_b64 v[16:17], 1, v[6:7]
	v_add_co_u32_e32 v16, vcc, s39, v16
	v_addc_co_u32_e32 v17, vcc, v13, v17, vcc
	v_add_co_u32_e32 v3, vcc, s39, v3
	v_addc_co_u32_e32 v4, vcc, v13, v4, vcc
	global_load_ushort v6, v[16:17], off
	s_nop 0
	global_load_ushort v4, v[3:4], off
	v_add_u32_e32 v16, 14, v15
	v_add_u32_e32 v15, 16, v15
	s_waitcnt vmcnt(1)
	v_perm_b32 v3, v6, v18, s54
	v_add_u32_e32 v6, 14, v14
	v_mul_lo_u32 v6, v6, s38
	v_mul_lo_u32 v18, v16, s41
	v_add_u32_e32 v14, 16, v14
	v_lshlrev_b64 v[16:17], 1, v[6:7]
	v_lshlrev_b64 v[18:19], 1, v[18:19]
	v_add_co_u32_e32 v16, vcc, s39, v16
	v_addc_co_u32_e32 v17, vcc, v13, v17, vcc
	v_add_co_u32_e32 v18, vcc, s39, v18
	v_addc_co_u32_e32 v19, vcc, v13, v19, vcc
	global_load_ushort v6, v[16:17], off
	s_nop 0
	global_load_ushort v16, v[18:19], off
	v_cmp_eq_u32_e32 vcc, 0, v46
	s_or_b64 s[70:71], vcc, s[70:71]
	s_waitcnt vmcnt(1)
	v_perm_b32 v4, v6, v4, s54
	s_waitcnt vmcnt(0)
	v_perm_b32 v17, v16, v6, s54
	ds_write_b128 v47, v[1:4] offset:16
	v_add_u32_e32 v47, 32, v47
	v_mov_b32_e32 v1, s12
	s_andn2_b64 exec, exec, s[70:71]
	s_cbranch_execnz .LBB104_37
; %bb.38:                               ;   in Loop: Header=BB104_11 Depth=1
	s_or_b64 exec, exec, s[70:71]
.LBB104_39:                             ;   in Loop: Header=BB104_11 Depth=1
	s_or_b64 exec, exec, s[30:31]
	s_mov_b64 s[30:31], exec
	v_readlane_b32 s12, v50, 15
	v_readlane_b32 s13, v50, 16
	s_and_b64 s[12:13], s[30:31], s[12:13]
	s_mov_b64 exec, s[12:13]
	s_cbranch_execz .LBB104_43
; %bb.40:                               ;   in Loop: Header=BB104_11 Depth=1
	v_lshl_add_u32 v1, v1, 1, v22
	s_mov_b64 s[34:35], 0
	v_mov_b32_e32 v2, v32
.LBB104_41:                             ;   Parent Loop BB104_11 Depth=1
                                        ; =>  This Inner Loop Header: Depth=2
	v_mul_lo_u32 v6, v14, s38
	v_mul_lo_u32 v3, v15, s41
	v_mov_b32_e32 v4, v7
	v_mov_b32_e32 v13, s37
	v_lshlrev_b64 v[18:19], 1, v[6:7]
	v_lshlrev_b64 v[3:4], 1, v[3:4]
	v_add_co_u32_e32 v18, vcc, s39, v18
	v_addc_co_u32_e32 v19, vcc, v13, v19, vcc
	v_add_co_u32_e32 v3, vcc, s39, v3
	v_addc_co_u32_e32 v4, vcc, v13, v4, vcc
	global_load_ushort v6, v[18:19], off
	global_load_ushort v16, v[3:4], off
	v_add_u32_e32 v2, -4, v2
	v_cmp_eq_u32_e32 vcc, 0, v2
	v_add_u32_e32 v15, 2, v15
	v_add_u32_e32 v14, 2, v14
	s_or_b64 s[34:35], vcc, s[34:35]
	s_waitcnt vmcnt(1)
	v_alignbit_b32 v4, v6, v17, 16
	s_waitcnt vmcnt(0)
	v_perm_b32 v3, v16, v6, s54
	ds_write_b32 v1, v4
	v_add_u32_e32 v1, 4, v1
	v_mov_b32_e32 v17, v3
	s_andn2_b64 exec, exec, s[34:35]
	s_cbranch_execnz .LBB104_41
; %bb.42:                               ;   in Loop: Header=BB104_11 Depth=1
	s_or_b64 exec, exec, s[34:35]
.LBB104_43:                             ;   in Loop: Header=BB104_11 Depth=1
	s_or_b64 exec, exec, s[30:31]
	v_readlane_b32 s12, v50, 17
	v_add_u32_e32 v12, v12, v28
	v_readlane_b32 s13, v50, 18
	v_add_u32_e32 v1, -1, v12
	s_orn2_b64 s[30:31], s[12:13], exec
	v_mov_b32_e32 v2, v29
.LBB104_44:                             ;   in Loop: Header=BB104_11 Depth=1
	s_or_b64 exec, exec, s[6:7]
	v_mov_b32_e32 v3, s11
	s_and_b64 s[6:7], s[30:31], exec
	s_waitcnt vmcnt(0)
	v_mov_b32_e32 v4, v16
	s_andn2_saveexec_b64 s[28:29], s[28:29]
	s_cbranch_execz .LBB104_30
.LBB104_45:                             ;   in Loop: Header=BB104_11 Depth=1
	v_mov_b32_e32 v3, s11
	s_or_b64 s[6:7], s[6:7], exec
	s_waitcnt vmcnt(0)
	v_mov_b32_e32 v4, v16
	v_mov_b32_e32 v2, v0
	s_or_b64 exec, exec, s[28:29]
	s_and_saveexec_b64 s[28:29], s[6:7]
	s_cbranch_execz .LBB104_49
.LBB104_46:                             ;   in Loop: Header=BB104_11 Depth=1
	v_mul_lo_u32 v6, s38, v12
	s_sub_i32 s11, 0, s10
	s_mov_b64 s[6:7], 0
.LBB104_47:                             ;   Parent Loop BB104_11 Depth=1
                                        ; =>  This Inner Loop Header: Depth=2
	v_lshlrev_b64 v[13:14], 1, v[6:7]
	v_mov_b32_e32 v1, s37
	v_add_co_u32_e32 v13, vcc, s39, v13
	v_addc_co_u32_e32 v14, vcc, v1, v14, vcc
	global_load_ushort v16, v[13:14], off
	v_mov_b32_e32 v1, v12
	v_add_u32_e32 v12, s10, v1
	v_lshlrev_b32_e32 v2, 1, v2
	v_cmp_le_u32_e32 vcc, s36, v12
	v_add_u32_e32 v6, v6, v3
	ds_write_b16 v2, v4
	v_mov_b32_e32 v2, v1
	s_or_b64 s[6:7], vcc, s[6:7]
	s_waitcnt vmcnt(0)
	v_mov_b32_e32 v4, v16
	s_andn2_b64 exec, exec, s[6:7]
	s_cbranch_execnz .LBB104_47
; %bb.48:                               ;   in Loop: Header=BB104_11 Depth=1
	s_or_b64 exec, exec, s[6:7]
	v_add_u32_e32 v1, s11, v12
.LBB104_49:                             ;   in Loop: Header=BB104_11 Depth=1
	s_or_b64 exec, exec, s[28:29]
.LBB104_50:                             ;   in Loop: Header=BB104_11 Depth=1
	s_or_b64 exec, exec, s[26:27]
	v_lshlrev_b32_e32 v1, 1, v1
	s_waitcnt vmcnt(0)
	ds_write_b16 v1, v16
.LBB104_51:                             ;   in Loop: Header=BB104_11 Depth=1
	s_or_b64 exec, exec, s[22:23]
	s_waitcnt lgkmcnt(0)
	s_barrier
	s_and_saveexec_b64 s[6:7], s[0:1]
; %bb.52:                               ;   in Loop: Header=BB104_11 Depth=1
	v_mov_b32_e32 v1, s36
	ds_write_b32 v7, v1 offset:4104
; %bb.53:                               ;   in Loop: Header=BB104_11 Depth=1
	s_or_b64 exec, exec, s[6:7]
	s_mov_b64 s[6:7], -1
	s_waitcnt lgkmcnt(0)
	s_barrier
.LBB104_54:                             ;   in Loop: Header=BB104_11 Depth=1
	s_mov_b32 s12, 0
	s_and_b64 vcc, exec, s[6:7]
	s_cbranch_vccz .LBB104_56
; %bb.55:                               ;   in Loop: Header=BB104_11 Depth=1
	ds_read_b32 v1, v7 offset:4104
	s_waitcnt lgkmcnt(0)
	v_readfirstlane_b32 s12, v1
.LBB104_56:                             ;   in Loop: Header=BB104_11 Depth=1
	s_cmp_lt_i32 s12, 1
	s_mov_b64 s[6:7], -1
                                        ; implicit-def: $vgpr1
	s_cbranch_scc1 .LBB104_66
; %bb.57:                               ;   in Loop: Header=BB104_11 Depth=1
	s_and_b64 vcc, exec, s[6:7]
	s_cbranch_vccnz .LBB104_77
.LBB104_58:                             ;   in Loop: Header=BB104_11 Depth=1
	s_lshl_b32 s10, s51, 6
	s_and_saveexec_b64 s[6:7], s[4:5]
.LBB104_59:                             ;   in Loop: Header=BB104_11 Depth=1
	v_lshl_add_u32 v6, s10, 2, v27
	ds_write_b128 v6, v[1:4]
.LBB104_60:                             ;   in Loop: Header=BB104_11 Depth=1
	s_or_b64 exec, exec, s[6:7]
	s_waitcnt lgkmcnt(0)
	s_barrier
	s_and_saveexec_b64 s[6:7], s[42:43]
	s_cbranch_execz .LBB104_91
; %bb.61:                               ;   in Loop: Header=BB104_11 Depth=1
	s_andn2_b64 vcc, exec, s[46:47]
	v_mov_b32_e32 v1, 0
	s_cbranch_vccnz .LBB104_90
; %bb.62:                               ;   in Loop: Header=BB104_11 Depth=1
	v_readlane_b32 s12, v50, 19
	v_readlane_b32 s13, v50, 20
	s_andn2_b64 vcc, exec, s[12:13]
	s_cbranch_vccnz .LBB104_86
; %bb.63:                               ;   in Loop: Header=BB104_11 Depth=1
	v_lshl_add_u32 v2, s51, 8, v39
	s_mov_b32 s11, 0
	v_mov_b32_e32 v1, 0
.LBB104_64:                             ;   Parent Loop BB104_11 Depth=1
                                        ; =>  This Inner Loop Header: Depth=2
	ds_read2_b32 v[3:4], v2 offset1:4
	ds_read2_b32 v[12:13], v2 offset0:8 offset1:12
	ds_read2_b32 v[14:15], v2 offset0:16 offset1:20
	;; [unrolled: 1-line block ×3, first 2 shown]
	s_add_i32 s11, s11, 8
	s_waitcnt lgkmcnt(3)
	v_add3_u32 v1, v3, v1, v4
	s_waitcnt lgkmcnt(2)
	v_add3_u32 v1, v12, v1, v13
	;; [unrolled: 2-line block ×3, first 2 shown]
	v_add_u32_e32 v2, 0x80, v2
	s_cmp_eq_u32 s9, s11
	s_waitcnt lgkmcnt(0)
	v_add3_u32 v1, v16, v1, v17
	s_cbranch_scc0 .LBB104_64
; %bb.65:                               ;   in Loop: Header=BB104_11 Depth=1
	s_mov_b32 s11, s9
	s_branch .LBB104_87
.LBB104_66:                             ;   in Loop: Header=BB104_11 Depth=1
	v_mov_b32_e32 v1, 0
	v_mov_b32_e32 v2, 0
	;; [unrolled: 1-line block ×4, first 2 shown]
	s_and_saveexec_b64 s[30:31], s[16:17]
	s_cbranch_execz .LBB104_70
; %bb.67:                               ;   in Loop: Header=BB104_11 Depth=1
	s_mov_b32 s10, 0
	s_mov_b64 s[70:71], 0
	s_mov_b32 s11, 0
	s_mov_b32 s13, 0
	;; [unrolled: 1-line block ×4, first 2 shown]
	v_mov_b32_e32 v12, v20
.LBB104_68:                             ;   Parent Loop BB104_11 Depth=1
                                        ; =>  This Inner Loop Header: Depth=2
	v_add_u32_e32 v6, s10, v36
	v_lshlrev_b64 v[1:2], 1, v[6:7]
	v_mov_b32_e32 v3, s37
	v_add_co_u32_e32 v1, vcc, s39, v1
	v_addc_co_u32_e32 v2, vcc, v3, v2, vcc
	v_add_u32_e32 v6, s10, v33
	global_load_sshort v4, v[1:2], off
	v_lshlrev_b64 v[1:2], 1, v[6:7]
	v_add_u32_e32 v6, s10, v34
	v_add_co_u32_e32 v1, vcc, s39, v1
	v_addc_co_u32_e32 v2, vcc, v3, v2, vcc
	global_load_sshort v13, v[1:2], off
	v_lshlrev_b64 v[1:2], 1, v[6:7]
	v_add_u32_e32 v6, s10, v35
	v_add_co_u32_e32 v1, vcc, s39, v1
	v_addc_co_u32_e32 v2, vcc, v3, v2, vcc
	global_load_sshort v14, v[1:2], off
	v_lshlrev_b64 v[1:2], 1, v[6:7]
	v_add_u32_e32 v12, s14, v12
	v_add_co_u32_e32 v1, vcc, s39, v1
	v_addc_co_u32_e32 v2, vcc, v3, v2, vcc
	global_load_sshort v1, v[1:2], off
	s_add_i32 s10, s10, s48
	s_waitcnt vmcnt(3)
	v_add_u32_e32 v2, 0x8000, v4
	v_and_b32_e32 v6, v2, v43
	v_bfe_u32 v2, v2, v42, 2
	v_cmp_eq_u32_e32 vcc, v6, v38
	v_cmp_eq_u32_e64 s[28:29], 0, v2
	s_and_b64 s[20:21], vcc, s[28:29]
	s_waitcnt vmcnt(2)
	v_add_u32_e32 v3, 0x8000, v13
	v_and_b32_e32 v6, v3, v43
	v_bfe_u32 v3, v3, v42, 2
	v_cmp_eq_u32_e64 s[6:7], v6, v38
	v_cmp_eq_u32_e64 s[28:29], 0, v3
	s_and_b64 s[72:73], s[6:7], s[28:29]
	s_waitcnt vmcnt(1)
	v_add_u32_e32 v4, 0x8000, v14
	v_and_b32_e32 v6, v4, v43
	v_bfe_u32 v4, v4, v42, 2
	v_cmp_eq_u32_e64 s[22:23], v6, v38
	v_cmp_eq_u32_e64 s[28:29], 0, v4
	s_and_b64 s[74:75], s[22:23], s[28:29]
	s_waitcnt vmcnt(0)
	v_add_u32_e32 v1, 0x8000, v1
	v_and_b32_e32 v6, v1, v43
	v_bfe_u32 v1, v1, v42, 2
	v_cmp_eq_u32_e64 s[26:27], v6, v38
	v_cmp_eq_u32_e64 s[28:29], 0, v1
	v_cndmask_b32_e64 v6, 0, 1, s[20:21]
	s_and_b64 s[76:77], s[26:27], s[28:29]
	v_cmp_ne_u32_e64 s[28:29], 0, v6
	v_cndmask_b32_e64 v6, 0, 1, s[72:73]
	s_bcnt1_i32_b64 s20, s[28:29]
	v_cmp_ne_u32_e64 s[28:29], 0, v6
	v_cndmask_b32_e64 v6, 0, 1, s[74:75]
	s_bcnt1_i32_b64 s21, s[28:29]
	v_cmp_ne_u32_e64 s[28:29], 0, v6
	v_cndmask_b32_e64 v6, 0, 1, s[76:77]
	s_add_i32 s20, s35, s20
	s_bcnt1_i32_b64 s55, s[28:29]
	v_cmp_ne_u32_e64 s[28:29], 0, v6
	s_add_i32 s20, s20, s21
	s_bcnt1_i32_b64 s28, s[28:29]
	s_add_i32 s20, s20, s55
	s_add_i32 s35, s20, s28
	v_cmp_eq_u32_e64 s[28:29], 1, v2
	s_and_b64 s[20:21], vcc, s[28:29]
	v_cmp_eq_u32_e64 s[28:29], 1, v3
	s_and_b64 s[72:73], s[6:7], s[28:29]
	v_cmp_eq_u32_e64 s[28:29], 1, v4
	s_and_b64 s[74:75], s[22:23], s[28:29]
	v_cmp_eq_u32_e64 s[28:29], 1, v1
	v_cndmask_b32_e64 v6, 0, 1, s[20:21]
	s_and_b64 s[76:77], s[26:27], s[28:29]
	v_cmp_ne_u32_e64 s[28:29], 0, v6
	v_cndmask_b32_e64 v6, 0, 1, s[72:73]
	s_bcnt1_i32_b64 s20, s[28:29]
	v_cmp_ne_u32_e64 s[28:29], 0, v6
	v_cndmask_b32_e64 v6, 0, 1, s[74:75]
	s_bcnt1_i32_b64 s21, s[28:29]
	v_cmp_ne_u32_e64 s[28:29], 0, v6
	v_cndmask_b32_e64 v6, 0, 1, s[76:77]
	s_add_i32 s20, s34, s20
	s_bcnt1_i32_b64 s55, s[28:29]
	v_cmp_ne_u32_e64 s[28:29], 0, v6
	s_add_i32 s20, s20, s21
	s_bcnt1_i32_b64 s28, s[28:29]
	s_add_i32 s20, s20, s55
	s_add_i32 s34, s20, s28
	v_cmp_eq_u32_e64 s[28:29], 2, v2
	s_and_b64 s[20:21], vcc, s[28:29]
	v_cmp_eq_u32_e64 s[28:29], 2, v3
	s_and_b64 s[72:73], s[6:7], s[28:29]
	v_cmp_eq_u32_e64 s[28:29], 2, v4
	s_and_b64 s[74:75], s[22:23], s[28:29]
	v_cmp_eq_u32_e64 s[28:29], 2, v1
	v_cndmask_b32_e64 v6, 0, 1, s[20:21]
	s_and_b64 s[76:77], s[26:27], s[28:29]
	v_cmp_ne_u32_e64 s[28:29], 0, v6
	v_cndmask_b32_e64 v6, 0, 1, s[72:73]
	s_bcnt1_i32_b64 s20, s[28:29]
	v_cmp_ne_u32_e64 s[28:29], 0, v6
	v_cndmask_b32_e64 v6, 0, 1, s[74:75]
	s_bcnt1_i32_b64 s21, s[28:29]
	v_cmp_ne_u32_e64 s[28:29], 0, v6
	v_cndmask_b32_e64 v6, 0, 1, s[76:77]
	s_add_i32 s13, s13, s20
	s_bcnt1_i32_b64 s55, s[28:29]
	v_cmp_ne_u32_e64 s[28:29], 0, v6
	s_add_i32 s13, s13, s21
	s_bcnt1_i32_b64 s28, s[28:29]
	s_add_i32 s13, s13, s55
	s_add_i32 s13, s13, s28
	v_cmp_eq_u32_e64 s[28:29], 3, v2
	s_and_b64 s[20:21], vcc, s[28:29]
	v_cmp_eq_u32_e32 vcc, 3, v3
	s_and_b64 s[6:7], s[6:7], vcc
	v_cmp_eq_u32_e32 vcc, 3, v4
	s_and_b64 s[22:23], s[22:23], vcc
	v_cmp_eq_u32_e32 vcc, 3, v1
	v_cndmask_b32_e64 v1, 0, 1, s[20:21]
	s_and_b64 s[26:27], s[26:27], vcc
	v_cmp_ne_u32_e32 vcc, 0, v1
	v_cndmask_b32_e64 v1, 0, 1, s[6:7]
	s_bcnt1_i32_b64 s20, vcc
	v_cmp_ne_u32_e32 vcc, 0, v1
	v_cndmask_b32_e64 v1, 0, 1, s[22:23]
	s_bcnt1_i32_b64 s6, vcc
	v_cmp_ne_u32_e32 vcc, 0, v1
	v_cndmask_b32_e64 v1, 0, 1, s[26:27]
	s_add_i32 s11, s11, s20
	s_bcnt1_i32_b64 s7, vcc
	v_cmp_ne_u32_e32 vcc, 0, v1
	s_add_i32 s6, s11, s6
	s_bcnt1_i32_b64 s21, vcc
	s_add_i32 s6, s6, s7
	s_add_i32 s11, s6, s21
	v_cmp_le_u32_e32 vcc, s8, v12
	s_or_b64 s[70:71], vcc, s[70:71]
	v_mov_b32_e32 v1, s35
	v_mov_b32_e32 v2, s34
	;; [unrolled: 1-line block ×4, first 2 shown]
	s_andn2_b64 exec, exec, s[70:71]
	s_cbranch_execnz .LBB104_68
; %bb.69:                               ;   in Loop: Header=BB104_11 Depth=1
	s_or_b64 exec, exec, s[70:71]
.LBB104_70:                             ;   in Loop: Header=BB104_11 Depth=1
	s_or_b64 exec, exec, s[30:31]
	s_and_saveexec_b64 s[22:23], s[18:19]
	s_cbranch_execz .LBB104_76
; %bb.71:                               ;   in Loop: Header=BB104_11 Depth=1
	global_load_ushort v13, v[10:11], off
	s_mov_b64 s[26:27], 0
	v_mov_b32_e32 v6, v37
	v_mov_b32_e32 v12, v31
	s_branch .LBB104_73
.LBB104_72:                             ;   in Loop: Header=BB104_73 Depth=2
	s_or_b64 exec, exec, s[10:11]
	s_waitcnt vmcnt(0)
	v_add_u32_sdwa v13, sext(v13), s53 dst_sel:DWORD dst_unused:UNUSED_PAD src0_sel:WORD_0 src1_sel:DWORD
	s_and_b64 s[6:7], exec, vcc
	v_and_b32_e32 v15, v13, v43
	v_bfe_u32 v13, v13, v42, 2
	s_or_b64 s[26:27], s[6:7], s[26:27]
	v_cmp_eq_u32_e32 vcc, v15, v38
	v_cmp_eq_u32_e64 s[6:7], 0, v13
	s_and_b64 s[6:7], vcc, s[6:7]
	v_cndmask_b32_e64 v15, 0, 1, s[6:7]
	v_cmp_ne_u32_e64 s[6:7], 0, v15
	s_bcnt1_i32_b64 s6, s[6:7]
	v_add_u32_e32 v1, s6, v1
	v_cmp_eq_u32_e64 s[6:7], 1, v13
	s_and_b64 s[6:7], vcc, s[6:7]
	v_cndmask_b32_e64 v15, 0, 1, s[6:7]
	v_cmp_ne_u32_e64 s[6:7], 0, v15
	s_bcnt1_i32_b64 s6, s[6:7]
	v_add_u32_e32 v2, s6, v2
	;; [unrolled: 6-line block ×3, first 2 shown]
	v_cmp_eq_u32_e64 s[6:7], 3, v13
	s_and_b64 s[6:7], vcc, s[6:7]
	v_cndmask_b32_e64 v13, 0, 1, s[6:7]
	v_cmp_ne_u32_e32 vcc, 0, v13
	s_bcnt1_i32_b64 s6, vcc
	v_add_u32_e32 v4, s6, v4
	v_add_u32_e32 v6, s40, v6
	v_mov_b32_e32 v13, v14
	s_andn2_b64 exec, exec, s[26:27]
	s_cbranch_execz .LBB104_75
.LBB104_73:                             ;   Parent Loop BB104_11 Depth=1
                                        ; =>  This Inner Loop Header: Depth=2
	v_add_u32_e32 v12, s50, v12
	v_cmp_gt_u32_e64 s[6:7], s36, v12
	v_cmp_le_u32_e32 vcc, s36, v12
	v_mov_b32_e32 v14, 0
	s_and_saveexec_b64 s[10:11], s[6:7]
	s_cbranch_execz .LBB104_72
; %bb.74:                               ;   in Loop: Header=BB104_73 Depth=2
	v_lshlrev_b64 v[14:15], 1, v[6:7]
	v_mov_b32_e32 v16, s37
	v_add_co_u32_e64 v14, s[6:7], s39, v14
	v_addc_co_u32_e64 v15, s[6:7], v16, v15, s[6:7]
	global_load_ushort v14, v[14:15], off
	s_branch .LBB104_72
.LBB104_75:                             ;   in Loop: Header=BB104_11 Depth=1
	s_or_b64 exec, exec, s[26:27]
.LBB104_76:                             ;   in Loop: Header=BB104_11 Depth=1
	s_or_b64 exec, exec, s[22:23]
	s_branch .LBB104_58
.LBB104_77:                             ;   in Loop: Header=BB104_11 Depth=1
	s_mul_hi_u32 s6, s12, s33
	s_mul_i32 s6, s6, s14
	s_sub_i32 s6, s12, s6
	s_sub_i32 s7, s6, s14
	s_cmp_ge_u32 s6, s14
	s_cselect_b32 s6, s7, s6
	s_sub_i32 s7, s6, s14
	s_cmp_ge_u32 s6, s14
	s_cselect_b32 s6, s7, s6
	s_sub_i32 s10, s12, s6
	v_cmp_gt_u32_e32 vcc, s10, v20
	v_mov_b32_e32 v1, 0
	v_mov_b32_e32 v2, 0
	;; [unrolled: 1-line block ×4, first 2 shown]
	s_and_saveexec_b64 s[30:31], vcc
	s_cbranch_execz .LBB104_81
; %bb.78:                               ;   in Loop: Header=BB104_11 Depth=1
	s_mov_b32 s11, 0
	s_mov_b64 s[70:71], 0
	v_mov_b32_e32 v6, v40
	s_mov_b32 s13, 0
	s_mov_b32 s34, 0
	;; [unrolled: 1-line block ×3, first 2 shown]
	v_mov_b32_e32 v12, v20
.LBB104_79:                             ;   Parent Loop BB104_11 Depth=1
                                        ; =>  This Inner Loop Header: Depth=2
	ds_read_b64 v[1:2], v6
	v_add_u32_e32 v12, s14, v12
	v_add_u32_e32 v6, s49, v6
	s_waitcnt lgkmcnt(0)
	v_add_u32_sdwa v3, sext(v1), s53 dst_sel:DWORD dst_unused:UNUSED_PAD src0_sel:WORD_0 src1_sel:DWORD
	v_add_u32_sdwa v1, sext(v1), s53 dst_sel:DWORD dst_unused:UNUSED_PAD src0_sel:WORD_1 src1_sel:DWORD
	v_and_b32_e32 v13, v3, v43
	v_bfe_u32 v3, v3, v42, 2
	v_add_u32_sdwa v4, sext(v2), s53 dst_sel:DWORD dst_unused:UNUSED_PAD src0_sel:WORD_0 src1_sel:DWORD
	v_cmp_eq_u32_e32 vcc, v13, v38
	v_and_b32_e32 v13, v1, v43
	v_bfe_u32 v1, v1, v42, 2
	v_cmp_eq_u32_e64 s[28:29], 0, v3
	v_add_u32_sdwa v2, sext(v2), s53 dst_sel:DWORD dst_unused:UNUSED_PAD src0_sel:WORD_1 src1_sel:DWORD
	v_cmp_eq_u32_e64 s[6:7], v13, v38
	v_and_b32_e32 v13, v4, v43
	v_bfe_u32 v4, v4, v42, 2
	s_and_b64 s[20:21], vcc, s[28:29]
	v_cmp_eq_u32_e64 s[28:29], 0, v1
	v_cmp_eq_u32_e64 s[22:23], v13, v38
	v_and_b32_e32 v13, v2, v43
	v_bfe_u32 v2, v2, v42, 2
	s_and_b64 s[72:73], s[6:7], s[28:29]
	v_cmp_eq_u32_e64 s[28:29], 0, v4
	v_cmp_eq_u32_e64 s[26:27], v13, v38
	s_and_b64 s[74:75], s[22:23], s[28:29]
	v_cmp_eq_u32_e64 s[28:29], 0, v2
	v_cndmask_b32_e64 v13, 0, 1, s[20:21]
	s_and_b64 s[76:77], s[26:27], s[28:29]
	v_cmp_ne_u32_e64 s[28:29], 0, v13
	v_cndmask_b32_e64 v13, 0, 1, s[72:73]
	s_bcnt1_i32_b64 s20, s[28:29]
	v_cmp_ne_u32_e64 s[28:29], 0, v13
	v_cndmask_b32_e64 v13, 0, 1, s[74:75]
	s_bcnt1_i32_b64 s21, s[28:29]
	v_cmp_ne_u32_e64 s[28:29], 0, v13
	v_cndmask_b32_e64 v13, 0, 1, s[76:77]
	s_add_i32 s20, s35, s20
	s_bcnt1_i32_b64 s55, s[28:29]
	v_cmp_ne_u32_e64 s[28:29], 0, v13
	s_add_i32 s20, s20, s21
	s_bcnt1_i32_b64 s28, s[28:29]
	s_add_i32 s20, s20, s55
	s_add_i32 s35, s20, s28
	v_cmp_eq_u32_e64 s[28:29], 1, v3
	s_and_b64 s[20:21], vcc, s[28:29]
	v_cmp_eq_u32_e64 s[28:29], 1, v1
	s_and_b64 s[72:73], s[6:7], s[28:29]
	v_cmp_eq_u32_e64 s[28:29], 1, v4
	s_and_b64 s[74:75], s[22:23], s[28:29]
	v_cmp_eq_u32_e64 s[28:29], 1, v2
	v_cndmask_b32_e64 v13, 0, 1, s[20:21]
	s_and_b64 s[76:77], s[26:27], s[28:29]
	v_cmp_ne_u32_e64 s[28:29], 0, v13
	v_cndmask_b32_e64 v13, 0, 1, s[72:73]
	s_bcnt1_i32_b64 s20, s[28:29]
	v_cmp_ne_u32_e64 s[28:29], 0, v13
	v_cndmask_b32_e64 v13, 0, 1, s[74:75]
	s_bcnt1_i32_b64 s21, s[28:29]
	v_cmp_ne_u32_e64 s[28:29], 0, v13
	v_cndmask_b32_e64 v13, 0, 1, s[76:77]
	s_add_i32 s20, s34, s20
	s_bcnt1_i32_b64 s55, s[28:29]
	v_cmp_ne_u32_e64 s[28:29], 0, v13
	s_add_i32 s20, s20, s21
	s_bcnt1_i32_b64 s28, s[28:29]
	s_add_i32 s20, s20, s55
	s_add_i32 s34, s20, s28
	v_cmp_eq_u32_e64 s[28:29], 2, v3
	s_and_b64 s[20:21], vcc, s[28:29]
	v_cmp_eq_u32_e64 s[28:29], 2, v1
	s_and_b64 s[72:73], s[6:7], s[28:29]
	v_cmp_eq_u32_e64 s[28:29], 2, v4
	s_and_b64 s[74:75], s[22:23], s[28:29]
	v_cmp_eq_u32_e64 s[28:29], 2, v2
	v_cndmask_b32_e64 v13, 0, 1, s[20:21]
	s_and_b64 s[76:77], s[26:27], s[28:29]
	v_cmp_ne_u32_e64 s[28:29], 0, v13
	v_cndmask_b32_e64 v13, 0, 1, s[72:73]
	s_bcnt1_i32_b64 s20, s[28:29]
	v_cmp_ne_u32_e64 s[28:29], 0, v13
	v_cndmask_b32_e64 v13, 0, 1, s[74:75]
	s_bcnt1_i32_b64 s21, s[28:29]
	v_cmp_ne_u32_e64 s[28:29], 0, v13
	v_cndmask_b32_e64 v13, 0, 1, s[76:77]
	s_add_i32 s13, s13, s20
	s_bcnt1_i32_b64 s55, s[28:29]
	v_cmp_ne_u32_e64 s[28:29], 0, v13
	s_add_i32 s13, s13, s21
	s_bcnt1_i32_b64 s28, s[28:29]
	s_add_i32 s13, s13, s55
	s_add_i32 s13, s13, s28
	v_cmp_eq_u32_e64 s[28:29], 3, v3
	s_and_b64 s[20:21], vcc, s[28:29]
	v_cmp_eq_u32_e32 vcc, 3, v1
	s_and_b64 s[6:7], s[6:7], vcc
	v_cmp_eq_u32_e32 vcc, 3, v4
	s_and_b64 s[22:23], s[22:23], vcc
	v_cmp_eq_u32_e32 vcc, 3, v2
	v_cndmask_b32_e64 v1, 0, 1, s[20:21]
	s_and_b64 s[26:27], s[26:27], vcc
	v_cmp_ne_u32_e32 vcc, 0, v1
	v_cndmask_b32_e64 v1, 0, 1, s[6:7]
	s_bcnt1_i32_b64 s20, vcc
	v_cmp_ne_u32_e32 vcc, 0, v1
	v_cndmask_b32_e64 v1, 0, 1, s[22:23]
	s_bcnt1_i32_b64 s6, vcc
	v_cmp_ne_u32_e32 vcc, 0, v1
	v_cndmask_b32_e64 v1, 0, 1, s[26:27]
	s_add_i32 s11, s11, s20
	s_bcnt1_i32_b64 s7, vcc
	v_cmp_ne_u32_e32 vcc, 0, v1
	s_add_i32 s6, s11, s6
	s_bcnt1_i32_b64 s21, vcc
	s_add_i32 s6, s6, s7
	s_add_i32 s11, s6, s21
	v_cmp_le_u32_e32 vcc, s10, v12
	s_or_b64 s[70:71], vcc, s[70:71]
	v_mov_b32_e32 v1, s35
	v_mov_b32_e32 v2, s34
	v_mov_b32_e32 v3, s13
	v_mov_b32_e32 v4, s11
	s_andn2_b64 exec, exec, s[70:71]
	s_cbranch_execnz .LBB104_79
; %bb.80:                               ;   in Loop: Header=BB104_11 Depth=1
	s_or_b64 exec, exec, s[70:71]
.LBB104_81:                             ;   in Loop: Header=BB104_11 Depth=1
	s_or_b64 exec, exec, s[30:31]
	v_add_u32_e32 v6, s10, v0
	v_cmp_gt_u32_e32 vcc, s12, v6
	s_and_saveexec_b64 s[70:71], vcc
	s_cbranch_execz .LBB104_85
; %bb.82:                               ;   in Loop: Header=BB104_11 Depth=1
	v_lshlrev_b32_e32 v12, 1, v6
	s_mov_b64 s[72:73], 0
.LBB104_83:                             ;   Parent Loop BB104_11 Depth=1
                                        ; =>  This Inner Loop Header: Depth=2
	ds_read_i16 v13, v12
	v_add_u32_e32 v6, s50, v6
	v_cmp_le_u32_e32 vcc, s12, v6
	v_add_u32_e32 v12, s52, v12
	s_waitcnt lgkmcnt(0)
	v_add_u32_e32 v13, 0x8000, v13
	v_and_b32_e32 v14, v13, v43
	v_bfe_u32 v13, v13, v42, 2
	v_cmp_eq_u32_e64 s[6:7], v14, v38
	v_cmp_eq_u32_e64 s[22:23], 0, v13
	;; [unrolled: 1-line block ×3, first 2 shown]
	s_and_b64 s[10:11], s[6:7], s[22:23]
	v_cmp_eq_u32_e64 s[28:29], 2, v13
	v_cmp_eq_u32_e64 s[30:31], 3, v13
	v_cndmask_b32_e64 v13, 0, 1, s[10:11]
	s_and_b64 s[10:11], s[6:7], s[26:27]
	v_cndmask_b32_e64 v14, 0, 1, s[10:11]
	s_and_b64 s[10:11], s[6:7], s[28:29]
	s_and_b64 s[6:7], s[6:7], s[30:31]
	v_cndmask_b32_e64 v15, 0, 1, s[10:11]
	v_cndmask_b32_e64 v16, 0, 1, s[6:7]
	v_cmp_ne_u32_e64 s[6:7], 0, v13
	v_cmp_ne_u32_e64 s[22:23], 0, v14
	;; [unrolled: 1-line block ×4, first 2 shown]
	s_bcnt1_i32_b64 s6, s[6:7]
	s_bcnt1_i32_b64 s7, s[22:23]
	s_bcnt1_i32_b64 s10, s[26:27]
	s_bcnt1_i32_b64 s11, s[28:29]
	v_add_u32_e32 v1, s6, v1
	v_add_u32_e32 v2, s7, v2
	;; [unrolled: 1-line block ×3, first 2 shown]
	s_or_b64 s[72:73], vcc, s[72:73]
	v_add_u32_e32 v4, s11, v4
	s_andn2_b64 exec, exec, s[72:73]
	s_cbranch_execnz .LBB104_83
; %bb.84:                               ;   in Loop: Header=BB104_11 Depth=1
	s_or_b64 exec, exec, s[72:73]
.LBB104_85:                             ;   in Loop: Header=BB104_11 Depth=1
	s_or_b64 exec, exec, s[70:71]
	s_lshl_b32 s10, s51, 6
	s_and_saveexec_b64 s[6:7], s[4:5]
	s_cbranch_execnz .LBB104_59
	s_branch .LBB104_60
.LBB104_86:                             ;   in Loop: Header=BB104_11 Depth=1
	v_mov_b32_e32 v1, 0
	s_mov_b32 s11, 0
.LBB104_87:                             ;   in Loop: Header=BB104_11 Depth=1
	v_readlane_b32 s12, v50, 22
	v_readlane_b32 s13, v50, 23
	s_andn2_b64 vcc, exec, s[12:13]
	s_cbranch_vccnz .LBB104_90
; %bb.88:                               ;   in Loop: Header=BB104_11 Depth=1
	s_lshl_b32 s12, s51, 8
	s_lshl_b32 s11, s11, 4
	s_add_i32 s12, s12, s11
	v_add_u32_e32 v2, s12, v39
	v_readlane_b32 s11, v50, 21
.LBB104_89:                             ;   Parent Loop BB104_11 Depth=1
                                        ; =>  This Inner Loop Header: Depth=2
	ds_read_b32 v3, v2
	s_add_i32 s11, s11, -1
	v_add_u32_e32 v2, 16, v2
	s_cmp_lg_u32 s11, 0
	s_waitcnt lgkmcnt(0)
	v_add_u32_e32 v1, v3, v1
	s_cbranch_scc1 .LBB104_89
.LBB104_90:                             ;   in Loop: Header=BB104_11 Depth=1
	v_add_lshl_u32 v2, s10, v21, 2
	ds_write_b32 v2, v1 offset:3072
.LBB104_91:                             ;   in Loop: Header=BB104_11 Depth=1
	s_or_b64 exec, exec, s[6:7]
	s_lshl_b32 s6, s10, 2
	v_mov_b32_e32 v1, s6
	s_waitcnt lgkmcnt(0)
	s_barrier
	ds_read_b128 v[1:4], v1 offset:3072
	v_cmp_eq_u32_e32 vcc, 1, v45
	s_mov_b64 s[22:23], -1
	s_mov_b64 s[34:35], -1
                                        ; implicit-def: $sgpr30_sgpr31
                                        ; implicit-def: $sgpr28_sgpr29
	s_waitcnt lgkmcnt(0)
	v_readfirstlane_b32 s78, v1
	s_cmp_eq_u32 s78, 1
	v_lshlrev_b32_e64 v1, v42, 3
	s_cselect_b64 s[6:7], -1, 0
	v_readfirstlane_b32 s13, v2
	v_readfirstlane_b32 s12, v3
	;; [unrolled: 1-line block ×3, first 2 shown]
	v_not_b32_e32 v3, v1
	s_and_b64 s[26:27], s[6:7], vcc
	s_and_saveexec_b64 s[6:7], s[26:27]
	s_cbranch_execz .LBB104_117
; %bb.92:                               ;   in Loop: Header=BB104_11 Depth=1
	ds_read_b32 v2, v7 offset:4104
	s_waitcnt lgkmcnt(0)
	s_barrier
	v_readfirstlane_b32 s20, v2
	s_and_saveexec_b64 s[10:11], s[24:25]
; %bb.93:                               ;   in Loop: Header=BB104_11 Depth=1
	ds_write_b16 v23, v7
; %bb.94:                               ;   in Loop: Header=BB104_11 Depth=1
	s_or_b64 exec, exec, s[10:11]
	v_and_b32_e32 v38, v38, v3
	v_or_b32_e32 v43, v43, v1
	s_mov_b64 s[28:29], -1
	s_mov_b64 s[30:31], 0
	s_cmp_eq_u32 s20, 0
	s_mov_b64 s[70:71], 0
	s_mov_b64 s[72:73], -1
	s_waitcnt lgkmcnt(0)
	s_barrier
                                        ; implicit-def: $vgpr44
	s_cbranch_scc1 .LBB104_105
; %bb.95:                               ;   in Loop: Header=BB104_11 Depth=1
	s_add_i32 s10, s20, s15
	s_mul_hi_u32 s11, s10, s2
	s_mul_i32 s11, s11, s50
	s_sub_i32 s11, s10, s11
	s_sub_i32 s21, s11, s50
	s_cmp_ge_u32 s11, s50
	s_cselect_b32 s11, s21, s11
	s_sub_i32 s21, s11, s50
	s_cmp_ge_u32 s11, s50
	s_cselect_b32 s11, s21, s11
	s_sub_i32 s21, s10, s11
	v_cmp_gt_u32_e32 vcc, s21, v0
	s_mov_b64 s[72:73], 0
                                        ; implicit-def: $vgpr44
	s_and_saveexec_b64 s[74:75], vcc
	s_cbranch_execz .LBB104_104
; %bb.96:                               ;   in Loop: Header=BB104_11 Depth=1
	v_mov_b32_e32 v2, v22
	v_mov_b32_e32 v4, v0
                                        ; implicit-def: $sgpr34_sgpr35
	s_branch .LBB104_99
.LBB104_97:                             ;   in Loop: Header=BB104_99 Depth=2
	s_or_b64 exec, exec, s[10:11]
	s_waitcnt lgkmcnt(0)
	s_barrier
	ds_read_b32 v6, v7 offset:3072
	s_mov_b64 s[10:11], -1
	s_waitcnt lgkmcnt(0)
	s_barrier
	v_cmp_ne_u32_sdwa s[76:77], v6, v7 src0_sel:WORD_0 src1_sel:DWORD
	s_and_b64 vcc, exec, s[76:77]
	s_mov_b64 s[76:77], -1
	s_cbranch_vccz .LBB104_102
.LBB104_98:                             ;   in Loop: Header=BB104_99 Depth=2
	s_and_b64 s[10:11], exec, s[10:11]
	s_or_b64 s[70:71], s[10:11], s[70:71]
	s_andn2_b64 s[10:11], s[34:35], exec
	s_and_b64 s[34:35], s[76:77], exec
	s_or_b64 s[34:35], s[10:11], s[34:35]
	s_andn2_b64 exec, exec, s[70:71]
	s_cbranch_execz .LBB104_103
.LBB104_99:                             ;   Parent Loop BB104_11 Depth=1
                                        ; =>  This Inner Loop Header: Depth=2
	v_cmp_gt_u32_e32 vcc, s20, v4
	s_and_saveexec_b64 s[10:11], vcc
	s_cbranch_execz .LBB104_97
; %bb.100:                              ;   in Loop: Header=BB104_99 Depth=2
	ds_read_u16 v6, v2
	s_waitcnt lgkmcnt(0)
	v_add_u32_sdwa v12, sext(v6), s53 dst_sel:DWORD dst_unused:UNUSED_PAD src0_sel:WORD_0 src1_sel:DWORD
	v_and_b32_e32 v12, v12, v43
	v_cmp_eq_u32_e32 vcc, v12, v38
	s_and_b64 exec, exec, vcc
	s_cbranch_execz .LBB104_97
; %bb.101:                              ;   in Loop: Header=BB104_99 Depth=2
	v_perm_b32 v6, v6, 1, v41
	ds_write_b32 v7, v6 offset:3072
	s_branch .LBB104_97
.LBB104_102:                            ;   in Loop: Header=BB104_99 Depth=2
	v_add_u32_e32 v4, s50, v4
	v_cmp_le_u32_e32 vcc, s21, v4
	v_add_u32_e32 v2, s52, v2
	s_mov_b64 s[76:77], 0
	s_orn2_b64 s[10:11], vcc, exec
	s_branch .LBB104_98
.LBB104_103:                            ;   in Loop: Header=BB104_11 Depth=1
	s_or_b64 exec, exec, s[70:71]
	v_lshrrev_b32_e32 v44, 16, v6
	s_and_b64 s[70:71], s[34:35], exec
.LBB104_104:                            ;   in Loop: Header=BB104_11 Depth=1
	s_or_b64 exec, exec, s[74:75]
.LBB104_105:                            ;   in Loop: Header=BB104_11 Depth=1
	s_and_b64 vcc, exec, s[72:73]
	s_cbranch_vccz .LBB104_116
; %bb.106:                              ;   in Loop: Header=BB104_11 Depth=1
                                        ; implicit-def: $vgpr44
	s_mov_b64 s[28:29], exec
	v_readlane_b32 s10, v50, 24
	v_readlane_b32 s11, v50, 25
	s_and_b64 s[10:11], s[28:29], s[10:11]
	s_mov_b64 exec, s[10:11]
	s_cbranch_execz .LBB104_115
; %bb.107:                              ;   in Loop: Header=BB104_11 Depth=1
	s_mov_b64 s[30:31], 0
	v_mov_b32_e32 v6, v5
	v_mov_b32_e32 v2, v0
                                        ; implicit-def: $sgpr72_sgpr73
	s_branch .LBB104_110
.LBB104_108:                            ;   in Loop: Header=BB104_110 Depth=2
	s_or_b64 exec, exec, s[34:35]
	s_waitcnt lgkmcnt(0)
	s_barrier
	ds_read_b32 v4, v7 offset:3072
	s_mov_b64 s[10:11], -1
	s_mov_b64 s[34:35], -1
	s_waitcnt lgkmcnt(0)
	s_barrier
	v_cmp_ne_u32_sdwa s[20:21], v4, v7 src0_sel:WORD_0 src1_sel:DWORD
	s_and_b64 vcc, exec, s[20:21]
	s_cbranch_vccz .LBB104_113
.LBB104_109:                            ;   in Loop: Header=BB104_110 Depth=2
	s_and_b64 s[10:11], exec, s[10:11]
	s_or_b64 s[30:31], s[10:11], s[30:31]
	s_andn2_b64 s[10:11], s[72:73], exec
	s_and_b64 s[20:21], s[34:35], exec
	s_or_b64 s[72:73], s[10:11], s[20:21]
	s_andn2_b64 exec, exec, s[30:31]
	s_cbranch_execz .LBB104_114
.LBB104_110:                            ;   Parent Loop BB104_11 Depth=1
                                        ; =>  This Inner Loop Header: Depth=2
	v_cmp_gt_u32_e32 vcc, s36, v2
	s_and_saveexec_b64 s[34:35], vcc
	s_cbranch_execz .LBB104_108
; %bb.111:                              ;   in Loop: Header=BB104_110 Depth=2
	v_lshlrev_b64 v[12:13], 1, v[6:7]
	v_mov_b32_e32 v4, s37
	v_add_co_u32_e32 v12, vcc, s39, v12
	v_addc_co_u32_e32 v13, vcc, v4, v13, vcc
	global_load_ushort v4, v[12:13], off
	s_waitcnt vmcnt(0)
	v_add_u32_sdwa v12, sext(v4), s53 dst_sel:DWORD dst_unused:UNUSED_PAD src0_sel:WORD_0 src1_sel:DWORD
	v_and_b32_e32 v12, v12, v43
	v_cmp_eq_u32_e32 vcc, v12, v38
	s_and_b64 exec, exec, vcc
	s_cbranch_execz .LBB104_108
; %bb.112:                              ;   in Loop: Header=BB104_110 Depth=2
	v_perm_b32 v4, v4, 1, v41
	ds_write_b32 v7, v4 offset:3072
	s_branch .LBB104_108
.LBB104_113:                            ;   in Loop: Header=BB104_110 Depth=2
	v_add_u32_e32 v2, s50, v2
	v_cmp_le_u32_e32 vcc, s3, v2
	v_add_u32_e32 v6, s40, v6
	s_mov_b64 s[34:35], 0
	s_orn2_b64 s[10:11], vcc, exec
	s_branch .LBB104_109
.LBB104_114:                            ;   in Loop: Header=BB104_11 Depth=1
	s_or_b64 exec, exec, s[30:31]
	s_andn2_b64 s[10:11], s[70:71], exec
	s_and_b64 s[20:21], s[72:73], exec
	v_lshrrev_b32_e32 v44, 16, v4
	s_or_b64 s[70:71], s[10:11], s[20:21]
.LBB104_115:                            ;   in Loop: Header=BB104_11 Depth=1
	s_or_b64 exec, exec, s[28:29]
	s_mov_b64 s[28:29], 0
	s_mov_b64 s[30:31], -1
.LBB104_116:                            ;   in Loop: Header=BB104_11 Depth=1
	s_orn2_b64 s[34:35], s[70:71], exec
.LBB104_117:                            ;   in Loop: Header=BB104_11 Depth=1
	s_or_b64 exec, exec, s[6:7]
	s_andn2_b64 s[6:7], s[68:69], exec
	s_and_b64 s[10:11], s[30:31], exec
	s_or_b64 s[68:69], s[6:7], s[10:11]
	s_andn2_b64 s[6:7], s[66:67], exec
	s_and_b64 s[10:11], s[28:29], exec
	v_readfirstlane_b32 s72, v0
	s_andn2_b64 s[64:65], s[64:65], exec
	s_or_b64 s[66:67], s[6:7], s[10:11]
                                        ; implicit-def: $vgpr4
	s_and_saveexec_b64 s[6:7], s[34:35]
	s_cbranch_execz .LBB104_10
; %bb.118:                              ;   in Loop: Header=BB104_11 Depth=1
	s_xor_b64 s[10:11], s[26:27], -1
	s_mov_b64 s[26:27], 0
	v_mov_b32_e32 v4, 1
	v_mov_b32_e32 v2, 1
	s_and_saveexec_b64 s[22:23], s[10:11]
	s_cbranch_execz .LBB104_127
; %bb.119:                              ;   in Loop: Header=BB104_11 Depth=1
	v_cmp_ge_u32_e32 vcc, s78, v45
	s_and_saveexec_b64 s[10:11], vcc
	s_xor_b64 s[26:27], exec, s[10:11]
	s_cbranch_execz .LBB104_124
; %bb.120:                              ;   in Loop: Header=BB104_11 Depth=1
	ds_read_b32 v2, v7 offset:4104
	v_and_b32_e32 v38, v38, v3
	v_or_b32_e32 v43, v43, v1
	s_waitcnt lgkmcnt(0)
	v_cmp_ne_u32_e32 vcc, 0, v2
	s_cbranch_vccnz .LBB104_124
; %bb.121:                              ;   in Loop: Header=BB104_11 Depth=1
	s_and_saveexec_b64 s[10:11], s[0:1]
; %bb.122:                              ;   in Loop: Header=BB104_11 Depth=1
	v_mov_b32_e32 v2, s78
	ds_write_b32 v7, v2 offset:4108
; %bb.123:                              ;   in Loop: Header=BB104_11 Depth=1
	s_or_b64 exec, exec, s[10:11]
	s_waitcnt lgkmcnt(0)
	s_barrier
.LBB104_124:                            ;   in Loop: Header=BB104_11 Depth=1
	s_or_saveexec_b64 s[26:27], s[26:27]
	s_mov_b64 s[28:29], 0
	v_mov_b32_e32 v2, 8
	s_xor_b64 exec, exec, s[26:27]
; %bb.125:                              ;   in Loop: Header=BB104_11 Depth=1
	s_mov_b64 s[28:29], exec
	v_subrev_u32_e32 v45, s78, v45
	v_mov_b32_e32 v2, 0
; %bb.126:                              ;   in Loop: Header=BB104_11 Depth=1
	s_or_b64 exec, exec, s[26:27]
	s_and_b64 s[26:27], s[28:29], exec
	v_mov_b32_e32 v4, v45
.LBB104_127:                            ;   in Loop: Header=BB104_11 Depth=1
	s_or_b64 exec, exec, s[22:23]
	s_mov_b64 s[22:23], -1
	s_mov_b64 s[34:35], -1
                                        ; implicit-def: $sgpr28_sgpr29
                                        ; implicit-def: $sgpr30_sgpr31
	s_and_saveexec_b64 s[10:11], s[26:27]
	s_xor_b64 s[26:27], exec, s[10:11]
	s_cbranch_execz .LBB104_244
; %bb.128:                              ;   in Loop: Header=BB104_11 Depth=1
	s_cmp_eq_u32 s13, 1
	s_cselect_b64 s[10:11], -1, 0
	v_cmp_eq_u32_e32 vcc, 1, v4
	s_and_b64 s[72:73], s[10:11], vcc
                                        ; implicit-def: $sgpr30_sgpr31
                                        ; implicit-def: $sgpr28_sgpr29
	s_and_saveexec_b64 s[70:71], s[72:73]
	s_cbranch_execz .LBB104_154
; %bb.129:                              ;   in Loop: Header=BB104_11 Depth=1
	ds_read_b32 v6, v7 offset:4104
	s_waitcnt lgkmcnt(0)
	s_barrier
	v_readfirstlane_b32 s82, v6
	s_and_saveexec_b64 s[10:11], s[24:25]
; %bb.130:                              ;   in Loop: Header=BB104_11 Depth=1
	ds_write_b16 v23, v7
; %bb.131:                              ;   in Loop: Header=BB104_11 Depth=1
	s_or_b64 exec, exec, s[10:11]
	v_and_b32_e32 v6, v38, v3
	v_lshl_or_b32 v38, 1, v42, v6
	v_or_b32_e32 v43, v43, v1
	s_mov_b64 s[28:29], -1
	s_mov_b64 s[30:31], 0
	s_cmp_eq_u32 s82, 0
	s_mov_b64 s[74:75], 0
	s_mov_b64 s[76:77], -1
	s_waitcnt lgkmcnt(0)
	s_barrier
                                        ; implicit-def: $vgpr44
	s_cbranch_scc1 .LBB104_142
; %bb.132:                              ;   in Loop: Header=BB104_11 Depth=1
	s_add_i32 s10, s82, s15
	s_mul_hi_u32 s11, s10, s2
	s_mul_i32 s11, s11, s50
	s_sub_i32 s11, s10, s11
	s_sub_i32 s20, s11, s50
	s_cmp_ge_u32 s11, s50
	s_cselect_b32 s11, s20, s11
	s_sub_i32 s20, s11, s50
	s_cmp_ge_u32 s11, s50
	s_cselect_b32 s11, s20, s11
	s_sub_i32 s20, s10, s11
	v_cmp_gt_u32_e32 vcc, s20, v0
	s_mov_b64 s[76:77], 0
                                        ; implicit-def: $vgpr44
	s_and_saveexec_b64 s[78:79], vcc
	s_cbranch_execz .LBB104_141
; %bb.133:                              ;   in Loop: Header=BB104_11 Depth=1
	v_mov_b32_e32 v6, v22
	v_mov_b32_e32 v12, v0
                                        ; implicit-def: $sgpr80_sgpr81
	s_branch .LBB104_136
.LBB104_134:                            ;   in Loop: Header=BB104_136 Depth=2
	s_or_b64 exec, exec, s[34:35]
	s_waitcnt lgkmcnt(0)
	s_barrier
	ds_read_b32 v13, v7 offset:3072
	s_mov_b64 s[10:11], -1
	s_waitcnt lgkmcnt(0)
	s_barrier
	v_cmp_ne_u32_sdwa s[34:35], v13, v7 src0_sel:WORD_0 src1_sel:DWORD
	s_and_b64 vcc, exec, s[34:35]
	s_mov_b64 s[34:35], -1
	s_cbranch_vccz .LBB104_139
.LBB104_135:                            ;   in Loop: Header=BB104_136 Depth=2
	s_and_b64 s[10:11], exec, s[10:11]
	s_or_b64 s[74:75], s[10:11], s[74:75]
	s_andn2_b64 s[10:11], s[80:81], exec
	s_and_b64 s[34:35], s[34:35], exec
	s_or_b64 s[80:81], s[10:11], s[34:35]
	s_andn2_b64 exec, exec, s[74:75]
	s_cbranch_execz .LBB104_140
.LBB104_136:                            ;   Parent Loop BB104_11 Depth=1
                                        ; =>  This Inner Loop Header: Depth=2
	v_cmp_gt_u32_e32 vcc, s82, v12
	s_and_saveexec_b64 s[34:35], vcc
	s_cbranch_execz .LBB104_134
; %bb.137:                              ;   in Loop: Header=BB104_136 Depth=2
	ds_read_u16 v13, v6
	s_waitcnt lgkmcnt(0)
	v_add_u32_sdwa v14, sext(v13), s53 dst_sel:DWORD dst_unused:UNUSED_PAD src0_sel:WORD_0 src1_sel:DWORD
	v_and_b32_e32 v14, v14, v43
	v_cmp_eq_u32_e32 vcc, v14, v38
	s_and_b64 exec, exec, vcc
	s_cbranch_execz .LBB104_134
; %bb.138:                              ;   in Loop: Header=BB104_136 Depth=2
	v_perm_b32 v13, v13, 1, v41
	ds_write_b32 v7, v13 offset:3072
	s_branch .LBB104_134
.LBB104_139:                            ;   in Loop: Header=BB104_136 Depth=2
	v_add_u32_e32 v12, s50, v12
	v_cmp_le_u32_e32 vcc, s20, v12
	v_add_u32_e32 v6, s52, v6
	s_mov_b64 s[34:35], 0
	s_orn2_b64 s[10:11], vcc, exec
	s_branch .LBB104_135
.LBB104_140:                            ;   in Loop: Header=BB104_11 Depth=1
	s_or_b64 exec, exec, s[74:75]
	v_lshrrev_b32_e32 v44, 16, v13
	s_and_b64 s[74:75], s[80:81], exec
.LBB104_141:                            ;   in Loop: Header=BB104_11 Depth=1
	s_or_b64 exec, exec, s[78:79]
.LBB104_142:                            ;   in Loop: Header=BB104_11 Depth=1
	s_and_b64 vcc, exec, s[76:77]
	s_cbranch_vccz .LBB104_153
; %bb.143:                              ;   in Loop: Header=BB104_11 Depth=1
                                        ; implicit-def: $vgpr44
	s_mov_b64 s[28:29], exec
	v_readlane_b32 s10, v50, 24
	v_readlane_b32 s11, v50, 25
	s_and_b64 s[10:11], s[28:29], s[10:11]
	s_mov_b64 exec, s[10:11]
	s_cbranch_execz .LBB104_152
; %bb.144:                              ;   in Loop: Header=BB104_11 Depth=1
	s_mov_b64 s[30:31], 0
	v_mov_b32_e32 v6, v5
	v_mov_b32_e32 v12, v0
                                        ; implicit-def: $sgpr76_sgpr77
	s_branch .LBB104_147
.LBB104_145:                            ;   in Loop: Header=BB104_147 Depth=2
	s_or_b64 exec, exec, s[34:35]
	s_waitcnt lgkmcnt(0)
	s_barrier
	ds_read_b32 v13, v7 offset:3072
	s_mov_b64 s[10:11], -1
	s_mov_b64 s[34:35], -1
	s_waitcnt lgkmcnt(0)
	s_barrier
	v_cmp_eq_u32_sdwa s[20:21], v13, v7 src0_sel:WORD_0 src1_sel:DWORD
	s_and_b64 vcc, exec, s[20:21]
	s_cbranch_vccnz .LBB104_150
.LBB104_146:                            ;   in Loop: Header=BB104_147 Depth=2
	s_and_b64 s[10:11], exec, s[10:11]
	s_or_b64 s[30:31], s[10:11], s[30:31]
	s_andn2_b64 s[10:11], s[76:77], exec
	s_and_b64 s[20:21], s[34:35], exec
	s_or_b64 s[76:77], s[10:11], s[20:21]
	s_andn2_b64 exec, exec, s[30:31]
	s_cbranch_execz .LBB104_151
.LBB104_147:                            ;   Parent Loop BB104_11 Depth=1
                                        ; =>  This Inner Loop Header: Depth=2
	v_cmp_gt_u32_e32 vcc, s36, v12
	s_and_saveexec_b64 s[34:35], vcc
	s_cbranch_execz .LBB104_145
; %bb.148:                              ;   in Loop: Header=BB104_147 Depth=2
	v_lshlrev_b64 v[13:14], 1, v[6:7]
	v_mov_b32_e32 v15, s37
	v_add_co_u32_e32 v13, vcc, s39, v13
	v_addc_co_u32_e32 v14, vcc, v15, v14, vcc
	global_load_ushort v13, v[13:14], off
	s_waitcnt vmcnt(0)
	v_add_u32_sdwa v14, sext(v13), s53 dst_sel:DWORD dst_unused:UNUSED_PAD src0_sel:WORD_0 src1_sel:DWORD
	v_and_b32_e32 v14, v14, v43
	v_cmp_eq_u32_e32 vcc, v14, v38
	s_and_b64 exec, exec, vcc
	s_cbranch_execz .LBB104_145
; %bb.149:                              ;   in Loop: Header=BB104_147 Depth=2
	v_perm_b32 v13, v13, 1, v41
	ds_write_b32 v7, v13 offset:3072
	s_branch .LBB104_145
.LBB104_150:                            ;   in Loop: Header=BB104_147 Depth=2
	v_add_u32_e32 v12, s50, v12
	v_cmp_le_u32_e32 vcc, s3, v12
	v_add_u32_e32 v6, s40, v6
	s_mov_b64 s[34:35], 0
	s_orn2_b64 s[10:11], vcc, exec
	s_branch .LBB104_146
.LBB104_151:                            ;   in Loop: Header=BB104_11 Depth=1
	s_or_b64 exec, exec, s[30:31]
	s_andn2_b64 s[10:11], s[74:75], exec
	s_and_b64 s[20:21], s[76:77], exec
	v_lshrrev_b32_e32 v44, 16, v13
	s_or_b64 s[74:75], s[10:11], s[20:21]
.LBB104_152:                            ;   in Loop: Header=BB104_11 Depth=1
	s_or_b64 exec, exec, s[28:29]
	s_mov_b64 s[28:29], 0
	s_mov_b64 s[30:31], -1
.LBB104_153:                            ;   in Loop: Header=BB104_11 Depth=1
	s_orn2_b64 s[34:35], s[74:75], exec
.LBB104_154:                            ;   in Loop: Header=BB104_11 Depth=1
	s_or_b64 exec, exec, s[70:71]
	s_mov_b64 s[74:75], 0
	s_and_saveexec_b64 s[70:71], s[34:35]
	s_cbranch_execz .LBB104_243
; %bb.155:                              ;   in Loop: Header=BB104_11 Depth=1
	s_xor_b64 s[10:11], s[72:73], -1
	s_mov_b64 s[78:79], 0
	v_mov_b32_e32 v12, 1
	v_mov_b32_e32 v2, 1
	s_and_saveexec_b64 s[72:73], s[10:11]
	s_cbranch_execz .LBB104_161
; %bb.156:                              ;   in Loop: Header=BB104_11 Depth=1
	v_cmp_ge_u32_e32 vcc, s13, v4
	s_and_saveexec_b64 s[10:11], vcc
	s_xor_b64 s[34:35], exec, s[10:11]
	s_cbranch_execz .LBB104_158
; %bb.157:                              ;   in Loop: Header=BB104_11 Depth=1
	ds_read_b32 v2, v7 offset:4104
	v_and_b32_e32 v6, v38, v3
	v_lshl_or_b32 v38, 1, v42, v6
	v_or_b32_e32 v43, v43, v1
	s_waitcnt lgkmcnt(0)
	v_cmp_ne_u32_e32 vcc, 0, v2
	s_cbranch_vccz .LBB104_174
.LBB104_158:                            ;   in Loop: Header=BB104_11 Depth=1
	s_or_saveexec_b64 s[34:35], s[34:35]
	v_mov_b32_e32 v2, 8
	s_xor_b64 exec, exec, s[34:35]
.LBB104_159:                            ;   in Loop: Header=BB104_11 Depth=1
	s_mov_b64 s[74:75], exec
	v_subrev_u32_e32 v4, s13, v4
	v_mov_b32_e32 v2, 0
.LBB104_160:                            ;   in Loop: Header=BB104_11 Depth=1
	s_or_b64 exec, exec, s[34:35]
	s_and_b64 s[78:79], s[74:75], exec
	v_mov_b32_e32 v12, v4
.LBB104_161:                            ;   in Loop: Header=BB104_11 Depth=1
	s_or_b64 exec, exec, s[72:73]
	s_mov_b64 s[34:35], -1
                                        ; implicit-def: $sgpr74_sgpr75
                                        ; implicit-def: $sgpr76_sgpr77
	s_and_saveexec_b64 s[72:73], s[78:79]
	s_cbranch_execz .LBB104_242
; %bb.162:                              ;   in Loop: Header=BB104_11 Depth=1
	s_cmp_eq_u32 s12, 1
	s_cselect_b64 s[10:11], -1, 0
	v_cmp_eq_u32_e32 vcc, 1, v12
	s_and_b64 s[80:81], s[10:11], vcc
                                        ; implicit-def: $sgpr76_sgpr77
                                        ; implicit-def: $sgpr74_sgpr75
	s_and_saveexec_b64 s[78:79], s[80:81]
	s_cbranch_execz .LBB104_191
; %bb.163:                              ;   in Loop: Header=BB104_11 Depth=1
	ds_read_b32 v4, v7 offset:4104
	s_waitcnt lgkmcnt(0)
	s_barrier
	v_readfirstlane_b32 s13, v4
	s_and_saveexec_b64 s[10:11], s[24:25]
; %bb.164:                              ;   in Loop: Header=BB104_11 Depth=1
	ds_write_b16 v23, v7
; %bb.165:                              ;   in Loop: Header=BB104_11 Depth=1
	s_or_b64 exec, exec, s[10:11]
	v_and_b32_e32 v4, v38, v3
	v_lshl_or_b32 v38, 2, v42, v4
	v_or_b32_e32 v43, v43, v1
	s_mov_b64 s[74:75], -1
	s_mov_b64 s[76:77], 0
	s_cmp_eq_u32 s13, 0
	s_mov_b64 s[82:83], 0
	s_mov_b64 s[84:85], -1
	s_waitcnt lgkmcnt(0)
	s_barrier
                                        ; implicit-def: $vgpr44
	s_cbranch_scc1 .LBB104_179
; %bb.166:                              ;   in Loop: Header=BB104_11 Depth=1
	s_add_i32 s10, s13, s15
	s_mul_hi_u32 s11, s10, s2
	s_mul_i32 s11, s11, s50
	s_sub_i32 s11, s10, s11
	s_sub_i32 s20, s11, s50
	s_cmp_ge_u32 s11, s50
	s_cselect_b32 s11, s20, s11
	s_sub_i32 s20, s11, s50
	s_cmp_ge_u32 s11, s50
	s_cselect_b32 s11, s20, s11
	s_sub_i32 s20, s10, s11
	v_cmp_gt_u32_e32 vcc, s20, v0
	s_mov_b64 s[84:85], 0
                                        ; implicit-def: $vgpr44
	s_and_saveexec_b64 s[86:87], vcc
	s_cbranch_execz .LBB104_178
; %bb.167:                              ;   in Loop: Header=BB104_11 Depth=1
	v_mov_b32_e32 v4, v22
	v_mov_b32_e32 v6, v0
                                        ; implicit-def: $sgpr88_sgpr89
	s_branch .LBB104_170
.LBB104_168:                            ;   in Loop: Header=BB104_170 Depth=2
	s_or_b64 exec, exec, s[34:35]
	s_waitcnt lgkmcnt(0)
	s_barrier
	ds_read_b32 v13, v7 offset:3072
	s_mov_b64 s[10:11], -1
	s_waitcnt lgkmcnt(0)
	s_barrier
	v_cmp_ne_u32_sdwa s[34:35], v13, v7 src0_sel:WORD_0 src1_sel:DWORD
	s_and_b64 vcc, exec, s[34:35]
	s_mov_b64 s[34:35], -1
	s_cbranch_vccz .LBB104_173
.LBB104_169:                            ;   in Loop: Header=BB104_170 Depth=2
	s_and_b64 s[10:11], exec, s[10:11]
	s_or_b64 s[82:83], s[10:11], s[82:83]
	s_andn2_b64 s[10:11], s[88:89], exec
	s_and_b64 s[34:35], s[34:35], exec
	s_or_b64 s[88:89], s[10:11], s[34:35]
	s_andn2_b64 exec, exec, s[82:83]
	s_cbranch_execz .LBB104_177
.LBB104_170:                            ;   Parent Loop BB104_11 Depth=1
                                        ; =>  This Inner Loop Header: Depth=2
	v_cmp_gt_u32_e32 vcc, s13, v6
	s_and_saveexec_b64 s[34:35], vcc
	s_cbranch_execz .LBB104_168
; %bb.171:                              ;   in Loop: Header=BB104_170 Depth=2
	ds_read_u16 v13, v4
	s_waitcnt lgkmcnt(0)
	v_add_u32_sdwa v14, sext(v13), s53 dst_sel:DWORD dst_unused:UNUSED_PAD src0_sel:WORD_0 src1_sel:DWORD
	v_and_b32_e32 v14, v14, v43
	v_cmp_eq_u32_e32 vcc, v14, v38
	s_and_b64 exec, exec, vcc
	s_cbranch_execz .LBB104_168
; %bb.172:                              ;   in Loop: Header=BB104_170 Depth=2
	v_perm_b32 v13, v13, 1, v41
	ds_write_b32 v7, v13 offset:3072
	s_branch .LBB104_168
.LBB104_173:                            ;   in Loop: Header=BB104_170 Depth=2
	v_add_u32_e32 v6, s50, v6
	v_cmp_le_u32_e32 vcc, s20, v6
	v_add_u32_e32 v4, s52, v4
	s_mov_b64 s[34:35], 0
	s_orn2_b64 s[10:11], vcc, exec
	s_branch .LBB104_169
.LBB104_174:                            ;   in Loop: Header=BB104_11 Depth=1
	s_and_saveexec_b64 s[10:11], s[0:1]
; %bb.175:                              ;   in Loop: Header=BB104_11 Depth=1
	v_mov_b32_e32 v2, s13
	ds_write_b32 v7, v2 offset:4108
; %bb.176:                              ;   in Loop: Header=BB104_11 Depth=1
	s_or_b64 exec, exec, s[10:11]
	s_waitcnt lgkmcnt(0)
	s_barrier
	s_or_saveexec_b64 s[34:35], s[34:35]
	v_mov_b32_e32 v2, 8
	s_xor_b64 exec, exec, s[34:35]
	s_cbranch_execnz .LBB104_159
	s_branch .LBB104_160
.LBB104_177:                            ;   in Loop: Header=BB104_11 Depth=1
	s_or_b64 exec, exec, s[82:83]
	v_lshrrev_b32_e32 v44, 16, v13
	s_and_b64 s[82:83], s[88:89], exec
.LBB104_178:                            ;   in Loop: Header=BB104_11 Depth=1
	s_or_b64 exec, exec, s[86:87]
.LBB104_179:                            ;   in Loop: Header=BB104_11 Depth=1
	s_and_b64 vcc, exec, s[84:85]
	s_cbranch_vccz .LBB104_190
; %bb.180:                              ;   in Loop: Header=BB104_11 Depth=1
                                        ; implicit-def: $vgpr44
	s_mov_b64 s[74:75], exec
	v_readlane_b32 s10, v50, 24
	v_readlane_b32 s11, v50, 25
	s_and_b64 s[10:11], s[74:75], s[10:11]
	s_mov_b64 exec, s[10:11]
	s_cbranch_execz .LBB104_189
; %bb.181:                              ;   in Loop: Header=BB104_11 Depth=1
	s_mov_b64 s[76:77], 0
	v_mov_b32_e32 v6, v5
	v_mov_b32_e32 v4, v0
                                        ; implicit-def: $sgpr84_sgpr85
	s_branch .LBB104_184
.LBB104_182:                            ;   in Loop: Header=BB104_184 Depth=2
	s_or_b64 exec, exec, s[34:35]
	s_waitcnt lgkmcnt(0)
	s_barrier
	ds_read_b32 v13, v7 offset:3072
	s_mov_b64 s[10:11], -1
	s_mov_b64 s[34:35], -1
	s_waitcnt lgkmcnt(0)
	s_barrier
	v_cmp_eq_u32_sdwa s[20:21], v13, v7 src0_sel:WORD_0 src1_sel:DWORD
	s_and_b64 vcc, exec, s[20:21]
	s_cbranch_vccnz .LBB104_187
.LBB104_183:                            ;   in Loop: Header=BB104_184 Depth=2
	s_and_b64 s[10:11], exec, s[10:11]
	s_or_b64 s[76:77], s[10:11], s[76:77]
	s_andn2_b64 s[10:11], s[84:85], exec
	s_and_b64 s[20:21], s[34:35], exec
	s_or_b64 s[84:85], s[10:11], s[20:21]
	s_andn2_b64 exec, exec, s[76:77]
	s_cbranch_execz .LBB104_188
.LBB104_184:                            ;   Parent Loop BB104_11 Depth=1
                                        ; =>  This Inner Loop Header: Depth=2
	v_cmp_gt_u32_e32 vcc, s36, v4
	s_and_saveexec_b64 s[34:35], vcc
	s_cbranch_execz .LBB104_182
; %bb.185:                              ;   in Loop: Header=BB104_184 Depth=2
	v_lshlrev_b64 v[13:14], 1, v[6:7]
	v_mov_b32_e32 v15, s37
	v_add_co_u32_e32 v13, vcc, s39, v13
	v_addc_co_u32_e32 v14, vcc, v15, v14, vcc
	global_load_ushort v13, v[13:14], off
	s_waitcnt vmcnt(0)
	v_add_u32_sdwa v14, sext(v13), s53 dst_sel:DWORD dst_unused:UNUSED_PAD src0_sel:WORD_0 src1_sel:DWORD
	v_and_b32_e32 v14, v14, v43
	v_cmp_eq_u32_e32 vcc, v14, v38
	s_and_b64 exec, exec, vcc
	s_cbranch_execz .LBB104_182
; %bb.186:                              ;   in Loop: Header=BB104_184 Depth=2
	v_perm_b32 v13, v13, 1, v41
	ds_write_b32 v7, v13 offset:3072
	s_branch .LBB104_182
.LBB104_187:                            ;   in Loop: Header=BB104_184 Depth=2
	v_add_u32_e32 v4, s50, v4
	v_cmp_le_u32_e32 vcc, s3, v4
	v_add_u32_e32 v6, s40, v6
	s_mov_b64 s[34:35], 0
	s_orn2_b64 s[10:11], vcc, exec
	s_branch .LBB104_183
.LBB104_188:                            ;   in Loop: Header=BB104_11 Depth=1
	s_or_b64 exec, exec, s[76:77]
	s_andn2_b64 s[10:11], s[82:83], exec
	s_and_b64 s[20:21], s[84:85], exec
	v_lshrrev_b32_e32 v44, 16, v13
	s_or_b64 s[82:83], s[10:11], s[20:21]
.LBB104_189:                            ;   in Loop: Header=BB104_11 Depth=1
	s_or_b64 exec, exec, s[74:75]
	s_mov_b64 s[74:75], 0
	s_mov_b64 s[76:77], -1
.LBB104_190:                            ;   in Loop: Header=BB104_11 Depth=1
	s_orn2_b64 s[34:35], s[82:83], exec
.LBB104_191:                            ;   in Loop: Header=BB104_11 Depth=1
	s_or_b64 exec, exec, s[78:79]
	s_mov_b64 s[82:83], 0
	s_and_saveexec_b64 s[78:79], s[34:35]
	s_cbranch_execz .LBB104_241
; %bb.192:                              ;   in Loop: Header=BB104_11 Depth=1
	s_xor_b64 s[10:11], s[80:81], -1
	s_mov_b64 s[86:87], 0
	v_mov_b32_e32 v4, 1
	v_mov_b32_e32 v2, 1
	s_and_saveexec_b64 s[80:81], s[10:11]
	s_cbranch_execz .LBB104_201
; %bb.193:                              ;   in Loop: Header=BB104_11 Depth=1
	v_cmp_ge_u32_e32 vcc, s12, v12
	s_and_saveexec_b64 s[10:11], vcc
	s_xor_b64 s[34:35], exec, s[10:11]
	s_cbranch_execz .LBB104_198
; %bb.194:                              ;   in Loop: Header=BB104_11 Depth=1
	v_and_b32_e32 v2, v38, v3
	v_lshl_or_b32 v38, 2, v42, v2
	ds_read_b32 v2, v7 offset:4104
	v_or_b32_e32 v43, v43, v1
	s_waitcnt lgkmcnt(0)
	v_cmp_ne_u32_e32 vcc, 0, v2
	s_cbranch_vccnz .LBB104_198
; %bb.195:                              ;   in Loop: Header=BB104_11 Depth=1
	s_and_saveexec_b64 s[10:11], s[0:1]
; %bb.196:                              ;   in Loop: Header=BB104_11 Depth=1
	v_mov_b32_e32 v2, s12
	ds_write_b32 v7, v2 offset:4108
; %bb.197:                              ;   in Loop: Header=BB104_11 Depth=1
	s_or_b64 exec, exec, s[10:11]
	s_waitcnt lgkmcnt(0)
	s_barrier
.LBB104_198:                            ;   in Loop: Header=BB104_11 Depth=1
	s_or_saveexec_b64 s[34:35], s[34:35]
	v_mov_b32_e32 v2, 8
	s_xor_b64 exec, exec, s[34:35]
; %bb.199:                              ;   in Loop: Header=BB104_11 Depth=1
	v_subrev_u32_e32 v12, s12, v12
	v_mov_b32_e32 v2, 0
	s_mov_b64 s[82:83], exec
; %bb.200:                              ;   in Loop: Header=BB104_11 Depth=1
	s_or_b64 exec, exec, s[34:35]
	s_and_b64 s[86:87], s[82:83], exec
	v_mov_b32_e32 v4, v12
.LBB104_201:                            ;   in Loop: Header=BB104_11 Depth=1
	s_or_b64 exec, exec, s[80:81]
	s_mov_b64 s[34:35], -1
                                        ; implicit-def: $sgpr84_sgpr85
                                        ; implicit-def: $sgpr82_sgpr83
	s_and_saveexec_b64 s[80:81], s[86:87]
	s_cbranch_execz .LBB104_240
; %bb.202:                              ;   in Loop: Header=BB104_11 Depth=1
	s_cmp_eq_u32 s55, 1
	s_cselect_b64 s[10:11], -1, 0
	v_cmp_eq_u32_e32 vcc, 1, v4
	s_and_b64 s[86:87], s[10:11], vcc
                                        ; implicit-def: $sgpr84_sgpr85
                                        ; implicit-def: $sgpr82_sgpr83
	s_and_saveexec_b64 s[88:89], s[86:87]
	s_cbranch_execz .LBB104_228
; %bb.203:                              ;   in Loop: Header=BB104_11 Depth=1
	ds_read_b32 v3, v7 offset:4104
	s_waitcnt lgkmcnt(0)
	s_barrier
	v_readfirstlane_b32 s20, v3
	s_and_saveexec_b64 s[10:11], s[24:25]
; %bb.204:                              ;   in Loop: Header=BB104_11 Depth=1
	ds_write_b16 v23, v7
; %bb.205:                              ;   in Loop: Header=BB104_11 Depth=1
	s_or_b64 exec, exec, s[10:11]
	v_or_b32_e32 v38, v38, v1
	v_or_b32_e32 v43, v43, v1
	s_mov_b64 s[82:83], -1
	s_mov_b64 s[84:85], 0
	s_cmp_eq_u32 s20, 0
	s_mov_b64 s[90:91], 0
	s_mov_b64 s[92:93], -1
	s_waitcnt lgkmcnt(0)
	s_barrier
                                        ; implicit-def: $vgpr44
	s_cbranch_scc1 .LBB104_216
; %bb.206:                              ;   in Loop: Header=BB104_11 Depth=1
	s_add_i32 s10, s20, s15
	s_mul_hi_u32 s11, s10, s2
	s_mul_i32 s11, s11, s50
	s_sub_i32 s11, s10, s11
	s_sub_i32 s12, s11, s50
	s_cmp_ge_u32 s11, s50
	s_cselect_b32 s11, s12, s11
	s_sub_i32 s12, s11, s50
	s_cmp_ge_u32 s11, s50
	s_cselect_b32 s11, s12, s11
	s_sub_i32 s21, s10, s11
	v_cmp_gt_u32_e32 vcc, s21, v0
	s_mov_b64 s[92:93], 0
                                        ; implicit-def: $vgpr44
	s_and_saveexec_b64 s[94:95], vcc
	s_cbranch_execz .LBB104_215
; %bb.207:                              ;   in Loop: Header=BB104_11 Depth=1
	v_mov_b32_e32 v3, v22
	v_mov_b32_e32 v6, v0
                                        ; implicit-def: $sgpr34_sgpr35
	s_branch .LBB104_210
.LBB104_208:                            ;   in Loop: Header=BB104_210 Depth=2
	s_or_b64 exec, exec, s[10:11]
	s_waitcnt lgkmcnt(0)
	s_barrier
	ds_read_b32 v12, v7 offset:3072
	s_mov_b64 s[10:11], -1
	s_waitcnt lgkmcnt(0)
	s_barrier
	v_cmp_ne_u32_sdwa s[12:13], v12, v7 src0_sel:WORD_0 src1_sel:DWORD
	s_and_b64 vcc, exec, s[12:13]
	s_mov_b64 s[12:13], -1
	s_cbranch_vccz .LBB104_213
.LBB104_209:                            ;   in Loop: Header=BB104_210 Depth=2
	s_and_b64 s[10:11], exec, s[10:11]
	s_or_b64 s[90:91], s[10:11], s[90:91]
	s_andn2_b64 s[10:11], s[34:35], exec
	s_and_b64 s[12:13], s[12:13], exec
	s_or_b64 s[34:35], s[10:11], s[12:13]
	s_andn2_b64 exec, exec, s[90:91]
	s_cbranch_execz .LBB104_214
.LBB104_210:                            ;   Parent Loop BB104_11 Depth=1
                                        ; =>  This Inner Loop Header: Depth=2
	v_cmp_gt_u32_e32 vcc, s20, v6
	s_and_saveexec_b64 s[10:11], vcc
	s_cbranch_execz .LBB104_208
; %bb.211:                              ;   in Loop: Header=BB104_210 Depth=2
	ds_read_u16 v12, v3
	s_waitcnt lgkmcnt(0)
	v_add_u32_sdwa v13, sext(v12), s53 dst_sel:DWORD dst_unused:UNUSED_PAD src0_sel:WORD_0 src1_sel:DWORD
	v_and_b32_e32 v13, v13, v43
	v_cmp_eq_u32_e32 vcc, v13, v38
	s_and_b64 exec, exec, vcc
	s_cbranch_execz .LBB104_208
; %bb.212:                              ;   in Loop: Header=BB104_210 Depth=2
	v_perm_b32 v12, v12, 1, v41
	ds_write_b32 v7, v12 offset:3072
	s_branch .LBB104_208
.LBB104_213:                            ;   in Loop: Header=BB104_210 Depth=2
	v_add_u32_e32 v6, s50, v6
	v_cmp_le_u32_e32 vcc, s21, v6
	v_add_u32_e32 v3, s52, v3
	s_mov_b64 s[12:13], 0
	s_orn2_b64 s[10:11], vcc, exec
	s_branch .LBB104_209
.LBB104_214:                            ;   in Loop: Header=BB104_11 Depth=1
	s_or_b64 exec, exec, s[90:91]
	v_lshrrev_b32_e32 v44, 16, v12
	s_and_b64 s[90:91], s[34:35], exec
.LBB104_215:                            ;   in Loop: Header=BB104_11 Depth=1
	s_or_b64 exec, exec, s[94:95]
.LBB104_216:                            ;   in Loop: Header=BB104_11 Depth=1
	s_and_b64 vcc, exec, s[92:93]
	s_cbranch_vccz .LBB104_227
; %bb.217:                              ;   in Loop: Header=BB104_11 Depth=1
                                        ; implicit-def: $vgpr44
	s_mov_b64 s[82:83], exec
	v_readlane_b32 s10, v50, 24
	v_readlane_b32 s11, v50, 25
	s_and_b64 s[10:11], s[82:83], s[10:11]
	s_mov_b64 exec, s[10:11]
	s_cbranch_execz .LBB104_226
; %bb.218:                              ;   in Loop: Header=BB104_11 Depth=1
	s_mov_b64 s[84:85], 0
	v_mov_b32_e32 v6, v5
	v_mov_b32_e32 v3, v0
                                        ; implicit-def: $sgpr92_sgpr93
	s_branch .LBB104_221
.LBB104_219:                            ;   in Loop: Header=BB104_221 Depth=2
	s_or_b64 exec, exec, s[34:35]
	s_waitcnt lgkmcnt(0)
	s_barrier
	ds_read_b32 v12, v7 offset:3072
	s_mov_b64 s[10:11], -1
	s_waitcnt lgkmcnt(0)
	s_barrier
	v_cmp_eq_u32_sdwa s[12:13], v12, v7 src0_sel:WORD_0 src1_sel:DWORD
	s_and_b64 vcc, exec, s[12:13]
	s_mov_b64 s[12:13], -1
	s_cbranch_vccnz .LBB104_224
.LBB104_220:                            ;   in Loop: Header=BB104_221 Depth=2
	s_and_b64 s[10:11], exec, s[10:11]
	s_or_b64 s[84:85], s[10:11], s[84:85]
	s_andn2_b64 s[10:11], s[92:93], exec
	s_and_b64 s[12:13], s[12:13], exec
	s_or_b64 s[92:93], s[10:11], s[12:13]
	s_andn2_b64 exec, exec, s[84:85]
	s_cbranch_execz .LBB104_225
.LBB104_221:                            ;   Parent Loop BB104_11 Depth=1
                                        ; =>  This Inner Loop Header: Depth=2
	v_cmp_gt_u32_e32 vcc, s36, v3
	s_and_saveexec_b64 s[34:35], vcc
	s_cbranch_execz .LBB104_219
; %bb.222:                              ;   in Loop: Header=BB104_221 Depth=2
	v_lshlrev_b64 v[12:13], 1, v[6:7]
	v_mov_b32_e32 v14, s37
	v_add_co_u32_e32 v12, vcc, s39, v12
	v_addc_co_u32_e32 v13, vcc, v14, v13, vcc
	global_load_ushort v12, v[12:13], off
	s_waitcnt vmcnt(0)
	v_add_u32_sdwa v13, sext(v12), s53 dst_sel:DWORD dst_unused:UNUSED_PAD src0_sel:WORD_0 src1_sel:DWORD
	v_and_b32_e32 v13, v13, v43
	v_cmp_eq_u32_e32 vcc, v13, v38
	s_and_b64 exec, exec, vcc
	s_cbranch_execz .LBB104_219
; %bb.223:                              ;   in Loop: Header=BB104_221 Depth=2
	v_perm_b32 v12, v12, 1, v41
	ds_write_b32 v7, v12 offset:3072
	s_branch .LBB104_219
.LBB104_224:                            ;   in Loop: Header=BB104_221 Depth=2
	v_add_u32_e32 v3, s50, v3
	v_cmp_le_u32_e32 vcc, s3, v3
	v_add_u32_e32 v6, s40, v6
	s_mov_b64 s[12:13], 0
	s_orn2_b64 s[10:11], vcc, exec
	s_branch .LBB104_220
.LBB104_225:                            ;   in Loop: Header=BB104_11 Depth=1
	s_or_b64 exec, exec, s[84:85]
	s_andn2_b64 s[10:11], s[90:91], exec
	s_and_b64 s[12:13], s[92:93], exec
	v_lshrrev_b32_e32 v44, 16, v12
	s_or_b64 s[90:91], s[10:11], s[12:13]
.LBB104_226:                            ;   in Loop: Header=BB104_11 Depth=1
	s_or_b64 exec, exec, s[82:83]
	s_mov_b64 s[82:83], 0
	s_mov_b64 s[84:85], -1
.LBB104_227:                            ;   in Loop: Header=BB104_11 Depth=1
	s_orn2_b64 s[34:35], s[90:91], exec
.LBB104_228:                            ;   in Loop: Header=BB104_11 Depth=1
	s_or_b64 exec, exec, s[88:89]
	s_mov_b64 s[90:91], 0
	s_and_saveexec_b64 s[88:89], s[34:35]
	s_cbranch_execz .LBB104_239
; %bb.229:                              ;   in Loop: Header=BB104_11 Depth=1
	s_xor_b64 s[10:11], s[86:87], -1
	v_mov_b32_e32 v2, 1
	v_mov_b32_e32 v3, 1
	s_and_saveexec_b64 s[86:87], s[10:11]
	s_cbranch_execz .LBB104_238
; %bb.230:                              ;   in Loop: Header=BB104_11 Depth=1
	v_cmp_ge_u32_e32 vcc, s55, v4
	s_and_saveexec_b64 s[10:11], vcc
	s_xor_b64 s[34:35], exec, s[10:11]
	s_cbranch_execz .LBB104_235
; %bb.231:                              ;   in Loop: Header=BB104_11 Depth=1
	v_or_b32_e32 v38, v38, v1
	v_or_b32_e32 v43, v43, v1
	ds_read_b32 v1, v7 offset:4104
	s_waitcnt lgkmcnt(0)
	v_cmp_ne_u32_e32 vcc, 0, v1
	s_cbranch_vccnz .LBB104_235
; %bb.232:                              ;   in Loop: Header=BB104_11 Depth=1
	s_and_saveexec_b64 s[10:11], s[0:1]
; %bb.233:                              ;   in Loop: Header=BB104_11 Depth=1
	v_mov_b32_e32 v1, s55
	ds_write_b32 v7, v1 offset:4108
; %bb.234:                              ;   in Loop: Header=BB104_11 Depth=1
	s_or_b64 exec, exec, s[10:11]
	s_waitcnt lgkmcnt(0)
	s_barrier
.LBB104_235:                            ;   in Loop: Header=BB104_11 Depth=1
	s_andn2_saveexec_b64 s[10:11], s[34:35]
; %bb.236:                              ;   in Loop: Header=BB104_11 Depth=1
	v_subrev_u32_e32 v4, s55, v4
; %bb.237:                              ;   in Loop: Header=BB104_11 Depth=1
	s_or_b64 exec, exec, s[10:11]
	v_mov_b32_e32 v2, 8
	v_mov_b32_e32 v3, v4
.LBB104_238:                            ;   in Loop: Header=BB104_11 Depth=1
	s_or_b64 exec, exec, s[86:87]
	s_mov_b64 s[90:91], exec
	v_mov_b32_e32 v4, v3
.LBB104_239:                            ;   in Loop: Header=BB104_11 Depth=1
	s_or_b64 exec, exec, s[88:89]
	s_orn2_b64 s[34:35], s[90:91], exec
.LBB104_240:                            ;   in Loop: Header=BB104_11 Depth=1
	s_or_b64 exec, exec, s[80:81]
	s_andn2_b64 s[10:11], s[76:77], exec
	s_and_b64 s[12:13], s[84:85], exec
	s_or_b64 s[76:77], s[10:11], s[12:13]
	s_andn2_b64 s[10:11], s[74:75], exec
	s_and_b64 s[12:13], s[82:83], exec
	s_or_b64 s[74:75], s[10:11], s[12:13]
	s_and_b64 s[82:83], s[34:35], exec
	v_mov_b32_e32 v12, v4
.LBB104_241:                            ;   in Loop: Header=BB104_11 Depth=1
	s_or_b64 exec, exec, s[78:79]
	s_orn2_b64 s[34:35], s[82:83], exec
.LBB104_242:                            ;   in Loop: Header=BB104_11 Depth=1
	s_or_b64 exec, exec, s[72:73]
	s_andn2_b64 s[10:11], s[30:31], exec
	s_and_b64 s[12:13], s[76:77], exec
	s_or_b64 s[30:31], s[10:11], s[12:13]
	s_andn2_b64 s[10:11], s[28:29], exec
	s_and_b64 s[12:13], s[74:75], exec
	s_or_b64 s[28:29], s[10:11], s[12:13]
	s_and_b64 s[74:75], s[34:35], exec
	v_mov_b32_e32 v4, v12
.LBB104_243:                            ;   in Loop: Header=BB104_11 Depth=1
	s_or_b64 exec, exec, s[70:71]
	s_orn2_b64 s[34:35], s[74:75], exec
.LBB104_244:                            ;   in Loop: Header=BB104_11 Depth=1
	s_or_b64 exec, exec, s[26:27]
	s_mov_b64 s[70:71], 0
                                        ; implicit-def: $sgpr72
	s_and_saveexec_b64 s[10:11], s[34:35]
	s_xor_b64 s[26:27], exec, s[10:11]
	s_cbranch_execz .LBB104_9
; %bb.245:                              ;   in Loop: Header=BB104_11 Depth=1
	v_and_b32_e32 v1, 7, v2
	v_cmp_eq_u32_e32 vcc, 0, v1
	s_mov_b64 s[22:23], -1
	s_mov_b64 s[34:35], -1
                                        ; implicit-def: $sgpr72
	s_and_saveexec_b64 s[10:11], vcc
	s_cbranch_execz .LBB104_8
; %bb.246:                              ;   in Loop: Header=BB104_11 Depth=1
	v_add_u32_e32 v1, -2, v42
	v_cmp_eq_u32_e32 vcc, 0, v42
	s_xor_b32 s72, s51, 1
	s_xor_b64 s[34:35], exec, -1
	s_orn2_b64 s[22:23], vcc, exec
	v_mov_b32_e32 v42, v1
	s_branch .LBB104_8
.LBB104_247:
	s_or_b64 exec, exec, s[56:57]
	s_xor_b64 s[8:9], s[62:63], -1
	s_xor_b64 s[0:1], s[58:59], -1
	;; [unrolled: 1-line block ×3, first 2 shown]
	s_mov_b64 s[4:5], 0
	s_and_saveexec_b64 s[2:3], s[0:1]
	s_xor_b64 s[0:1], exec, s[2:3]
	s_cbranch_execnz .LBB104_252
; %bb.248:
	s_andn2_saveexec_b64 s[0:1], s[0:1]
	s_cbranch_execnz .LBB104_265
.LBB104_249:
	s_or_b64 exec, exec, s[0:1]
	s_and_saveexec_b64 s[0:1], s[4:5]
.LBB104_250:
	; divergent unreachable
.LBB104_251:
	s_endpgm
.LBB104_252:
	s_and_saveexec_b64 s[2:3], s[8:9]
	s_xor_b64 s[4:5], exec, s[2:3]
	s_cbranch_execz .LBB104_263
; %bb.253:
	s_and_saveexec_b64 s[2:3], s[6:7]
	s_xor_b64 s[6:7], exec, s[2:3]
; %bb.254:
	v_xor_b32_e32 v44, 0xffff8000, v38
; %bb.255:
	s_or_b64 exec, exec, s[6:7]
	v_readlane_b32 s18, v50, 6
	v_readlane_b32 s2, v50, 5
	s_mul_i32 s2, s2, s18
	s_mov_b32 s3, 0
	s_lshl_b64 s[2:3], s[2:3], 1
	v_readlane_b32 s6, v50, 2
	v_readlane_b32 s7, v50, 3
	s_add_u32 s2, s6, s2
	s_addc_u32 s3, s7, s3
	v_mov_b32_e32 v6, 0
	global_store_short v6, v44, s[2:3]
	s_mov_b64 s[6:7], exec
	v_readlane_b32 s2, v50, 7
	v_readlane_b32 s3, v50, 8
	s_and_b64 s[2:3], s[6:7], s[2:3]
	s_mov_b64 exec, s[2:3]
	s_cbranch_execz .LBB104_262
; %bb.256:
	s_mov_b64 s[2:3], 0
	v_mov_b32_e32 v2, s37
                                        ; implicit-def: $sgpr8_sgpr9
                                        ; implicit-def: $sgpr12_sgpr13
                                        ; implicit-def: $sgpr10_sgpr11
	s_branch .LBB104_258
.LBB104_257:                            ;   in Loop: Header=BB104_258 Depth=1
	s_or_b64 exec, exec, s[14:15]
	s_and_b64 s[14:15], exec, s[12:13]
	s_or_b64 s[2:3], s[14:15], s[2:3]
	s_andn2_b64 s[8:9], s[8:9], exec
	s_and_b64 s[14:15], s[10:11], exec
	s_or_b64 s[8:9], s[8:9], s[14:15]
	s_andn2_b64 exec, exec, s[2:3]
	s_cbranch_execz .LBB104_260
.LBB104_258:                            ; =>This Inner Loop Header: Depth=1
	v_lshlrev_b64 v[3:4], 1, v[5:6]
	v_mov_b32_e32 v1, v0
	v_add_co_u32_e32 v3, vcc, s39, v3
	v_addc_co_u32_e32 v4, vcc, v2, v4, vcc
	global_load_ushort v3, v[3:4], off
	s_or_b64 s[10:11], s[10:11], exec
	s_or_b64 s[12:13], s[12:13], exec
                                        ; implicit-def: $vgpr0
	s_waitcnt vmcnt(0)
	v_cmp_ne_u16_e32 vcc, v3, v44
	s_and_saveexec_b64 s[14:15], vcc
	s_cbranch_execz .LBB104_257
; %bb.259:                              ;   in Loop: Header=BB104_258 Depth=1
	v_add_u32_e32 v0, s50, v1
	v_cmp_le_u32_e32 vcc, s36, v0
	s_andn2_b64 s[12:13], s[12:13], exec
	s_and_b64 s[16:17], vcc, exec
	v_add_u32_e32 v5, s40, v5
	s_andn2_b64 s[10:11], s[10:11], exec
	s_or_b64 s[12:13], s[12:13], s[16:17]
	s_branch .LBB104_257
.LBB104_260:
	s_or_b64 exec, exec, s[2:3]
	s_and_saveexec_b64 s[2:3], s[8:9]
	s_xor_b64 s[2:3], exec, s[2:3]
	s_cbranch_execz .LBB104_262
; %bb.261:
	v_readlane_b32 s2, v50, 4
	s_mul_i32 s2, s2, s18
	s_mov_b32 s3, 0
	s_lshl_b64 s[2:3], s[2:3], 3
	v_readlane_b32 s8, v50, 0
	v_readlane_b32 s9, v50, 1
	s_add_u32 s2, s8, s2
	s_addc_u32 s3, s9, s3
	v_mov_b32_e32 v2, 0
	global_store_dwordx2 v2, v[1:2], s[2:3]
.LBB104_262:
	s_or_b64 exec, exec, s[6:7]
.LBB104_263:
	s_or_saveexec_b64 s[2:3], s[4:5]
	s_mov_b64 s[4:5], 0
	s_xor_b64 exec, exec, s[2:3]
	s_cbranch_execnz .LBB104_266
.LBB104_264:
	s_or_b64 exec, exec, s[2:3]
	s_and_b64 s[4:5], s[4:5], exec
	s_andn2_saveexec_b64 s[0:1], s[0:1]
	s_cbranch_execz .LBB104_249
.LBB104_265:
	s_or_b64 s[4:5], s[4:5], exec
	s_trap 2
	s_or_b64 exec, exec, s[0:1]
	s_and_saveexec_b64 s[0:1], s[4:5]
	s_cbranch_execnz .LBB104_250
	s_branch .LBB104_251
.LBB104_266:
	s_mov_b64 s[4:5], exec
	s_trap 2
	s_branch .LBB104_264
	.section	.rodata,"a",@progbits
	.p2align	6, 0x0
	.amdhsa_kernel _ZN2at6native12_GLOBAL__N_112gatherMedianIsjLi1EEEvNS_4cuda6detail10TensorInfoIT_T0_EENS5_IlS7_EENS5_IKS6_S7_EES7_S7_S7_b
		.amdhsa_group_segment_fixed_size 4120
		.amdhsa_private_segment_fixed_size 0
		.amdhsa_kernarg_size 920
		.amdhsa_user_sgpr_count 6
		.amdhsa_user_sgpr_private_segment_buffer 1
		.amdhsa_user_sgpr_dispatch_ptr 0
		.amdhsa_user_sgpr_queue_ptr 0
		.amdhsa_user_sgpr_kernarg_segment_ptr 1
		.amdhsa_user_sgpr_dispatch_id 0
		.amdhsa_user_sgpr_flat_scratch_init 0
		.amdhsa_user_sgpr_private_segment_size 0
		.amdhsa_uses_dynamic_stack 0
		.amdhsa_system_sgpr_private_segment_wavefront_offset 0
		.amdhsa_system_sgpr_workgroup_id_x 1
		.amdhsa_system_sgpr_workgroup_id_y 1
		.amdhsa_system_sgpr_workgroup_id_z 1
		.amdhsa_system_sgpr_workgroup_info 0
		.amdhsa_system_vgpr_workitem_id 0
		.amdhsa_next_free_vgpr 51
		.amdhsa_next_free_sgpr 96
		.amdhsa_reserve_vcc 1
		.amdhsa_reserve_flat_scratch 0
		.amdhsa_float_round_mode_32 0
		.amdhsa_float_round_mode_16_64 0
		.amdhsa_float_denorm_mode_32 3
		.amdhsa_float_denorm_mode_16_64 3
		.amdhsa_dx10_clamp 1
		.amdhsa_ieee_mode 1
		.amdhsa_fp16_overflow 0
		.amdhsa_exception_fp_ieee_invalid_op 0
		.amdhsa_exception_fp_denorm_src 0
		.amdhsa_exception_fp_ieee_div_zero 0
		.amdhsa_exception_fp_ieee_overflow 0
		.amdhsa_exception_fp_ieee_underflow 0
		.amdhsa_exception_fp_ieee_inexact 0
		.amdhsa_exception_int_div_zero 0
	.end_amdhsa_kernel
	.section	.text._ZN2at6native12_GLOBAL__N_112gatherMedianIsjLi1EEEvNS_4cuda6detail10TensorInfoIT_T0_EENS5_IlS7_EENS5_IKS6_S7_EES7_S7_S7_b,"axG",@progbits,_ZN2at6native12_GLOBAL__N_112gatherMedianIsjLi1EEEvNS_4cuda6detail10TensorInfoIT_T0_EENS5_IlS7_EENS5_IKS6_S7_EES7_S7_S7_b,comdat
.Lfunc_end104:
	.size	_ZN2at6native12_GLOBAL__N_112gatherMedianIsjLi1EEEvNS_4cuda6detail10TensorInfoIT_T0_EENS5_IlS7_EENS5_IKS6_S7_EES7_S7_S7_b, .Lfunc_end104-_ZN2at6native12_GLOBAL__N_112gatherMedianIsjLi1EEEvNS_4cuda6detail10TensorInfoIT_T0_EENS5_IlS7_EENS5_IKS6_S7_EES7_S7_S7_b
                                        ; -- End function
	.set _ZN2at6native12_GLOBAL__N_112gatherMedianIsjLi1EEEvNS_4cuda6detail10TensorInfoIT_T0_EENS5_IlS7_EENS5_IKS6_S7_EES7_S7_S7_b.num_vgpr, 51
	.set _ZN2at6native12_GLOBAL__N_112gatherMedianIsjLi1EEEvNS_4cuda6detail10TensorInfoIT_T0_EENS5_IlS7_EENS5_IKS6_S7_EES7_S7_S7_b.num_agpr, 0
	.set _ZN2at6native12_GLOBAL__N_112gatherMedianIsjLi1EEEvNS_4cuda6detail10TensorInfoIT_T0_EENS5_IlS7_EENS5_IKS6_S7_EES7_S7_S7_b.numbered_sgpr, 96
	.set _ZN2at6native12_GLOBAL__N_112gatherMedianIsjLi1EEEvNS_4cuda6detail10TensorInfoIT_T0_EENS5_IlS7_EENS5_IKS6_S7_EES7_S7_S7_b.num_named_barrier, 0
	.set _ZN2at6native12_GLOBAL__N_112gatherMedianIsjLi1EEEvNS_4cuda6detail10TensorInfoIT_T0_EENS5_IlS7_EENS5_IKS6_S7_EES7_S7_S7_b.private_seg_size, 0
	.set _ZN2at6native12_GLOBAL__N_112gatherMedianIsjLi1EEEvNS_4cuda6detail10TensorInfoIT_T0_EENS5_IlS7_EENS5_IKS6_S7_EES7_S7_S7_b.uses_vcc, 1
	.set _ZN2at6native12_GLOBAL__N_112gatherMedianIsjLi1EEEvNS_4cuda6detail10TensorInfoIT_T0_EENS5_IlS7_EENS5_IKS6_S7_EES7_S7_S7_b.uses_flat_scratch, 0
	.set _ZN2at6native12_GLOBAL__N_112gatherMedianIsjLi1EEEvNS_4cuda6detail10TensorInfoIT_T0_EENS5_IlS7_EENS5_IKS6_S7_EES7_S7_S7_b.has_dyn_sized_stack, 0
	.set _ZN2at6native12_GLOBAL__N_112gatherMedianIsjLi1EEEvNS_4cuda6detail10TensorInfoIT_T0_EENS5_IlS7_EENS5_IKS6_S7_EES7_S7_S7_b.has_recursion, 0
	.set _ZN2at6native12_GLOBAL__N_112gatherMedianIsjLi1EEEvNS_4cuda6detail10TensorInfoIT_T0_EENS5_IlS7_EENS5_IKS6_S7_EES7_S7_S7_b.has_indirect_call, 0
	.section	.AMDGPU.csdata,"",@progbits
; Kernel info:
; codeLenInByte = 10212
; TotalNumSgprs: 100
; NumVgprs: 51
; ScratchSize: 0
; MemoryBound: 0
; FloatMode: 240
; IeeeMode: 1
; LDSByteSize: 4120 bytes/workgroup (compile time only)
; SGPRBlocks: 12
; VGPRBlocks: 12
; NumSGPRsForWavesPerEU: 100
; NumVGPRsForWavesPerEU: 51
; Occupancy: 4
; WaveLimiterHint : 1
; COMPUTE_PGM_RSRC2:SCRATCH_EN: 0
; COMPUTE_PGM_RSRC2:USER_SGPR: 6
; COMPUTE_PGM_RSRC2:TRAP_HANDLER: 0
; COMPUTE_PGM_RSRC2:TGID_X_EN: 1
; COMPUTE_PGM_RSRC2:TGID_Y_EN: 1
; COMPUTE_PGM_RSRC2:TGID_Z_EN: 1
; COMPUTE_PGM_RSRC2:TIDIG_COMP_CNT: 0
	.section	.text._ZN2at6native12_GLOBAL__N_112gatherMedianIsjLi2EEEvNS_4cuda6detail10TensorInfoIT_T0_EENS5_IlS7_EENS5_IKS6_S7_EES7_S7_S7_b,"axG",@progbits,_ZN2at6native12_GLOBAL__N_112gatherMedianIsjLi2EEEvNS_4cuda6detail10TensorInfoIT_T0_EENS5_IlS7_EENS5_IKS6_S7_EES7_S7_S7_b,comdat
	.globl	_ZN2at6native12_GLOBAL__N_112gatherMedianIsjLi2EEEvNS_4cuda6detail10TensorInfoIT_T0_EENS5_IlS7_EENS5_IKS6_S7_EES7_S7_S7_b ; -- Begin function _ZN2at6native12_GLOBAL__N_112gatherMedianIsjLi2EEEvNS_4cuda6detail10TensorInfoIT_T0_EENS5_IlS7_EENS5_IKS6_S7_EES7_S7_S7_b
	.p2align	8
	.type	_ZN2at6native12_GLOBAL__N_112gatherMedianIsjLi2EEEvNS_4cuda6detail10TensorInfoIT_T0_EENS5_IlS7_EENS5_IKS6_S7_EES7_S7_S7_b,@function
_ZN2at6native12_GLOBAL__N_112gatherMedianIsjLi2EEEvNS_4cuda6detail10TensorInfoIT_T0_EENS5_IlS7_EENS5_IKS6_S7_EES7_S7_S7_b: ; @_ZN2at6native12_GLOBAL__N_112gatherMedianIsjLi2EEEvNS_4cuda6detail10TensorInfoIT_T0_EENS5_IlS7_EENS5_IKS6_S7_EES7_S7_S7_b
; %bb.0:
	s_load_dwordx2 s[12:13], s[4:5], 0x298
	s_load_dwordx4 s[36:39], s[4:5], 0x288
	s_add_u32 s10, s4, 0x298
	s_addc_u32 s11, s5, 0
	s_waitcnt lgkmcnt(0)
	s_mul_i32 s0, s13, s8
	s_add_i32 s0, s0, s7
	s_mul_i32 s0, s0, s12
	s_add_i32 s19, s0, s6
	s_cmp_ge_u32 s19, s37
	s_cbranch_scc1 .LBB105_251
; %bb.1:
	s_load_dword s0, s[4:5], 0xc
	s_load_dword s1, s[4:5], 0xe4
	;; [unrolled: 1-line block ×3, first 2 shown]
                                        ; implicit-def: $vgpr50 : SGPR spill to VGPR lane
	s_waitcnt lgkmcnt(0)
	v_cvt_f32_u32_e32 v1, s0
	v_cvt_f32_u32_e32 v2, s1
	;; [unrolled: 1-line block ×3, first 2 shown]
	v_writelane_b32 v50, s0, 0
	v_rcp_iflag_f32_e32 v1, v1
	v_rcp_iflag_f32_e32 v2, v2
	;; [unrolled: 1-line block ×3, first 2 shown]
	s_sub_i32 s0, 0, s0
	v_mul_f32_e32 v1, 0x4f7ffffe, v1
	v_cvt_u32_f32_e32 v1, v1
	v_mul_f32_e32 v3, 0x4f7ffffe, v3
	v_mul_f32_e32 v2, 0x4f7ffffe, v2
	v_cvt_u32_f32_e32 v3, v3
	v_cvt_u32_f32_e32 v2, v2
	v_readfirstlane_b32 s17, v1
	s_mul_i32 s0, s0, s17
	s_mul_hi_u32 s8, s17, s0
	s_sub_i32 s0, 0, s13
	v_readfirstlane_b32 s7, v3
	v_writelane_b32 v50, s1, 1
	s_sub_i32 s1, 0, s1
	v_readfirstlane_b32 s18, v2
	s_mul_i32 s0, s0, s7
	s_mul_i32 s1, s1, s18
	s_mul_hi_u32 s0, s7, s0
	s_mul_hi_u32 s9, s18, s1
	s_add_i32 s7, s7, s0
	v_cmp_eq_u32_e64 s[0:1], 0, v0
	s_and_saveexec_b64 s[2:3], s[0:1]
; %bb.2:
	v_mov_b32_e32 v1, 0
	v_mov_b32_e32 v2, v1
	ds_write_b64 v1, v[1:2] offset:4096
; %bb.3:
	s_or_b64 exec, exec, s[2:3]
	v_mov_b32_e32 v1, 0
	s_waitcnt lgkmcnt(0)
	s_barrier
	s_barrier
	ds_read_b64 v[1:2], v1 offset:4096
	s_add_i32 s17, s17, s8
	s_add_i32 s18, s18, s9
	s_load_dwordx2 s[8:9], s[4:5], 0x21c
	s_load_dwordx2 s[2:3], s[4:5], 0x1b0
	s_bitcmp1_b32 s39, 0
	s_waitcnt lgkmcnt(0)
	v_readfirstlane_b32 s14, v1
	v_readfirstlane_b32 s15, v2
	v_cmp_lt_i64_e64 s[20:21], s[14:15], 1
	s_cselect_b64 s[22:23], -1, 0
	s_or_b64 s[20:21], s[22:23], s[20:21]
	s_mul_hi_u32 s16, s19, s7
	s_andn2_b64 vcc, exec, s[20:21]
	s_mov_b32 s7, s36
	s_cbranch_vccnz .LBB105_5
; %bb.4:
	s_not_b64 s[14:15], s[14:15]
	s_add_u32 s7, s14, s36
	s_addc_u32 s15, s15, 0
	s_lshr_b32 s14, s15, 31
	s_add_u32 s14, s7, s14
	s_addc_u32 s15, s15, 0
	s_lshr_b64 s[14:15], s[14:15], 1
	s_add_i32 s7, s14, 1
.LBB105_5:
	s_load_dwordx2 s[14:15], s[4:5], 0x144
                                        ; kill: killed $sgpr4 killed $sgpr5
	s_waitcnt lgkmcnt(0)
	v_writelane_b32 v50, s14, 2
	v_writelane_b32 v50, s15, 3
	s_load_dwordx2 s[14:15], s[4:5], 0xd8
	s_waitcnt lgkmcnt(0)
	v_writelane_b32 v50, s14, 4
	v_writelane_b32 v50, s15, 5
	s_load_dwordx2 s[14:15], s[4:5], 0x6c
	;; [unrolled: 4-line block ×3, first 2 shown]
	s_mul_hi_u32 s4, s19, s17
	s_waitcnt lgkmcnt(0)
	v_writelane_b32 v50, s14, 8
	v_writelane_b32 v50, s15, 9
	;; [unrolled: 1-line block ×3, first 2 shown]
	s_mul_hi_u32 s4, s19, s18
	v_writelane_b32 v50, s4, 11
	s_and_saveexec_b64 s[4:5], s[0:1]
	s_cbranch_execz .LBB105_7
; %bb.6:
	v_mov_b32_e32 v1, 0
	v_mov_b32_e32 v2, s36
	ds_write_b32 v1, v1 offset:4112
	ds_write_b64 v1, v[1:2] offset:4104
.LBB105_7:
	s_or_b64 exec, exec, s[4:5]
	s_mul_i32 s4, s16, s13
	s_sub_i32 s4, s19, s4
	s_add_i32 s5, s16, 1
	s_sub_i32 s14, s4, s13
	s_cmp_ge_u32 s4, s13
	s_cselect_b32 s5, s5, s16
	s_cselect_b32 s4, s14, s4
	s_add_i32 s14, s5, 1
	s_cmp_ge_u32 s4, s13
	s_cselect_b32 s4, s14, s5
	s_mul_i32 s5, s4, s13
	s_sub_i32 s5, s19, s5
	s_mul_i32 s5, s5, s9
	s_mul_i32 s4, s4, s8
	s_add_i32 s54, s4, s5
	s_mov_b32 s55, 0
	s_waitcnt lgkmcnt(0)
	s_barrier
	s_load_dword s8, s[10:11], 0xc
	s_lshl_b64 s[4:5], s[54:55], 1
	v_mul_lo_u32 v5, s38, v0
	s_add_u32 s43, s2, s4
	v_writelane_b32 v50, s19, 12
	s_addc_u32 s44, s3, s5
	v_cmp_gt_u32_e64 s[2:3], s36, v0
	v_mbcnt_lo_u32_b32 v1, -1, 0
	v_mov_b32_e32 v7, 0
	v_writelane_b32 v50, s2, 13
	v_mbcnt_hi_u32_b32 v21, -1, v1
	v_mov_b32_e32 v6, v7
	v_writelane_b32 v50, s3, 14
	s_waitcnt lgkmcnt(0)
	s_and_b32 s54, s8, 0xffff
	s_bfe_u32 s2, s8, 0xa0006
	v_cmp_gt_u32_e32 vcc, 64, v0
	v_cmp_gt_i32_e64 s[8:9], 4, v21
	v_lshlrev_b64 v[1:2], 1, v[5:6]
	s_and_b64 s[46:47], vcc, s[8:9]
	s_add_i32 s8, s54, -1
	s_lshl_b32 s45, s54, 2
	s_add_i32 s13, s8, s36
	v_mov_b32_e32 v3, s44
	v_add_co_u32_e32 v8, vcc, s43, v1
	s_cmpk_gt_u32 s36, 0x600
	v_addc_co_u32_e32 v9, vcc, v3, v2, vcc
	v_lshlrev_b64 v[2:3], v21, -1
	s_cselect_b64 s[48:49], -1, 0
	s_cmp_gt_u32 s54, 63
	s_cselect_b64 s[50:51], -1, 0
	v_not_b32_e32 v26, v2
	v_lshrrev_b32_e32 v2, 2, v0
	s_cmp_lt_u32 s6, s12
	v_and_b32_e32 v2, 0xf0, v2
	s_cselect_b32 s3, 12, 18
	v_or_b32_e32 v27, 0xc00, v2
	s_add_u32 s10, s10, s3
	v_add_u32_e32 v2, 2, v0
	s_addc_u32 s11, s11, 0
	v_max_u32_e32 v2, s36, v2
	v_writelane_b32 v50, s10, 15
	v_xad_u32 v2, v0, -1, v2
	v_not_b32_e32 v25, v3
	v_writelane_b32 v50, s11, 16
	v_add_u32_e32 v3, -2, v2
	v_cmp_lt_u32_e64 s[10:11], 31, v2
	v_lshrrev_b32_e32 v4, 1, v3
	v_writelane_b32 v50, s10, 17
	v_add_u32_e32 v4, 1, v4
	v_writelane_b32 v50, s11, 18
	v_cmp_lt_u32_e64 s[10:11], 13, v3
	v_and_b32_e32 v12, 7, v4
	v_writelane_b32 v50, s10, 19
	v_writelane_b32 v50, s11, 20
	v_cmp_ne_u32_e64 s[10:11], 0, v12
	v_and_b32_e32 v28, -2, v2
	v_writelane_b32 v50, s10, 21
	v_writelane_b32 v50, s11, 22
	v_cmp_ne_u32_e64 s[10:11], v2, v28
	v_cvt_f32_u32_e32 v2, s45
	s_add_i32 s3, s2, -1
	s_bfe_u32 s6, s54, 0x30006
	s_and_b32 s3, s3, 0xffff
	v_rcp_iflag_f32_e32 v2, v2
	v_writelane_b32 v50, s10, 23
	s_cmp_gt_u32 s3, 6
	v_writelane_b32 v50, s11, 24
	s_cselect_b64 s[10:11], -1, 0
	v_mul_f32_e32 v2, 0x4f7ffffe, v2
	v_writelane_b32 v50, s10, 25
	s_and_b32 s42, s2, 0x3f8
	v_cvt_u32_f32_e32 v2, v2
	v_writelane_b32 v50, s11, 26
	s_cmp_lg_u32 s6, 0
	v_writelane_b32 v50, s6, 27
	s_cselect_b64 s[2:3], -1, 0
	v_writelane_b32 v50, s2, 28
	v_writelane_b32 v50, s3, 29
	v_readfirstlane_b32 s3, v2
	v_cvt_f32_u32_e32 v2, s54
	s_sub_i32 s2, 0, s45
	s_mul_i32 s2, s2, s3
	s_mul_hi_u32 s2, s3, s2
	v_and_b32_e32 v30, -8, v4
	s_add_i32 s37, s3, s2
	v_rcp_iflag_f32_e32 v4, v2
	s_mul_hi_u32 s2, s36, s37
	s_mul_i32 s2, s2, s45
	s_sub_i32 s2, s36, s2
	s_sub_i32 s3, s2, s45
	v_mul_f32_e32 v4, 0x4f7ffffe, v4
	s_cmp_ge_u32 s2, s45
	v_cvt_u32_f32_e32 v4, v4
	s_cselect_b32 s2, s3, s2
	s_sub_i32 s3, s2, s45
	s_cmp_ge_u32 s2, s45
	s_cselect_b32 s6, s3, s2
	s_sub_i32 s3, 0, s54
	v_readfirstlane_b32 s10, v4
	s_mul_i32 s3, s3, s10
	s_mul_hi_u32 s3, s10, s3
	s_sub_i32 s2, s36, s6
	s_add_i32 s3, s10, s3
	v_add_u32_e32 v31, s2, v0
	s_mul_hi_u32 s10, s13, s3
	v_mul_lo_u32 v6, v31, s38
	s_mul_i32 s10, s10, s54
	s_sub_i32 s10, s13, s10
	s_sub_i32 s11, s10, s54
	s_cmp_ge_u32 s10, s54
	v_lshlrev_b64 v[2:3], 1, v[6:7]
	s_cselect_b32 s10, s11, s10
	v_lshlrev_b32_e32 v20, 2, v0
	s_sub_i32 s11, s10, s54
	v_add_co_u32_e32 v10, vcc, s43, v2
	s_cmp_ge_u32 s10, s54
	v_mul_lo_u32 v2, s38, v20
	s_cselect_b32 s10, s11, s10
	s_sub_i32 s52, s13, s10
	v_cmp_gt_u32_e64 s[10:11], s52, v0
	v_writelane_b32 v50, s10, 30
	v_add_u32_e32 v33, s38, v2
	v_or_b32_e32 v2, 2, v20
	v_writelane_b32 v50, s11, 31
	v_mul_lo_u32 v34, s38, v2
	v_or_b32_e32 v2, 3, v20
	s_add_i32 s10, s54, s36
	v_mul_lo_u32 v35, s38, v2
	v_add_u32_e32 v2, s10, v0
	v_subrev_u32_e32 v2, s6, v2
	v_mul_lo_u32 v37, s38, v2
	v_lshlrev_b32_e32 v22, 1, v0
	v_lshlrev_b32_e32 v1, 2, v21
	v_mov_b32_e32 v6, s44
	s_mul_i32 s39, s38, s54
	v_cmp_eq_u32_e64 s[4:5], 0, v21
	v_cmp_gt_u32_e64 s[24:25], 2, v0
	v_add_u32_e32 v23, 0xc00, v22
	v_and_b32_e32 v24, 0x100, v1
	v_add_u32_e32 v29, v0, v28
	s_mov_b32 s9, s38
	v_cmp_gt_u32_e64 s[16:17], s2, v20
	v_cmp_gt_u32_e64 s[18:19], s36, v31
	v_addc_co_u32_e32 v11, vcc, v6, v3, vcc
	v_lshlrev_b32_e32 v32, 2, v12
	s_lshl_b32 s53, s39, 2
	v_lshlrev_b32_e32 v36, 2, v5
	s_lshl_b32 s56, s54, 3
	s_lshl_b32 s57, s54, 1
	v_or_b32_e32 v39, 0xc00, v1
	s_mov_b64 s[60:61], 0
	s_mov_b32 s58, 0x8000
	s_mov_b32 s59, 0x5040100
	v_lshlrev_b32_e32 v40, 3, v0
	v_mov_b32_e32 v42, 14
	v_mov_b32_e32 v45, s7
	;; [unrolled: 1-line block ×6, first 2 shown]
                                        ; implicit-def: $sgpr62_sgpr63
                                        ; implicit-def: $sgpr66_sgpr67
                                        ; implicit-def: $sgpr64_sgpr65
                                        ; implicit-def: $sgpr70_sgpr71
                                        ; implicit-def: $sgpr72_sgpr73
                                        ; implicit-def: $sgpr68_sgpr69
	s_branch .LBB105_11
.LBB105_8:                              ;   in Loop: Header=BB105_11 Depth=1
	s_or_b64 exec, exec, s[12:13]
	s_and_b64 s[26:27], s[26:27], exec
	s_andn2_b64 s[30:31], s[30:31], exec
	s_andn2_b64 s[28:29], s[28:29], exec
	s_orn2_b64 s[22:23], s[22:23], exec
.LBB105_9:                              ;   in Loop: Header=BB105_11 Depth=1
	s_or_b64 exec, exec, s[10:11]
	s_andn2_b64 s[10:11], s[68:69], exec
	s_and_b64 s[12:13], s[26:27], exec
	s_or_b64 s[68:69], s[10:11], s[12:13]
	s_andn2_b64 s[10:11], s[72:73], exec
	s_and_b64 s[12:13], s[30:31], exec
	s_or_b64 s[72:73], s[10:11], s[12:13]
	;; [unrolled: 3-line block ×3, first 2 shown]
	s_orn2_b64 s[22:23], s[22:23], exec
.LBB105_10:                             ;   in Loop: Header=BB105_11 Depth=1
	s_or_b64 exec, exec, s[6:7]
	s_and_b64 s[6:7], exec, s[22:23]
	s_or_b64 s[60:61], s[6:7], s[60:61]
	s_andn2_b64 s[6:7], s[64:65], exec
	s_and_b64 s[10:11], s[68:69], exec
	s_or_b64 s[64:65], s[6:7], s[10:11]
	s_andn2_b64 s[6:7], s[66:67], exec
	s_and_b64 s[10:11], s[72:73], exec
	;; [unrolled: 3-line block ×3, first 2 shown]
	s_or_b64 s[62:63], s[6:7], s[10:11]
	s_mov_b32 s55, s34
	v_mov_b32_e32 v45, v4
	s_andn2_b64 exec, exec, s[60:61]
	s_cbranch_execz .LBB105_247
.LBB105_11:                             ; =>This Loop Header: Depth=1
                                        ;     Child Loop BB105_16 Depth 2
                                        ;     Child Loop BB105_37 Depth 2
	;; [unrolled: 1-line block ×18, first 2 shown]
	ds_read_b64 v[1:2], v7 offset:4104
	s_waitcnt lgkmcnt(0)
	v_readfirstlane_b32 s12, v1
	s_cmp_lg_u32 s12, 0
	s_cbranch_scc1 .LBB105_56
; %bb.12:                               ;   in Loop: Header=BB105_11 Depth=1
	s_and_b64 vcc, exec, s[48:49]
	s_cbranch_vccz .LBB105_24
; %bb.13:                               ;   in Loop: Header=BB105_11 Depth=1
	s_movk_i32 s6, 0x601
	v_cmp_gt_u32_e32 vcc, s6, v2
	s_mov_b64 s[26:27], 0
	s_mov_b64 s[6:7], 0
	s_cbranch_vccz .LBB105_25
; %bb.14:                               ;   in Loop: Header=BB105_11 Depth=1
	v_readlane_b32 s6, v50, 15
	v_readlane_b32 s7, v50, 16
	s_nop 4
	global_load_ushort v1, v7, s[6:7]
	global_load_ushort v3, v[8:9], off
	s_mov_b64 s[28:29], 0
	v_mov_b32_e32 v4, v0
	s_waitcnt vmcnt(1)
	v_add_u32_e32 v2, v0, v1
	v_mul_lo_u32 v6, s38, v2
	v_mul_lo_u32 v2, s38, v1
	s_branch .LBB105_16
.LBB105_15:                             ;   in Loop: Header=BB105_16 Depth=2
	s_or_b64 exec, exec, s[6:7]
	v_add_u32_e32 v6, v6, v2
	v_mov_b32_e32 v3, v12
	s_andn2_b64 exec, exec, s[28:29]
	s_cbranch_execz .LBB105_31
.LBB105_16:                             ;   Parent Loop BB105_11 Depth=1
                                        ; =>  This Inner Loop Header: Depth=2
	v_add_u32_e32 v4, v4, v1
	v_cmp_gt_u32_e64 s[6:7], s36, v4
	v_cmp_le_u32_e32 vcc, s36, v4
	s_waitcnt lgkmcnt(0)
	v_mov_b32_e32 v13, 0
	v_mov_b32_e32 v12, 0
	s_and_saveexec_b64 s[10:11], s[6:7]
	s_cbranch_execz .LBB105_18
; %bb.17:                               ;   in Loop: Header=BB105_16 Depth=2
	v_lshlrev_b64 v[14:15], 1, v[6:7]
	v_mov_b32_e32 v12, s44
	v_add_co_u32_e64 v14, s[6:7], s43, v14
	v_addc_co_u32_e64 v15, s[6:7], v12, v15, s[6:7]
	global_load_ushort v12, v[14:15], off
.LBB105_18:                             ;   in Loop: Header=BB105_16 Depth=2
	s_or_b64 exec, exec, s[10:11]
	s_waitcnt vmcnt(0)
	v_add_u32_sdwa v14, sext(v3), s58 dst_sel:DWORD dst_unused:UNUSED_PAD src0_sel:WORD_0 src1_sel:DWORD
	v_and_b32_e32 v14, v14, v43
	v_cmp_eq_u32_e64 s[22:23], v14, v38
	s_cmp_lg_u64 s[22:23], 0
	s_cselect_b64 s[6:7], -1, 0
	s_and_b64 s[6:7], s[4:5], s[6:7]
	s_and_saveexec_b64 s[10:11], s[6:7]
	s_cbranch_execz .LBB105_22
; %bb.19:                               ;   in Loop: Header=BB105_16 Depth=2
	s_mov_b64 s[14:15], exec
	v_mbcnt_lo_u32_b32 v13, s14, 0
	v_mbcnt_hi_u32_b32 v13, s15, v13
	s_bcnt1_i32_b64 s20, s[22:23]
	v_cmp_eq_u32_e64 s[6:7], 0, v13
                                        ; implicit-def: $vgpr14
	s_and_saveexec_b64 s[12:13], s[6:7]
; %bb.20:                               ;   in Loop: Header=BB105_16 Depth=2
	s_bcnt1_i32_b64 s6, s[14:15]
	s_mul_i32 s6, s20, s6
	v_mov_b32_e32 v14, s6
	ds_add_rtn_u32 v14, v7, v14 offset:4112
; %bb.21:                               ;   in Loop: Header=BB105_16 Depth=2
	s_or_b64 exec, exec, s[12:13]
	s_waitcnt lgkmcnt(0)
	v_readfirstlane_b32 s6, v14
	v_mov_b32_e32 v14, s6
	v_mad_u32_u24 v13, s20, v13, v14
.LBB105_22:                             ;   in Loop: Header=BB105_16 Depth=2
	s_or_b64 exec, exec, s[10:11]
	ds_bpermute_b32 v13, v24, v13
	s_and_b64 s[6:7], exec, vcc
	s_or_b64 s[28:29], s[6:7], s[28:29]
	s_and_saveexec_b64 s[6:7], s[22:23]
	s_cbranch_execz .LBB105_15
; %bb.23:                               ;   in Loop: Header=BB105_16 Depth=2
	v_and_b32_e32 v15, s22, v26
	v_and_b32_e32 v14, s23, v25
	v_bcnt_u32_b32 v15, v15, 0
	v_bcnt_u32_b32 v14, v14, v15
	v_lshlrev_b32_e32 v14, 1, v14
	s_waitcnt lgkmcnt(0)
	v_lshl_add_u32 v13, v13, 1, v14
	ds_write_b16 v13, v3
	s_branch .LBB105_15
.LBB105_24:                             ;   in Loop: Header=BB105_11 Depth=1
	s_mov_b64 s[26:27], -1
	s_mov_b64 s[6:7], 0
.LBB105_25:                             ;   in Loop: Header=BB105_11 Depth=1
	s_and_b64 vcc, exec, s[26:27]
	s_cbranch_vccz .LBB105_54
.LBB105_26:                             ;   in Loop: Header=BB105_11 Depth=1
	s_mov_b64 s[22:23], exec
	v_readlane_b32 s6, v50, 13
	v_readlane_b32 s7, v50, 14
	s_and_b64 s[6:7], s[22:23], s[6:7]
	s_mov_b64 exec, s[6:7]
	s_cbranch_execz .LBB105_51
; %bb.27:                               ;   in Loop: Header=BB105_11 Depth=1
	v_readlane_b32 s6, v50, 15
	v_readlane_b32 s7, v50, 16
	s_nop 4
	global_load_ushort v1, v7, s[6:7]
	global_load_ushort v16, v[8:9], off
	s_waitcnt vmcnt(1)
	v_add_u32_e32 v12, v0, v1
	v_readfirstlane_b32 s12, v1
	v_cmp_gt_u32_e32 vcc, s36, v12
	v_mov_b32_e32 v1, v0
	s_and_saveexec_b64 s[26:27], vcc
	s_cbranch_execz .LBB105_50
; %bb.28:                               ;   in Loop: Header=BB105_11 Depth=1
	s_mov_b64 s[6:7], 0
	s_mul_i32 s13, s38, s12
                                        ; implicit-def: $vgpr1
                                        ; implicit-def: $vgpr4
                                        ; implicit-def: $vgpr2
                                        ; implicit-def: $vgpr3
	s_mov_b64 s[10:11], exec
	v_readlane_b32 s14, v50, 17
	v_readlane_b32 s15, v50, 18
	s_and_b64 s[14:15], s[10:11], s[14:15]
	s_xor_b64 s[28:29], s[14:15], s[10:11]
	s_mov_b64 exec, s[14:15]
	s_cbranch_execnz .LBB105_34
; %bb.29:                               ;   in Loop: Header=BB105_11 Depth=1
	s_andn2_saveexec_b64 s[10:11], s[28:29]
	s_cbranch_execnz .LBB105_45
.LBB105_30:                             ;   in Loop: Header=BB105_11 Depth=1
	s_or_b64 exec, exec, s[10:11]
	s_and_saveexec_b64 s[10:11], s[6:7]
	s_cbranch_execnz .LBB105_46
	s_branch .LBB105_49
.LBB105_31:                             ;   in Loop: Header=BB105_11 Depth=1
	s_or_b64 exec, exec, s[28:29]
	s_waitcnt lgkmcnt(0)
	s_barrier
	s_and_saveexec_b64 s[6:7], s[0:1]
	s_cbranch_execz .LBB105_33
; %bb.32:                               ;   in Loop: Header=BB105_11 Depth=1
	ds_read_b32 v1, v7 offset:4112
	s_waitcnt lgkmcnt(0)
	ds_write_b32 v7, v1 offset:4104
.LBB105_33:                             ;   in Loop: Header=BB105_11 Depth=1
	s_or_b64 exec, exec, s[6:7]
	s_waitcnt lgkmcnt(0)
	s_barrier
	s_mov_b64 s[6:7], -1
	s_and_b64 vcc, exec, s[26:27]
	s_cbranch_vccnz .LBB105_26
	s_branch .LBB105_54
.LBB105_34:                             ;   in Loop: Header=BB105_11 Depth=1
	v_cvt_f32_u32_e32 v1, s12
	s_sub_i32 s7, 0, s12
	v_add_u32_e32 v3, s12, v12
	v_max_u32_e32 v3, s36, v3
	v_rcp_iflag_f32_e32 v1, v1
	s_lshl_b32 s6, s12, 1
	v_sub_u32_e32 v3, v3, v0
	v_cmp_ne_u32_e32 vcc, s6, v3
	v_mul_f32_e32 v1, 0x4f7ffffe, v1
	v_cvt_u32_f32_e32 v1, v1
	v_cndmask_b32_e64 v4, 0, 1, vcc
	v_or_b32_e32 v4, s6, v4
	v_sub_u32_e32 v3, v3, v4
	v_mul_lo_u32 v2, s7, v1
	s_not_b32 s6, s13
	s_ashr_i32 s14, s6, 31
	s_abs_i32 s10, s13
	v_mul_hi_u32 v2, v1, v2
	s_cmp_eq_u32 s12, 1
	v_add_u32_e32 v1, v1, v2
	v_mul_hi_u32 v1, v3, v1
	v_mul_lo_u32 v2, s38, v12
	v_mul_lo_u32 v4, v1, s12
	v_add_u32_e32 v6, 1, v1
	v_xor_b32_e32 v2, s14, v2
	v_sub_u32_e32 v3, v3, v4
	v_cmp_le_u32_e64 s[6:7], s12, v3
	v_subrev_u32_e32 v4, s12, v3
	v_cndmask_b32_e64 v1, v1, v6, s[6:7]
	v_cndmask_b32_e64 v3, v3, v4, s[6:7]
	v_add_u32_e32 v4, 1, v1
	v_cmp_le_u32_e64 s[6:7], s12, v3
	v_cndmask_b32_e64 v1, v1, v4, s[6:7]
	v_addc_co_u32_e32 v1, vcc, 0, v1, vcc
	v_mul_hi_u32 v3, s10, v1
	v_mul_lo_u32 v1, s10, v1
	s_cselect_b64 s[10:11], -1, 0
	v_cmp_eq_u32_e32 vcc, 0, v3
	v_cmp_le_u32_e64 s[6:7], v1, v2
	s_and_b64 s[10:11], vcc, s[10:11]
	s_and_b64 s[14:15], s[10:11], s[6:7]
	s_mov_b64 s[10:11], -1
	v_mov_b32_e32 v2, v0
                                        ; implicit-def: $vgpr1
	s_and_saveexec_b64 s[6:7], s[14:15]
	s_cbranch_execz .LBB105_44
; %bb.35:                               ;   in Loop: Header=BB105_11 Depth=1
	v_add_u32_e32 v13, 1, v12
	v_mov_b32_e32 v15, v13
	s_waitcnt vmcnt(0)
	v_lshlrev_b32_e32 v17, 16, v16
	v_mov_b32_e32 v1, 0
	v_mov_b32_e32 v14, v12
                                        ; implicit-def: $vgpr16
	s_mov_b64 s[30:31], exec
	v_readlane_b32 s10, v50, 19
	v_readlane_b32 s11, v50, 20
	s_and_b64 s[10:11], s[30:31], s[10:11]
	s_mov_b64 exec, s[10:11]
	s_cbranch_execz .LBB105_39
; %bb.36:                               ;   in Loop: Header=BB105_11 Depth=1
	v_mov_b32_e32 v15, v13
	s_mov_b32 s10, 0
	s_mov_b64 s[74:75], 0
	v_mov_b32_e32 v46, v30
	v_mov_b32_e32 v47, v22
	;; [unrolled: 1-line block ×3, first 2 shown]
.LBB105_37:                             ;   Parent Loop BB105_11 Depth=1
                                        ; =>  This Inner Loop Header: Depth=2
	v_mul_lo_u32 v6, v14, s38
	v_mul_lo_u32 v1, v15, s9
	v_mov_b32_e32 v13, s44
	v_add_u32_e32 v46, -8, v46
	v_lshlrev_b64 v[2:3], 1, v[6:7]
	s_add_i32 s10, s10, 16
	v_add_co_u32_e32 v18, vcc, s43, v2
	v_mov_b32_e32 v2, v7
	v_lshlrev_b64 v[1:2], 1, v[1:2]
	v_addc_co_u32_e32 v19, vcc, v13, v3, vcc
	v_add_co_u32_e32 v1, vcc, s43, v1
	v_addc_co_u32_e32 v2, vcc, v13, v2, vcc
	global_load_ushort v3, v[18:19], off
	s_nop 0
	global_load_ushort v18, v[1:2], off
	v_add_u32_e32 v2, 2, v15
	v_mul_lo_u32 v2, v2, s9
	s_waitcnt vmcnt(1)
	v_alignbit_b32 v1, v3, v17, 16
	v_add_u32_e32 v3, 2, v14
	v_mul_lo_u32 v6, v3, s38
	v_lshlrev_b64 v[3:4], 1, v[6:7]
	v_add_co_u32_e32 v16, vcc, s43, v3
	v_mov_b32_e32 v3, v7
	v_lshlrev_b64 v[2:3], 1, v[2:3]
	v_addc_co_u32_e32 v17, vcc, v13, v4, vcc
	v_add_co_u32_e32 v2, vcc, s43, v2
	v_addc_co_u32_e32 v3, vcc, v13, v3, vcc
	global_load_ushort v4, v[16:17], off
	global_load_ushort v19, v[2:3], off
	v_add_u32_e32 v3, 4, v15
	v_mul_lo_u32 v3, v3, s9
	s_waitcnt vmcnt(1)
	v_perm_b32 v2, v4, v18, s59
	v_add_u32_e32 v4, 4, v14
	v_mul_lo_u32 v6, v4, s38
	v_mov_b32_e32 v4, v7
	v_lshlrev_b64 v[3:4], 1, v[3:4]
	v_lshlrev_b64 v[16:17], 1, v[6:7]
	v_add_co_u32_e32 v16, vcc, s43, v16
	v_addc_co_u32_e32 v17, vcc, v13, v17, vcc
	v_add_co_u32_e32 v3, vcc, s43, v3
	v_addc_co_u32_e32 v4, vcc, v13, v4, vcc
	global_load_ushort v6, v[16:17], off
	s_nop 0
	global_load_ushort v4, v[3:4], off
	v_add_u32_e32 v16, 6, v15
	v_mul_lo_u32 v16, v16, s9
	s_waitcnt vmcnt(1)
	v_perm_b32 v3, v6, v19, s59
	v_add_u32_e32 v6, 6, v14
	v_mul_lo_u32 v6, v6, s38
	v_lshlrev_b64 v[17:18], 1, v[6:7]
	v_add_co_u32_e32 v48, vcc, s43, v17
	v_mov_b32_e32 v17, v7
	v_lshlrev_b64 v[16:17], 1, v[16:17]
	v_addc_co_u32_e32 v49, vcc, v13, v18, vcc
	v_add_co_u32_e32 v16, vcc, s43, v16
	v_addc_co_u32_e32 v17, vcc, v13, v17, vcc
	global_load_ushort v6, v[48:49], off
	global_load_ushort v18, v[16:17], off
	s_waitcnt vmcnt(1)
	v_perm_b32 v4, v6, v4, s59
	ds_write_b128 v47, v[1:4]
	v_add_u32_e32 v2, 8, v14
	v_mul_lo_u32 v6, v2, s38
	v_add_u32_e32 v1, 8, v15
	v_mul_lo_u32 v1, v1, s9
	v_lshlrev_b64 v[2:3], 1, v[6:7]
	v_add_co_u32_e32 v16, vcc, s43, v2
	v_mov_b32_e32 v2, v7
	v_lshlrev_b64 v[1:2], 1, v[1:2]
	v_addc_co_u32_e32 v17, vcc, v13, v3, vcc
	v_add_co_u32_e32 v1, vcc, s43, v1
	v_addc_co_u32_e32 v2, vcc, v13, v2, vcc
	global_load_ushort v3, v[16:17], off
	global_load_ushort v19, v[1:2], off
	v_add_u32_e32 v2, 10, v15
	v_mul_lo_u32 v2, v2, s9
	s_waitcnt vmcnt(1)
	v_perm_b32 v1, v3, v18, s59
	v_add_u32_e32 v3, 10, v14
	v_mul_lo_u32 v6, v3, s38
	v_lshlrev_b64 v[3:4], 1, v[6:7]
	v_add_co_u32_e32 v16, vcc, s43, v3
	v_mov_b32_e32 v3, v7
	v_lshlrev_b64 v[2:3], 1, v[2:3]
	v_addc_co_u32_e32 v17, vcc, v13, v4, vcc
	v_add_co_u32_e32 v2, vcc, s43, v2
	v_addc_co_u32_e32 v3, vcc, v13, v3, vcc
	global_load_ushort v4, v[16:17], off
	global_load_ushort v18, v[2:3], off
	v_add_u32_e32 v3, 12, v15
	v_mul_lo_u32 v3, v3, s9
	s_waitcnt vmcnt(1)
	v_perm_b32 v2, v4, v19, s59
	v_add_u32_e32 v4, 12, v14
	v_mul_lo_u32 v6, v4, s38
	v_mov_b32_e32 v4, v7
	v_lshlrev_b64 v[3:4], 1, v[3:4]
	v_mov_b32_e32 v19, v7
	v_lshlrev_b64 v[16:17], 1, v[6:7]
	v_add_co_u32_e32 v16, vcc, s43, v16
	v_addc_co_u32_e32 v17, vcc, v13, v17, vcc
	v_add_co_u32_e32 v3, vcc, s43, v3
	v_addc_co_u32_e32 v4, vcc, v13, v4, vcc
	global_load_ushort v6, v[16:17], off
	s_nop 0
	global_load_ushort v4, v[3:4], off
	v_add_u32_e32 v16, 14, v15
	v_add_u32_e32 v15, 16, v15
	s_waitcnt vmcnt(1)
	v_perm_b32 v3, v6, v18, s59
	v_add_u32_e32 v6, 14, v14
	v_mul_lo_u32 v6, v6, s38
	v_mul_lo_u32 v18, v16, s9
	v_add_u32_e32 v14, 16, v14
	v_lshlrev_b64 v[16:17], 1, v[6:7]
	v_lshlrev_b64 v[18:19], 1, v[18:19]
	v_add_co_u32_e32 v16, vcc, s43, v16
	v_addc_co_u32_e32 v17, vcc, v13, v17, vcc
	v_add_co_u32_e32 v18, vcc, s43, v18
	v_addc_co_u32_e32 v19, vcc, v13, v19, vcc
	global_load_ushort v6, v[16:17], off
	s_nop 0
	global_load_ushort v16, v[18:19], off
	v_cmp_eq_u32_e32 vcc, 0, v46
	s_or_b64 s[74:75], vcc, s[74:75]
	s_waitcnt vmcnt(1)
	v_perm_b32 v4, v6, v4, s59
	s_waitcnt vmcnt(0)
	v_perm_b32 v17, v16, v6, s59
	ds_write_b128 v47, v[1:4] offset:16
	v_add_u32_e32 v47, 32, v47
	v_mov_b32_e32 v1, s10
	s_andn2_b64 exec, exec, s[74:75]
	s_cbranch_execnz .LBB105_37
; %bb.38:                               ;   in Loop: Header=BB105_11 Depth=1
	s_or_b64 exec, exec, s[74:75]
.LBB105_39:                             ;   in Loop: Header=BB105_11 Depth=1
	s_or_b64 exec, exec, s[30:31]
	s_mov_b64 s[10:11], exec
	v_readlane_b32 s14, v50, 21
	v_readlane_b32 s15, v50, 22
	s_and_b64 s[14:15], s[10:11], s[14:15]
	s_mov_b64 exec, s[14:15]
	s_cbranch_execz .LBB105_43
; %bb.40:                               ;   in Loop: Header=BB105_11 Depth=1
	v_lshl_add_u32 v1, v1, 1, v22
	s_mov_b64 s[30:31], 0
	v_mov_b32_e32 v2, v32
.LBB105_41:                             ;   Parent Loop BB105_11 Depth=1
                                        ; =>  This Inner Loop Header: Depth=2
	v_mul_lo_u32 v6, v14, s38
	v_mul_lo_u32 v3, v15, s9
	v_mov_b32_e32 v4, v7
	v_mov_b32_e32 v13, s44
	v_lshlrev_b64 v[18:19], 1, v[6:7]
	v_lshlrev_b64 v[3:4], 1, v[3:4]
	v_add_co_u32_e32 v18, vcc, s43, v18
	v_addc_co_u32_e32 v19, vcc, v13, v19, vcc
	v_add_co_u32_e32 v3, vcc, s43, v3
	v_addc_co_u32_e32 v4, vcc, v13, v4, vcc
	global_load_ushort v6, v[18:19], off
	global_load_ushort v16, v[3:4], off
	v_add_u32_e32 v2, -4, v2
	v_cmp_eq_u32_e32 vcc, 0, v2
	v_add_u32_e32 v15, 2, v15
	v_add_u32_e32 v14, 2, v14
	s_or_b64 s[30:31], vcc, s[30:31]
	s_waitcnt vmcnt(1)
	v_alignbit_b32 v4, v6, v17, 16
	s_waitcnt vmcnt(0)
	v_perm_b32 v3, v16, v6, s59
	ds_write_b32 v1, v4
	v_add_u32_e32 v1, 4, v1
	v_mov_b32_e32 v17, v3
	s_andn2_b64 exec, exec, s[30:31]
	s_cbranch_execnz .LBB105_41
; %bb.42:                               ;   in Loop: Header=BB105_11 Depth=1
	s_or_b64 exec, exec, s[30:31]
.LBB105_43:                             ;   in Loop: Header=BB105_11 Depth=1
	s_or_b64 exec, exec, s[10:11]
	v_readlane_b32 s10, v50, 23
	v_add_u32_e32 v12, v12, v28
	v_readlane_b32 s11, v50, 24
	v_add_u32_e32 v1, -1, v12
	s_orn2_b64 s[10:11], s[10:11], exec
	v_mov_b32_e32 v2, v29
.LBB105_44:                             ;   in Loop: Header=BB105_11 Depth=1
	s_or_b64 exec, exec, s[6:7]
	v_mov_b32_e32 v3, s13
	s_and_b64 s[6:7], s[10:11], exec
	s_waitcnt vmcnt(0)
	v_mov_b32_e32 v4, v16
	s_andn2_saveexec_b64 s[10:11], s[28:29]
	s_cbranch_execz .LBB105_30
.LBB105_45:                             ;   in Loop: Header=BB105_11 Depth=1
	v_mov_b32_e32 v3, s13
	s_or_b64 s[6:7], s[6:7], exec
	s_waitcnt vmcnt(0)
	v_mov_b32_e32 v4, v16
	v_mov_b32_e32 v2, v0
	s_or_b64 exec, exec, s[10:11]
	s_and_saveexec_b64 s[10:11], s[6:7]
	s_cbranch_execz .LBB105_49
.LBB105_46:                             ;   in Loop: Header=BB105_11 Depth=1
	v_mul_lo_u32 v6, s38, v12
	s_sub_i32 s13, 0, s12
	s_mov_b64 s[6:7], 0
.LBB105_47:                             ;   Parent Loop BB105_11 Depth=1
                                        ; =>  This Inner Loop Header: Depth=2
	v_lshlrev_b64 v[13:14], 1, v[6:7]
	v_mov_b32_e32 v1, s44
	v_add_co_u32_e32 v13, vcc, s43, v13
	v_addc_co_u32_e32 v14, vcc, v1, v14, vcc
	global_load_ushort v16, v[13:14], off
	v_mov_b32_e32 v1, v12
	v_add_u32_e32 v12, s12, v1
	v_lshlrev_b32_e32 v2, 1, v2
	v_cmp_le_u32_e32 vcc, s36, v12
	v_add_u32_e32 v6, v6, v3
	ds_write_b16 v2, v4
	v_mov_b32_e32 v2, v1
	s_or_b64 s[6:7], vcc, s[6:7]
	s_waitcnt vmcnt(0)
	v_mov_b32_e32 v4, v16
	s_andn2_b64 exec, exec, s[6:7]
	s_cbranch_execnz .LBB105_47
; %bb.48:                               ;   in Loop: Header=BB105_11 Depth=1
	s_or_b64 exec, exec, s[6:7]
	v_add_u32_e32 v1, s13, v12
.LBB105_49:                             ;   in Loop: Header=BB105_11 Depth=1
	s_or_b64 exec, exec, s[10:11]
.LBB105_50:                             ;   in Loop: Header=BB105_11 Depth=1
	s_or_b64 exec, exec, s[26:27]
	v_lshlrev_b32_e32 v1, 1, v1
	s_waitcnt vmcnt(0)
	ds_write_b16 v1, v16
.LBB105_51:                             ;   in Loop: Header=BB105_11 Depth=1
	s_or_b64 exec, exec, s[22:23]
	s_waitcnt lgkmcnt(0)
	s_barrier
	s_and_saveexec_b64 s[6:7], s[0:1]
; %bb.52:                               ;   in Loop: Header=BB105_11 Depth=1
	v_mov_b32_e32 v1, s36
	ds_write_b32 v7, v1 offset:4104
; %bb.53:                               ;   in Loop: Header=BB105_11 Depth=1
	s_or_b64 exec, exec, s[6:7]
	s_mov_b64 s[6:7], -1
	s_waitcnt lgkmcnt(0)
	s_barrier
.LBB105_54:                             ;   in Loop: Header=BB105_11 Depth=1
	s_mov_b32 s12, 0
	s_and_b64 vcc, exec, s[6:7]
	s_cbranch_vccz .LBB105_56
; %bb.55:                               ;   in Loop: Header=BB105_11 Depth=1
	ds_read_b32 v1, v7 offset:4104
	s_waitcnt lgkmcnt(0)
	v_readfirstlane_b32 s12, v1
.LBB105_56:                             ;   in Loop: Header=BB105_11 Depth=1
	s_cmp_lt_i32 s12, 1
	s_mov_b64 s[6:7], -1
                                        ; implicit-def: $vgpr1
	s_cbranch_scc1 .LBB105_66
; %bb.57:                               ;   in Loop: Header=BB105_11 Depth=1
	s_and_b64 vcc, exec, s[6:7]
	s_cbranch_vccnz .LBB105_77
.LBB105_58:                             ;   in Loop: Header=BB105_11 Depth=1
	s_lshl_b32 s10, s55, 6
	s_and_saveexec_b64 s[6:7], s[4:5]
.LBB105_59:                             ;   in Loop: Header=BB105_11 Depth=1
	v_lshl_add_u32 v6, s10, 2, v27
	ds_write_b128 v6, v[1:4]
.LBB105_60:                             ;   in Loop: Header=BB105_11 Depth=1
	s_or_b64 exec, exec, s[6:7]
	s_waitcnt lgkmcnt(0)
	s_barrier
	s_and_saveexec_b64 s[6:7], s[46:47]
	s_cbranch_execz .LBB105_91
; %bb.61:                               ;   in Loop: Header=BB105_11 Depth=1
	s_andn2_b64 vcc, exec, s[50:51]
	v_mov_b32_e32 v1, 0
	s_cbranch_vccnz .LBB105_90
; %bb.62:                               ;   in Loop: Header=BB105_11 Depth=1
	v_readlane_b32 s12, v50, 25
	v_readlane_b32 s13, v50, 26
	s_andn2_b64 vcc, exec, s[12:13]
	s_cbranch_vccnz .LBB105_86
; %bb.63:                               ;   in Loop: Header=BB105_11 Depth=1
	v_lshl_add_u32 v2, s55, 8, v39
	s_mov_b32 s11, 0
	v_mov_b32_e32 v1, 0
.LBB105_64:                             ;   Parent Loop BB105_11 Depth=1
                                        ; =>  This Inner Loop Header: Depth=2
	ds_read2_b32 v[3:4], v2 offset1:4
	ds_read2_b32 v[12:13], v2 offset0:8 offset1:12
	ds_read2_b32 v[14:15], v2 offset0:16 offset1:20
	;; [unrolled: 1-line block ×3, first 2 shown]
	s_add_i32 s11, s11, 8
	s_waitcnt lgkmcnt(3)
	v_add3_u32 v1, v3, v1, v4
	s_waitcnt lgkmcnt(2)
	v_add3_u32 v1, v12, v1, v13
	;; [unrolled: 2-line block ×3, first 2 shown]
	v_add_u32_e32 v2, 0x80, v2
	s_cmp_eq_u32 s42, s11
	s_waitcnt lgkmcnt(0)
	v_add3_u32 v1, v16, v1, v17
	s_cbranch_scc0 .LBB105_64
; %bb.65:                               ;   in Loop: Header=BB105_11 Depth=1
	s_mov_b32 s11, s42
	s_branch .LBB105_87
.LBB105_66:                             ;   in Loop: Header=BB105_11 Depth=1
	v_mov_b32_e32 v1, 0
	v_mov_b32_e32 v2, 0
	;; [unrolled: 1-line block ×4, first 2 shown]
	s_and_saveexec_b64 s[30:31], s[16:17]
	s_cbranch_execz .LBB105_70
; %bb.67:                               ;   in Loop: Header=BB105_11 Depth=1
	s_mov_b32 s10, 0
	s_mov_b64 s[74:75], 0
	s_mov_b32 s11, 0
	s_mov_b32 s13, 0
	s_mov_b32 s14, 0
	s_mov_b32 s15, 0
	v_mov_b32_e32 v12, v20
.LBB105_68:                             ;   Parent Loop BB105_11 Depth=1
                                        ; =>  This Inner Loop Header: Depth=2
	v_add_u32_e32 v6, s10, v36
	v_lshlrev_b64 v[1:2], 1, v[6:7]
	v_mov_b32_e32 v3, s44
	v_add_co_u32_e32 v1, vcc, s43, v1
	v_addc_co_u32_e32 v2, vcc, v3, v2, vcc
	v_add_u32_e32 v6, s10, v33
	global_load_sshort v4, v[1:2], off
	v_lshlrev_b64 v[1:2], 1, v[6:7]
	v_add_u32_e32 v6, s10, v34
	v_add_co_u32_e32 v1, vcc, s43, v1
	v_addc_co_u32_e32 v2, vcc, v3, v2, vcc
	global_load_sshort v13, v[1:2], off
	v_lshlrev_b64 v[1:2], 1, v[6:7]
	v_add_u32_e32 v6, s10, v35
	v_add_co_u32_e32 v1, vcc, s43, v1
	v_addc_co_u32_e32 v2, vcc, v3, v2, vcc
	;; [unrolled: 5-line block ×3, first 2 shown]
	global_load_sshort v1, v[1:2], off
	s_add_i32 s10, s10, s53
	s_waitcnt vmcnt(3)
	v_add_u32_e32 v2, 0x8000, v4
	v_and_b32_e32 v6, v2, v43
	v_bfe_u32 v2, v2, v42, 2
	v_cmp_eq_u32_e32 vcc, v6, v38
	v_cmp_eq_u32_e64 s[28:29], 0, v2
	s_and_b64 s[20:21], vcc, s[28:29]
	s_waitcnt vmcnt(2)
	v_add_u32_e32 v3, 0x8000, v13
	v_and_b32_e32 v6, v3, v43
	v_bfe_u32 v3, v3, v42, 2
	v_cmp_eq_u32_e64 s[6:7], v6, v38
	v_cmp_eq_u32_e64 s[28:29], 0, v3
	s_and_b64 s[34:35], s[6:7], s[28:29]
	s_waitcnt vmcnt(1)
	v_add_u32_e32 v4, 0x8000, v14
	v_and_b32_e32 v6, v4, v43
	v_bfe_u32 v4, v4, v42, 2
	v_cmp_eq_u32_e64 s[22:23], v6, v38
	v_cmp_eq_u32_e64 s[28:29], 0, v4
	s_and_b64 s[40:41], s[22:23], s[28:29]
	s_waitcnt vmcnt(0)
	v_add_u32_e32 v1, 0x8000, v1
	v_and_b32_e32 v6, v1, v43
	v_bfe_u32 v1, v1, v42, 2
	v_cmp_eq_u32_e64 s[26:27], v6, v38
	v_cmp_eq_u32_e64 s[28:29], 0, v1
	v_cndmask_b32_e64 v6, 0, 1, s[20:21]
	s_and_b64 s[76:77], s[26:27], s[28:29]
	v_cmp_ne_u32_e64 s[28:29], 0, v6
	v_cndmask_b32_e64 v6, 0, 1, s[34:35]
	s_bcnt1_i32_b64 s20, s[28:29]
	v_cmp_ne_u32_e64 s[28:29], 0, v6
	v_cndmask_b32_e64 v6, 0, 1, s[40:41]
	s_bcnt1_i32_b64 s21, s[28:29]
	v_cmp_ne_u32_e64 s[28:29], 0, v6
	v_cndmask_b32_e64 v6, 0, 1, s[76:77]
	s_add_i32 s15, s15, s20
	s_bcnt1_i32_b64 s33, s[28:29]
	v_cmp_ne_u32_e64 s[28:29], 0, v6
	s_add_i32 s15, s15, s21
	s_bcnt1_i32_b64 s28, s[28:29]
	s_add_i32 s15, s15, s33
	s_add_i32 s15, s15, s28
	v_cmp_eq_u32_e64 s[28:29], 1, v2
	s_and_b64 s[20:21], vcc, s[28:29]
	v_cmp_eq_u32_e64 s[28:29], 1, v3
	s_and_b64 s[34:35], s[6:7], s[28:29]
	v_cmp_eq_u32_e64 s[28:29], 1, v4
	s_and_b64 s[40:41], s[22:23], s[28:29]
	v_cmp_eq_u32_e64 s[28:29], 1, v1
	v_cndmask_b32_e64 v6, 0, 1, s[20:21]
	s_and_b64 s[76:77], s[26:27], s[28:29]
	v_cmp_ne_u32_e64 s[28:29], 0, v6
	v_cndmask_b32_e64 v6, 0, 1, s[34:35]
	s_bcnt1_i32_b64 s20, s[28:29]
	v_cmp_ne_u32_e64 s[28:29], 0, v6
	v_cndmask_b32_e64 v6, 0, 1, s[40:41]
	s_bcnt1_i32_b64 s21, s[28:29]
	v_cmp_ne_u32_e64 s[28:29], 0, v6
	v_cndmask_b32_e64 v6, 0, 1, s[76:77]
	s_add_i32 s14, s14, s20
	s_bcnt1_i32_b64 s33, s[28:29]
	v_cmp_ne_u32_e64 s[28:29], 0, v6
	s_add_i32 s14, s14, s21
	s_bcnt1_i32_b64 s28, s[28:29]
	s_add_i32 s14, s14, s33
	s_add_i32 s14, s14, s28
	v_cmp_eq_u32_e64 s[28:29], 2, v2
	s_and_b64 s[20:21], vcc, s[28:29]
	v_cmp_eq_u32_e64 s[28:29], 2, v3
	s_and_b64 s[34:35], s[6:7], s[28:29]
	v_cmp_eq_u32_e64 s[28:29], 2, v4
	s_and_b64 s[40:41], s[22:23], s[28:29]
	v_cmp_eq_u32_e64 s[28:29], 2, v1
	v_cndmask_b32_e64 v6, 0, 1, s[20:21]
	s_and_b64 s[76:77], s[26:27], s[28:29]
	v_cmp_ne_u32_e64 s[28:29], 0, v6
	v_cndmask_b32_e64 v6, 0, 1, s[34:35]
	s_bcnt1_i32_b64 s20, s[28:29]
	v_cmp_ne_u32_e64 s[28:29], 0, v6
	v_cndmask_b32_e64 v6, 0, 1, s[40:41]
	s_bcnt1_i32_b64 s21, s[28:29]
	v_cmp_ne_u32_e64 s[28:29], 0, v6
	v_cndmask_b32_e64 v6, 0, 1, s[76:77]
	s_add_i32 s13, s13, s20
	s_bcnt1_i32_b64 s33, s[28:29]
	v_cmp_ne_u32_e64 s[28:29], 0, v6
	s_add_i32 s13, s13, s21
	s_bcnt1_i32_b64 s28, s[28:29]
	s_add_i32 s13, s13, s33
	s_add_i32 s13, s13, s28
	v_cmp_eq_u32_e64 s[28:29], 3, v2
	s_and_b64 s[20:21], vcc, s[28:29]
	v_cmp_eq_u32_e32 vcc, 3, v3
	s_and_b64 s[6:7], s[6:7], vcc
	v_cmp_eq_u32_e32 vcc, 3, v4
	s_and_b64 s[22:23], s[22:23], vcc
	v_cmp_eq_u32_e32 vcc, 3, v1
	v_cndmask_b32_e64 v1, 0, 1, s[20:21]
	s_and_b64 s[26:27], s[26:27], vcc
	v_cmp_ne_u32_e32 vcc, 0, v1
	v_cndmask_b32_e64 v1, 0, 1, s[6:7]
	s_bcnt1_i32_b64 s20, vcc
	v_cmp_ne_u32_e32 vcc, 0, v1
	v_cndmask_b32_e64 v1, 0, 1, s[22:23]
	s_bcnt1_i32_b64 s6, vcc
	v_cmp_ne_u32_e32 vcc, 0, v1
	v_cndmask_b32_e64 v1, 0, 1, s[26:27]
	s_add_i32 s11, s11, s20
	s_bcnt1_i32_b64 s7, vcc
	v_cmp_ne_u32_e32 vcc, 0, v1
	s_add_i32 s6, s11, s6
	s_bcnt1_i32_b64 s21, vcc
	s_add_i32 s6, s6, s7
	s_add_i32 s11, s6, s21
	v_cmp_le_u32_e32 vcc, s2, v12
	s_or_b64 s[74:75], vcc, s[74:75]
	v_mov_b32_e32 v1, s15
	v_mov_b32_e32 v2, s14
	;; [unrolled: 1-line block ×4, first 2 shown]
	s_andn2_b64 exec, exec, s[74:75]
	s_cbranch_execnz .LBB105_68
; %bb.69:                               ;   in Loop: Header=BB105_11 Depth=1
	s_or_b64 exec, exec, s[74:75]
.LBB105_70:                             ;   in Loop: Header=BB105_11 Depth=1
	s_or_b64 exec, exec, s[30:31]
	s_and_saveexec_b64 s[22:23], s[18:19]
	s_cbranch_execz .LBB105_76
; %bb.71:                               ;   in Loop: Header=BB105_11 Depth=1
	global_load_ushort v13, v[10:11], off
	s_mov_b64 s[26:27], 0
	v_mov_b32_e32 v6, v37
	v_mov_b32_e32 v12, v31
	s_branch .LBB105_73
.LBB105_72:                             ;   in Loop: Header=BB105_73 Depth=2
	s_or_b64 exec, exec, s[10:11]
	s_waitcnt vmcnt(0)
	v_add_u32_sdwa v13, sext(v13), s58 dst_sel:DWORD dst_unused:UNUSED_PAD src0_sel:WORD_0 src1_sel:DWORD
	s_and_b64 s[6:7], exec, vcc
	v_and_b32_e32 v15, v13, v43
	v_bfe_u32 v13, v13, v42, 2
	s_or_b64 s[26:27], s[6:7], s[26:27]
	v_cmp_eq_u32_e32 vcc, v15, v38
	v_cmp_eq_u32_e64 s[6:7], 0, v13
	s_and_b64 s[6:7], vcc, s[6:7]
	v_cndmask_b32_e64 v15, 0, 1, s[6:7]
	v_cmp_ne_u32_e64 s[6:7], 0, v15
	s_bcnt1_i32_b64 s6, s[6:7]
	v_add_u32_e32 v1, s6, v1
	v_cmp_eq_u32_e64 s[6:7], 1, v13
	s_and_b64 s[6:7], vcc, s[6:7]
	v_cndmask_b32_e64 v15, 0, 1, s[6:7]
	v_cmp_ne_u32_e64 s[6:7], 0, v15
	s_bcnt1_i32_b64 s6, s[6:7]
	v_add_u32_e32 v2, s6, v2
	;; [unrolled: 6-line block ×3, first 2 shown]
	v_cmp_eq_u32_e64 s[6:7], 3, v13
	s_and_b64 s[6:7], vcc, s[6:7]
	v_cndmask_b32_e64 v13, 0, 1, s[6:7]
	v_cmp_ne_u32_e32 vcc, 0, v13
	s_bcnt1_i32_b64 s6, vcc
	v_add_u32_e32 v4, s6, v4
	v_add_u32_e32 v6, s39, v6
	v_mov_b32_e32 v13, v14
	s_andn2_b64 exec, exec, s[26:27]
	s_cbranch_execz .LBB105_75
.LBB105_73:                             ;   Parent Loop BB105_11 Depth=1
                                        ; =>  This Inner Loop Header: Depth=2
	v_add_u32_e32 v12, s54, v12
	v_cmp_gt_u32_e64 s[6:7], s36, v12
	v_cmp_le_u32_e32 vcc, s36, v12
	v_mov_b32_e32 v14, 0
	s_and_saveexec_b64 s[10:11], s[6:7]
	s_cbranch_execz .LBB105_72
; %bb.74:                               ;   in Loop: Header=BB105_73 Depth=2
	v_lshlrev_b64 v[14:15], 1, v[6:7]
	v_mov_b32_e32 v16, s44
	v_add_co_u32_e64 v14, s[6:7], s43, v14
	v_addc_co_u32_e64 v15, s[6:7], v16, v15, s[6:7]
	global_load_ushort v14, v[14:15], off
	s_branch .LBB105_72
.LBB105_75:                             ;   in Loop: Header=BB105_11 Depth=1
	s_or_b64 exec, exec, s[26:27]
.LBB105_76:                             ;   in Loop: Header=BB105_11 Depth=1
	s_or_b64 exec, exec, s[22:23]
	s_branch .LBB105_58
.LBB105_77:                             ;   in Loop: Header=BB105_11 Depth=1
	s_mul_hi_u32 s6, s12, s37
	s_mul_i32 s6, s6, s45
	s_sub_i32 s6, s12, s6
	s_sub_i32 s7, s6, s45
	s_cmp_ge_u32 s6, s45
	s_cselect_b32 s6, s7, s6
	s_sub_i32 s7, s6, s45
	s_cmp_ge_u32 s6, s45
	s_cselect_b32 s6, s7, s6
	s_sub_i32 s10, s12, s6
	v_cmp_gt_u32_e32 vcc, s10, v20
	v_mov_b32_e32 v1, 0
	v_mov_b32_e32 v2, 0
	;; [unrolled: 1-line block ×4, first 2 shown]
	s_and_saveexec_b64 s[30:31], vcc
	s_cbranch_execz .LBB105_81
; %bb.78:                               ;   in Loop: Header=BB105_11 Depth=1
	s_mov_b32 s11, 0
	s_mov_b64 s[74:75], 0
	v_mov_b32_e32 v6, v40
	s_mov_b32 s13, 0
	s_mov_b32 s14, 0
	;; [unrolled: 1-line block ×3, first 2 shown]
	v_mov_b32_e32 v12, v20
.LBB105_79:                             ;   Parent Loop BB105_11 Depth=1
                                        ; =>  This Inner Loop Header: Depth=2
	ds_read_b64 v[1:2], v6
	v_add_u32_e32 v12, s45, v12
	v_add_u32_e32 v6, s56, v6
	s_waitcnt lgkmcnt(0)
	v_add_u32_sdwa v3, sext(v1), s58 dst_sel:DWORD dst_unused:UNUSED_PAD src0_sel:WORD_0 src1_sel:DWORD
	v_add_u32_sdwa v1, sext(v1), s58 dst_sel:DWORD dst_unused:UNUSED_PAD src0_sel:WORD_1 src1_sel:DWORD
	v_and_b32_e32 v13, v3, v43
	v_bfe_u32 v3, v3, v42, 2
	v_add_u32_sdwa v4, sext(v2), s58 dst_sel:DWORD dst_unused:UNUSED_PAD src0_sel:WORD_0 src1_sel:DWORD
	v_cmp_eq_u32_e32 vcc, v13, v38
	v_and_b32_e32 v13, v1, v43
	v_bfe_u32 v1, v1, v42, 2
	v_cmp_eq_u32_e64 s[28:29], 0, v3
	v_add_u32_sdwa v2, sext(v2), s58 dst_sel:DWORD dst_unused:UNUSED_PAD src0_sel:WORD_1 src1_sel:DWORD
	v_cmp_eq_u32_e64 s[6:7], v13, v38
	v_and_b32_e32 v13, v4, v43
	v_bfe_u32 v4, v4, v42, 2
	s_and_b64 s[20:21], vcc, s[28:29]
	v_cmp_eq_u32_e64 s[28:29], 0, v1
	v_cmp_eq_u32_e64 s[22:23], v13, v38
	v_and_b32_e32 v13, v2, v43
	v_bfe_u32 v2, v2, v42, 2
	s_and_b64 s[34:35], s[6:7], s[28:29]
	v_cmp_eq_u32_e64 s[28:29], 0, v4
	v_cmp_eq_u32_e64 s[26:27], v13, v38
	s_and_b64 s[40:41], s[22:23], s[28:29]
	v_cmp_eq_u32_e64 s[28:29], 0, v2
	v_cndmask_b32_e64 v13, 0, 1, s[20:21]
	s_and_b64 s[76:77], s[26:27], s[28:29]
	v_cmp_ne_u32_e64 s[28:29], 0, v13
	v_cndmask_b32_e64 v13, 0, 1, s[34:35]
	s_bcnt1_i32_b64 s20, s[28:29]
	v_cmp_ne_u32_e64 s[28:29], 0, v13
	v_cndmask_b32_e64 v13, 0, 1, s[40:41]
	s_bcnt1_i32_b64 s21, s[28:29]
	v_cmp_ne_u32_e64 s[28:29], 0, v13
	v_cndmask_b32_e64 v13, 0, 1, s[76:77]
	s_add_i32 s15, s15, s20
	s_bcnt1_i32_b64 s33, s[28:29]
	v_cmp_ne_u32_e64 s[28:29], 0, v13
	s_add_i32 s15, s15, s21
	s_bcnt1_i32_b64 s28, s[28:29]
	s_add_i32 s15, s15, s33
	s_add_i32 s15, s15, s28
	v_cmp_eq_u32_e64 s[28:29], 1, v3
	s_and_b64 s[20:21], vcc, s[28:29]
	v_cmp_eq_u32_e64 s[28:29], 1, v1
	s_and_b64 s[34:35], s[6:7], s[28:29]
	v_cmp_eq_u32_e64 s[28:29], 1, v4
	s_and_b64 s[40:41], s[22:23], s[28:29]
	v_cmp_eq_u32_e64 s[28:29], 1, v2
	v_cndmask_b32_e64 v13, 0, 1, s[20:21]
	s_and_b64 s[76:77], s[26:27], s[28:29]
	v_cmp_ne_u32_e64 s[28:29], 0, v13
	v_cndmask_b32_e64 v13, 0, 1, s[34:35]
	s_bcnt1_i32_b64 s20, s[28:29]
	v_cmp_ne_u32_e64 s[28:29], 0, v13
	v_cndmask_b32_e64 v13, 0, 1, s[40:41]
	s_bcnt1_i32_b64 s21, s[28:29]
	v_cmp_ne_u32_e64 s[28:29], 0, v13
	v_cndmask_b32_e64 v13, 0, 1, s[76:77]
	s_add_i32 s14, s14, s20
	s_bcnt1_i32_b64 s33, s[28:29]
	v_cmp_ne_u32_e64 s[28:29], 0, v13
	s_add_i32 s14, s14, s21
	s_bcnt1_i32_b64 s28, s[28:29]
	s_add_i32 s14, s14, s33
	s_add_i32 s14, s14, s28
	v_cmp_eq_u32_e64 s[28:29], 2, v3
	s_and_b64 s[20:21], vcc, s[28:29]
	v_cmp_eq_u32_e64 s[28:29], 2, v1
	s_and_b64 s[34:35], s[6:7], s[28:29]
	v_cmp_eq_u32_e64 s[28:29], 2, v4
	s_and_b64 s[40:41], s[22:23], s[28:29]
	v_cmp_eq_u32_e64 s[28:29], 2, v2
	v_cndmask_b32_e64 v13, 0, 1, s[20:21]
	s_and_b64 s[76:77], s[26:27], s[28:29]
	v_cmp_ne_u32_e64 s[28:29], 0, v13
	v_cndmask_b32_e64 v13, 0, 1, s[34:35]
	s_bcnt1_i32_b64 s20, s[28:29]
	v_cmp_ne_u32_e64 s[28:29], 0, v13
	v_cndmask_b32_e64 v13, 0, 1, s[40:41]
	s_bcnt1_i32_b64 s21, s[28:29]
	v_cmp_ne_u32_e64 s[28:29], 0, v13
	v_cndmask_b32_e64 v13, 0, 1, s[76:77]
	s_add_i32 s13, s13, s20
	s_bcnt1_i32_b64 s33, s[28:29]
	v_cmp_ne_u32_e64 s[28:29], 0, v13
	s_add_i32 s13, s13, s21
	s_bcnt1_i32_b64 s28, s[28:29]
	s_add_i32 s13, s13, s33
	s_add_i32 s13, s13, s28
	v_cmp_eq_u32_e64 s[28:29], 3, v3
	s_and_b64 s[20:21], vcc, s[28:29]
	v_cmp_eq_u32_e32 vcc, 3, v1
	s_and_b64 s[6:7], s[6:7], vcc
	v_cmp_eq_u32_e32 vcc, 3, v4
	s_and_b64 s[22:23], s[22:23], vcc
	v_cmp_eq_u32_e32 vcc, 3, v2
	v_cndmask_b32_e64 v1, 0, 1, s[20:21]
	s_and_b64 s[26:27], s[26:27], vcc
	v_cmp_ne_u32_e32 vcc, 0, v1
	v_cndmask_b32_e64 v1, 0, 1, s[6:7]
	s_bcnt1_i32_b64 s20, vcc
	v_cmp_ne_u32_e32 vcc, 0, v1
	v_cndmask_b32_e64 v1, 0, 1, s[22:23]
	s_bcnt1_i32_b64 s6, vcc
	v_cmp_ne_u32_e32 vcc, 0, v1
	v_cndmask_b32_e64 v1, 0, 1, s[26:27]
	s_add_i32 s11, s11, s20
	s_bcnt1_i32_b64 s7, vcc
	v_cmp_ne_u32_e32 vcc, 0, v1
	s_add_i32 s6, s11, s6
	s_bcnt1_i32_b64 s21, vcc
	s_add_i32 s6, s6, s7
	s_add_i32 s11, s6, s21
	v_cmp_le_u32_e32 vcc, s10, v12
	s_or_b64 s[74:75], vcc, s[74:75]
	v_mov_b32_e32 v1, s15
	v_mov_b32_e32 v2, s14
	;; [unrolled: 1-line block ×4, first 2 shown]
	s_andn2_b64 exec, exec, s[74:75]
	s_cbranch_execnz .LBB105_79
; %bb.80:                               ;   in Loop: Header=BB105_11 Depth=1
	s_or_b64 exec, exec, s[74:75]
.LBB105_81:                             ;   in Loop: Header=BB105_11 Depth=1
	s_or_b64 exec, exec, s[30:31]
	v_add_u32_e32 v6, s10, v0
	v_cmp_gt_u32_e32 vcc, s12, v6
	s_and_saveexec_b64 s[34:35], vcc
	s_cbranch_execz .LBB105_85
; %bb.82:                               ;   in Loop: Header=BB105_11 Depth=1
	v_lshlrev_b32_e32 v12, 1, v6
	s_mov_b64 s[40:41], 0
.LBB105_83:                             ;   Parent Loop BB105_11 Depth=1
                                        ; =>  This Inner Loop Header: Depth=2
	ds_read_i16 v13, v12
	v_add_u32_e32 v6, s54, v6
	v_cmp_le_u32_e32 vcc, s12, v6
	v_add_u32_e32 v12, s57, v12
	s_waitcnt lgkmcnt(0)
	v_add_u32_e32 v13, 0x8000, v13
	v_and_b32_e32 v14, v13, v43
	v_bfe_u32 v13, v13, v42, 2
	v_cmp_eq_u32_e64 s[6:7], v14, v38
	v_cmp_eq_u32_e64 s[22:23], 0, v13
	;; [unrolled: 1-line block ×3, first 2 shown]
	s_and_b64 s[10:11], s[6:7], s[22:23]
	v_cmp_eq_u32_e64 s[28:29], 2, v13
	v_cmp_eq_u32_e64 s[30:31], 3, v13
	v_cndmask_b32_e64 v13, 0, 1, s[10:11]
	s_and_b64 s[10:11], s[6:7], s[26:27]
	v_cndmask_b32_e64 v14, 0, 1, s[10:11]
	s_and_b64 s[10:11], s[6:7], s[28:29]
	s_and_b64 s[6:7], s[6:7], s[30:31]
	v_cndmask_b32_e64 v15, 0, 1, s[10:11]
	v_cndmask_b32_e64 v16, 0, 1, s[6:7]
	v_cmp_ne_u32_e64 s[6:7], 0, v13
	v_cmp_ne_u32_e64 s[22:23], 0, v14
	;; [unrolled: 1-line block ×4, first 2 shown]
	s_bcnt1_i32_b64 s6, s[6:7]
	s_bcnt1_i32_b64 s7, s[22:23]
	;; [unrolled: 1-line block ×4, first 2 shown]
	v_add_u32_e32 v1, s6, v1
	v_add_u32_e32 v2, s7, v2
	;; [unrolled: 1-line block ×3, first 2 shown]
	s_or_b64 s[40:41], vcc, s[40:41]
	v_add_u32_e32 v4, s11, v4
	s_andn2_b64 exec, exec, s[40:41]
	s_cbranch_execnz .LBB105_83
; %bb.84:                               ;   in Loop: Header=BB105_11 Depth=1
	s_or_b64 exec, exec, s[40:41]
.LBB105_85:                             ;   in Loop: Header=BB105_11 Depth=1
	s_or_b64 exec, exec, s[34:35]
	s_lshl_b32 s10, s55, 6
	s_and_saveexec_b64 s[6:7], s[4:5]
	s_cbranch_execnz .LBB105_59
	s_branch .LBB105_60
.LBB105_86:                             ;   in Loop: Header=BB105_11 Depth=1
	v_mov_b32_e32 v1, 0
	s_mov_b32 s11, 0
.LBB105_87:                             ;   in Loop: Header=BB105_11 Depth=1
	v_readlane_b32 s12, v50, 28
	v_readlane_b32 s13, v50, 29
	s_andn2_b64 vcc, exec, s[12:13]
	s_cbranch_vccnz .LBB105_90
; %bb.88:                               ;   in Loop: Header=BB105_11 Depth=1
	s_lshl_b32 s12, s55, 8
	s_lshl_b32 s11, s11, 4
	s_add_i32 s12, s12, s11
	v_add_u32_e32 v2, s12, v39
	v_readlane_b32 s11, v50, 27
.LBB105_89:                             ;   Parent Loop BB105_11 Depth=1
                                        ; =>  This Inner Loop Header: Depth=2
	ds_read_b32 v3, v2
	s_add_i32 s11, s11, -1
	v_add_u32_e32 v2, 16, v2
	s_cmp_lg_u32 s11, 0
	s_waitcnt lgkmcnt(0)
	v_add_u32_e32 v1, v3, v1
	s_cbranch_scc1 .LBB105_89
.LBB105_90:                             ;   in Loop: Header=BB105_11 Depth=1
	v_add_lshl_u32 v2, s10, v21, 2
	ds_write_b32 v2, v1 offset:3072
.LBB105_91:                             ;   in Loop: Header=BB105_11 Depth=1
	s_or_b64 exec, exec, s[6:7]
	s_lshl_b32 s6, s10, 2
	v_mov_b32_e32 v1, s6
	s_waitcnt lgkmcnt(0)
	s_barrier
	ds_read_b128 v[1:4], v1 offset:3072
	v_cmp_eq_u32_e32 vcc, 1, v45
	s_mov_b64 s[22:23], -1
	s_mov_b64 s[10:11], -1
                                        ; implicit-def: $sgpr30_sgpr31
                                        ; implicit-def: $sgpr28_sgpr29
	s_waitcnt lgkmcnt(0)
	v_readfirstlane_b32 s78, v1
	s_cmp_eq_u32 s78, 1
	v_lshlrev_b32_e64 v1, v42, 3
	s_cselect_b64 s[6:7], -1, 0
	v_readfirstlane_b32 s15, v2
	v_readfirstlane_b32 s14, v3
	;; [unrolled: 1-line block ×3, first 2 shown]
	v_not_b32_e32 v3, v1
	s_and_b64 s[26:27], s[6:7], vcc
	s_and_saveexec_b64 s[6:7], s[26:27]
	s_cbranch_execz .LBB105_117
; %bb.92:                               ;   in Loop: Header=BB105_11 Depth=1
	ds_read_b32 v2, v7 offset:4104
	s_waitcnt lgkmcnt(0)
	s_barrier
	v_readfirstlane_b32 s20, v2
	s_and_saveexec_b64 s[10:11], s[24:25]
; %bb.93:                               ;   in Loop: Header=BB105_11 Depth=1
	ds_write_b16 v23, v7
; %bb.94:                               ;   in Loop: Header=BB105_11 Depth=1
	s_or_b64 exec, exec, s[10:11]
	v_and_b32_e32 v38, v38, v3
	v_or_b32_e32 v43, v43, v1
	s_mov_b64 s[28:29], -1
	s_mov_b64 s[30:31], 0
	s_cmp_eq_u32 s20, 0
	s_mov_b64 s[74:75], 0
	s_mov_b64 s[76:77], -1
	s_waitcnt lgkmcnt(0)
	s_barrier
                                        ; implicit-def: $vgpr44
	s_cbranch_scc1 .LBB105_105
; %bb.95:                               ;   in Loop: Header=BB105_11 Depth=1
	s_add_i32 s10, s20, s8
	s_mul_hi_u32 s11, s10, s3
	s_mul_i32 s11, s11, s54
	s_sub_i32 s11, s10, s11
	s_sub_i32 s12, s11, s54
	s_cmp_ge_u32 s11, s54
	s_cselect_b32 s11, s12, s11
	s_sub_i32 s12, s11, s54
	s_cmp_ge_u32 s11, s54
	s_cselect_b32 s11, s12, s11
	s_sub_i32 s21, s10, s11
	v_cmp_gt_u32_e32 vcc, s21, v0
	s_mov_b64 s[76:77], 0
                                        ; implicit-def: $vgpr44
	s_and_saveexec_b64 s[34:35], vcc
	s_cbranch_execz .LBB105_104
; %bb.96:                               ;   in Loop: Header=BB105_11 Depth=1
	s_mov_b64 s[40:41], 0
	v_mov_b32_e32 v2, v22
	v_mov_b32_e32 v4, v0
                                        ; implicit-def: $sgpr10_sgpr11
	s_branch .LBB105_99
.LBB105_97:                             ;   in Loop: Header=BB105_99 Depth=2
	s_or_b64 exec, exec, s[12:13]
	s_waitcnt lgkmcnt(0)
	s_barrier
	ds_read_b32 v6, v7 offset:3072
	s_mov_b64 s[12:13], -1
	s_waitcnt lgkmcnt(0)
	s_barrier
	v_cmp_ne_u32_sdwa s[74:75], v6, v7 src0_sel:WORD_0 src1_sel:DWORD
	s_and_b64 vcc, exec, s[74:75]
	s_mov_b64 s[74:75], -1
	s_cbranch_vccz .LBB105_102
.LBB105_98:                             ;   in Loop: Header=BB105_99 Depth=2
	s_and_b64 s[12:13], exec, s[12:13]
	s_or_b64 s[40:41], s[12:13], s[40:41]
	s_andn2_b64 s[10:11], s[10:11], exec
	s_and_b64 s[12:13], s[74:75], exec
	s_or_b64 s[10:11], s[10:11], s[12:13]
	s_andn2_b64 exec, exec, s[40:41]
	s_cbranch_execz .LBB105_103
.LBB105_99:                             ;   Parent Loop BB105_11 Depth=1
                                        ; =>  This Inner Loop Header: Depth=2
	v_cmp_gt_u32_e32 vcc, s20, v4
	s_and_saveexec_b64 s[12:13], vcc
	s_cbranch_execz .LBB105_97
; %bb.100:                              ;   in Loop: Header=BB105_99 Depth=2
	ds_read_u16 v6, v2
	s_waitcnt lgkmcnt(0)
	v_add_u32_sdwa v12, sext(v6), s58 dst_sel:DWORD dst_unused:UNUSED_PAD src0_sel:WORD_0 src1_sel:DWORD
	v_and_b32_e32 v12, v12, v43
	v_cmp_eq_u32_e32 vcc, v12, v38
	s_and_b64 exec, exec, vcc
	s_cbranch_execz .LBB105_97
; %bb.101:                              ;   in Loop: Header=BB105_99 Depth=2
	v_perm_b32 v6, v6, 1, v41
	ds_write_b32 v7, v6 offset:3072
	s_branch .LBB105_97
.LBB105_102:                            ;   in Loop: Header=BB105_99 Depth=2
	v_add_u32_e32 v4, s54, v4
	v_cmp_le_u32_e32 vcc, s21, v4
	v_add_u32_e32 v2, s57, v2
	s_mov_b64 s[74:75], 0
	s_orn2_b64 s[12:13], vcc, exec
	s_branch .LBB105_98
.LBB105_103:                            ;   in Loop: Header=BB105_11 Depth=1
	s_or_b64 exec, exec, s[40:41]
	v_lshrrev_b32_e32 v44, 16, v6
	s_and_b64 s[74:75], s[10:11], exec
.LBB105_104:                            ;   in Loop: Header=BB105_11 Depth=1
	s_or_b64 exec, exec, s[34:35]
.LBB105_105:                            ;   in Loop: Header=BB105_11 Depth=1
	s_and_b64 vcc, exec, s[76:77]
	s_cbranch_vccz .LBB105_116
; %bb.106:                              ;   in Loop: Header=BB105_11 Depth=1
                                        ; implicit-def: $vgpr44
	s_mov_b64 s[28:29], exec
	v_readlane_b32 s10, v50, 30
	v_readlane_b32 s11, v50, 31
	s_and_b64 s[10:11], s[28:29], s[10:11]
	s_mov_b64 exec, s[10:11]
	s_cbranch_execz .LBB105_115
; %bb.107:                              ;   in Loop: Header=BB105_11 Depth=1
	s_mov_b64 s[30:31], 0
	v_mov_b32_e32 v6, v5
	v_mov_b32_e32 v2, v0
                                        ; implicit-def: $sgpr34_sgpr35
	s_branch .LBB105_110
.LBB105_108:                            ;   in Loop: Header=BB105_110 Depth=2
	s_or_b64 exec, exec, s[10:11]
	s_waitcnt lgkmcnt(0)
	s_barrier
	ds_read_b32 v4, v7 offset:3072
	s_mov_b64 s[10:11], -1
	s_waitcnt lgkmcnt(0)
	s_barrier
	v_cmp_ne_u32_sdwa s[12:13], v4, v7 src0_sel:WORD_0 src1_sel:DWORD
	s_and_b64 vcc, exec, s[12:13]
	s_mov_b64 s[12:13], -1
	s_cbranch_vccz .LBB105_113
.LBB105_109:                            ;   in Loop: Header=BB105_110 Depth=2
	s_and_b64 s[10:11], exec, s[10:11]
	s_or_b64 s[30:31], s[10:11], s[30:31]
	s_andn2_b64 s[10:11], s[34:35], exec
	s_and_b64 s[12:13], s[12:13], exec
	s_or_b64 s[34:35], s[10:11], s[12:13]
	s_andn2_b64 exec, exec, s[30:31]
	s_cbranch_execz .LBB105_114
.LBB105_110:                            ;   Parent Loop BB105_11 Depth=1
                                        ; =>  This Inner Loop Header: Depth=2
	v_cmp_gt_u32_e32 vcc, s36, v2
	s_and_saveexec_b64 s[10:11], vcc
	s_cbranch_execz .LBB105_108
; %bb.111:                              ;   in Loop: Header=BB105_110 Depth=2
	v_lshlrev_b64 v[12:13], 1, v[6:7]
	v_mov_b32_e32 v4, s44
	v_add_co_u32_e32 v12, vcc, s43, v12
	v_addc_co_u32_e32 v13, vcc, v4, v13, vcc
	global_load_ushort v4, v[12:13], off
	s_waitcnt vmcnt(0)
	v_add_u32_sdwa v12, sext(v4), s58 dst_sel:DWORD dst_unused:UNUSED_PAD src0_sel:WORD_0 src1_sel:DWORD
	v_and_b32_e32 v12, v12, v43
	v_cmp_eq_u32_e32 vcc, v12, v38
	s_and_b64 exec, exec, vcc
	s_cbranch_execz .LBB105_108
; %bb.112:                              ;   in Loop: Header=BB105_110 Depth=2
	v_perm_b32 v4, v4, 1, v41
	ds_write_b32 v7, v4 offset:3072
	s_branch .LBB105_108
.LBB105_113:                            ;   in Loop: Header=BB105_110 Depth=2
	v_add_u32_e32 v2, s54, v2
	v_cmp_le_u32_e32 vcc, s52, v2
	v_add_u32_e32 v6, s39, v6
	s_mov_b64 s[12:13], 0
	s_orn2_b64 s[10:11], vcc, exec
	s_branch .LBB105_109
.LBB105_114:                            ;   in Loop: Header=BB105_11 Depth=1
	s_or_b64 exec, exec, s[30:31]
	s_andn2_b64 s[10:11], s[74:75], exec
	s_and_b64 s[12:13], s[34:35], exec
	v_lshrrev_b32_e32 v44, 16, v4
	s_or_b64 s[74:75], s[10:11], s[12:13]
.LBB105_115:                            ;   in Loop: Header=BB105_11 Depth=1
	s_or_b64 exec, exec, s[28:29]
	s_mov_b64 s[28:29], 0
	s_mov_b64 s[30:31], -1
.LBB105_116:                            ;   in Loop: Header=BB105_11 Depth=1
	s_orn2_b64 s[10:11], s[74:75], exec
.LBB105_117:                            ;   in Loop: Header=BB105_11 Depth=1
	s_or_b64 exec, exec, s[6:7]
	s_andn2_b64 s[6:7], s[72:73], exec
	s_and_b64 s[12:13], s[30:31], exec
	s_or_b64 s[72:73], s[6:7], s[12:13]
	s_andn2_b64 s[6:7], s[70:71], exec
	s_and_b64 s[12:13], s[28:29], exec
	v_readfirstlane_b32 s34, v0
	s_andn2_b64 s[68:69], s[68:69], exec
	s_or_b64 s[70:71], s[6:7], s[12:13]
                                        ; implicit-def: $vgpr4
	s_and_saveexec_b64 s[6:7], s[10:11]
	s_cbranch_execz .LBB105_10
; %bb.118:                              ;   in Loop: Header=BB105_11 Depth=1
	s_xor_b64 s[10:11], s[26:27], -1
	s_mov_b64 s[26:27], 0
	v_mov_b32_e32 v4, 1
	v_mov_b32_e32 v2, 1
	s_and_saveexec_b64 s[22:23], s[10:11]
	s_cbranch_execz .LBB105_124
; %bb.119:                              ;   in Loop: Header=BB105_11 Depth=1
	v_cmp_ge_u32_e32 vcc, s78, v45
	s_and_saveexec_b64 s[10:11], vcc
	s_xor_b64 s[10:11], exec, s[10:11]
	s_cbranch_execz .LBB105_121
; %bb.120:                              ;   in Loop: Header=BB105_11 Depth=1
	ds_read_b32 v2, v7 offset:4104
	v_and_b32_e32 v38, v38, v3
	v_or_b32_e32 v43, v43, v1
	s_waitcnt lgkmcnt(0)
	v_cmp_ne_u32_e32 vcc, 0, v2
	s_cbranch_vccz .LBB105_137
.LBB105_121:                            ;   in Loop: Header=BB105_11 Depth=1
	s_or_saveexec_b64 s[10:11], s[10:11]
	v_mov_b32_e32 v2, 8
	s_xor_b64 exec, exec, s[10:11]
.LBB105_122:                            ;   in Loop: Header=BB105_11 Depth=1
	s_mov_b64 s[26:27], exec
	v_subrev_u32_e32 v45, s78, v45
	v_mov_b32_e32 v2, 0
.LBB105_123:                            ;   in Loop: Header=BB105_11 Depth=1
	s_or_b64 exec, exec, s[10:11]
	s_and_b64 s[26:27], s[26:27], exec
	v_mov_b32_e32 v4, v45
.LBB105_124:                            ;   in Loop: Header=BB105_11 Depth=1
	s_or_b64 exec, exec, s[22:23]
	s_mov_b64 s[22:23], -1
	s_mov_b64 s[10:11], -1
                                        ; implicit-def: $sgpr28_sgpr29
                                        ; implicit-def: $sgpr30_sgpr31
	s_and_saveexec_b64 s[12:13], s[26:27]
	s_xor_b64 s[26:27], exec, s[12:13]
	s_cbranch_execz .LBB105_244
; %bb.125:                              ;   in Loop: Header=BB105_11 Depth=1
	s_cmp_eq_u32 s15, 1
	s_cselect_b64 s[10:11], -1, 0
	v_cmp_eq_u32_e32 vcc, 1, v4
	s_and_b64 s[76:77], s[10:11], vcc
	s_mov_b64 s[10:11], -1
                                        ; implicit-def: $sgpr30_sgpr31
                                        ; implicit-def: $sgpr28_sgpr29
	s_and_saveexec_b64 s[74:75], s[76:77]
	s_cbranch_execz .LBB105_154
; %bb.126:                              ;   in Loop: Header=BB105_11 Depth=1
	ds_read_b32 v6, v7 offset:4104
	s_waitcnt lgkmcnt(0)
	s_barrier
	v_readfirstlane_b32 s82, v6
	s_and_saveexec_b64 s[10:11], s[24:25]
; %bb.127:                              ;   in Loop: Header=BB105_11 Depth=1
	ds_write_b16 v23, v7
; %bb.128:                              ;   in Loop: Header=BB105_11 Depth=1
	s_or_b64 exec, exec, s[10:11]
	v_and_b32_e32 v6, v38, v3
	v_lshl_or_b32 v38, 1, v42, v6
	v_or_b32_e32 v43, v43, v1
	s_mov_b64 s[28:29], -1
	s_mov_b64 s[30:31], 0
	s_cmp_eq_u32 s82, 0
	s_mov_b64 s[78:79], 0
	s_mov_b64 s[80:81], -1
	s_waitcnt lgkmcnt(0)
	s_barrier
                                        ; implicit-def: $vgpr44
	s_cbranch_scc1 .LBB105_142
; %bb.129:                              ;   in Loop: Header=BB105_11 Depth=1
	s_add_i32 s10, s82, s8
	s_mul_hi_u32 s11, s10, s3
	s_mul_i32 s11, s11, s54
	s_sub_i32 s11, s10, s11
	s_sub_i32 s12, s11, s54
	s_cmp_ge_u32 s11, s54
	s_cselect_b32 s11, s12, s11
	s_sub_i32 s12, s11, s54
	s_cmp_ge_u32 s11, s54
	s_cselect_b32 s11, s12, s11
	s_sub_i32 s20, s10, s11
	v_cmp_gt_u32_e32 vcc, s20, v0
	s_mov_b64 s[80:81], 0
                                        ; implicit-def: $vgpr44
	s_and_saveexec_b64 s[34:35], vcc
	s_cbranch_execz .LBB105_141
; %bb.130:                              ;   in Loop: Header=BB105_11 Depth=1
	s_mov_b64 s[40:41], 0
	v_mov_b32_e32 v6, v22
	v_mov_b32_e32 v12, v0
                                        ; implicit-def: $sgpr78_sgpr79
	s_branch .LBB105_133
.LBB105_131:                            ;   in Loop: Header=BB105_133 Depth=2
	s_or_b64 exec, exec, s[10:11]
	s_waitcnt lgkmcnt(0)
	s_barrier
	ds_read_b32 v13, v7 offset:3072
	s_mov_b64 s[10:11], -1
	s_waitcnt lgkmcnt(0)
	s_barrier
	v_cmp_ne_u32_sdwa s[12:13], v13, v7 src0_sel:WORD_0 src1_sel:DWORD
	s_and_b64 vcc, exec, s[12:13]
	s_mov_b64 s[12:13], -1
	s_cbranch_vccz .LBB105_136
.LBB105_132:                            ;   in Loop: Header=BB105_133 Depth=2
	s_and_b64 s[10:11], exec, s[10:11]
	s_or_b64 s[40:41], s[10:11], s[40:41]
	s_andn2_b64 s[10:11], s[78:79], exec
	s_and_b64 s[12:13], s[12:13], exec
	s_or_b64 s[78:79], s[10:11], s[12:13]
	s_andn2_b64 exec, exec, s[40:41]
	s_cbranch_execz .LBB105_140
.LBB105_133:                            ;   Parent Loop BB105_11 Depth=1
                                        ; =>  This Inner Loop Header: Depth=2
	v_cmp_gt_u32_e32 vcc, s82, v12
	s_and_saveexec_b64 s[10:11], vcc
	s_cbranch_execz .LBB105_131
; %bb.134:                              ;   in Loop: Header=BB105_133 Depth=2
	ds_read_u16 v13, v6
	s_waitcnt lgkmcnt(0)
	v_add_u32_sdwa v14, sext(v13), s58 dst_sel:DWORD dst_unused:UNUSED_PAD src0_sel:WORD_0 src1_sel:DWORD
	v_and_b32_e32 v14, v14, v43
	v_cmp_eq_u32_e32 vcc, v14, v38
	s_and_b64 exec, exec, vcc
	s_cbranch_execz .LBB105_131
; %bb.135:                              ;   in Loop: Header=BB105_133 Depth=2
	v_perm_b32 v13, v13, 1, v41
	ds_write_b32 v7, v13 offset:3072
	s_branch .LBB105_131
.LBB105_136:                            ;   in Loop: Header=BB105_133 Depth=2
	v_add_u32_e32 v12, s54, v12
	v_cmp_le_u32_e32 vcc, s20, v12
	v_add_u32_e32 v6, s57, v6
	s_mov_b64 s[12:13], 0
	s_orn2_b64 s[10:11], vcc, exec
	s_branch .LBB105_132
.LBB105_137:                            ;   in Loop: Header=BB105_11 Depth=1
	s_and_saveexec_b64 s[12:13], s[0:1]
; %bb.138:                              ;   in Loop: Header=BB105_11 Depth=1
	v_mov_b32_e32 v2, s78
	ds_write_b32 v7, v2 offset:4108
; %bb.139:                              ;   in Loop: Header=BB105_11 Depth=1
	s_or_b64 exec, exec, s[12:13]
	s_waitcnt lgkmcnt(0)
	s_barrier
	s_or_saveexec_b64 s[10:11], s[10:11]
	v_mov_b32_e32 v2, 8
	s_xor_b64 exec, exec, s[10:11]
	s_cbranch_execnz .LBB105_122
	s_branch .LBB105_123
.LBB105_140:                            ;   in Loop: Header=BB105_11 Depth=1
	s_or_b64 exec, exec, s[40:41]
	v_lshrrev_b32_e32 v44, 16, v13
	s_and_b64 s[78:79], s[78:79], exec
.LBB105_141:                            ;   in Loop: Header=BB105_11 Depth=1
	s_or_b64 exec, exec, s[34:35]
.LBB105_142:                            ;   in Loop: Header=BB105_11 Depth=1
	s_and_b64 vcc, exec, s[80:81]
	s_cbranch_vccz .LBB105_153
; %bb.143:                              ;   in Loop: Header=BB105_11 Depth=1
                                        ; implicit-def: $vgpr44
	s_mov_b64 s[28:29], exec
	v_readlane_b32 s10, v50, 30
	v_readlane_b32 s11, v50, 31
	s_and_b64 s[10:11], s[28:29], s[10:11]
	s_mov_b64 exec, s[10:11]
	s_cbranch_execz .LBB105_152
; %bb.144:                              ;   in Loop: Header=BB105_11 Depth=1
	s_mov_b64 s[30:31], 0
	v_mov_b32_e32 v6, v5
	v_mov_b32_e32 v12, v0
                                        ; implicit-def: $sgpr34_sgpr35
	s_branch .LBB105_147
.LBB105_145:                            ;   in Loop: Header=BB105_147 Depth=2
	s_or_b64 exec, exec, s[10:11]
	s_waitcnt lgkmcnt(0)
	s_barrier
	ds_read_b32 v13, v7 offset:3072
	s_mov_b64 s[10:11], -1
	s_waitcnt lgkmcnt(0)
	s_barrier
	v_cmp_eq_u32_sdwa s[12:13], v13, v7 src0_sel:WORD_0 src1_sel:DWORD
	s_and_b64 vcc, exec, s[12:13]
	s_mov_b64 s[12:13], -1
	s_cbranch_vccnz .LBB105_150
.LBB105_146:                            ;   in Loop: Header=BB105_147 Depth=2
	s_and_b64 s[10:11], exec, s[10:11]
	s_or_b64 s[30:31], s[10:11], s[30:31]
	s_andn2_b64 s[10:11], s[34:35], exec
	s_and_b64 s[12:13], s[12:13], exec
	s_or_b64 s[34:35], s[10:11], s[12:13]
	s_andn2_b64 exec, exec, s[30:31]
	s_cbranch_execz .LBB105_151
.LBB105_147:                            ;   Parent Loop BB105_11 Depth=1
                                        ; =>  This Inner Loop Header: Depth=2
	v_cmp_gt_u32_e32 vcc, s36, v12
	s_and_saveexec_b64 s[10:11], vcc
	s_cbranch_execz .LBB105_145
; %bb.148:                              ;   in Loop: Header=BB105_147 Depth=2
	v_lshlrev_b64 v[13:14], 1, v[6:7]
	v_mov_b32_e32 v15, s44
	v_add_co_u32_e32 v13, vcc, s43, v13
	v_addc_co_u32_e32 v14, vcc, v15, v14, vcc
	global_load_ushort v13, v[13:14], off
	s_waitcnt vmcnt(0)
	v_add_u32_sdwa v14, sext(v13), s58 dst_sel:DWORD dst_unused:UNUSED_PAD src0_sel:WORD_0 src1_sel:DWORD
	v_and_b32_e32 v14, v14, v43
	v_cmp_eq_u32_e32 vcc, v14, v38
	s_and_b64 exec, exec, vcc
	s_cbranch_execz .LBB105_145
; %bb.149:                              ;   in Loop: Header=BB105_147 Depth=2
	v_perm_b32 v13, v13, 1, v41
	ds_write_b32 v7, v13 offset:3072
	s_branch .LBB105_145
.LBB105_150:                            ;   in Loop: Header=BB105_147 Depth=2
	v_add_u32_e32 v12, s54, v12
	v_cmp_le_u32_e32 vcc, s52, v12
	v_add_u32_e32 v6, s39, v6
	s_mov_b64 s[12:13], 0
	s_orn2_b64 s[10:11], vcc, exec
	s_branch .LBB105_146
.LBB105_151:                            ;   in Loop: Header=BB105_11 Depth=1
	s_or_b64 exec, exec, s[30:31]
	s_andn2_b64 s[10:11], s[78:79], exec
	s_and_b64 s[12:13], s[34:35], exec
	v_lshrrev_b32_e32 v44, 16, v13
	s_or_b64 s[78:79], s[10:11], s[12:13]
.LBB105_152:                            ;   in Loop: Header=BB105_11 Depth=1
	s_or_b64 exec, exec, s[28:29]
	s_mov_b64 s[28:29], 0
	s_mov_b64 s[30:31], -1
.LBB105_153:                            ;   in Loop: Header=BB105_11 Depth=1
	s_orn2_b64 s[10:11], s[78:79], exec
.LBB105_154:                            ;   in Loop: Header=BB105_11 Depth=1
	s_or_b64 exec, exec, s[74:75]
	s_mov_b64 s[34:35], 0
	s_and_saveexec_b64 s[74:75], s[10:11]
	s_cbranch_execz .LBB105_243
; %bb.155:                              ;   in Loop: Header=BB105_11 Depth=1
	s_xor_b64 s[10:11], s[76:77], -1
	v_mov_b32_e32 v12, 1
	v_mov_b32_e32 v2, 1
	s_and_saveexec_b64 s[76:77], s[10:11]
	s_cbranch_execz .LBB105_161
; %bb.156:                              ;   in Loop: Header=BB105_11 Depth=1
	v_cmp_ge_u32_e32 vcc, s15, v4
	s_and_saveexec_b64 s[10:11], vcc
	s_xor_b64 s[10:11], exec, s[10:11]
	s_cbranch_execz .LBB105_158
; %bb.157:                              ;   in Loop: Header=BB105_11 Depth=1
	v_and_b32_e32 v2, v38, v3
	v_lshl_or_b32 v38, 1, v42, v2
	ds_read_b32 v2, v7 offset:4104
	v_or_b32_e32 v43, v43, v1
	s_waitcnt lgkmcnt(0)
	v_cmp_ne_u32_e32 vcc, 0, v2
	s_cbranch_vccz .LBB105_174
.LBB105_158:                            ;   in Loop: Header=BB105_11 Depth=1
	s_or_saveexec_b64 s[10:11], s[10:11]
	v_mov_b32_e32 v2, 8
	s_xor_b64 exec, exec, s[10:11]
.LBB105_159:                            ;   in Loop: Header=BB105_11 Depth=1
	v_subrev_u32_e32 v4, s15, v4
	v_mov_b32_e32 v2, 0
	s_mov_b64 s[34:35], exec
.LBB105_160:                            ;   in Loop: Header=BB105_11 Depth=1
	s_or_b64 exec, exec, s[10:11]
	s_and_b64 s[34:35], s[34:35], exec
	v_mov_b32_e32 v12, v4
.LBB105_161:                            ;   in Loop: Header=BB105_11 Depth=1
	s_or_b64 exec, exec, s[76:77]
	s_mov_b64 s[10:11], -1
                                        ; implicit-def: $sgpr78_sgpr79
                                        ; implicit-def: $sgpr80_sgpr81
	s_and_saveexec_b64 s[76:77], s[34:35]
	s_cbranch_execz .LBB105_242
; %bb.162:                              ;   in Loop: Header=BB105_11 Depth=1
	s_cmp_eq_u32 s14, 1
	s_cselect_b64 s[10:11], -1, 0
	v_cmp_eq_u32_e32 vcc, 1, v12
	s_and_b64 s[84:85], s[10:11], vcc
	s_mov_b64 s[10:11], -1
                                        ; implicit-def: $sgpr80_sgpr81
                                        ; implicit-def: $sgpr78_sgpr79
	s_and_saveexec_b64 s[82:83], s[84:85]
	s_cbranch_execz .LBB105_191
; %bb.163:                              ;   in Loop: Header=BB105_11 Depth=1
	ds_read_b32 v4, v7 offset:4104
	s_waitcnt lgkmcnt(0)
	s_barrier
	v_readfirstlane_b32 s15, v4
	s_and_saveexec_b64 s[10:11], s[24:25]
; %bb.164:                              ;   in Loop: Header=BB105_11 Depth=1
	ds_write_b16 v23, v7
; %bb.165:                              ;   in Loop: Header=BB105_11 Depth=1
	s_or_b64 exec, exec, s[10:11]
	v_and_b32_e32 v4, v38, v3
	v_lshl_or_b32 v38, 2, v42, v4
	v_or_b32_e32 v43, v43, v1
	s_mov_b64 s[78:79], -1
	s_mov_b64 s[80:81], 0
	s_cmp_eq_u32 s15, 0
	s_mov_b64 s[86:87], 0
	s_mov_b64 s[88:89], -1
	s_waitcnt lgkmcnt(0)
	s_barrier
                                        ; implicit-def: $vgpr44
	s_cbranch_scc1 .LBB105_179
; %bb.166:                              ;   in Loop: Header=BB105_11 Depth=1
	s_add_i32 s10, s15, s8
	s_mul_hi_u32 s11, s10, s3
	s_mul_i32 s11, s11, s54
	s_sub_i32 s11, s10, s11
	s_sub_i32 s12, s11, s54
	s_cmp_ge_u32 s11, s54
	s_cselect_b32 s11, s12, s11
	s_sub_i32 s12, s11, s54
	s_cmp_ge_u32 s11, s54
	s_cselect_b32 s11, s12, s11
	s_sub_i32 s20, s10, s11
	v_cmp_gt_u32_e32 vcc, s20, v0
	s_mov_b64 s[88:89], 0
                                        ; implicit-def: $vgpr44
	s_and_saveexec_b64 s[34:35], vcc
	s_cbranch_execz .LBB105_178
; %bb.167:                              ;   in Loop: Header=BB105_11 Depth=1
	s_mov_b64 s[40:41], 0
	v_mov_b32_e32 v4, v22
	v_mov_b32_e32 v6, v0
                                        ; implicit-def: $sgpr86_sgpr87
	s_branch .LBB105_170
.LBB105_168:                            ;   in Loop: Header=BB105_170 Depth=2
	s_or_b64 exec, exec, s[10:11]
	s_waitcnt lgkmcnt(0)
	s_barrier
	ds_read_b32 v13, v7 offset:3072
	s_mov_b64 s[10:11], -1
	s_waitcnt lgkmcnt(0)
	s_barrier
	v_cmp_ne_u32_sdwa s[12:13], v13, v7 src0_sel:WORD_0 src1_sel:DWORD
	s_and_b64 vcc, exec, s[12:13]
	s_mov_b64 s[12:13], -1
	s_cbranch_vccz .LBB105_173
.LBB105_169:                            ;   in Loop: Header=BB105_170 Depth=2
	s_and_b64 s[10:11], exec, s[10:11]
	s_or_b64 s[40:41], s[10:11], s[40:41]
	s_andn2_b64 s[10:11], s[86:87], exec
	s_and_b64 s[12:13], s[12:13], exec
	s_or_b64 s[86:87], s[10:11], s[12:13]
	s_andn2_b64 exec, exec, s[40:41]
	s_cbranch_execz .LBB105_177
.LBB105_170:                            ;   Parent Loop BB105_11 Depth=1
                                        ; =>  This Inner Loop Header: Depth=2
	v_cmp_gt_u32_e32 vcc, s15, v6
	s_and_saveexec_b64 s[10:11], vcc
	s_cbranch_execz .LBB105_168
; %bb.171:                              ;   in Loop: Header=BB105_170 Depth=2
	ds_read_u16 v13, v4
	s_waitcnt lgkmcnt(0)
	v_add_u32_sdwa v14, sext(v13), s58 dst_sel:DWORD dst_unused:UNUSED_PAD src0_sel:WORD_0 src1_sel:DWORD
	v_and_b32_e32 v14, v14, v43
	v_cmp_eq_u32_e32 vcc, v14, v38
	s_and_b64 exec, exec, vcc
	s_cbranch_execz .LBB105_168
; %bb.172:                              ;   in Loop: Header=BB105_170 Depth=2
	v_perm_b32 v13, v13, 1, v41
	ds_write_b32 v7, v13 offset:3072
	s_branch .LBB105_168
.LBB105_173:                            ;   in Loop: Header=BB105_170 Depth=2
	v_add_u32_e32 v6, s54, v6
	v_cmp_le_u32_e32 vcc, s20, v6
	v_add_u32_e32 v4, s57, v4
	s_mov_b64 s[12:13], 0
	s_orn2_b64 s[10:11], vcc, exec
	s_branch .LBB105_169
.LBB105_174:                            ;   in Loop: Header=BB105_11 Depth=1
	s_and_saveexec_b64 s[12:13], s[0:1]
; %bb.175:                              ;   in Loop: Header=BB105_11 Depth=1
	v_mov_b32_e32 v2, s15
	ds_write_b32 v7, v2 offset:4108
; %bb.176:                              ;   in Loop: Header=BB105_11 Depth=1
	s_or_b64 exec, exec, s[12:13]
	s_waitcnt lgkmcnt(0)
	s_barrier
	s_or_saveexec_b64 s[10:11], s[10:11]
	v_mov_b32_e32 v2, 8
	s_xor_b64 exec, exec, s[10:11]
	s_cbranch_execnz .LBB105_159
	s_branch .LBB105_160
.LBB105_177:                            ;   in Loop: Header=BB105_11 Depth=1
	s_or_b64 exec, exec, s[40:41]
	v_lshrrev_b32_e32 v44, 16, v13
	s_and_b64 s[86:87], s[86:87], exec
.LBB105_178:                            ;   in Loop: Header=BB105_11 Depth=1
	s_or_b64 exec, exec, s[34:35]
.LBB105_179:                            ;   in Loop: Header=BB105_11 Depth=1
	s_and_b64 vcc, exec, s[88:89]
	s_cbranch_vccz .LBB105_190
; %bb.180:                              ;   in Loop: Header=BB105_11 Depth=1
                                        ; implicit-def: $vgpr44
	s_mov_b64 s[34:35], exec
	v_readlane_b32 s10, v50, 30
	v_readlane_b32 s11, v50, 31
	s_and_b64 s[10:11], s[34:35], s[10:11]
	s_mov_b64 exec, s[10:11]
	s_cbranch_execz .LBB105_189
; %bb.181:                              ;   in Loop: Header=BB105_11 Depth=1
	s_mov_b64 s[40:41], 0
	v_mov_b32_e32 v6, v5
	v_mov_b32_e32 v4, v0
                                        ; implicit-def: $sgpr78_sgpr79
	s_branch .LBB105_184
.LBB105_182:                            ;   in Loop: Header=BB105_184 Depth=2
	s_or_b64 exec, exec, s[10:11]
	s_waitcnt lgkmcnt(0)
	s_barrier
	ds_read_b32 v13, v7 offset:3072
	s_mov_b64 s[10:11], -1
	s_waitcnt lgkmcnt(0)
	s_barrier
	v_cmp_eq_u32_sdwa s[12:13], v13, v7 src0_sel:WORD_0 src1_sel:DWORD
	s_and_b64 vcc, exec, s[12:13]
	s_mov_b64 s[12:13], -1
	s_cbranch_vccnz .LBB105_187
.LBB105_183:                            ;   in Loop: Header=BB105_184 Depth=2
	s_and_b64 s[10:11], exec, s[10:11]
	s_or_b64 s[40:41], s[10:11], s[40:41]
	s_andn2_b64 s[10:11], s[78:79], exec
	s_and_b64 s[12:13], s[12:13], exec
	s_or_b64 s[78:79], s[10:11], s[12:13]
	s_andn2_b64 exec, exec, s[40:41]
	s_cbranch_execz .LBB105_188
.LBB105_184:                            ;   Parent Loop BB105_11 Depth=1
                                        ; =>  This Inner Loop Header: Depth=2
	v_cmp_gt_u32_e32 vcc, s36, v4
	s_and_saveexec_b64 s[10:11], vcc
	s_cbranch_execz .LBB105_182
; %bb.185:                              ;   in Loop: Header=BB105_184 Depth=2
	v_lshlrev_b64 v[13:14], 1, v[6:7]
	v_mov_b32_e32 v15, s44
	v_add_co_u32_e32 v13, vcc, s43, v13
	v_addc_co_u32_e32 v14, vcc, v15, v14, vcc
	global_load_ushort v13, v[13:14], off
	s_waitcnt vmcnt(0)
	v_add_u32_sdwa v14, sext(v13), s58 dst_sel:DWORD dst_unused:UNUSED_PAD src0_sel:WORD_0 src1_sel:DWORD
	v_and_b32_e32 v14, v14, v43
	v_cmp_eq_u32_e32 vcc, v14, v38
	s_and_b64 exec, exec, vcc
	s_cbranch_execz .LBB105_182
; %bb.186:                              ;   in Loop: Header=BB105_184 Depth=2
	v_perm_b32 v13, v13, 1, v41
	ds_write_b32 v7, v13 offset:3072
	s_branch .LBB105_182
.LBB105_187:                            ;   in Loop: Header=BB105_184 Depth=2
	v_add_u32_e32 v4, s54, v4
	v_cmp_le_u32_e32 vcc, s52, v4
	v_add_u32_e32 v6, s39, v6
	s_mov_b64 s[12:13], 0
	s_orn2_b64 s[10:11], vcc, exec
	s_branch .LBB105_183
.LBB105_188:                            ;   in Loop: Header=BB105_11 Depth=1
	s_or_b64 exec, exec, s[40:41]
	s_andn2_b64 s[10:11], s[86:87], exec
	s_and_b64 s[12:13], s[78:79], exec
	v_lshrrev_b32_e32 v44, 16, v13
	s_or_b64 s[86:87], s[10:11], s[12:13]
.LBB105_189:                            ;   in Loop: Header=BB105_11 Depth=1
	s_or_b64 exec, exec, s[34:35]
	s_mov_b64 s[78:79], 0
	s_mov_b64 s[80:81], -1
.LBB105_190:                            ;   in Loop: Header=BB105_11 Depth=1
	s_orn2_b64 s[10:11], s[86:87], exec
.LBB105_191:                            ;   in Loop: Header=BB105_11 Depth=1
	s_or_b64 exec, exec, s[82:83]
	s_mov_b64 s[34:35], 0
	s_and_saveexec_b64 s[82:83], s[10:11]
	s_cbranch_execz .LBB105_241
; %bb.192:                              ;   in Loop: Header=BB105_11 Depth=1
	s_xor_b64 s[10:11], s[84:85], -1
	v_mov_b32_e32 v4, 1
	v_mov_b32_e32 v2, 1
	s_and_saveexec_b64 s[84:85], s[10:11]
	s_cbranch_execz .LBB105_201
; %bb.193:                              ;   in Loop: Header=BB105_11 Depth=1
	v_cmp_ge_u32_e32 vcc, s14, v12
	s_and_saveexec_b64 s[10:11], vcc
	s_xor_b64 s[10:11], exec, s[10:11]
	s_cbranch_execz .LBB105_198
; %bb.194:                              ;   in Loop: Header=BB105_11 Depth=1
	v_and_b32_e32 v2, v38, v3
	v_lshl_or_b32 v38, 2, v42, v2
	ds_read_b32 v2, v7 offset:4104
	v_or_b32_e32 v43, v43, v1
	s_waitcnt lgkmcnt(0)
	v_cmp_ne_u32_e32 vcc, 0, v2
	s_cbranch_vccnz .LBB105_198
; %bb.195:                              ;   in Loop: Header=BB105_11 Depth=1
	s_and_saveexec_b64 s[12:13], s[0:1]
; %bb.196:                              ;   in Loop: Header=BB105_11 Depth=1
	v_mov_b32_e32 v2, s14
	ds_write_b32 v7, v2 offset:4108
; %bb.197:                              ;   in Loop: Header=BB105_11 Depth=1
	s_or_b64 exec, exec, s[12:13]
	s_waitcnt lgkmcnt(0)
	s_barrier
.LBB105_198:                            ;   in Loop: Header=BB105_11 Depth=1
	s_or_saveexec_b64 s[10:11], s[10:11]
	v_mov_b32_e32 v2, 8
	s_xor_b64 exec, exec, s[10:11]
; %bb.199:                              ;   in Loop: Header=BB105_11 Depth=1
	v_subrev_u32_e32 v12, s14, v12
	v_mov_b32_e32 v2, 0
	s_mov_b64 s[34:35], exec
; %bb.200:                              ;   in Loop: Header=BB105_11 Depth=1
	s_or_b64 exec, exec, s[10:11]
	s_and_b64 s[34:35], s[34:35], exec
	v_mov_b32_e32 v4, v12
.LBB105_201:                            ;   in Loop: Header=BB105_11 Depth=1
	s_or_b64 exec, exec, s[84:85]
	s_mov_b64 s[10:11], -1
                                        ; implicit-def: $sgpr88_sgpr89
                                        ; implicit-def: $sgpr86_sgpr87
	s_and_saveexec_b64 s[84:85], s[34:35]
	s_cbranch_execz .LBB105_240
; %bb.202:                              ;   in Loop: Header=BB105_11 Depth=1
	s_cmp_eq_u32 s33, 1
	s_cselect_b64 s[10:11], -1, 0
	v_cmp_eq_u32_e32 vcc, 1, v4
	s_and_b64 s[90:91], s[10:11], vcc
	s_mov_b64 s[10:11], -1
                                        ; implicit-def: $sgpr88_sgpr89
                                        ; implicit-def: $sgpr86_sgpr87
	s_and_saveexec_b64 s[92:93], s[90:91]
	s_cbranch_execz .LBB105_228
; %bb.203:                              ;   in Loop: Header=BB105_11 Depth=1
	ds_read_b32 v3, v7 offset:4104
	s_waitcnt lgkmcnt(0)
	s_barrier
	v_readfirstlane_b32 s20, v3
	s_and_saveexec_b64 s[10:11], s[24:25]
; %bb.204:                              ;   in Loop: Header=BB105_11 Depth=1
	ds_write_b16 v23, v7
; %bb.205:                              ;   in Loop: Header=BB105_11 Depth=1
	s_or_b64 exec, exec, s[10:11]
	v_or_b32_e32 v38, v38, v1
	v_or_b32_e32 v43, v43, v1
	s_mov_b64 s[86:87], -1
	s_mov_b64 s[88:89], 0
	s_cmp_eq_u32 s20, 0
	s_mov_b64 s[94:95], 0
	s_mov_b64 s[34:35], -1
	s_waitcnt lgkmcnt(0)
	s_barrier
                                        ; implicit-def: $vgpr44
	s_cbranch_scc1 .LBB105_216
; %bb.206:                              ;   in Loop: Header=BB105_11 Depth=1
	s_add_i32 s10, s20, s8
	s_mul_hi_u32 s11, s10, s3
	s_mul_i32 s11, s11, s54
	s_sub_i32 s11, s10, s11
	s_sub_i32 s12, s11, s54
	s_cmp_ge_u32 s11, s54
	s_cselect_b32 s11, s12, s11
	s_sub_i32 s12, s11, s54
	s_cmp_ge_u32 s11, s54
	s_cselect_b32 s11, s12, s11
	s_sub_i32 s21, s10, s11
	v_cmp_gt_u32_e32 vcc, s21, v0
	s_mov_b64 s[34:35], 0
                                        ; implicit-def: $vgpr44
	s_and_saveexec_b64 s[40:41], vcc
	s_cbranch_execz .LBB105_215
; %bb.207:                              ;   in Loop: Header=BB105_11 Depth=1
	v_mov_b32_e32 v3, v22
	v_mov_b32_e32 v6, v0
                                        ; implicit-def: $sgpr10_sgpr11
	s_branch .LBB105_210
.LBB105_208:                            ;   in Loop: Header=BB105_210 Depth=2
	s_or_b64 exec, exec, s[12:13]
	s_waitcnt lgkmcnt(0)
	s_barrier
	ds_read_b32 v12, v7 offset:3072
	s_mov_b64 s[12:13], -1
	s_waitcnt lgkmcnt(0)
	s_barrier
	v_cmp_ne_u32_sdwa s[14:15], v12, v7 src0_sel:WORD_0 src1_sel:DWORD
	s_and_b64 vcc, exec, s[14:15]
	s_mov_b64 s[14:15], -1
	s_cbranch_vccz .LBB105_213
.LBB105_209:                            ;   in Loop: Header=BB105_210 Depth=2
	s_and_b64 s[12:13], exec, s[12:13]
	s_or_b64 s[94:95], s[12:13], s[94:95]
	s_andn2_b64 s[10:11], s[10:11], exec
	s_and_b64 s[12:13], s[14:15], exec
	s_or_b64 s[10:11], s[10:11], s[12:13]
	s_andn2_b64 exec, exec, s[94:95]
	s_cbranch_execz .LBB105_214
.LBB105_210:                            ;   Parent Loop BB105_11 Depth=1
                                        ; =>  This Inner Loop Header: Depth=2
	v_cmp_gt_u32_e32 vcc, s20, v6
	s_and_saveexec_b64 s[12:13], vcc
	s_cbranch_execz .LBB105_208
; %bb.211:                              ;   in Loop: Header=BB105_210 Depth=2
	ds_read_u16 v12, v3
	s_waitcnt lgkmcnt(0)
	v_add_u32_sdwa v13, sext(v12), s58 dst_sel:DWORD dst_unused:UNUSED_PAD src0_sel:WORD_0 src1_sel:DWORD
	v_and_b32_e32 v13, v13, v43
	v_cmp_eq_u32_e32 vcc, v13, v38
	s_and_b64 exec, exec, vcc
	s_cbranch_execz .LBB105_208
; %bb.212:                              ;   in Loop: Header=BB105_210 Depth=2
	v_perm_b32 v12, v12, 1, v41
	ds_write_b32 v7, v12 offset:3072
	s_branch .LBB105_208
.LBB105_213:                            ;   in Loop: Header=BB105_210 Depth=2
	v_add_u32_e32 v6, s54, v6
	v_cmp_le_u32_e32 vcc, s21, v6
	v_add_u32_e32 v3, s57, v3
	s_mov_b64 s[14:15], 0
	s_orn2_b64 s[12:13], vcc, exec
	s_branch .LBB105_209
.LBB105_214:                            ;   in Loop: Header=BB105_11 Depth=1
	s_or_b64 exec, exec, s[94:95]
	v_lshrrev_b32_e32 v44, 16, v12
	s_and_b64 s[94:95], s[10:11], exec
.LBB105_215:                            ;   in Loop: Header=BB105_11 Depth=1
	s_or_b64 exec, exec, s[40:41]
.LBB105_216:                            ;   in Loop: Header=BB105_11 Depth=1
	s_and_b64 vcc, exec, s[34:35]
	s_cbranch_vccz .LBB105_227
; %bb.217:                              ;   in Loop: Header=BB105_11 Depth=1
                                        ; implicit-def: $vgpr44
	s_mov_b64 s[34:35], exec
	v_readlane_b32 s10, v50, 30
	v_readlane_b32 s11, v50, 31
	s_and_b64 s[10:11], s[34:35], s[10:11]
	s_mov_b64 exec, s[10:11]
	s_cbranch_execz .LBB105_226
; %bb.218:                              ;   in Loop: Header=BB105_11 Depth=1
	s_mov_b64 s[40:41], 0
	v_mov_b32_e32 v6, v5
	v_mov_b32_e32 v3, v0
                                        ; implicit-def: $sgpr86_sgpr87
	s_branch .LBB105_221
.LBB105_219:                            ;   in Loop: Header=BB105_221 Depth=2
	s_or_b64 exec, exec, s[10:11]
	s_waitcnt lgkmcnt(0)
	s_barrier
	ds_read_b32 v12, v7 offset:3072
	s_mov_b64 s[10:11], -1
	s_waitcnt lgkmcnt(0)
	s_barrier
	v_cmp_eq_u32_sdwa s[12:13], v12, v7 src0_sel:WORD_0 src1_sel:DWORD
	s_and_b64 vcc, exec, s[12:13]
	s_mov_b64 s[12:13], -1
	s_cbranch_vccnz .LBB105_224
.LBB105_220:                            ;   in Loop: Header=BB105_221 Depth=2
	s_and_b64 s[10:11], exec, s[10:11]
	s_or_b64 s[40:41], s[10:11], s[40:41]
	s_andn2_b64 s[10:11], s[86:87], exec
	s_and_b64 s[12:13], s[12:13], exec
	s_or_b64 s[86:87], s[10:11], s[12:13]
	s_andn2_b64 exec, exec, s[40:41]
	s_cbranch_execz .LBB105_225
.LBB105_221:                            ;   Parent Loop BB105_11 Depth=1
                                        ; =>  This Inner Loop Header: Depth=2
	v_cmp_gt_u32_e32 vcc, s36, v3
	s_and_saveexec_b64 s[10:11], vcc
	s_cbranch_execz .LBB105_219
; %bb.222:                              ;   in Loop: Header=BB105_221 Depth=2
	v_lshlrev_b64 v[12:13], 1, v[6:7]
	v_mov_b32_e32 v14, s44
	v_add_co_u32_e32 v12, vcc, s43, v12
	v_addc_co_u32_e32 v13, vcc, v14, v13, vcc
	global_load_ushort v12, v[12:13], off
	s_waitcnt vmcnt(0)
	v_add_u32_sdwa v13, sext(v12), s58 dst_sel:DWORD dst_unused:UNUSED_PAD src0_sel:WORD_0 src1_sel:DWORD
	v_and_b32_e32 v13, v13, v43
	v_cmp_eq_u32_e32 vcc, v13, v38
	s_and_b64 exec, exec, vcc
	s_cbranch_execz .LBB105_219
; %bb.223:                              ;   in Loop: Header=BB105_221 Depth=2
	v_perm_b32 v12, v12, 1, v41
	ds_write_b32 v7, v12 offset:3072
	s_branch .LBB105_219
.LBB105_224:                            ;   in Loop: Header=BB105_221 Depth=2
	v_add_u32_e32 v3, s54, v3
	v_cmp_le_u32_e32 vcc, s52, v3
	v_add_u32_e32 v6, s39, v6
	s_mov_b64 s[12:13], 0
	s_orn2_b64 s[10:11], vcc, exec
	s_branch .LBB105_220
.LBB105_225:                            ;   in Loop: Header=BB105_11 Depth=1
	s_or_b64 exec, exec, s[40:41]
	s_andn2_b64 s[10:11], s[94:95], exec
	s_and_b64 s[12:13], s[86:87], exec
	v_lshrrev_b32_e32 v44, 16, v12
	s_or_b64 s[94:95], s[10:11], s[12:13]
.LBB105_226:                            ;   in Loop: Header=BB105_11 Depth=1
	s_or_b64 exec, exec, s[34:35]
	s_mov_b64 s[86:87], 0
	s_mov_b64 s[88:89], -1
.LBB105_227:                            ;   in Loop: Header=BB105_11 Depth=1
	s_orn2_b64 s[10:11], s[94:95], exec
.LBB105_228:                            ;   in Loop: Header=BB105_11 Depth=1
	s_or_b64 exec, exec, s[92:93]
	s_mov_b64 s[34:35], 0
	s_and_saveexec_b64 s[92:93], s[10:11]
	s_cbranch_execz .LBB105_239
; %bb.229:                              ;   in Loop: Header=BB105_11 Depth=1
	s_xor_b64 s[10:11], s[90:91], -1
	v_mov_b32_e32 v2, 1
	v_mov_b32_e32 v3, 1
	s_and_saveexec_b64 s[34:35], s[10:11]
	s_cbranch_execz .LBB105_238
; %bb.230:                              ;   in Loop: Header=BB105_11 Depth=1
	v_cmp_ge_u32_e32 vcc, s33, v4
	s_and_saveexec_b64 s[10:11], vcc
	s_xor_b64 s[10:11], exec, s[10:11]
	s_cbranch_execz .LBB105_235
; %bb.231:                              ;   in Loop: Header=BB105_11 Depth=1
	v_or_b32_e32 v38, v38, v1
	v_or_b32_e32 v43, v43, v1
	ds_read_b32 v1, v7 offset:4104
	s_waitcnt lgkmcnt(0)
	v_cmp_ne_u32_e32 vcc, 0, v1
	s_cbranch_vccnz .LBB105_235
; %bb.232:                              ;   in Loop: Header=BB105_11 Depth=1
	s_and_saveexec_b64 s[12:13], s[0:1]
; %bb.233:                              ;   in Loop: Header=BB105_11 Depth=1
	v_mov_b32_e32 v1, s33
	ds_write_b32 v7, v1 offset:4108
; %bb.234:                              ;   in Loop: Header=BB105_11 Depth=1
	s_or_b64 exec, exec, s[12:13]
	s_waitcnt lgkmcnt(0)
	s_barrier
.LBB105_235:                            ;   in Loop: Header=BB105_11 Depth=1
	s_andn2_saveexec_b64 s[10:11], s[10:11]
; %bb.236:                              ;   in Loop: Header=BB105_11 Depth=1
	v_subrev_u32_e32 v4, s33, v4
; %bb.237:                              ;   in Loop: Header=BB105_11 Depth=1
	s_or_b64 exec, exec, s[10:11]
	v_mov_b32_e32 v2, 8
	v_mov_b32_e32 v3, v4
.LBB105_238:                            ;   in Loop: Header=BB105_11 Depth=1
	s_or_b64 exec, exec, s[34:35]
	s_mov_b64 s[34:35], exec
	v_mov_b32_e32 v4, v3
.LBB105_239:                            ;   in Loop: Header=BB105_11 Depth=1
	s_or_b64 exec, exec, s[92:93]
	s_orn2_b64 s[10:11], s[34:35], exec
.LBB105_240:                            ;   in Loop: Header=BB105_11 Depth=1
	s_or_b64 exec, exec, s[84:85]
	s_andn2_b64 s[12:13], s[80:81], exec
	s_and_b64 s[14:15], s[88:89], exec
	s_or_b64 s[80:81], s[12:13], s[14:15]
	s_andn2_b64 s[12:13], s[78:79], exec
	s_and_b64 s[14:15], s[86:87], exec
	s_or_b64 s[78:79], s[12:13], s[14:15]
	s_and_b64 s[34:35], s[10:11], exec
	v_mov_b32_e32 v12, v4
.LBB105_241:                            ;   in Loop: Header=BB105_11 Depth=1
	s_or_b64 exec, exec, s[82:83]
	s_orn2_b64 s[10:11], s[34:35], exec
.LBB105_242:                            ;   in Loop: Header=BB105_11 Depth=1
	s_or_b64 exec, exec, s[76:77]
	s_andn2_b64 s[12:13], s[30:31], exec
	s_and_b64 s[14:15], s[80:81], exec
	s_or_b64 s[30:31], s[12:13], s[14:15]
	s_andn2_b64 s[12:13], s[28:29], exec
	s_and_b64 s[14:15], s[78:79], exec
	s_or_b64 s[28:29], s[12:13], s[14:15]
	s_and_b64 s[34:35], s[10:11], exec
	v_mov_b32_e32 v4, v12
.LBB105_243:                            ;   in Loop: Header=BB105_11 Depth=1
	s_or_b64 exec, exec, s[74:75]
	s_orn2_b64 s[10:11], s[34:35], exec
.LBB105_244:                            ;   in Loop: Header=BB105_11 Depth=1
	s_or_b64 exec, exec, s[26:27]
	s_mov_b64 s[26:27], 0
                                        ; implicit-def: $sgpr34
	s_and_saveexec_b64 s[12:13], s[10:11]
	s_xor_b64 s[10:11], exec, s[12:13]
	s_cbranch_execz .LBB105_9
; %bb.245:                              ;   in Loop: Header=BB105_11 Depth=1
	v_and_b32_e32 v1, 7, v2
	v_cmp_eq_u32_e32 vcc, 0, v1
	s_mov_b64 s[22:23], -1
	s_mov_b64 s[26:27], -1
                                        ; implicit-def: $sgpr34
	s_and_saveexec_b64 s[12:13], vcc
	s_cbranch_execz .LBB105_8
; %bb.246:                              ;   in Loop: Header=BB105_11 Depth=1
	v_add_u32_e32 v1, -2, v42
	v_cmp_eq_u32_e32 vcc, 0, v42
	s_xor_b32 s34, s55, 1
	s_xor_b64 s[26:27], exec, -1
	s_orn2_b64 s[22:23], vcc, exec
	v_mov_b32_e32 v42, v1
	s_branch .LBB105_8
.LBB105_247:
	s_or_b64 exec, exec, s[60:61]
	s_xor_b64 s[8:9], s[66:67], -1
	s_xor_b64 s[0:1], s[62:63], -1
	;; [unrolled: 1-line block ×3, first 2 shown]
	s_mov_b64 s[4:5], 0
	s_and_saveexec_b64 s[2:3], s[0:1]
	s_xor_b64 s[0:1], exec, s[2:3]
	s_cbranch_execnz .LBB105_252
; %bb.248:
	s_andn2_saveexec_b64 s[0:1], s[0:1]
	s_cbranch_execnz .LBB105_265
.LBB105_249:
	s_or_b64 exec, exec, s[0:1]
	s_and_saveexec_b64 s[0:1], s[4:5]
.LBB105_250:
	; divergent unreachable
.LBB105_251:
	s_endpgm
.LBB105_252:
	s_and_saveexec_b64 s[2:3], s[8:9]
	s_xor_b64 s[4:5], exec, s[2:3]
	s_cbranch_execz .LBB105_263
; %bb.253:
	s_and_saveexec_b64 s[2:3], s[6:7]
	s_xor_b64 s[6:7], exec, s[2:3]
; %bb.254:
	v_xor_b32_e32 v44, 0xffff8000, v38
; %bb.255:
	s_or_b64 exec, exec, s[6:7]
	v_readlane_b32 s7, v50, 0
	v_readlane_b32 s8, v50, 10
	s_mul_i32 s2, s8, s7
	v_readlane_b32 s18, v50, 12
	s_sub_i32 s2, s18, s2
	s_add_i32 s3, s8, 1
	s_sub_i32 s6, s2, s7
	s_cmp_ge_u32 s2, s7
	s_cselect_b32 s3, s3, s8
	s_cselect_b32 s2, s6, s2
	s_add_i32 s6, s3, 1
	s_cmp_ge_u32 s2, s7
	s_cselect_b32 s2, s6, s3
	s_mul_i32 s3, s2, s7
	v_readlane_b32 s6, v50, 6
	s_sub_i32 s3, s18, s3
	v_readlane_b32 s7, v50, 7
	s_mul_i32 s3, s3, s7
	s_mul_i32 s2, s2, s6
	s_add_i32 s2, s2, s3
	s_mov_b32 s3, 0
	s_lshl_b64 s[2:3], s[2:3], 1
	v_readlane_b32 s6, v50, 8
	v_readlane_b32 s7, v50, 9
	s_add_u32 s2, s6, s2
	s_addc_u32 s3, s7, s3
	v_mov_b32_e32 v6, 0
	global_store_short v6, v44, s[2:3]
	s_mov_b64 s[6:7], exec
	v_readlane_b32 s2, v50, 13
	v_readlane_b32 s3, v50, 14
	s_and_b64 s[2:3], s[6:7], s[2:3]
	s_mov_b64 exec, s[2:3]
	s_cbranch_execz .LBB105_262
; %bb.256:
	s_mov_b64 s[2:3], 0
	v_mov_b32_e32 v2, s44
                                        ; implicit-def: $sgpr8_sgpr9
                                        ; implicit-def: $sgpr12_sgpr13
                                        ; implicit-def: $sgpr10_sgpr11
	s_branch .LBB105_258
.LBB105_257:                            ;   in Loop: Header=BB105_258 Depth=1
	s_or_b64 exec, exec, s[14:15]
	s_and_b64 s[14:15], exec, s[12:13]
	s_or_b64 s[2:3], s[14:15], s[2:3]
	s_andn2_b64 s[8:9], s[8:9], exec
	s_and_b64 s[14:15], s[10:11], exec
	s_or_b64 s[8:9], s[8:9], s[14:15]
	s_andn2_b64 exec, exec, s[2:3]
	s_cbranch_execz .LBB105_260
.LBB105_258:                            ; =>This Inner Loop Header: Depth=1
	v_lshlrev_b64 v[3:4], 1, v[5:6]
	v_mov_b32_e32 v1, v0
	v_add_co_u32_e32 v3, vcc, s43, v3
	v_addc_co_u32_e32 v4, vcc, v2, v4, vcc
	global_load_ushort v3, v[3:4], off
	s_or_b64 s[10:11], s[10:11], exec
	s_or_b64 s[12:13], s[12:13], exec
                                        ; implicit-def: $vgpr0
	s_waitcnt vmcnt(0)
	v_cmp_ne_u16_e32 vcc, v3, v44
	s_and_saveexec_b64 s[14:15], vcc
	s_cbranch_execz .LBB105_257
; %bb.259:                              ;   in Loop: Header=BB105_258 Depth=1
	v_add_u32_e32 v0, s54, v1
	v_cmp_le_u32_e32 vcc, s36, v0
	s_andn2_b64 s[12:13], s[12:13], exec
	s_and_b64 s[16:17], vcc, exec
	v_add_u32_e32 v5, s39, v5
	s_andn2_b64 s[10:11], s[10:11], exec
	s_or_b64 s[12:13], s[12:13], s[16:17]
	s_branch .LBB105_257
.LBB105_260:
	s_or_b64 exec, exec, s[2:3]
	s_and_saveexec_b64 s[2:3], s[8:9]
	s_xor_b64 s[2:3], exec, s[2:3]
	s_cbranch_execz .LBB105_262
; %bb.261:
	v_readlane_b32 s9, v50, 1
	v_readlane_b32 s10, v50, 11
	s_mul_i32 s2, s10, s9
	s_sub_i32 s2, s18, s2
	s_add_i32 s3, s10, 1
	s_sub_i32 s8, s2, s9
	s_cmp_ge_u32 s2, s9
	s_cselect_b32 s3, s3, s10
	s_cselect_b32 s2, s8, s2
	s_add_i32 s8, s3, 1
	s_cmp_ge_u32 s2, s9
	s_cselect_b32 s2, s8, s3
	s_mul_i32 s3, s2, s9
	v_readlane_b32 s8, v50, 2
	s_sub_i32 s3, s18, s3
	v_readlane_b32 s9, v50, 3
	s_mul_i32 s3, s3, s9
	s_mul_i32 s2, s2, s8
	s_add_i32 s2, s2, s3
	s_mov_b32 s3, 0
	s_lshl_b64 s[2:3], s[2:3], 3
	v_readlane_b32 s8, v50, 4
	v_readlane_b32 s9, v50, 5
	s_add_u32 s2, s8, s2
	s_addc_u32 s3, s9, s3
	v_mov_b32_e32 v2, 0
	global_store_dwordx2 v2, v[1:2], s[2:3]
.LBB105_262:
	s_or_b64 exec, exec, s[6:7]
.LBB105_263:
	s_or_saveexec_b64 s[2:3], s[4:5]
	s_mov_b64 s[4:5], 0
	s_xor_b64 exec, exec, s[2:3]
	s_cbranch_execnz .LBB105_266
.LBB105_264:
	s_or_b64 exec, exec, s[2:3]
	s_and_b64 s[4:5], s[4:5], exec
	s_andn2_saveexec_b64 s[0:1], s[0:1]
	s_cbranch_execz .LBB105_249
.LBB105_265:
	s_or_b64 s[4:5], s[4:5], exec
	s_trap 2
	s_or_b64 exec, exec, s[0:1]
	s_and_saveexec_b64 s[0:1], s[4:5]
	s_cbranch_execnz .LBB105_250
	s_branch .LBB105_251
.LBB105_266:
	s_mov_b64 s[4:5], exec
	s_trap 2
	s_branch .LBB105_264
	.section	.rodata,"a",@progbits
	.p2align	6, 0x0
	.amdhsa_kernel _ZN2at6native12_GLOBAL__N_112gatherMedianIsjLi2EEEvNS_4cuda6detail10TensorInfoIT_T0_EENS5_IlS7_EENS5_IKS6_S7_EES7_S7_S7_b
		.amdhsa_group_segment_fixed_size 4120
		.amdhsa_private_segment_fixed_size 0
		.amdhsa_kernarg_size 920
		.amdhsa_user_sgpr_count 6
		.amdhsa_user_sgpr_private_segment_buffer 1
		.amdhsa_user_sgpr_dispatch_ptr 0
		.amdhsa_user_sgpr_queue_ptr 0
		.amdhsa_user_sgpr_kernarg_segment_ptr 1
		.amdhsa_user_sgpr_dispatch_id 0
		.amdhsa_user_sgpr_flat_scratch_init 0
		.amdhsa_user_sgpr_private_segment_size 0
		.amdhsa_uses_dynamic_stack 0
		.amdhsa_system_sgpr_private_segment_wavefront_offset 0
		.amdhsa_system_sgpr_workgroup_id_x 1
		.amdhsa_system_sgpr_workgroup_id_y 1
		.amdhsa_system_sgpr_workgroup_id_z 1
		.amdhsa_system_sgpr_workgroup_info 0
		.amdhsa_system_vgpr_workitem_id 0
		.amdhsa_next_free_vgpr 51
		.amdhsa_next_free_sgpr 96
		.amdhsa_reserve_vcc 1
		.amdhsa_reserve_flat_scratch 0
		.amdhsa_float_round_mode_32 0
		.amdhsa_float_round_mode_16_64 0
		.amdhsa_float_denorm_mode_32 3
		.amdhsa_float_denorm_mode_16_64 3
		.amdhsa_dx10_clamp 1
		.amdhsa_ieee_mode 1
		.amdhsa_fp16_overflow 0
		.amdhsa_exception_fp_ieee_invalid_op 0
		.amdhsa_exception_fp_denorm_src 0
		.amdhsa_exception_fp_ieee_div_zero 0
		.amdhsa_exception_fp_ieee_overflow 0
		.amdhsa_exception_fp_ieee_underflow 0
		.amdhsa_exception_fp_ieee_inexact 0
		.amdhsa_exception_int_div_zero 0
	.end_amdhsa_kernel
	.section	.text._ZN2at6native12_GLOBAL__N_112gatherMedianIsjLi2EEEvNS_4cuda6detail10TensorInfoIT_T0_EENS5_IlS7_EENS5_IKS6_S7_EES7_S7_S7_b,"axG",@progbits,_ZN2at6native12_GLOBAL__N_112gatherMedianIsjLi2EEEvNS_4cuda6detail10TensorInfoIT_T0_EENS5_IlS7_EENS5_IKS6_S7_EES7_S7_S7_b,comdat
.Lfunc_end105:
	.size	_ZN2at6native12_GLOBAL__N_112gatherMedianIsjLi2EEEvNS_4cuda6detail10TensorInfoIT_T0_EENS5_IlS7_EENS5_IKS6_S7_EES7_S7_S7_b, .Lfunc_end105-_ZN2at6native12_GLOBAL__N_112gatherMedianIsjLi2EEEvNS_4cuda6detail10TensorInfoIT_T0_EENS5_IlS7_EENS5_IKS6_S7_EES7_S7_S7_b
                                        ; -- End function
	.set _ZN2at6native12_GLOBAL__N_112gatherMedianIsjLi2EEEvNS_4cuda6detail10TensorInfoIT_T0_EENS5_IlS7_EENS5_IKS6_S7_EES7_S7_S7_b.num_vgpr, 51
	.set _ZN2at6native12_GLOBAL__N_112gatherMedianIsjLi2EEEvNS_4cuda6detail10TensorInfoIT_T0_EENS5_IlS7_EENS5_IKS6_S7_EES7_S7_S7_b.num_agpr, 0
	.set _ZN2at6native12_GLOBAL__N_112gatherMedianIsjLi2EEEvNS_4cuda6detail10TensorInfoIT_T0_EENS5_IlS7_EENS5_IKS6_S7_EES7_S7_S7_b.numbered_sgpr, 96
	.set _ZN2at6native12_GLOBAL__N_112gatherMedianIsjLi2EEEvNS_4cuda6detail10TensorInfoIT_T0_EENS5_IlS7_EENS5_IKS6_S7_EES7_S7_S7_b.num_named_barrier, 0
	.set _ZN2at6native12_GLOBAL__N_112gatherMedianIsjLi2EEEvNS_4cuda6detail10TensorInfoIT_T0_EENS5_IlS7_EENS5_IKS6_S7_EES7_S7_S7_b.private_seg_size, 0
	.set _ZN2at6native12_GLOBAL__N_112gatherMedianIsjLi2EEEvNS_4cuda6detail10TensorInfoIT_T0_EENS5_IlS7_EENS5_IKS6_S7_EES7_S7_S7_b.uses_vcc, 1
	.set _ZN2at6native12_GLOBAL__N_112gatherMedianIsjLi2EEEvNS_4cuda6detail10TensorInfoIT_T0_EENS5_IlS7_EENS5_IKS6_S7_EES7_S7_S7_b.uses_flat_scratch, 0
	.set _ZN2at6native12_GLOBAL__N_112gatherMedianIsjLi2EEEvNS_4cuda6detail10TensorInfoIT_T0_EENS5_IlS7_EENS5_IKS6_S7_EES7_S7_S7_b.has_dyn_sized_stack, 0
	.set _ZN2at6native12_GLOBAL__N_112gatherMedianIsjLi2EEEvNS_4cuda6detail10TensorInfoIT_T0_EENS5_IlS7_EENS5_IKS6_S7_EES7_S7_S7_b.has_recursion, 0
	.set _ZN2at6native12_GLOBAL__N_112gatherMedianIsjLi2EEEvNS_4cuda6detail10TensorInfoIT_T0_EENS5_IlS7_EENS5_IKS6_S7_EES7_S7_S7_b.has_indirect_call, 0
	.section	.AMDGPU.csdata,"",@progbits
; Kernel info:
; codeLenInByte = 10672
; TotalNumSgprs: 100
; NumVgprs: 51
; ScratchSize: 0
; MemoryBound: 0
; FloatMode: 240
; IeeeMode: 1
; LDSByteSize: 4120 bytes/workgroup (compile time only)
; SGPRBlocks: 12
; VGPRBlocks: 12
; NumSGPRsForWavesPerEU: 100
; NumVGPRsForWavesPerEU: 51
; Occupancy: 4
; WaveLimiterHint : 1
; COMPUTE_PGM_RSRC2:SCRATCH_EN: 0
; COMPUTE_PGM_RSRC2:USER_SGPR: 6
; COMPUTE_PGM_RSRC2:TRAP_HANDLER: 0
; COMPUTE_PGM_RSRC2:TGID_X_EN: 1
; COMPUTE_PGM_RSRC2:TGID_Y_EN: 1
; COMPUTE_PGM_RSRC2:TGID_Z_EN: 1
; COMPUTE_PGM_RSRC2:TIDIG_COMP_CNT: 0
	.section	.text._ZN2at6native12_GLOBAL__N_112gatherMedianIsjLi3EEEvNS_4cuda6detail10TensorInfoIT_T0_EENS5_IlS7_EENS5_IKS6_S7_EES7_S7_S7_b,"axG",@progbits,_ZN2at6native12_GLOBAL__N_112gatherMedianIsjLi3EEEvNS_4cuda6detail10TensorInfoIT_T0_EENS5_IlS7_EENS5_IKS6_S7_EES7_S7_S7_b,comdat
	.globl	_ZN2at6native12_GLOBAL__N_112gatherMedianIsjLi3EEEvNS_4cuda6detail10TensorInfoIT_T0_EENS5_IlS7_EENS5_IKS6_S7_EES7_S7_S7_b ; -- Begin function _ZN2at6native12_GLOBAL__N_112gatherMedianIsjLi3EEEvNS_4cuda6detail10TensorInfoIT_T0_EENS5_IlS7_EENS5_IKS6_S7_EES7_S7_S7_b
	.p2align	8
	.type	_ZN2at6native12_GLOBAL__N_112gatherMedianIsjLi3EEEvNS_4cuda6detail10TensorInfoIT_T0_EENS5_IlS7_EENS5_IKS6_S7_EES7_S7_S7_b,@function
_ZN2at6native12_GLOBAL__N_112gatherMedianIsjLi3EEEvNS_4cuda6detail10TensorInfoIT_T0_EENS5_IlS7_EENS5_IKS6_S7_EES7_S7_S7_b: ; @_ZN2at6native12_GLOBAL__N_112gatherMedianIsjLi3EEEvNS_4cuda6detail10TensorInfoIT_T0_EENS5_IlS7_EENS5_IKS6_S7_EES7_S7_S7_b
; %bb.0:
	s_load_dwordx2 s[14:15], s[4:5], 0x298
	s_load_dwordx4 s[36:39], s[4:5], 0x288
	s_add_u32 s12, s4, 0x298
	s_addc_u32 s13, s5, 0
	s_waitcnt lgkmcnt(0)
	s_mul_i32 s0, s15, s8
	s_add_i32 s0, s0, s7
	s_mul_i32 s0, s0, s14
	s_add_i32 s26, s0, s6
	s_cmp_ge_u32 s26, s37
	s_cbranch_scc1 .LBB106_251
; %bb.1:
	s_load_dwordx2 s[16:17], s[4:5], 0xc
	s_load_dwordx2 s[2:3], s[4:5], 0x1bc
	;; [unrolled: 1-line block ×3, first 2 shown]
	s_load_dwordx4 s[8:11], s[4:5], 0x21c
                                        ; implicit-def: $vgpr50 : SGPR spill to VGPR lane
	s_waitcnt lgkmcnt(0)
	v_cvt_f32_u32_e32 v3, s19
	v_cvt_f32_u32_e32 v1, s17
	s_sub_i32 s0, 0, s17
	v_cvt_f32_u32_e32 v2, s16
	v_rcp_iflag_f32_e32 v3, v3
	v_rcp_iflag_f32_e32 v1, v1
	;; [unrolled: 1-line block ×3, first 2 shown]
	v_mul_f32_e32 v1, 0x4f7ffffe, v1
	v_cvt_u32_f32_e32 v1, v1
	v_mul_f32_e32 v2, 0x4f7ffffe, v2
	v_cvt_u32_f32_e32 v2, v2
	v_readfirstlane_b32 s1, v1
	s_mul_i32 s0, s0, s1
	s_mul_hi_u32 s0, s1, s0
	s_add_i32 s1, s1, s0
	s_mul_hi_u32 s0, s26, s1
	s_mul_i32 s1, s0, s17
	s_sub_i32 s1, s26, s1
	s_add_i32 s7, s0, 1
	s_sub_i32 s11, s1, s17
	s_cmp_ge_u32 s1, s17
	s_cselect_b32 s0, s7, s0
	s_cselect_b32 s1, s11, s1
	s_add_i32 s7, s0, 1
	s_cmp_ge_u32 s1, s17
	v_mul_f32_e32 v1, 0x4f7ffffe, v3
	s_cselect_b32 s0, s7, s0
	v_cvt_u32_f32_e32 v1, v1
	v_writelane_b32 v50, s0, 0
	v_writelane_b32 v50, s16, 1
	s_sub_i32 s0, 0, s16
	v_readfirstlane_b32 s7, v2
	s_mul_i32 s0, s0, s7
	s_mul_hi_u32 s15, s7, s0
	s_sub_i32 s0, 0, s19
	v_readfirstlane_b32 s1, v1
	s_mul_i32 s0, s0, s1
	s_mul_hi_u32 s0, s1, s0
	v_cvt_f32_u32_e32 v1, s18
	s_add_i32 s1, s1, s0
	s_mul_hi_u32 s0, s26, s1
	s_mul_i32 s1, s0, s19
	s_sub_i32 s1, s26, s1
	v_rcp_iflag_f32_e32 v1, v1
	v_writelane_b32 v50, s17, 2
	s_add_i32 s11, s0, 1
	s_sub_i32 s16, s1, s19
	v_cvt_f32_u32_e32 v2, s3
	s_cmp_ge_u32 s1, s19
	s_cselect_b32 s0, s11, s0
	s_cselect_b32 s1, s16, s1
	s_add_i32 s11, s0, 1
	v_mul_f32_e32 v1, 0x4f7ffffe, v1
	s_cmp_ge_u32 s1, s19
	v_cvt_u32_f32_e32 v1, v1
	v_rcp_iflag_f32_e32 v2, v2
	s_cselect_b32 s0, s11, s0
	v_writelane_b32 v50, s0, 3
	v_writelane_b32 v50, s18, 4
	;; [unrolled: 1-line block ×3, first 2 shown]
	s_sub_i32 s0, 0, s18
	v_readfirstlane_b32 s18, v1
	v_mul_f32_e32 v1, 0x4f7ffffe, v2
	v_cvt_u32_f32_e32 v1, v1
	s_mul_i32 s0, s0, s18
	s_mul_hi_u32 s19, s18, s0
	s_sub_i32 s0, 0, s3
	v_readfirstlane_b32 s1, v1
	v_cvt_f32_u32_e32 v1, s2
	s_mul_i32 s0, s0, s1
	s_mul_hi_u32 s0, s1, s0
	s_add_i32 s1, s1, s0
	v_rcp_iflag_f32_e32 v1, v1
	s_mul_hi_u32 s0, s26, s1
	s_mul_i32 s1, s0, s3
	s_sub_i32 s1, s26, s1
	s_add_i32 s11, s0, 1
	s_sub_i32 s16, s1, s3
	v_mul_f32_e32 v1, 0x4f7ffffe, v1
	s_cmp_ge_u32 s1, s3
	v_cvt_u32_f32_e32 v1, v1
	s_cselect_b32 s0, s11, s0
	s_cselect_b32 s1, s16, s1
	s_add_i32 s11, s0, 1
	s_cmp_ge_u32 s1, s3
	s_cselect_b32 s11, s11, s0
	s_sub_i32 s0, 0, s2
	v_readfirstlane_b32 s22, v1
	s_mul_i32 s0, s0, s22
	s_mul_hi_u32 s0, s22, s0
	s_add_i32 s22, s22, s0
	v_cmp_eq_u32_e64 s[0:1], 0, v0
	s_and_saveexec_b64 s[16:17], s[0:1]
; %bb.2:
	v_mov_b32_e32 v1, 0
	v_mov_b32_e32 v2, v1
	ds_write_b64 v1, v[1:2] offset:4096
; %bb.3:
	s_or_b64 exec, exec, s[16:17]
	s_load_dwordx4 s[28:31], s[4:5], 0x144
	v_mov_b32_e32 v1, 0
	s_waitcnt lgkmcnt(0)
	s_barrier
	v_writelane_b32 v50, s28, 6
	v_writelane_b32 v50, s29, 7
	s_barrier
	ds_read_b64 v[1:2], v1 offset:4096
	v_writelane_b32 v50, s30, 8
	v_writelane_b32 v50, s31, 9
	s_load_dwordx4 s[28:31], s[4:5], 0x6c
	s_load_dwordx2 s[16:17], s[4:5], 0x1b0
	s_add_i32 s20, s7, s15
	s_add_i32 s21, s18, s19
	s_waitcnt lgkmcnt(0)
	v_readfirstlane_b32 s18, v1
	v_readfirstlane_b32 s19, v2
	s_mul_hi_u32 s15, s11, s22
	s_bitcmp1_b32 s39, 0
	v_cmp_lt_i64_e64 s[22:23], s[18:19], 1
	v_writelane_b32 v50, s28, 10
	s_cselect_b64 s[24:25], -1, 0
	v_writelane_b32 v50, s29, 11
	s_or_b64 s[22:23], s[24:25], s[22:23]
	v_writelane_b32 v50, s30, 12
	s_andn2_b64 vcc, exec, s[22:23]
	s_mov_b32 s7, s36
	v_writelane_b32 v50, s31, 13
	s_cbranch_vccnz .LBB106_5
; %bb.4:
	s_not_b64 s[18:19], s[18:19]
	s_add_u32 s7, s18, s36
	s_addc_u32 s19, s19, 0
	s_lshr_b32 s18, s19, 31
	s_add_u32 s18, s7, s18
	s_addc_u32 s19, s19, 0
	s_lshr_b64 s[18:19], s[18:19], 1
	s_add_i32 s7, s18, 1
.LBB106_5:
	s_load_dwordx2 s[18:19], s[4:5], 0xd8
                                        ; kill: killed $sgpr4 killed $sgpr5
	s_waitcnt lgkmcnt(0)
	v_writelane_b32 v50, s18, 14
	v_writelane_b32 v50, s19, 15
	s_load_dwordx2 s[18:19], s[4:5], 0x0
	s_waitcnt lgkmcnt(0)
	v_writelane_b32 v50, s18, 16
	v_writelane_b32 v50, s19, 17
	v_readlane_b32 s4, v50, 0
	s_mul_hi_u32 s4, s4, s20
	v_writelane_b32 v50, s4, 18
	v_readlane_b32 s4, v50, 3
	s_mul_hi_u32 s4, s4, s21
	v_writelane_b32 v50, s4, 19
	s_and_saveexec_b64 s[4:5], s[0:1]
	s_cbranch_execz .LBB106_7
; %bb.6:
	v_mov_b32_e32 v1, 0
	v_mov_b32_e32 v2, s36
	ds_write_b32 v1, v1 offset:4112
	ds_write_b64 v1, v[1:2] offset:4104
.LBB106_7:
	s_or_b64 exec, exec, s[4:5]
	s_mul_i32 s3, s11, s3
	s_mul_i32 s4, s15, s2
	s_sub_i32 s3, s26, s3
	s_sub_i32 s4, s11, s4
	s_mul_i32 s3, s3, s10
	s_add_i32 s5, s15, 1
	s_sub_i32 s10, s4, s2
	s_cmp_ge_u32 s4, s2
	s_cselect_b32 s5, s5, s15
	s_cselect_b32 s4, s10, s4
	s_add_i32 s10, s5, 1
	s_cmp_ge_u32 s4, s2
	s_cselect_b32 s4, s10, s5
	s_mul_i32 s2, s4, s2
	s_sub_i32 s2, s11, s2
	s_mul_i32 s2, s2, s9
	s_add_i32 s2, s2, s3
	s_mul_i32 s4, s4, s8
	s_add_i32 s60, s2, s4
	s_waitcnt lgkmcnt(0)
	s_barrier
	s_load_dword s4, s[12:13], 0xc
	s_mov_b32 s61, 0
	v_mul_lo_u32 v5, s38, v0
	s_lshl_b64 s[2:3], s[60:61], 1
	s_add_u32 s60, s16, s2
	v_mov_b32_e32 v7, 0
	v_writelane_b32 v50, s26, 20
	s_addc_u32 s37, s17, s3
	v_cmp_gt_u32_e64 s[2:3], s36, v0
	v_mbcnt_lo_u32_b32 v1, -1, 0
	v_mov_b32_e32 v6, v7
	v_writelane_b32 v50, s2, 21
	s_waitcnt lgkmcnt(0)
	s_and_b32 s39, s4, 0xffff
	v_mbcnt_hi_u32_b32 v21, -1, v1
	v_lshlrev_b64 v[1:2], 1, v[5:6]
	v_writelane_b32 v50, s3, 22
	v_cmp_gt_u32_e32 vcc, 64, v0
	v_cmp_gt_i32_e64 s[8:9], 4, v21
	s_add_i32 s3, s39, -1
	s_lshl_b32 s2, s39, 2
	s_bfe_u32 s10, s4, 0xa0006
	s_and_b64 s[52:53], vcc, s[8:9]
	s_add_i32 s11, s3, s36
	v_mov_b32_e32 v3, s37
	v_add_co_u32_e32 v8, vcc, s60, v1
	s_cmpk_gt_u32 s36, 0x600
	v_addc_co_u32_e32 v9, vcc, v3, v2, vcc
	v_lshlrev_b64 v[2:3], v21, -1
	s_cselect_b64 s[54:55], -1, 0
	s_cmp_gt_u32 s39, 63
	s_cselect_b64 s[56:57], -1, 0
	v_not_b32_e32 v26, v2
	v_lshrrev_b32_e32 v2, 2, v0
	s_cmp_lt_u32 s6, s14
	v_and_b32_e32 v2, 0xf0, v2
	s_cselect_b32 s6, 12, 18
	v_or_b32_e32 v27, 0xc00, v2
	s_add_u32 s8, s12, s6
	v_add_u32_e32 v2, 2, v0
	s_addc_u32 s9, s13, 0
	v_max_u32_e32 v2, s36, v2
	v_writelane_b32 v50, s8, 23
	v_xad_u32 v2, v0, -1, v2
	v_not_b32_e32 v25, v3
	v_writelane_b32 v50, s9, 24
	v_add_u32_e32 v3, -2, v2
	v_cmp_lt_u32_e64 s[8:9], 31, v2
	v_lshrrev_b32_e32 v4, 1, v3
	v_writelane_b32 v50, s8, 25
	v_add_u32_e32 v4, 1, v4
	v_writelane_b32 v50, s9, 26
	v_cmp_lt_u32_e64 s[8:9], 13, v3
	v_and_b32_e32 v12, 7, v4
	v_writelane_b32 v50, s8, 27
	v_writelane_b32 v50, s9, 28
	v_cmp_ne_u32_e64 s[8:9], 0, v12
	v_and_b32_e32 v28, -2, v2
	v_writelane_b32 v50, s8, 29
	v_writelane_b32 v50, s9, 30
	v_cmp_ne_u32_e64 s[8:9], v2, v28
	v_cvt_f32_u32_e32 v2, s2
	v_writelane_b32 v50, s8, 31
	s_add_i32 s6, s10, -1
	v_writelane_b32 v50, s9, 32
	v_rcp_iflag_f32_e32 v2, v2
	s_bfe_u32 s8, s39, 0x30006
	s_and_b32 s6, s6, 0xffff
	s_cmp_gt_u32 s6, 6
	v_mul_f32_e32 v2, 0x4f7ffffe, v2
	v_cvt_u32_f32_e32 v2, v2
	s_cselect_b64 s[12:13], -1, 0
	v_writelane_b32 v50, s12, 33
	v_writelane_b32 v50, s13, 34
	s_and_b32 s9, s10, 0x3f8
	v_writelane_b32 v50, s8, 35
	s_cmp_lg_u32 s8, 0
	v_readfirstlane_b32 s8, v2
	v_cvt_f32_u32_e32 v2, s39
	s_cselect_b64 s[12:13], -1, 0
	s_sub_i32 s6, 0, s2
	s_mul_i32 s6, s6, s8
	s_mul_hi_u32 s6, s8, s6
	v_and_b32_e32 v30, -8, v4
	s_add_i32 s8, s8, s6
	v_rcp_iflag_f32_e32 v4, v2
	s_mul_hi_u32 s6, s36, s8
	s_mul_i32 s6, s6, s2
	s_sub_i32 s6, s36, s6
	s_sub_i32 s10, s6, s2
	v_mul_f32_e32 v4, 0x4f7ffffe, v4
	s_cmp_ge_u32 s6, s2
	v_cvt_u32_f32_e32 v4, v4
	s_cselect_b32 s6, s10, s6
	s_sub_i32 s10, s6, s2
	v_writelane_b32 v50, s12, 36
	s_cmp_ge_u32 s6, s2
	v_writelane_b32 v50, s13, 37
	s_cselect_b32 s6, s10, s6
	s_sub_i32 s10, 0, s39
	v_readfirstlane_b32 s12, v4
	s_mul_i32 s10, s10, s12
	s_mul_hi_u32 s10, s12, s10
	s_sub_i32 s58, s36, s6
	s_add_i32 s59, s12, s10
	v_add_u32_e32 v31, s58, v0
	s_mul_hi_u32 s10, s11, s59
	v_mul_lo_u32 v6, v31, s38
	s_mul_i32 s10, s10, s39
	s_sub_i32 s10, s11, s10
	s_sub_i32 s12, s10, s39
	s_cmp_ge_u32 s10, s39
	v_lshlrev_b64 v[2:3], 1, v[6:7]
	s_cselect_b32 s10, s12, s10
	v_lshlrev_b32_e32 v20, 2, v0
	s_sub_i32 s12, s10, s39
	v_add_co_u32_e32 v10, vcc, s60, v2
	s_cmp_ge_u32 s10, s39
	v_mul_lo_u32 v2, s38, v20
	s_cselect_b32 s10, s12, s10
	s_sub_i32 s62, s11, s10
	v_cmp_gt_u32_e64 s[10:11], s62, v0
	v_writelane_b32 v50, s10, 38
	v_add_u32_e32 v33, s38, v2
	v_or_b32_e32 v2, 2, v20
	v_writelane_b32 v50, s11, 39
	v_mul_lo_u32 v34, s38, v2
	v_or_b32_e32 v2, 3, v20
	s_add_i32 s10, s39, s36
	v_mul_lo_u32 v35, s38, v2
	v_add_u32_e32 v2, s10, v0
	v_subrev_u32_e32 v2, s6, v2
	v_mul_lo_u32 v37, s38, v2
	v_lshlrev_b32_e32 v22, 1, v0
	v_lshlrev_b32_e32 v1, 2, v21
	v_mov_b32_e32 v6, s37
	s_mul_i32 s30, s38, s39
	v_cmp_eq_u32_e64 s[4:5], 0, v21
	v_cmp_gt_u32_e64 s[24:25], 2, v0
	v_add_u32_e32 v23, 0xc00, v22
	v_and_b32_e32 v24, 0x100, v1
	v_add_u32_e32 v29, v0, v28
	s_mov_b32 s31, s38
	v_cmp_gt_u32_e64 s[16:17], s58, v20
	v_cmp_gt_u32_e64 s[18:19], s36, v31
	v_addc_co_u32_e32 v11, vcc, v6, v3, vcc
	v_lshlrev_b32_e32 v32, 2, v12
	s_lshl_b32 s63, s30, 2
	v_lshlrev_b32_e32 v36, 2, v5
	s_lshl_b32 s64, s39, 3
	s_lshl_b32 s65, s39, 1
	v_or_b32_e32 v39, 0xc00, v1
	s_mov_b64 s[66:67], 0
	s_mov_b32 s34, 0x8000
	s_mov_b32 s35, 0x5040100
	v_lshlrev_b32_e32 v40, 3, v0
	v_mov_b32_e32 v42, 14
	v_mov_b32_e32 v45, s7
	;; [unrolled: 1-line block ×6, first 2 shown]
                                        ; implicit-def: $sgpr68_sgpr69
                                        ; implicit-def: $sgpr72_sgpr73
                                        ; implicit-def: $sgpr70_sgpr71
                                        ; implicit-def: $sgpr76_sgpr77
                                        ; implicit-def: $sgpr78_sgpr79
                                        ; implicit-def: $sgpr74_sgpr75
	s_branch .LBB106_11
.LBB106_8:                              ;   in Loop: Header=BB106_11 Depth=1
	s_or_b64 exec, exec, s[22:23]
	s_and_b64 s[12:13], s[12:13], exec
	s_andn2_b64 s[80:81], s[80:81], exec
	s_andn2_b64 s[28:29], s[28:29], exec
	s_orn2_b64 s[22:23], s[14:15], exec
.LBB106_9:                              ;   in Loop: Header=BB106_11 Depth=1
	s_or_b64 exec, exec, s[10:11]
	s_andn2_b64 s[10:11], s[74:75], exec
	s_and_b64 s[12:13], s[12:13], exec
	s_or_b64 s[74:75], s[10:11], s[12:13]
	s_andn2_b64 s[10:11], s[78:79], exec
	s_and_b64 s[12:13], s[80:81], exec
	s_or_b64 s[78:79], s[10:11], s[12:13]
	;; [unrolled: 3-line block ×3, first 2 shown]
	s_orn2_b64 s[22:23], s[22:23], exec
.LBB106_10:                             ;   in Loop: Header=BB106_11 Depth=1
	s_or_b64 exec, exec, s[6:7]
	s_and_b64 s[6:7], exec, s[22:23]
	s_or_b64 s[66:67], s[6:7], s[66:67]
	s_andn2_b64 s[6:7], s[70:71], exec
	s_and_b64 s[10:11], s[74:75], exec
	s_or_b64 s[70:71], s[6:7], s[10:11]
	s_andn2_b64 s[6:7], s[72:73], exec
	s_and_b64 s[10:11], s[78:79], exec
	;; [unrolled: 3-line block ×3, first 2 shown]
	s_or_b64 s[68:69], s[6:7], s[10:11]
	s_mov_b32 s61, s42
	v_mov_b32_e32 v45, v4
	s_andn2_b64 exec, exec, s[66:67]
	s_cbranch_execz .LBB106_247
.LBB106_11:                             ; =>This Loop Header: Depth=1
                                        ;     Child Loop BB106_16 Depth 2
                                        ;     Child Loop BB106_37 Depth 2
	;; [unrolled: 1-line block ×18, first 2 shown]
	ds_read_b64 v[1:2], v7 offset:4104
	s_waitcnt lgkmcnt(0)
	v_readfirstlane_b32 s40, v1
	s_cmp_lg_u32 s40, 0
	s_cbranch_scc1 .LBB106_56
; %bb.12:                               ;   in Loop: Header=BB106_11 Depth=1
	s_and_b64 vcc, exec, s[54:55]
	s_cbranch_vccz .LBB106_24
; %bb.13:                               ;   in Loop: Header=BB106_11 Depth=1
	s_movk_i32 s6, 0x601
	v_cmp_gt_u32_e32 vcc, s6, v2
	s_mov_b64 s[10:11], 0
	s_mov_b64 s[6:7], 0
	s_cbranch_vccz .LBB106_25
; %bb.14:                               ;   in Loop: Header=BB106_11 Depth=1
	v_readlane_b32 s6, v50, 23
	v_readlane_b32 s7, v50, 24
	s_nop 4
	global_load_ushort v1, v7, s[6:7]
	global_load_ushort v3, v[8:9], off
	s_mov_b64 s[26:27], 0
	v_mov_b32_e32 v4, v0
	s_waitcnt vmcnt(1)
	v_add_u32_e32 v2, v0, v1
	v_mul_lo_u32 v6, s38, v2
	v_mul_lo_u32 v2, s38, v1
	s_branch .LBB106_16
.LBB106_15:                             ;   in Loop: Header=BB106_16 Depth=2
	s_or_b64 exec, exec, s[6:7]
	v_add_u32_e32 v6, v6, v2
	v_mov_b32_e32 v3, v12
	s_andn2_b64 exec, exec, s[26:27]
	s_cbranch_execz .LBB106_31
.LBB106_16:                             ;   Parent Loop BB106_11 Depth=1
                                        ; =>  This Inner Loop Header: Depth=2
	v_add_u32_e32 v4, v4, v1
	v_cmp_gt_u32_e64 s[6:7], s36, v4
	v_cmp_le_u32_e32 vcc, s36, v4
	s_waitcnt lgkmcnt(0)
	v_mov_b32_e32 v13, 0
	v_mov_b32_e32 v12, 0
	s_and_saveexec_b64 s[12:13], s[6:7]
	s_cbranch_execz .LBB106_18
; %bb.17:                               ;   in Loop: Header=BB106_16 Depth=2
	v_lshlrev_b64 v[14:15], 1, v[6:7]
	v_mov_b32_e32 v12, s37
	v_add_co_u32_e64 v14, s[6:7], s60, v14
	v_addc_co_u32_e64 v15, s[6:7], v12, v15, s[6:7]
	global_load_ushort v12, v[14:15], off
.LBB106_18:                             ;   in Loop: Header=BB106_16 Depth=2
	s_or_b64 exec, exec, s[12:13]
	s_waitcnt vmcnt(0)
	v_add_u32_sdwa v14, sext(v3), s34 dst_sel:DWORD dst_unused:UNUSED_PAD src0_sel:WORD_0 src1_sel:DWORD
	v_and_b32_e32 v14, v14, v43
	v_cmp_eq_u32_e64 s[22:23], v14, v38
	s_cmp_lg_u64 s[22:23], 0
	s_cselect_b64 s[6:7], -1, 0
	s_and_b64 s[6:7], s[4:5], s[6:7]
	s_and_saveexec_b64 s[12:13], s[6:7]
	s_cbranch_execz .LBB106_22
; %bb.19:                               ;   in Loop: Header=BB106_16 Depth=2
	s_mov_b64 s[28:29], exec
	v_mbcnt_lo_u32_b32 v13, s28, 0
	v_mbcnt_hi_u32_b32 v13, s29, v13
	s_bcnt1_i32_b64 s20, s[22:23]
	v_cmp_eq_u32_e64 s[6:7], 0, v13
                                        ; implicit-def: $vgpr14
	s_and_saveexec_b64 s[14:15], s[6:7]
; %bb.20:                               ;   in Loop: Header=BB106_16 Depth=2
	s_bcnt1_i32_b64 s6, s[28:29]
	s_mul_i32 s6, s20, s6
	v_mov_b32_e32 v14, s6
	ds_add_rtn_u32 v14, v7, v14 offset:4112
; %bb.21:                               ;   in Loop: Header=BB106_16 Depth=2
	s_or_b64 exec, exec, s[14:15]
	s_waitcnt lgkmcnt(0)
	v_readfirstlane_b32 s6, v14
	v_mov_b32_e32 v14, s6
	v_mad_u32_u24 v13, s20, v13, v14
.LBB106_22:                             ;   in Loop: Header=BB106_16 Depth=2
	s_or_b64 exec, exec, s[12:13]
	ds_bpermute_b32 v13, v24, v13
	s_and_b64 s[6:7], exec, vcc
	s_or_b64 s[26:27], s[6:7], s[26:27]
	s_and_saveexec_b64 s[6:7], s[22:23]
	s_cbranch_execz .LBB106_15
; %bb.23:                               ;   in Loop: Header=BB106_16 Depth=2
	v_and_b32_e32 v15, s22, v26
	v_and_b32_e32 v14, s23, v25
	v_bcnt_u32_b32 v15, v15, 0
	v_bcnt_u32_b32 v14, v14, v15
	v_lshlrev_b32_e32 v14, 1, v14
	s_waitcnt lgkmcnt(0)
	v_lshl_add_u32 v13, v13, 1, v14
	ds_write_b16 v13, v3
	s_branch .LBB106_15
.LBB106_24:                             ;   in Loop: Header=BB106_11 Depth=1
	s_mov_b64 s[10:11], -1
	s_mov_b64 s[6:7], 0
.LBB106_25:                             ;   in Loop: Header=BB106_11 Depth=1
	s_and_b64 vcc, exec, s[10:11]
	s_cbranch_vccz .LBB106_54
.LBB106_26:                             ;   in Loop: Header=BB106_11 Depth=1
	s_mov_b64 s[22:23], exec
	v_readlane_b32 s6, v50, 21
	v_readlane_b32 s7, v50, 22
	s_and_b64 s[6:7], s[22:23], s[6:7]
	s_mov_b64 exec, s[6:7]
	s_cbranch_execz .LBB106_51
; %bb.27:                               ;   in Loop: Header=BB106_11 Depth=1
	v_readlane_b32 s6, v50, 23
	v_readlane_b32 s7, v50, 24
	s_nop 4
	global_load_ushort v1, v7, s[6:7]
	global_load_ushort v16, v[8:9], off
	v_mov_b32_e32 v2, v0
	s_waitcnt vmcnt(1)
	v_add_u32_e32 v12, v0, v1
	v_readfirstlane_b32 s14, v1
	v_cmp_gt_u32_e32 vcc, s36, v12
	s_and_saveexec_b64 s[26:27], vcc
	s_cbranch_execz .LBB106_50
; %bb.28:                               ;   in Loop: Header=BB106_11 Depth=1
	s_mov_b64 s[10:11], 0
	s_mul_i32 s15, s38, s14
                                        ; implicit-def: $vgpr2
                                        ; implicit-def: $vgpr4
                                        ; implicit-def: $vgpr3
                                        ; implicit-def: $vgpr1
	s_mov_b64 s[6:7], exec
	v_readlane_b32 s12, v50, 25
	v_readlane_b32 s13, v50, 26
	s_and_b64 s[12:13], s[6:7], s[12:13]
	s_xor_b64 s[28:29], s[12:13], s[6:7]
	s_mov_b64 exec, s[12:13]
	s_cbranch_execnz .LBB106_34
; %bb.29:                               ;   in Loop: Header=BB106_11 Depth=1
	s_andn2_saveexec_b64 s[6:7], s[28:29]
	s_cbranch_execnz .LBB106_45
.LBB106_30:                             ;   in Loop: Header=BB106_11 Depth=1
	s_or_b64 exec, exec, s[6:7]
	s_and_saveexec_b64 s[6:7], s[10:11]
	s_cbranch_execnz .LBB106_46
	s_branch .LBB106_49
.LBB106_31:                             ;   in Loop: Header=BB106_11 Depth=1
	s_or_b64 exec, exec, s[26:27]
	s_waitcnt lgkmcnt(0)
	s_barrier
	s_and_saveexec_b64 s[6:7], s[0:1]
	s_cbranch_execz .LBB106_33
; %bb.32:                               ;   in Loop: Header=BB106_11 Depth=1
	ds_read_b32 v1, v7 offset:4112
	s_waitcnt lgkmcnt(0)
	ds_write_b32 v7, v1 offset:4104
.LBB106_33:                             ;   in Loop: Header=BB106_11 Depth=1
	s_or_b64 exec, exec, s[6:7]
	s_waitcnt lgkmcnt(0)
	s_barrier
	s_mov_b64 s[6:7], -1
	s_and_b64 vcc, exec, s[10:11]
	s_cbranch_vccnz .LBB106_26
	s_branch .LBB106_54
.LBB106_34:                             ;   in Loop: Header=BB106_11 Depth=1
	v_cvt_f32_u32_e32 v1, s14
	s_sub_i32 s7, 0, s14
	v_add_u32_e32 v2, s14, v12
	v_max_u32_e32 v2, s36, v2
	v_rcp_iflag_f32_e32 v1, v1
	s_lshl_b32 s6, s14, 1
	v_sub_u32_e32 v2, v2, v0
	v_cmp_ne_u32_e32 vcc, s6, v2
	v_mul_f32_e32 v1, 0x4f7ffffe, v1
	v_cvt_u32_f32_e32 v1, v1
	v_cndmask_b32_e64 v6, 0, 1, vcc
	v_or_b32_e32 v6, s6, v6
	v_sub_u32_e32 v6, v2, v6
	v_mul_lo_u32 v3, s7, v1
	s_not_b32 s6, s15
	s_ashr_i32 s20, s6, 31
	s_abs_i32 s12, s15
	v_mul_hi_u32 v3, v1, v3
	v_mul_lo_u32 v4, s38, v12
	s_cmp_eq_u32 s14, 1
	s_mov_b64 s[10:11], -1
	v_add_u32_e32 v1, v1, v3
	v_mul_hi_u32 v1, v6, v1
	v_xor_b32_e32 v4, s20, v4
                                        ; implicit-def: $vgpr2
	v_mul_lo_u32 v3, v1, s14
	v_add_u32_e32 v13, 1, v1
	v_sub_u32_e32 v3, v6, v3
	v_subrev_u32_e32 v6, s14, v3
	v_cmp_le_u32_e64 s[6:7], s14, v3
	v_cndmask_b32_e64 v1, v1, v13, s[6:7]
	v_cndmask_b32_e64 v3, v3, v6, s[6:7]
	v_add_u32_e32 v6, 1, v1
	v_cmp_le_u32_e64 s[6:7], s14, v3
	v_cndmask_b32_e64 v1, v1, v6, s[6:7]
	v_addc_co_u32_e32 v1, vcc, 0, v1, vcc
	v_mul_hi_u32 v3, s12, v1
	v_mul_lo_u32 v1, s12, v1
	s_cselect_b64 s[12:13], -1, 0
	v_cmp_eq_u32_e32 vcc, 0, v3
	v_cmp_le_u32_e64 s[6:7], v1, v4
	s_and_b64 s[12:13], vcc, s[12:13]
	s_and_b64 s[12:13], s[12:13], s[6:7]
	v_mov_b32_e32 v3, v0
	s_and_saveexec_b64 s[6:7], s[12:13]
	s_cbranch_execz .LBB106_44
; %bb.35:                               ;   in Loop: Header=BB106_11 Depth=1
	v_add_u32_e32 v13, 1, v12
	v_mov_b32_e32 v15, v13
	s_waitcnt vmcnt(0)
	v_lshlrev_b32_e32 v17, 16, v16
	v_mov_b32_e32 v1, 0
	v_mov_b32_e32 v14, v12
                                        ; implicit-def: $vgpr16
	s_mov_b64 s[80:81], exec
	v_readlane_b32 s10, v50, 27
	v_readlane_b32 s11, v50, 28
	s_and_b64 s[10:11], s[80:81], s[10:11]
	s_mov_b64 exec, s[10:11]
	s_cbranch_execz .LBB106_39
; %bb.36:                               ;   in Loop: Header=BB106_11 Depth=1
	v_mov_b32_e32 v15, v13
	s_mov_b32 s10, 0
	s_mov_b64 s[82:83], 0
	v_mov_b32_e32 v46, v30
	v_mov_b32_e32 v47, v22
	;; [unrolled: 1-line block ×3, first 2 shown]
.LBB106_37:                             ;   Parent Loop BB106_11 Depth=1
                                        ; =>  This Inner Loop Header: Depth=2
	v_mul_lo_u32 v6, v14, s38
	v_mul_lo_u32 v1, v15, s31
	v_mov_b32_e32 v13, s37
	v_add_u32_e32 v46, -8, v46
	v_lshlrev_b64 v[2:3], 1, v[6:7]
	s_add_i32 s10, s10, 16
	v_add_co_u32_e32 v18, vcc, s60, v2
	v_mov_b32_e32 v2, v7
	v_lshlrev_b64 v[1:2], 1, v[1:2]
	v_addc_co_u32_e32 v19, vcc, v13, v3, vcc
	v_add_co_u32_e32 v1, vcc, s60, v1
	v_addc_co_u32_e32 v2, vcc, v13, v2, vcc
	global_load_ushort v3, v[18:19], off
	s_nop 0
	global_load_ushort v18, v[1:2], off
	v_add_u32_e32 v2, 2, v15
	v_mul_lo_u32 v2, v2, s31
	s_waitcnt vmcnt(1)
	v_alignbit_b32 v1, v3, v17, 16
	v_add_u32_e32 v3, 2, v14
	v_mul_lo_u32 v6, v3, s38
	v_lshlrev_b64 v[3:4], 1, v[6:7]
	v_add_co_u32_e32 v16, vcc, s60, v3
	v_mov_b32_e32 v3, v7
	v_lshlrev_b64 v[2:3], 1, v[2:3]
	v_addc_co_u32_e32 v17, vcc, v13, v4, vcc
	v_add_co_u32_e32 v2, vcc, s60, v2
	v_addc_co_u32_e32 v3, vcc, v13, v3, vcc
	global_load_ushort v4, v[16:17], off
	global_load_ushort v19, v[2:3], off
	v_add_u32_e32 v3, 4, v15
	v_mul_lo_u32 v3, v3, s31
	s_waitcnt vmcnt(1)
	v_perm_b32 v2, v4, v18, s35
	v_add_u32_e32 v4, 4, v14
	v_mul_lo_u32 v6, v4, s38
	v_mov_b32_e32 v4, v7
	v_lshlrev_b64 v[3:4], 1, v[3:4]
	v_lshlrev_b64 v[16:17], 1, v[6:7]
	v_add_co_u32_e32 v16, vcc, s60, v16
	v_addc_co_u32_e32 v17, vcc, v13, v17, vcc
	v_add_co_u32_e32 v3, vcc, s60, v3
	v_addc_co_u32_e32 v4, vcc, v13, v4, vcc
	global_load_ushort v6, v[16:17], off
	s_nop 0
	global_load_ushort v4, v[3:4], off
	v_add_u32_e32 v16, 6, v15
	v_mul_lo_u32 v16, v16, s31
	s_waitcnt vmcnt(1)
	v_perm_b32 v3, v6, v19, s35
	v_add_u32_e32 v6, 6, v14
	v_mul_lo_u32 v6, v6, s38
	v_lshlrev_b64 v[17:18], 1, v[6:7]
	v_add_co_u32_e32 v48, vcc, s60, v17
	v_mov_b32_e32 v17, v7
	v_lshlrev_b64 v[16:17], 1, v[16:17]
	v_addc_co_u32_e32 v49, vcc, v13, v18, vcc
	v_add_co_u32_e32 v16, vcc, s60, v16
	v_addc_co_u32_e32 v17, vcc, v13, v17, vcc
	global_load_ushort v6, v[48:49], off
	global_load_ushort v18, v[16:17], off
	s_waitcnt vmcnt(1)
	v_perm_b32 v4, v6, v4, s35
	ds_write_b128 v47, v[1:4]
	v_add_u32_e32 v2, 8, v14
	v_mul_lo_u32 v6, v2, s38
	v_add_u32_e32 v1, 8, v15
	v_mul_lo_u32 v1, v1, s31
	v_lshlrev_b64 v[2:3], 1, v[6:7]
	v_add_co_u32_e32 v16, vcc, s60, v2
	v_mov_b32_e32 v2, v7
	v_lshlrev_b64 v[1:2], 1, v[1:2]
	v_addc_co_u32_e32 v17, vcc, v13, v3, vcc
	v_add_co_u32_e32 v1, vcc, s60, v1
	v_addc_co_u32_e32 v2, vcc, v13, v2, vcc
	global_load_ushort v3, v[16:17], off
	global_load_ushort v19, v[1:2], off
	v_add_u32_e32 v2, 10, v15
	v_mul_lo_u32 v2, v2, s31
	s_waitcnt vmcnt(1)
	v_perm_b32 v1, v3, v18, s35
	v_add_u32_e32 v3, 10, v14
	v_mul_lo_u32 v6, v3, s38
	v_lshlrev_b64 v[3:4], 1, v[6:7]
	v_add_co_u32_e32 v16, vcc, s60, v3
	v_mov_b32_e32 v3, v7
	v_lshlrev_b64 v[2:3], 1, v[2:3]
	v_addc_co_u32_e32 v17, vcc, v13, v4, vcc
	v_add_co_u32_e32 v2, vcc, s60, v2
	v_addc_co_u32_e32 v3, vcc, v13, v3, vcc
	global_load_ushort v4, v[16:17], off
	global_load_ushort v18, v[2:3], off
	v_add_u32_e32 v3, 12, v15
	v_mul_lo_u32 v3, v3, s31
	s_waitcnt vmcnt(1)
	v_perm_b32 v2, v4, v19, s35
	v_add_u32_e32 v4, 12, v14
	v_mul_lo_u32 v6, v4, s38
	v_mov_b32_e32 v4, v7
	v_lshlrev_b64 v[3:4], 1, v[3:4]
	v_mov_b32_e32 v19, v7
	v_lshlrev_b64 v[16:17], 1, v[6:7]
	v_add_co_u32_e32 v16, vcc, s60, v16
	v_addc_co_u32_e32 v17, vcc, v13, v17, vcc
	v_add_co_u32_e32 v3, vcc, s60, v3
	v_addc_co_u32_e32 v4, vcc, v13, v4, vcc
	global_load_ushort v6, v[16:17], off
	s_nop 0
	global_load_ushort v4, v[3:4], off
	v_add_u32_e32 v16, 14, v15
	v_add_u32_e32 v15, 16, v15
	s_waitcnt vmcnt(1)
	v_perm_b32 v3, v6, v18, s35
	v_add_u32_e32 v6, 14, v14
	v_mul_lo_u32 v6, v6, s38
	v_mul_lo_u32 v18, v16, s31
	v_add_u32_e32 v14, 16, v14
	v_lshlrev_b64 v[16:17], 1, v[6:7]
	v_lshlrev_b64 v[18:19], 1, v[18:19]
	v_add_co_u32_e32 v16, vcc, s60, v16
	v_addc_co_u32_e32 v17, vcc, v13, v17, vcc
	v_add_co_u32_e32 v18, vcc, s60, v18
	v_addc_co_u32_e32 v19, vcc, v13, v19, vcc
	global_load_ushort v6, v[16:17], off
	s_nop 0
	global_load_ushort v16, v[18:19], off
	v_cmp_eq_u32_e32 vcc, 0, v46
	s_or_b64 s[82:83], vcc, s[82:83]
	s_waitcnt vmcnt(1)
	v_perm_b32 v4, v6, v4, s35
	s_waitcnt vmcnt(0)
	v_perm_b32 v17, v16, v6, s35
	ds_write_b128 v47, v[1:4] offset:16
	v_add_u32_e32 v47, 32, v47
	v_mov_b32_e32 v1, s10
	s_andn2_b64 exec, exec, s[82:83]
	s_cbranch_execnz .LBB106_37
; %bb.38:                               ;   in Loop: Header=BB106_11 Depth=1
	s_or_b64 exec, exec, s[82:83]
.LBB106_39:                             ;   in Loop: Header=BB106_11 Depth=1
	s_or_b64 exec, exec, s[80:81]
	s_mov_b64 s[10:11], exec
	v_readlane_b32 s12, v50, 29
	v_readlane_b32 s13, v50, 30
	s_and_b64 s[12:13], s[10:11], s[12:13]
	s_mov_b64 exec, s[12:13]
	s_cbranch_execz .LBB106_43
; %bb.40:                               ;   in Loop: Header=BB106_11 Depth=1
	v_lshl_add_u32 v1, v1, 1, v22
	s_mov_b64 s[12:13], 0
	v_mov_b32_e32 v2, v32
.LBB106_41:                             ;   Parent Loop BB106_11 Depth=1
                                        ; =>  This Inner Loop Header: Depth=2
	v_mul_lo_u32 v6, v14, s38
	v_mul_lo_u32 v3, v15, s31
	v_mov_b32_e32 v4, v7
	v_mov_b32_e32 v13, s37
	v_lshlrev_b64 v[18:19], 1, v[6:7]
	v_lshlrev_b64 v[3:4], 1, v[3:4]
	v_add_co_u32_e32 v18, vcc, s60, v18
	v_addc_co_u32_e32 v19, vcc, v13, v19, vcc
	v_add_co_u32_e32 v3, vcc, s60, v3
	v_addc_co_u32_e32 v4, vcc, v13, v4, vcc
	global_load_ushort v6, v[18:19], off
	global_load_ushort v16, v[3:4], off
	v_add_u32_e32 v2, -4, v2
	v_cmp_eq_u32_e32 vcc, 0, v2
	v_add_u32_e32 v15, 2, v15
	v_add_u32_e32 v14, 2, v14
	s_or_b64 s[12:13], vcc, s[12:13]
	s_waitcnt vmcnt(1)
	v_alignbit_b32 v4, v6, v17, 16
	s_waitcnt vmcnt(0)
	v_perm_b32 v3, v16, v6, s35
	ds_write_b32 v1, v4
	v_add_u32_e32 v1, 4, v1
	v_mov_b32_e32 v17, v3
	s_andn2_b64 exec, exec, s[12:13]
	s_cbranch_execnz .LBB106_41
; %bb.42:                               ;   in Loop: Header=BB106_11 Depth=1
	s_or_b64 exec, exec, s[12:13]
.LBB106_43:                             ;   in Loop: Header=BB106_11 Depth=1
	s_or_b64 exec, exec, s[10:11]
	v_readlane_b32 s10, v50, 31
	v_add_u32_e32 v12, v12, v28
	v_readlane_b32 s11, v50, 32
	v_add_u32_e32 v2, -1, v12
	s_orn2_b64 s[10:11], s[10:11], exec
	v_mov_b32_e32 v3, v29
.LBB106_44:                             ;   in Loop: Header=BB106_11 Depth=1
	s_or_b64 exec, exec, s[6:7]
	v_mov_b32_e32 v1, s15
	s_and_b64 s[10:11], s[10:11], exec
	s_waitcnt vmcnt(0)
	v_mov_b32_e32 v4, v16
	s_andn2_saveexec_b64 s[6:7], s[28:29]
	s_cbranch_execz .LBB106_30
.LBB106_45:                             ;   in Loop: Header=BB106_11 Depth=1
	v_mov_b32_e32 v1, s15
	s_or_b64 s[10:11], s[10:11], exec
	s_waitcnt vmcnt(0)
	v_mov_b32_e32 v4, v16
	v_mov_b32_e32 v3, v0
	s_or_b64 exec, exec, s[6:7]
	s_and_saveexec_b64 s[6:7], s[10:11]
	s_cbranch_execz .LBB106_49
.LBB106_46:                             ;   in Loop: Header=BB106_11 Depth=1
	v_mul_lo_u32 v6, s38, v12
	s_sub_i32 s12, 0, s14
	s_mov_b64 s[10:11], 0
.LBB106_47:                             ;   Parent Loop BB106_11 Depth=1
                                        ; =>  This Inner Loop Header: Depth=2
	v_mov_b32_e32 v2, v12
	v_lshlrev_b64 v[12:13], 1, v[6:7]
	v_mov_b32_e32 v14, s37
	v_add_co_u32_e32 v12, vcc, s60, v12
	v_addc_co_u32_e32 v13, vcc, v14, v13, vcc
	global_load_ushort v16, v[12:13], off
	v_add_u32_e32 v12, s14, v2
	v_lshlrev_b32_e32 v3, 1, v3
	v_cmp_le_u32_e32 vcc, s36, v12
	ds_write_b16 v3, v4
	v_add_u32_e32 v6, v6, v1
	s_or_b64 s[10:11], vcc, s[10:11]
	v_mov_b32_e32 v3, v2
	s_waitcnt vmcnt(0)
	v_mov_b32_e32 v4, v16
	s_andn2_b64 exec, exec, s[10:11]
	s_cbranch_execnz .LBB106_47
; %bb.48:                               ;   in Loop: Header=BB106_11 Depth=1
	s_or_b64 exec, exec, s[10:11]
	v_add_u32_e32 v2, s12, v12
.LBB106_49:                             ;   in Loop: Header=BB106_11 Depth=1
	s_or_b64 exec, exec, s[6:7]
.LBB106_50:                             ;   in Loop: Header=BB106_11 Depth=1
	s_or_b64 exec, exec, s[26:27]
	v_lshlrev_b32_e32 v1, 1, v2
	s_waitcnt vmcnt(0)
	ds_write_b16 v1, v16
.LBB106_51:                             ;   in Loop: Header=BB106_11 Depth=1
	s_or_b64 exec, exec, s[22:23]
	s_waitcnt lgkmcnt(0)
	s_barrier
	s_and_saveexec_b64 s[6:7], s[0:1]
; %bb.52:                               ;   in Loop: Header=BB106_11 Depth=1
	v_mov_b32_e32 v1, s36
	ds_write_b32 v7, v1 offset:4104
; %bb.53:                               ;   in Loop: Header=BB106_11 Depth=1
	s_or_b64 exec, exec, s[6:7]
	s_mov_b64 s[6:7], -1
	s_waitcnt lgkmcnt(0)
	s_barrier
.LBB106_54:                             ;   in Loop: Header=BB106_11 Depth=1
	s_mov_b32 s40, 0
	s_and_b64 vcc, exec, s[6:7]
	s_cbranch_vccz .LBB106_56
; %bb.55:                               ;   in Loop: Header=BB106_11 Depth=1
	ds_read_b32 v1, v7 offset:4104
	s_waitcnt lgkmcnt(0)
	v_readfirstlane_b32 s40, v1
.LBB106_56:                             ;   in Loop: Header=BB106_11 Depth=1
	s_cmp_lt_i32 s40, 1
	s_mov_b64 s[6:7], -1
                                        ; implicit-def: $vgpr1
	s_cbranch_scc1 .LBB106_66
; %bb.57:                               ;   in Loop: Header=BB106_11 Depth=1
	s_and_b64 vcc, exec, s[6:7]
	s_cbranch_vccnz .LBB106_77
.LBB106_58:                             ;   in Loop: Header=BB106_11 Depth=1
	s_lshl_b32 s10, s61, 6
	s_and_saveexec_b64 s[6:7], s[4:5]
.LBB106_59:                             ;   in Loop: Header=BB106_11 Depth=1
	v_lshl_add_u32 v6, s10, 2, v27
	ds_write_b128 v6, v[1:4]
.LBB106_60:                             ;   in Loop: Header=BB106_11 Depth=1
	s_or_b64 exec, exec, s[6:7]
	s_waitcnt lgkmcnt(0)
	s_barrier
	s_and_saveexec_b64 s[6:7], s[52:53]
	s_cbranch_execz .LBB106_91
; %bb.61:                               ;   in Loop: Header=BB106_11 Depth=1
	s_andn2_b64 vcc, exec, s[56:57]
	v_mov_b32_e32 v1, 0
	s_cbranch_vccnz .LBB106_90
; %bb.62:                               ;   in Loop: Header=BB106_11 Depth=1
	v_readlane_b32 s12, v50, 33
	v_readlane_b32 s13, v50, 34
	s_andn2_b64 vcc, exec, s[12:13]
	s_cbranch_vccnz .LBB106_86
; %bb.63:                               ;   in Loop: Header=BB106_11 Depth=1
	v_lshl_add_u32 v2, s61, 8, v39
	s_mov_b32 s11, 0
	v_mov_b32_e32 v1, 0
.LBB106_64:                             ;   Parent Loop BB106_11 Depth=1
                                        ; =>  This Inner Loop Header: Depth=2
	ds_read2_b32 v[3:4], v2 offset1:4
	ds_read2_b32 v[12:13], v2 offset0:8 offset1:12
	ds_read2_b32 v[14:15], v2 offset0:16 offset1:20
	;; [unrolled: 1-line block ×3, first 2 shown]
	s_add_i32 s11, s11, 8
	s_waitcnt lgkmcnt(3)
	v_add3_u32 v1, v3, v1, v4
	s_waitcnt lgkmcnt(2)
	v_add3_u32 v1, v12, v1, v13
	;; [unrolled: 2-line block ×3, first 2 shown]
	v_add_u32_e32 v2, 0x80, v2
	s_cmp_eq_u32 s9, s11
	s_waitcnt lgkmcnt(0)
	v_add3_u32 v1, v16, v1, v17
	s_cbranch_scc0 .LBB106_64
; %bb.65:                               ;   in Loop: Header=BB106_11 Depth=1
	s_mov_b32 s11, s9
	s_branch .LBB106_87
.LBB106_66:                             ;   in Loop: Header=BB106_11 Depth=1
	v_mov_b32_e32 v1, 0
	v_mov_b32_e32 v2, 0
	;; [unrolled: 1-line block ×4, first 2 shown]
	s_and_saveexec_b64 s[80:81], s[16:17]
	s_cbranch_execz .LBB106_70
; %bb.67:                               ;   in Loop: Header=BB106_11 Depth=1
	s_mov_b32 s10, 0
	s_mov_b64 s[82:83], 0
	s_mov_b32 s11, 0
	s_mov_b32 s12, 0
	;; [unrolled: 1-line block ×4, first 2 shown]
	v_mov_b32_e32 v12, v20
.LBB106_68:                             ;   Parent Loop BB106_11 Depth=1
                                        ; =>  This Inner Loop Header: Depth=2
	v_add_u32_e32 v6, s10, v36
	v_lshlrev_b64 v[1:2], 1, v[6:7]
	v_mov_b32_e32 v3, s37
	v_add_co_u32_e32 v1, vcc, s60, v1
	v_addc_co_u32_e32 v2, vcc, v3, v2, vcc
	v_add_u32_e32 v6, s10, v33
	global_load_sshort v4, v[1:2], off
	v_lshlrev_b64 v[1:2], 1, v[6:7]
	v_add_u32_e32 v6, s10, v34
	v_add_co_u32_e32 v1, vcc, s60, v1
	v_addc_co_u32_e32 v2, vcc, v3, v2, vcc
	global_load_sshort v13, v[1:2], off
	v_lshlrev_b64 v[1:2], 1, v[6:7]
	v_add_u32_e32 v6, s10, v35
	v_add_co_u32_e32 v1, vcc, s60, v1
	v_addc_co_u32_e32 v2, vcc, v3, v2, vcc
	;; [unrolled: 5-line block ×3, first 2 shown]
	global_load_sshort v1, v[1:2], off
	s_add_i32 s10, s10, s63
	s_waitcnt vmcnt(3)
	v_add_u32_e32 v2, 0x8000, v4
	v_and_b32_e32 v6, v2, v43
	v_bfe_u32 v2, v2, v42, 2
	v_cmp_eq_u32_e32 vcc, v6, v38
	v_cmp_eq_u32_e64 s[28:29], 0, v2
	s_and_b64 s[20:21], vcc, s[28:29]
	s_waitcnt vmcnt(2)
	v_add_u32_e32 v3, 0x8000, v13
	v_and_b32_e32 v6, v3, v43
	v_bfe_u32 v3, v3, v42, 2
	v_cmp_eq_u32_e64 s[6:7], v6, v38
	v_cmp_eq_u32_e64 s[28:29], 0, v3
	s_and_b64 s[42:43], s[6:7], s[28:29]
	s_waitcnt vmcnt(1)
	v_add_u32_e32 v4, 0x8000, v14
	v_and_b32_e32 v6, v4, v43
	v_bfe_u32 v4, v4, v42, 2
	v_cmp_eq_u32_e64 s[22:23], v6, v38
	v_cmp_eq_u32_e64 s[28:29], 0, v4
	s_and_b64 s[44:45], s[22:23], s[28:29]
	s_waitcnt vmcnt(0)
	v_add_u32_e32 v1, 0x8000, v1
	v_and_b32_e32 v6, v1, v43
	v_bfe_u32 v1, v1, v42, 2
	v_cmp_eq_u32_e64 s[26:27], v6, v38
	v_cmp_eq_u32_e64 s[28:29], 0, v1
	v_cndmask_b32_e64 v6, 0, 1, s[20:21]
	s_and_b64 s[46:47], s[26:27], s[28:29]
	v_cmp_ne_u32_e64 s[28:29], 0, v6
	v_cndmask_b32_e64 v6, 0, 1, s[42:43]
	s_bcnt1_i32_b64 s15, s[28:29]
	v_cmp_ne_u32_e64 s[28:29], 0, v6
	v_cndmask_b32_e64 v6, 0, 1, s[44:45]
	s_bcnt1_i32_b64 s20, s[28:29]
	v_cmp_ne_u32_e64 s[28:29], 0, v6
	v_cndmask_b32_e64 v6, 0, 1, s[46:47]
	s_add_i32 s14, s14, s15
	s_bcnt1_i32_b64 s21, s[28:29]
	v_cmp_ne_u32_e64 s[28:29], 0, v6
	s_add_i32 s14, s14, s20
	s_bcnt1_i32_b64 s28, s[28:29]
	s_add_i32 s14, s14, s21
	s_add_i32 s14, s14, s28
	v_cmp_eq_u32_e64 s[28:29], 1, v2
	s_and_b64 s[20:21], vcc, s[28:29]
	v_cmp_eq_u32_e64 s[28:29], 1, v3
	s_and_b64 s[42:43], s[6:7], s[28:29]
	v_cmp_eq_u32_e64 s[28:29], 1, v4
	s_and_b64 s[44:45], s[22:23], s[28:29]
	v_cmp_eq_u32_e64 s[28:29], 1, v1
	v_cndmask_b32_e64 v6, 0, 1, s[20:21]
	s_and_b64 s[46:47], s[26:27], s[28:29]
	v_cmp_ne_u32_e64 s[28:29], 0, v6
	v_cndmask_b32_e64 v6, 0, 1, s[42:43]
	s_bcnt1_i32_b64 s15, s[28:29]
	v_cmp_ne_u32_e64 s[28:29], 0, v6
	v_cndmask_b32_e64 v6, 0, 1, s[44:45]
	s_bcnt1_i32_b64 s20, s[28:29]
	v_cmp_ne_u32_e64 s[28:29], 0, v6
	v_cndmask_b32_e64 v6, 0, 1, s[46:47]
	s_add_i32 s13, s13, s15
	s_bcnt1_i32_b64 s21, s[28:29]
	v_cmp_ne_u32_e64 s[28:29], 0, v6
	s_add_i32 s13, s13, s20
	s_bcnt1_i32_b64 s28, s[28:29]
	s_add_i32 s13, s13, s21
	s_add_i32 s13, s13, s28
	v_cmp_eq_u32_e64 s[28:29], 2, v2
	s_and_b64 s[20:21], vcc, s[28:29]
	v_cmp_eq_u32_e64 s[28:29], 2, v3
	s_and_b64 s[42:43], s[6:7], s[28:29]
	v_cmp_eq_u32_e64 s[28:29], 2, v4
	s_and_b64 s[44:45], s[22:23], s[28:29]
	v_cmp_eq_u32_e64 s[28:29], 2, v1
	v_cndmask_b32_e64 v6, 0, 1, s[20:21]
	s_and_b64 s[46:47], s[26:27], s[28:29]
	v_cmp_ne_u32_e64 s[28:29], 0, v6
	v_cndmask_b32_e64 v6, 0, 1, s[42:43]
	s_bcnt1_i32_b64 s15, s[28:29]
	v_cmp_ne_u32_e64 s[28:29], 0, v6
	v_cndmask_b32_e64 v6, 0, 1, s[44:45]
	s_bcnt1_i32_b64 s20, s[28:29]
	v_cmp_ne_u32_e64 s[28:29], 0, v6
	v_cndmask_b32_e64 v6, 0, 1, s[46:47]
	s_add_i32 s12, s12, s15
	s_bcnt1_i32_b64 s21, s[28:29]
	v_cmp_ne_u32_e64 s[28:29], 0, v6
	s_add_i32 s12, s12, s20
	s_bcnt1_i32_b64 s28, s[28:29]
	s_add_i32 s12, s12, s21
	s_add_i32 s12, s12, s28
	v_cmp_eq_u32_e64 s[28:29], 3, v2
	s_and_b64 s[20:21], vcc, s[28:29]
	v_cmp_eq_u32_e32 vcc, 3, v3
	s_and_b64 s[6:7], s[6:7], vcc
	v_cmp_eq_u32_e32 vcc, 3, v4
	s_and_b64 s[22:23], s[22:23], vcc
	v_cmp_eq_u32_e32 vcc, 3, v1
	v_cndmask_b32_e64 v1, 0, 1, s[20:21]
	s_and_b64 s[26:27], s[26:27], vcc
	v_cmp_ne_u32_e32 vcc, 0, v1
	v_cndmask_b32_e64 v1, 0, 1, s[6:7]
	s_bcnt1_i32_b64 s15, vcc
	v_cmp_ne_u32_e32 vcc, 0, v1
	v_cndmask_b32_e64 v1, 0, 1, s[22:23]
	s_bcnt1_i32_b64 s6, vcc
	v_cmp_ne_u32_e32 vcc, 0, v1
	v_cndmask_b32_e64 v1, 0, 1, s[26:27]
	s_add_i32 s11, s11, s15
	s_bcnt1_i32_b64 s7, vcc
	v_cmp_ne_u32_e32 vcc, 0, v1
	s_add_i32 s6, s11, s6
	s_bcnt1_i32_b64 s20, vcc
	s_add_i32 s6, s6, s7
	s_add_i32 s11, s6, s20
	v_cmp_le_u32_e32 vcc, s58, v12
	s_or_b64 s[82:83], vcc, s[82:83]
	v_mov_b32_e32 v1, s14
	v_mov_b32_e32 v2, s13
	;; [unrolled: 1-line block ×4, first 2 shown]
	s_andn2_b64 exec, exec, s[82:83]
	s_cbranch_execnz .LBB106_68
; %bb.69:                               ;   in Loop: Header=BB106_11 Depth=1
	s_or_b64 exec, exec, s[82:83]
.LBB106_70:                             ;   in Loop: Header=BB106_11 Depth=1
	s_or_b64 exec, exec, s[80:81]
	s_and_saveexec_b64 s[10:11], s[18:19]
	s_cbranch_execz .LBB106_76
; %bb.71:                               ;   in Loop: Header=BB106_11 Depth=1
	global_load_ushort v13, v[10:11], off
	s_mov_b64 s[12:13], 0
	v_mov_b32_e32 v6, v37
	v_mov_b32_e32 v12, v31
	s_branch .LBB106_73
.LBB106_72:                             ;   in Loop: Header=BB106_73 Depth=2
	s_or_b64 exec, exec, s[14:15]
	s_waitcnt vmcnt(0)
	v_add_u32_sdwa v13, sext(v13), s34 dst_sel:DWORD dst_unused:UNUSED_PAD src0_sel:WORD_0 src1_sel:DWORD
	s_and_b64 s[6:7], exec, vcc
	v_and_b32_e32 v15, v13, v43
	v_bfe_u32 v13, v13, v42, 2
	s_or_b64 s[12:13], s[6:7], s[12:13]
	v_cmp_eq_u32_e32 vcc, v15, v38
	v_cmp_eq_u32_e64 s[6:7], 0, v13
	s_and_b64 s[6:7], vcc, s[6:7]
	v_cndmask_b32_e64 v15, 0, 1, s[6:7]
	v_cmp_ne_u32_e64 s[6:7], 0, v15
	s_bcnt1_i32_b64 s6, s[6:7]
	v_add_u32_e32 v1, s6, v1
	v_cmp_eq_u32_e64 s[6:7], 1, v13
	s_and_b64 s[6:7], vcc, s[6:7]
	v_cndmask_b32_e64 v15, 0, 1, s[6:7]
	v_cmp_ne_u32_e64 s[6:7], 0, v15
	s_bcnt1_i32_b64 s6, s[6:7]
	v_add_u32_e32 v2, s6, v2
	;; [unrolled: 6-line block ×3, first 2 shown]
	v_cmp_eq_u32_e64 s[6:7], 3, v13
	s_and_b64 s[6:7], vcc, s[6:7]
	v_cndmask_b32_e64 v13, 0, 1, s[6:7]
	v_cmp_ne_u32_e32 vcc, 0, v13
	s_bcnt1_i32_b64 s6, vcc
	v_add_u32_e32 v4, s6, v4
	v_add_u32_e32 v6, s30, v6
	v_mov_b32_e32 v13, v14
	s_andn2_b64 exec, exec, s[12:13]
	s_cbranch_execz .LBB106_75
.LBB106_73:                             ;   Parent Loop BB106_11 Depth=1
                                        ; =>  This Inner Loop Header: Depth=2
	v_add_u32_e32 v12, s39, v12
	v_cmp_gt_u32_e64 s[6:7], s36, v12
	v_cmp_le_u32_e32 vcc, s36, v12
	v_mov_b32_e32 v14, 0
	s_and_saveexec_b64 s[14:15], s[6:7]
	s_cbranch_execz .LBB106_72
; %bb.74:                               ;   in Loop: Header=BB106_73 Depth=2
	v_lshlrev_b64 v[14:15], 1, v[6:7]
	v_mov_b32_e32 v16, s37
	v_add_co_u32_e64 v14, s[6:7], s60, v14
	v_addc_co_u32_e64 v15, s[6:7], v16, v15, s[6:7]
	global_load_ushort v14, v[14:15], off
	s_branch .LBB106_72
.LBB106_75:                             ;   in Loop: Header=BB106_11 Depth=1
	s_or_b64 exec, exec, s[12:13]
.LBB106_76:                             ;   in Loop: Header=BB106_11 Depth=1
	s_or_b64 exec, exec, s[10:11]
	s_branch .LBB106_58
.LBB106_77:                             ;   in Loop: Header=BB106_11 Depth=1
	s_mul_hi_u32 s6, s40, s8
	s_mul_i32 s6, s6, s2
	s_sub_i32 s6, s40, s6
	s_sub_i32 s7, s6, s2
	s_cmp_ge_u32 s6, s2
	s_cselect_b32 s6, s7, s6
	s_sub_i32 s7, s6, s2
	s_cmp_ge_u32 s6, s2
	s_cselect_b32 s6, s7, s6
	s_sub_i32 s10, s40, s6
	v_cmp_gt_u32_e32 vcc, s10, v20
	v_mov_b32_e32 v1, 0
	v_mov_b32_e32 v2, 0
	;; [unrolled: 1-line block ×4, first 2 shown]
	s_and_saveexec_b64 s[80:81], vcc
	s_cbranch_execz .LBB106_81
; %bb.78:                               ;   in Loop: Header=BB106_11 Depth=1
	s_mov_b32 s11, 0
	s_mov_b64 s[82:83], 0
	v_mov_b32_e32 v6, v40
	s_mov_b32 s12, 0
	s_mov_b32 s13, 0
	;; [unrolled: 1-line block ×3, first 2 shown]
	v_mov_b32_e32 v12, v20
.LBB106_79:                             ;   Parent Loop BB106_11 Depth=1
                                        ; =>  This Inner Loop Header: Depth=2
	ds_read_b64 v[1:2], v6
	v_add_u32_e32 v12, s2, v12
	v_add_u32_e32 v6, s64, v6
	s_waitcnt lgkmcnt(0)
	v_add_u32_sdwa v3, sext(v1), s34 dst_sel:DWORD dst_unused:UNUSED_PAD src0_sel:WORD_0 src1_sel:DWORD
	v_add_u32_sdwa v1, sext(v1), s34 dst_sel:DWORD dst_unused:UNUSED_PAD src0_sel:WORD_1 src1_sel:DWORD
	v_and_b32_e32 v13, v3, v43
	v_bfe_u32 v3, v3, v42, 2
	v_add_u32_sdwa v4, sext(v2), s34 dst_sel:DWORD dst_unused:UNUSED_PAD src0_sel:WORD_0 src1_sel:DWORD
	v_cmp_eq_u32_e32 vcc, v13, v38
	v_and_b32_e32 v13, v1, v43
	v_bfe_u32 v1, v1, v42, 2
	v_cmp_eq_u32_e64 s[28:29], 0, v3
	v_add_u32_sdwa v2, sext(v2), s34 dst_sel:DWORD dst_unused:UNUSED_PAD src0_sel:WORD_1 src1_sel:DWORD
	v_cmp_eq_u32_e64 s[6:7], v13, v38
	v_and_b32_e32 v13, v4, v43
	v_bfe_u32 v4, v4, v42, 2
	s_and_b64 s[20:21], vcc, s[28:29]
	v_cmp_eq_u32_e64 s[28:29], 0, v1
	v_cmp_eq_u32_e64 s[22:23], v13, v38
	v_and_b32_e32 v13, v2, v43
	v_bfe_u32 v2, v2, v42, 2
	s_and_b64 s[42:43], s[6:7], s[28:29]
	v_cmp_eq_u32_e64 s[28:29], 0, v4
	v_cmp_eq_u32_e64 s[26:27], v13, v38
	s_and_b64 s[44:45], s[22:23], s[28:29]
	v_cmp_eq_u32_e64 s[28:29], 0, v2
	v_cndmask_b32_e64 v13, 0, 1, s[20:21]
	s_and_b64 s[46:47], s[26:27], s[28:29]
	v_cmp_ne_u32_e64 s[28:29], 0, v13
	v_cndmask_b32_e64 v13, 0, 1, s[42:43]
	s_bcnt1_i32_b64 s15, s[28:29]
	v_cmp_ne_u32_e64 s[28:29], 0, v13
	v_cndmask_b32_e64 v13, 0, 1, s[44:45]
	s_bcnt1_i32_b64 s20, s[28:29]
	v_cmp_ne_u32_e64 s[28:29], 0, v13
	v_cndmask_b32_e64 v13, 0, 1, s[46:47]
	s_add_i32 s14, s14, s15
	s_bcnt1_i32_b64 s21, s[28:29]
	v_cmp_ne_u32_e64 s[28:29], 0, v13
	s_add_i32 s14, s14, s20
	s_bcnt1_i32_b64 s28, s[28:29]
	s_add_i32 s14, s14, s21
	s_add_i32 s14, s14, s28
	v_cmp_eq_u32_e64 s[28:29], 1, v3
	s_and_b64 s[20:21], vcc, s[28:29]
	v_cmp_eq_u32_e64 s[28:29], 1, v1
	s_and_b64 s[42:43], s[6:7], s[28:29]
	v_cmp_eq_u32_e64 s[28:29], 1, v4
	s_and_b64 s[44:45], s[22:23], s[28:29]
	v_cmp_eq_u32_e64 s[28:29], 1, v2
	v_cndmask_b32_e64 v13, 0, 1, s[20:21]
	s_and_b64 s[46:47], s[26:27], s[28:29]
	v_cmp_ne_u32_e64 s[28:29], 0, v13
	v_cndmask_b32_e64 v13, 0, 1, s[42:43]
	s_bcnt1_i32_b64 s15, s[28:29]
	v_cmp_ne_u32_e64 s[28:29], 0, v13
	v_cndmask_b32_e64 v13, 0, 1, s[44:45]
	s_bcnt1_i32_b64 s20, s[28:29]
	v_cmp_ne_u32_e64 s[28:29], 0, v13
	v_cndmask_b32_e64 v13, 0, 1, s[46:47]
	s_add_i32 s13, s13, s15
	s_bcnt1_i32_b64 s21, s[28:29]
	v_cmp_ne_u32_e64 s[28:29], 0, v13
	s_add_i32 s13, s13, s20
	s_bcnt1_i32_b64 s28, s[28:29]
	s_add_i32 s13, s13, s21
	s_add_i32 s13, s13, s28
	v_cmp_eq_u32_e64 s[28:29], 2, v3
	s_and_b64 s[20:21], vcc, s[28:29]
	v_cmp_eq_u32_e64 s[28:29], 2, v1
	s_and_b64 s[42:43], s[6:7], s[28:29]
	v_cmp_eq_u32_e64 s[28:29], 2, v4
	s_and_b64 s[44:45], s[22:23], s[28:29]
	v_cmp_eq_u32_e64 s[28:29], 2, v2
	v_cndmask_b32_e64 v13, 0, 1, s[20:21]
	s_and_b64 s[46:47], s[26:27], s[28:29]
	v_cmp_ne_u32_e64 s[28:29], 0, v13
	v_cndmask_b32_e64 v13, 0, 1, s[42:43]
	s_bcnt1_i32_b64 s15, s[28:29]
	v_cmp_ne_u32_e64 s[28:29], 0, v13
	v_cndmask_b32_e64 v13, 0, 1, s[44:45]
	s_bcnt1_i32_b64 s20, s[28:29]
	v_cmp_ne_u32_e64 s[28:29], 0, v13
	v_cndmask_b32_e64 v13, 0, 1, s[46:47]
	s_add_i32 s12, s12, s15
	s_bcnt1_i32_b64 s21, s[28:29]
	v_cmp_ne_u32_e64 s[28:29], 0, v13
	s_add_i32 s12, s12, s20
	s_bcnt1_i32_b64 s28, s[28:29]
	s_add_i32 s12, s12, s21
	s_add_i32 s12, s12, s28
	v_cmp_eq_u32_e64 s[28:29], 3, v3
	s_and_b64 s[20:21], vcc, s[28:29]
	v_cmp_eq_u32_e32 vcc, 3, v1
	s_and_b64 s[6:7], s[6:7], vcc
	v_cmp_eq_u32_e32 vcc, 3, v4
	s_and_b64 s[22:23], s[22:23], vcc
	v_cmp_eq_u32_e32 vcc, 3, v2
	v_cndmask_b32_e64 v1, 0, 1, s[20:21]
	s_and_b64 s[26:27], s[26:27], vcc
	v_cmp_ne_u32_e32 vcc, 0, v1
	v_cndmask_b32_e64 v1, 0, 1, s[6:7]
	s_bcnt1_i32_b64 s15, vcc
	v_cmp_ne_u32_e32 vcc, 0, v1
	v_cndmask_b32_e64 v1, 0, 1, s[22:23]
	s_bcnt1_i32_b64 s6, vcc
	v_cmp_ne_u32_e32 vcc, 0, v1
	v_cndmask_b32_e64 v1, 0, 1, s[26:27]
	s_add_i32 s11, s11, s15
	s_bcnt1_i32_b64 s7, vcc
	v_cmp_ne_u32_e32 vcc, 0, v1
	s_add_i32 s6, s11, s6
	s_bcnt1_i32_b64 s20, vcc
	s_add_i32 s6, s6, s7
	s_add_i32 s11, s6, s20
	v_cmp_le_u32_e32 vcc, s10, v12
	s_or_b64 s[82:83], vcc, s[82:83]
	v_mov_b32_e32 v1, s14
	v_mov_b32_e32 v2, s13
	;; [unrolled: 1-line block ×4, first 2 shown]
	s_andn2_b64 exec, exec, s[82:83]
	s_cbranch_execnz .LBB106_79
; %bb.80:                               ;   in Loop: Header=BB106_11 Depth=1
	s_or_b64 exec, exec, s[82:83]
.LBB106_81:                             ;   in Loop: Header=BB106_11 Depth=1
	s_or_b64 exec, exec, s[80:81]
	v_add_u32_e32 v6, s10, v0
	v_cmp_gt_u32_e32 vcc, s40, v6
	s_and_saveexec_b64 s[22:23], vcc
	s_cbranch_execz .LBB106_85
; %bb.82:                               ;   in Loop: Header=BB106_11 Depth=1
	v_lshlrev_b32_e32 v12, 1, v6
	s_mov_b64 s[26:27], 0
.LBB106_83:                             ;   Parent Loop BB106_11 Depth=1
                                        ; =>  This Inner Loop Header: Depth=2
	ds_read_i16 v13, v12
	v_add_u32_e32 v6, s39, v6
	v_add_u32_e32 v12, s65, v12
	s_waitcnt lgkmcnt(0)
	v_add_u32_e32 v13, 0x8000, v13
	v_and_b32_e32 v14, v13, v43
	v_bfe_u32 v13, v13, v42, 2
	v_cmp_eq_u32_e32 vcc, v14, v38
	v_cmp_eq_u32_e64 s[6:7], 0, v13
	s_and_b64 s[6:7], vcc, s[6:7]
	v_cndmask_b32_e64 v14, 0, 1, s[6:7]
	v_cmp_ne_u32_e64 s[6:7], 0, v14
	s_bcnt1_i32_b64 s6, s[6:7]
	v_add_u32_e32 v1, s6, v1
	v_cmp_eq_u32_e64 s[6:7], 1, v13
	s_and_b64 s[6:7], vcc, s[6:7]
	v_cndmask_b32_e64 v14, 0, 1, s[6:7]
	v_cmp_ne_u32_e64 s[6:7], 0, v14
	s_bcnt1_i32_b64 s6, s[6:7]
	v_add_u32_e32 v2, s6, v2
	;; [unrolled: 6-line block ×3, first 2 shown]
	v_cmp_eq_u32_e64 s[6:7], 3, v13
	s_and_b64 s[6:7], vcc, s[6:7]
	v_cndmask_b32_e64 v13, 0, 1, s[6:7]
	v_cmp_ne_u32_e32 vcc, 0, v13
	s_bcnt1_i32_b64 s6, vcc
	v_cmp_le_u32_e32 vcc, s40, v6
	v_add_u32_e32 v4, s6, v4
	s_or_b64 s[26:27], vcc, s[26:27]
	s_andn2_b64 exec, exec, s[26:27]
	s_cbranch_execnz .LBB106_83
; %bb.84:                               ;   in Loop: Header=BB106_11 Depth=1
	s_or_b64 exec, exec, s[26:27]
.LBB106_85:                             ;   in Loop: Header=BB106_11 Depth=1
	s_or_b64 exec, exec, s[22:23]
	s_lshl_b32 s10, s61, 6
	s_and_saveexec_b64 s[6:7], s[4:5]
	s_cbranch_execnz .LBB106_59
	s_branch .LBB106_60
.LBB106_86:                             ;   in Loop: Header=BB106_11 Depth=1
	v_mov_b32_e32 v1, 0
	s_mov_b32 s11, 0
.LBB106_87:                             ;   in Loop: Header=BB106_11 Depth=1
	v_readlane_b32 s12, v50, 36
	v_readlane_b32 s13, v50, 37
	s_andn2_b64 vcc, exec, s[12:13]
	s_cbranch_vccnz .LBB106_90
; %bb.88:                               ;   in Loop: Header=BB106_11 Depth=1
	s_lshl_b32 s12, s61, 8
	s_lshl_b32 s11, s11, 4
	s_add_i32 s12, s12, s11
	v_add_u32_e32 v2, s12, v39
	v_readlane_b32 s11, v50, 35
.LBB106_89:                             ;   Parent Loop BB106_11 Depth=1
                                        ; =>  This Inner Loop Header: Depth=2
	ds_read_b32 v3, v2
	s_add_i32 s11, s11, -1
	v_add_u32_e32 v2, 16, v2
	s_cmp_lg_u32 s11, 0
	s_waitcnt lgkmcnt(0)
	v_add_u32_e32 v1, v3, v1
	s_cbranch_scc1 .LBB106_89
.LBB106_90:                             ;   in Loop: Header=BB106_11 Depth=1
	v_add_lshl_u32 v2, s10, v21, 2
	ds_write_b32 v2, v1 offset:3072
.LBB106_91:                             ;   in Loop: Header=BB106_11 Depth=1
	s_or_b64 exec, exec, s[6:7]
	s_lshl_b32 s6, s10, 2
	v_mov_b32_e32 v1, s6
	s_waitcnt lgkmcnt(0)
	s_barrier
	ds_read_b128 v[1:4], v1 offset:3072
	v_cmp_eq_u32_e32 vcc, 1, v45
	s_mov_b64 s[22:23], -1
	s_mov_b64 s[10:11], -1
                                        ; implicit-def: $sgpr40_sgpr41
                                        ; implicit-def: $sgpr28_sgpr29
	s_waitcnt lgkmcnt(0)
	v_readfirstlane_b32 s48, v1
	s_cmp_eq_u32 s48, 1
	v_lshlrev_b32_e64 v1, v42, 3
	s_cselect_b64 s[6:7], -1, 0
	v_readfirstlane_b32 s84, v2
	v_readfirstlane_b32 s92, v3
	;; [unrolled: 1-line block ×3, first 2 shown]
	v_not_b32_e32 v3, v1
	s_and_b64 s[26:27], s[6:7], vcc
	s_and_saveexec_b64 s[6:7], s[26:27]
	s_cbranch_execz .LBB106_117
; %bb.92:                               ;   in Loop: Header=BB106_11 Depth=1
	ds_read_b32 v2, v7 offset:4104
	s_waitcnt lgkmcnt(0)
	s_barrier
	v_readfirstlane_b32 s20, v2
	s_and_saveexec_b64 s[10:11], s[24:25]
; %bb.93:                               ;   in Loop: Header=BB106_11 Depth=1
	ds_write_b16 v23, v7
; %bb.94:                               ;   in Loop: Header=BB106_11 Depth=1
	s_or_b64 exec, exec, s[10:11]
	v_and_b32_e32 v38, v38, v3
	v_or_b32_e32 v43, v43, v1
	s_mov_b64 s[28:29], -1
	s_mov_b64 s[40:41], 0
	s_cmp_eq_u32 s20, 0
	s_mov_b64 s[10:11], 0
	s_mov_b64 s[42:43], -1
	s_waitcnt lgkmcnt(0)
	s_barrier
                                        ; implicit-def: $vgpr44
	s_cbranch_scc1 .LBB106_105
; %bb.95:                               ;   in Loop: Header=BB106_11 Depth=1
	s_add_i32 s10, s20, s3
	s_mul_hi_u32 s11, s10, s59
	s_mul_i32 s11, s11, s39
	s_sub_i32 s11, s10, s11
	s_sub_i32 s12, s11, s39
	s_cmp_ge_u32 s11, s39
	s_cselect_b32 s11, s12, s11
	s_sub_i32 s12, s11, s39
	s_cmp_ge_u32 s11, s39
	s_cselect_b32 s11, s12, s11
	s_sub_i32 s21, s10, s11
	v_cmp_gt_u32_e32 vcc, s21, v0
	s_mov_b64 s[42:43], 0
	s_mov_b64 s[10:11], 0
                                        ; implicit-def: $vgpr44
	s_and_saveexec_b64 s[12:13], vcc
	s_cbranch_execz .LBB106_104
; %bb.96:                               ;   in Loop: Header=BB106_11 Depth=1
	v_mov_b32_e32 v2, v22
	v_mov_b32_e32 v4, v0
                                        ; implicit-def: $sgpr14_sgpr15
	s_branch .LBB106_99
.LBB106_97:                             ;   in Loop: Header=BB106_99 Depth=2
	s_or_b64 exec, exec, s[44:45]
	s_waitcnt lgkmcnt(0)
	s_barrier
	ds_read_b32 v6, v7 offset:3072
	s_mov_b64 s[44:45], -1
	s_waitcnt lgkmcnt(0)
	s_barrier
	v_cmp_ne_u32_sdwa s[46:47], v6, v7 src0_sel:WORD_0 src1_sel:DWORD
	s_and_b64 vcc, exec, s[46:47]
	s_mov_b64 s[46:47], -1
	s_cbranch_vccz .LBB106_102
.LBB106_98:                             ;   in Loop: Header=BB106_99 Depth=2
	s_and_b64 s[44:45], exec, s[44:45]
	s_or_b64 s[10:11], s[44:45], s[10:11]
	s_andn2_b64 s[14:15], s[14:15], exec
	s_and_b64 s[44:45], s[46:47], exec
	s_or_b64 s[14:15], s[14:15], s[44:45]
	s_andn2_b64 exec, exec, s[10:11]
	s_cbranch_execz .LBB106_103
.LBB106_99:                             ;   Parent Loop BB106_11 Depth=1
                                        ; =>  This Inner Loop Header: Depth=2
	v_cmp_gt_u32_e32 vcc, s20, v4
	s_and_saveexec_b64 s[44:45], vcc
	s_cbranch_execz .LBB106_97
; %bb.100:                              ;   in Loop: Header=BB106_99 Depth=2
	ds_read_u16 v6, v2
	s_waitcnt lgkmcnt(0)
	v_add_u32_sdwa v12, sext(v6), s34 dst_sel:DWORD dst_unused:UNUSED_PAD src0_sel:WORD_0 src1_sel:DWORD
	v_and_b32_e32 v12, v12, v43
	v_cmp_eq_u32_e32 vcc, v12, v38
	s_and_b64 exec, exec, vcc
	s_cbranch_execz .LBB106_97
; %bb.101:                              ;   in Loop: Header=BB106_99 Depth=2
	v_perm_b32 v6, v6, 1, v41
	ds_write_b32 v7, v6 offset:3072
	s_branch .LBB106_97
.LBB106_102:                            ;   in Loop: Header=BB106_99 Depth=2
	v_add_u32_e32 v4, s39, v4
	v_cmp_le_u32_e32 vcc, s21, v4
	v_add_u32_e32 v2, s65, v2
	s_mov_b64 s[46:47], 0
	s_orn2_b64 s[44:45], vcc, exec
	s_branch .LBB106_98
.LBB106_103:                            ;   in Loop: Header=BB106_11 Depth=1
	s_or_b64 exec, exec, s[10:11]
	v_lshrrev_b32_e32 v44, 16, v6
	s_and_b64 s[10:11], s[14:15], exec
.LBB106_104:                            ;   in Loop: Header=BB106_11 Depth=1
	s_or_b64 exec, exec, s[12:13]
.LBB106_105:                            ;   in Loop: Header=BB106_11 Depth=1
	s_and_b64 vcc, exec, s[42:43]
	s_cbranch_vccz .LBB106_116
; %bb.106:                              ;   in Loop: Header=BB106_11 Depth=1
                                        ; implicit-def: $vgpr44
	s_mov_b64 s[12:13], exec
	v_readlane_b32 s14, v50, 38
	v_readlane_b32 s15, v50, 39
	s_and_b64 s[14:15], s[12:13], s[14:15]
	s_mov_b64 exec, s[14:15]
	s_cbranch_execz .LBB106_115
; %bb.107:                              ;   in Loop: Header=BB106_11 Depth=1
	s_mov_b64 s[14:15], 0
	v_mov_b32_e32 v6, v5
	v_mov_b32_e32 v2, v0
                                        ; implicit-def: $sgpr28_sgpr29
	s_branch .LBB106_110
.LBB106_108:                            ;   in Loop: Header=BB106_110 Depth=2
	s_or_b64 exec, exec, s[40:41]
	s_waitcnt lgkmcnt(0)
	s_barrier
	ds_read_b32 v4, v7 offset:3072
	s_mov_b64 s[40:41], -1
	s_mov_b64 s[42:43], -1
	s_waitcnt lgkmcnt(0)
	s_barrier
	v_cmp_ne_u32_sdwa s[20:21], v4, v7 src0_sel:WORD_0 src1_sel:DWORD
	s_and_b64 vcc, exec, s[20:21]
	s_cbranch_vccz .LBB106_113
.LBB106_109:                            ;   in Loop: Header=BB106_110 Depth=2
	s_and_b64 s[20:21], exec, s[40:41]
	s_or_b64 s[14:15], s[20:21], s[14:15]
	s_andn2_b64 s[20:21], s[28:29], exec
	s_and_b64 s[28:29], s[42:43], exec
	s_or_b64 s[28:29], s[20:21], s[28:29]
	s_andn2_b64 exec, exec, s[14:15]
	s_cbranch_execz .LBB106_114
.LBB106_110:                            ;   Parent Loop BB106_11 Depth=1
                                        ; =>  This Inner Loop Header: Depth=2
	v_cmp_gt_u32_e32 vcc, s36, v2
	s_and_saveexec_b64 s[40:41], vcc
	s_cbranch_execz .LBB106_108
; %bb.111:                              ;   in Loop: Header=BB106_110 Depth=2
	v_lshlrev_b64 v[12:13], 1, v[6:7]
	v_mov_b32_e32 v4, s37
	v_add_co_u32_e32 v12, vcc, s60, v12
	v_addc_co_u32_e32 v13, vcc, v4, v13, vcc
	global_load_ushort v4, v[12:13], off
	s_waitcnt vmcnt(0)
	v_add_u32_sdwa v12, sext(v4), s34 dst_sel:DWORD dst_unused:UNUSED_PAD src0_sel:WORD_0 src1_sel:DWORD
	v_and_b32_e32 v12, v12, v43
	v_cmp_eq_u32_e32 vcc, v12, v38
	s_and_b64 exec, exec, vcc
	s_cbranch_execz .LBB106_108
; %bb.112:                              ;   in Loop: Header=BB106_110 Depth=2
	v_perm_b32 v4, v4, 1, v41
	ds_write_b32 v7, v4 offset:3072
	s_branch .LBB106_108
.LBB106_113:                            ;   in Loop: Header=BB106_110 Depth=2
	v_add_u32_e32 v2, s39, v2
	v_cmp_le_u32_e32 vcc, s62, v2
	v_add_u32_e32 v6, s30, v6
	s_mov_b64 s[42:43], 0
	s_orn2_b64 s[40:41], vcc, exec
	s_branch .LBB106_109
.LBB106_114:                            ;   in Loop: Header=BB106_11 Depth=1
	s_or_b64 exec, exec, s[14:15]
	s_andn2_b64 s[10:11], s[10:11], exec
	s_and_b64 s[14:15], s[28:29], exec
	v_lshrrev_b32_e32 v44, 16, v4
	s_or_b64 s[10:11], s[10:11], s[14:15]
.LBB106_115:                            ;   in Loop: Header=BB106_11 Depth=1
	s_or_b64 exec, exec, s[12:13]
	s_mov_b64 s[28:29], 0
	s_mov_b64 s[40:41], -1
.LBB106_116:                            ;   in Loop: Header=BB106_11 Depth=1
	s_orn2_b64 s[10:11], s[10:11], exec
.LBB106_117:                            ;   in Loop: Header=BB106_11 Depth=1
	s_or_b64 exec, exec, s[6:7]
	s_andn2_b64 s[6:7], s[78:79], exec
	s_and_b64 s[12:13], s[40:41], exec
	s_or_b64 s[78:79], s[6:7], s[12:13]
	s_andn2_b64 s[6:7], s[76:77], exec
	s_and_b64 s[12:13], s[28:29], exec
	v_readfirstlane_b32 s42, v0
	s_andn2_b64 s[74:75], s[74:75], exec
	s_or_b64 s[76:77], s[6:7], s[12:13]
                                        ; implicit-def: $vgpr4
	s_and_saveexec_b64 s[6:7], s[10:11]
	s_cbranch_execz .LBB106_10
; %bb.118:                              ;   in Loop: Header=BB106_11 Depth=1
	s_xor_b64 s[14:15], s[26:27], -1
	s_mov_b64 s[12:13], 0
	v_mov_b32_e32 v4, 1
	v_mov_b32_e32 v2, 1
	s_and_saveexec_b64 s[10:11], s[14:15]
	s_cbranch_execz .LBB106_127
; %bb.119:                              ;   in Loop: Header=BB106_11 Depth=1
	v_cmp_ge_u32_e32 vcc, s48, v45
	s_and_saveexec_b64 s[12:13], vcc
	s_xor_b64 s[12:13], exec, s[12:13]
	s_cbranch_execz .LBB106_124
; %bb.120:                              ;   in Loop: Header=BB106_11 Depth=1
	ds_read_b32 v2, v7 offset:4104
	v_and_b32_e32 v38, v38, v3
	v_or_b32_e32 v43, v43, v1
	s_waitcnt lgkmcnt(0)
	v_cmp_ne_u32_e32 vcc, 0, v2
	s_cbranch_vccnz .LBB106_124
; %bb.121:                              ;   in Loop: Header=BB106_11 Depth=1
	s_and_saveexec_b64 s[14:15], s[0:1]
; %bb.122:                              ;   in Loop: Header=BB106_11 Depth=1
	v_mov_b32_e32 v2, s48
	ds_write_b32 v7, v2 offset:4108
; %bb.123:                              ;   in Loop: Header=BB106_11 Depth=1
	s_or_b64 exec, exec, s[14:15]
	s_waitcnt lgkmcnt(0)
	s_barrier
.LBB106_124:                            ;   in Loop: Header=BB106_11 Depth=1
	s_or_saveexec_b64 s[12:13], s[12:13]
	s_mov_b64 s[14:15], 0
	v_mov_b32_e32 v2, 8
	s_xor_b64 exec, exec, s[12:13]
; %bb.125:                              ;   in Loop: Header=BB106_11 Depth=1
	s_mov_b64 s[14:15], exec
	v_subrev_u32_e32 v45, s48, v45
	v_mov_b32_e32 v2, 0
; %bb.126:                              ;   in Loop: Header=BB106_11 Depth=1
	s_or_b64 exec, exec, s[12:13]
	s_and_b64 s[12:13], s[14:15], exec
	v_mov_b32_e32 v4, v45
.LBB106_127:                            ;   in Loop: Header=BB106_11 Depth=1
	s_or_b64 exec, exec, s[10:11]
	s_mov_b64 s[22:23], -1
	s_mov_b64 s[10:11], -1
                                        ; implicit-def: $sgpr28_sgpr29
                                        ; implicit-def: $sgpr80_sgpr81
	s_and_saveexec_b64 s[14:15], s[12:13]
	s_xor_b64 s[26:27], exec, s[14:15]
	s_cbranch_execz .LBB106_244
; %bb.128:                              ;   in Loop: Header=BB106_11 Depth=1
	s_cmp_eq_u32 s84, 1
	s_cselect_b64 s[10:11], -1, 0
	v_cmp_eq_u32_e32 vcc, 1, v4
	s_and_b64 s[48:49], s[10:11], vcc
	s_mov_b64 s[10:11], -1
                                        ; implicit-def: $sgpr80_sgpr81
                                        ; implicit-def: $sgpr28_sgpr29
	s_and_saveexec_b64 s[40:41], s[48:49]
	s_cbranch_execz .LBB106_154
; %bb.129:                              ;   in Loop: Header=BB106_11 Depth=1
	ds_read_b32 v6, v7 offset:4104
	s_waitcnt lgkmcnt(0)
	s_barrier
	v_readfirstlane_b32 s82, v6
	s_and_saveexec_b64 s[10:11], s[24:25]
; %bb.130:                              ;   in Loop: Header=BB106_11 Depth=1
	ds_write_b16 v23, v7
; %bb.131:                              ;   in Loop: Header=BB106_11 Depth=1
	s_or_b64 exec, exec, s[10:11]
	v_and_b32_e32 v6, v38, v3
	v_lshl_or_b32 v38, 1, v42, v6
	v_or_b32_e32 v43, v43, v1
	s_mov_b64 s[28:29], -1
	s_mov_b64 s[80:81], 0
	s_cmp_eq_u32 s82, 0
	s_mov_b64 s[42:43], 0
	s_mov_b64 s[10:11], -1
	s_waitcnt lgkmcnt(0)
	s_barrier
                                        ; implicit-def: $vgpr44
	s_cbranch_scc1 .LBB106_142
; %bb.132:                              ;   in Loop: Header=BB106_11 Depth=1
	s_add_i32 s10, s82, s3
	s_mul_hi_u32 s11, s10, s59
	s_mul_i32 s11, s11, s39
	s_sub_i32 s11, s10, s11
	s_sub_i32 s12, s11, s39
	s_cmp_ge_u32 s11, s39
	s_cselect_b32 s11, s12, s11
	s_sub_i32 s12, s11, s39
	s_cmp_ge_u32 s11, s39
	s_cselect_b32 s11, s12, s11
	s_sub_i32 s20, s10, s11
	v_cmp_gt_u32_e32 vcc, s20, v0
	s_mov_b64 s[10:11], 0
                                        ; implicit-def: $vgpr44
	s_and_saveexec_b64 s[12:13], vcc
	s_cbranch_execz .LBB106_141
; %bb.133:                              ;   in Loop: Header=BB106_11 Depth=1
	s_mov_b64 s[14:15], 0
	v_mov_b32_e32 v6, v22
	v_mov_b32_e32 v12, v0
                                        ; implicit-def: $sgpr42_sgpr43
	s_branch .LBB106_136
.LBB106_134:                            ;   in Loop: Header=BB106_136 Depth=2
	s_or_b64 exec, exec, s[50:51]
	s_waitcnt lgkmcnt(0)
	s_barrier
	ds_read_b32 v13, v7 offset:3072
	s_mov_b64 s[44:45], -1
	s_waitcnt lgkmcnt(0)
	s_barrier
	v_cmp_ne_u32_sdwa s[46:47], v13, v7 src0_sel:WORD_0 src1_sel:DWORD
	s_and_b64 vcc, exec, s[46:47]
	s_mov_b64 s[46:47], -1
	s_cbranch_vccz .LBB106_139
.LBB106_135:                            ;   in Loop: Header=BB106_136 Depth=2
	s_and_b64 s[44:45], exec, s[44:45]
	s_or_b64 s[14:15], s[44:45], s[14:15]
	s_andn2_b64 s[42:43], s[42:43], exec
	s_and_b64 s[44:45], s[46:47], exec
	s_or_b64 s[42:43], s[42:43], s[44:45]
	s_andn2_b64 exec, exec, s[14:15]
	s_cbranch_execz .LBB106_140
.LBB106_136:                            ;   Parent Loop BB106_11 Depth=1
                                        ; =>  This Inner Loop Header: Depth=2
	v_cmp_gt_u32_e32 vcc, s82, v12
	s_and_saveexec_b64 s[50:51], vcc
	s_cbranch_execz .LBB106_134
; %bb.137:                              ;   in Loop: Header=BB106_136 Depth=2
	ds_read_u16 v13, v6
	s_waitcnt lgkmcnt(0)
	v_add_u32_sdwa v14, sext(v13), s34 dst_sel:DWORD dst_unused:UNUSED_PAD src0_sel:WORD_0 src1_sel:DWORD
	v_and_b32_e32 v14, v14, v43
	v_cmp_eq_u32_e32 vcc, v14, v38
	s_and_b64 exec, exec, vcc
	s_cbranch_execz .LBB106_134
; %bb.138:                              ;   in Loop: Header=BB106_136 Depth=2
	v_perm_b32 v13, v13, 1, v41
	ds_write_b32 v7, v13 offset:3072
	s_branch .LBB106_134
.LBB106_139:                            ;   in Loop: Header=BB106_136 Depth=2
	v_add_u32_e32 v12, s39, v12
	v_cmp_le_u32_e32 vcc, s20, v12
	v_add_u32_e32 v6, s65, v6
	s_mov_b64 s[46:47], 0
	s_orn2_b64 s[44:45], vcc, exec
	s_branch .LBB106_135
.LBB106_140:                            ;   in Loop: Header=BB106_11 Depth=1
	s_or_b64 exec, exec, s[14:15]
	v_lshrrev_b32_e32 v44, 16, v13
	s_and_b64 s[42:43], s[42:43], exec
.LBB106_141:                            ;   in Loop: Header=BB106_11 Depth=1
	s_or_b64 exec, exec, s[12:13]
.LBB106_142:                            ;   in Loop: Header=BB106_11 Depth=1
	s_and_b64 vcc, exec, s[10:11]
	s_cbranch_vccz .LBB106_153
; %bb.143:                              ;   in Loop: Header=BB106_11 Depth=1
                                        ; implicit-def: $vgpr44
	s_mov_b64 s[10:11], exec
	v_readlane_b32 s12, v50, 38
	v_readlane_b32 s13, v50, 39
	s_and_b64 s[12:13], s[10:11], s[12:13]
	s_mov_b64 exec, s[12:13]
	s_cbranch_execz .LBB106_152
; %bb.144:                              ;   in Loop: Header=BB106_11 Depth=1
	s_mov_b64 s[12:13], 0
	v_mov_b32_e32 v6, v5
	v_mov_b32_e32 v12, v0
                                        ; implicit-def: $sgpr14_sgpr15
	s_branch .LBB106_147
.LBB106_145:                            ;   in Loop: Header=BB106_147 Depth=2
	s_or_b64 exec, exec, s[28:29]
	s_waitcnt lgkmcnt(0)
	s_barrier
	ds_read_b32 v13, v7 offset:3072
	s_mov_b64 s[28:29], -1
	s_mov_b64 s[44:45], -1
	s_waitcnt lgkmcnt(0)
	s_barrier
	v_cmp_eq_u32_sdwa s[20:21], v13, v7 src0_sel:WORD_0 src1_sel:DWORD
	s_and_b64 vcc, exec, s[20:21]
	s_cbranch_vccnz .LBB106_150
.LBB106_146:                            ;   in Loop: Header=BB106_147 Depth=2
	s_and_b64 s[20:21], exec, s[28:29]
	s_or_b64 s[12:13], s[20:21], s[12:13]
	s_andn2_b64 s[14:15], s[14:15], exec
	s_and_b64 s[20:21], s[44:45], exec
	s_or_b64 s[14:15], s[14:15], s[20:21]
	s_andn2_b64 exec, exec, s[12:13]
	s_cbranch_execz .LBB106_151
.LBB106_147:                            ;   Parent Loop BB106_11 Depth=1
                                        ; =>  This Inner Loop Header: Depth=2
	v_cmp_gt_u32_e32 vcc, s36, v12
	s_and_saveexec_b64 s[28:29], vcc
	s_cbranch_execz .LBB106_145
; %bb.148:                              ;   in Loop: Header=BB106_147 Depth=2
	v_lshlrev_b64 v[13:14], 1, v[6:7]
	v_mov_b32_e32 v15, s37
	v_add_co_u32_e32 v13, vcc, s60, v13
	v_addc_co_u32_e32 v14, vcc, v15, v14, vcc
	global_load_ushort v13, v[13:14], off
	s_waitcnt vmcnt(0)
	v_add_u32_sdwa v14, sext(v13), s34 dst_sel:DWORD dst_unused:UNUSED_PAD src0_sel:WORD_0 src1_sel:DWORD
	v_and_b32_e32 v14, v14, v43
	v_cmp_eq_u32_e32 vcc, v14, v38
	s_and_b64 exec, exec, vcc
	s_cbranch_execz .LBB106_145
; %bb.149:                              ;   in Loop: Header=BB106_147 Depth=2
	v_perm_b32 v13, v13, 1, v41
	ds_write_b32 v7, v13 offset:3072
	s_branch .LBB106_145
.LBB106_150:                            ;   in Loop: Header=BB106_147 Depth=2
	v_add_u32_e32 v12, s39, v12
	v_cmp_le_u32_e32 vcc, s62, v12
	v_add_u32_e32 v6, s30, v6
	s_mov_b64 s[44:45], 0
	s_orn2_b64 s[28:29], vcc, exec
	s_branch .LBB106_146
.LBB106_151:                            ;   in Loop: Header=BB106_11 Depth=1
	s_or_b64 exec, exec, s[12:13]
	s_andn2_b64 s[12:13], s[42:43], exec
	s_and_b64 s[14:15], s[14:15], exec
	v_lshrrev_b32_e32 v44, 16, v13
	s_or_b64 s[42:43], s[12:13], s[14:15]
.LBB106_152:                            ;   in Loop: Header=BB106_11 Depth=1
	s_or_b64 exec, exec, s[10:11]
	s_mov_b64 s[28:29], 0
	s_mov_b64 s[80:81], -1
.LBB106_153:                            ;   in Loop: Header=BB106_11 Depth=1
	s_orn2_b64 s[10:11], s[42:43], exec
.LBB106_154:                            ;   in Loop: Header=BB106_11 Depth=1
	s_or_b64 exec, exec, s[40:41]
	s_mov_b64 s[12:13], 0
	s_and_saveexec_b64 s[82:83], s[10:11]
	s_cbranch_execz .LBB106_243
; %bb.155:                              ;   in Loop: Header=BB106_11 Depth=1
	s_xor_b64 s[14:15], s[48:49], -1
	v_mov_b32_e32 v12, 1
	v_mov_b32_e32 v2, 1
	s_and_saveexec_b64 s[10:11], s[14:15]
	s_cbranch_execz .LBB106_164
; %bb.156:                              ;   in Loop: Header=BB106_11 Depth=1
	v_cmp_ge_u32_e32 vcc, s84, v4
	s_and_saveexec_b64 s[12:13], vcc
	s_xor_b64 s[12:13], exec, s[12:13]
	s_cbranch_execz .LBB106_161
; %bb.157:                              ;   in Loop: Header=BB106_11 Depth=1
	v_and_b32_e32 v2, v38, v3
	v_lshl_or_b32 v38, 1, v42, v2
	ds_read_b32 v2, v7 offset:4104
	v_or_b32_e32 v43, v43, v1
	s_waitcnt lgkmcnt(0)
	v_cmp_ne_u32_e32 vcc, 0, v2
	s_cbranch_vccnz .LBB106_161
; %bb.158:                              ;   in Loop: Header=BB106_11 Depth=1
	s_and_saveexec_b64 s[14:15], s[0:1]
; %bb.159:                              ;   in Loop: Header=BB106_11 Depth=1
	v_mov_b32_e32 v2, s84
	ds_write_b32 v7, v2 offset:4108
; %bb.160:                              ;   in Loop: Header=BB106_11 Depth=1
	s_or_b64 exec, exec, s[14:15]
	s_waitcnt lgkmcnt(0)
	s_barrier
.LBB106_161:                            ;   in Loop: Header=BB106_11 Depth=1
	s_or_saveexec_b64 s[12:13], s[12:13]
	s_mov_b64 s[14:15], 0
	v_mov_b32_e32 v2, 8
	s_xor_b64 exec, exec, s[12:13]
; %bb.162:                              ;   in Loop: Header=BB106_11 Depth=1
	v_subrev_u32_e32 v4, s84, v4
	v_mov_b32_e32 v2, 0
	s_mov_b64 s[14:15], exec
; %bb.163:                              ;   in Loop: Header=BB106_11 Depth=1
	s_or_b64 exec, exec, s[12:13]
	s_and_b64 s[12:13], s[14:15], exec
	v_mov_b32_e32 v12, v4
.LBB106_164:                            ;   in Loop: Header=BB106_11 Depth=1
	s_or_b64 exec, exec, s[10:11]
	s_mov_b64 s[10:11], -1
                                        ; implicit-def: $sgpr86_sgpr87
                                        ; implicit-def: $sgpr88_sgpr89
	s_and_saveexec_b64 s[84:85], s[12:13]
	s_cbranch_execz .LBB106_242
; %bb.165:                              ;   in Loop: Header=BB106_11 Depth=1
	s_cmp_eq_u32 s92, 1
	s_cselect_b64 s[10:11], -1, 0
	v_cmp_eq_u32_e32 vcc, 1, v12
	s_and_b64 s[48:49], s[10:11], vcc
	s_mov_b64 s[10:11], -1
                                        ; implicit-def: $sgpr88_sgpr89
                                        ; implicit-def: $sgpr86_sgpr87
	s_and_saveexec_b64 s[40:41], s[48:49]
	s_cbranch_execz .LBB106_191
; %bb.166:                              ;   in Loop: Header=BB106_11 Depth=1
	ds_read_b32 v4, v7 offset:4104
	s_waitcnt lgkmcnt(0)
	s_barrier
	v_readfirstlane_b32 s90, v4
	s_and_saveexec_b64 s[10:11], s[24:25]
; %bb.167:                              ;   in Loop: Header=BB106_11 Depth=1
	ds_write_b16 v23, v7
; %bb.168:                              ;   in Loop: Header=BB106_11 Depth=1
	s_or_b64 exec, exec, s[10:11]
	v_and_b32_e32 v4, v38, v3
	v_lshl_or_b32 v38, 2, v42, v4
	v_or_b32_e32 v43, v43, v1
	s_mov_b64 s[86:87], -1
	s_mov_b64 s[88:89], 0
	s_cmp_eq_u32 s90, 0
	s_mov_b64 s[42:43], 0
	s_mov_b64 s[10:11], -1
	s_waitcnt lgkmcnt(0)
	s_barrier
                                        ; implicit-def: $vgpr44
	s_cbranch_scc1 .LBB106_179
; %bb.169:                              ;   in Loop: Header=BB106_11 Depth=1
	s_add_i32 s10, s90, s3
	s_mul_hi_u32 s11, s10, s59
	s_mul_i32 s11, s11, s39
	s_sub_i32 s11, s10, s11
	s_sub_i32 s12, s11, s39
	s_cmp_ge_u32 s11, s39
	s_cselect_b32 s11, s12, s11
	s_sub_i32 s12, s11, s39
	s_cmp_ge_u32 s11, s39
	s_cselect_b32 s11, s12, s11
	s_sub_i32 s20, s10, s11
	v_cmp_gt_u32_e32 vcc, s20, v0
	s_mov_b64 s[10:11], 0
                                        ; implicit-def: $vgpr44
	s_and_saveexec_b64 s[12:13], vcc
	s_cbranch_execz .LBB106_178
; %bb.170:                              ;   in Loop: Header=BB106_11 Depth=1
	s_mov_b64 s[14:15], 0
	v_mov_b32_e32 v4, v22
	v_mov_b32_e32 v6, v0
                                        ; implicit-def: $sgpr42_sgpr43
	s_branch .LBB106_173
.LBB106_171:                            ;   in Loop: Header=BB106_173 Depth=2
	s_or_b64 exec, exec, s[50:51]
	s_waitcnt lgkmcnt(0)
	s_barrier
	ds_read_b32 v13, v7 offset:3072
	s_mov_b64 s[44:45], -1
	s_waitcnt lgkmcnt(0)
	s_barrier
	v_cmp_ne_u32_sdwa s[46:47], v13, v7 src0_sel:WORD_0 src1_sel:DWORD
	s_and_b64 vcc, exec, s[46:47]
	s_mov_b64 s[46:47], -1
	s_cbranch_vccz .LBB106_176
.LBB106_172:                            ;   in Loop: Header=BB106_173 Depth=2
	s_and_b64 s[44:45], exec, s[44:45]
	s_or_b64 s[14:15], s[44:45], s[14:15]
	s_andn2_b64 s[42:43], s[42:43], exec
	s_and_b64 s[44:45], s[46:47], exec
	s_or_b64 s[42:43], s[42:43], s[44:45]
	s_andn2_b64 exec, exec, s[14:15]
	s_cbranch_execz .LBB106_177
.LBB106_173:                            ;   Parent Loop BB106_11 Depth=1
                                        ; =>  This Inner Loop Header: Depth=2
	v_cmp_gt_u32_e32 vcc, s90, v6
	s_and_saveexec_b64 s[50:51], vcc
	s_cbranch_execz .LBB106_171
; %bb.174:                              ;   in Loop: Header=BB106_173 Depth=2
	ds_read_u16 v13, v4
	s_waitcnt lgkmcnt(0)
	v_add_u32_sdwa v14, sext(v13), s34 dst_sel:DWORD dst_unused:UNUSED_PAD src0_sel:WORD_0 src1_sel:DWORD
	v_and_b32_e32 v14, v14, v43
	v_cmp_eq_u32_e32 vcc, v14, v38
	s_and_b64 exec, exec, vcc
	s_cbranch_execz .LBB106_171
; %bb.175:                              ;   in Loop: Header=BB106_173 Depth=2
	v_perm_b32 v13, v13, 1, v41
	ds_write_b32 v7, v13 offset:3072
	s_branch .LBB106_171
.LBB106_176:                            ;   in Loop: Header=BB106_173 Depth=2
	v_add_u32_e32 v6, s39, v6
	v_cmp_le_u32_e32 vcc, s20, v6
	v_add_u32_e32 v4, s65, v4
	s_mov_b64 s[46:47], 0
	s_orn2_b64 s[44:45], vcc, exec
	s_branch .LBB106_172
.LBB106_177:                            ;   in Loop: Header=BB106_11 Depth=1
	s_or_b64 exec, exec, s[14:15]
	v_lshrrev_b32_e32 v44, 16, v13
	s_and_b64 s[42:43], s[42:43], exec
.LBB106_178:                            ;   in Loop: Header=BB106_11 Depth=1
	s_or_b64 exec, exec, s[12:13]
.LBB106_179:                            ;   in Loop: Header=BB106_11 Depth=1
	s_and_b64 vcc, exec, s[10:11]
	s_cbranch_vccz .LBB106_190
; %bb.180:                              ;   in Loop: Header=BB106_11 Depth=1
                                        ; implicit-def: $vgpr44
	s_mov_b64 s[10:11], exec
	v_readlane_b32 s12, v50, 38
	v_readlane_b32 s13, v50, 39
	s_and_b64 s[12:13], s[10:11], s[12:13]
	s_mov_b64 exec, s[12:13]
	s_cbranch_execz .LBB106_189
; %bb.181:                              ;   in Loop: Header=BB106_11 Depth=1
	s_mov_b64 s[12:13], 0
	v_mov_b32_e32 v6, v5
	v_mov_b32_e32 v4, v0
                                        ; implicit-def: $sgpr14_sgpr15
	s_branch .LBB106_184
.LBB106_182:                            ;   in Loop: Header=BB106_184 Depth=2
	s_or_b64 exec, exec, s[50:51]
	s_waitcnt lgkmcnt(0)
	s_barrier
	ds_read_b32 v13, v7 offset:3072
	s_mov_b64 s[44:45], -1
	s_mov_b64 s[46:47], -1
	s_waitcnt lgkmcnt(0)
	s_barrier
	v_cmp_eq_u32_sdwa s[20:21], v13, v7 src0_sel:WORD_0 src1_sel:DWORD
	s_and_b64 vcc, exec, s[20:21]
	s_cbranch_vccnz .LBB106_187
.LBB106_183:                            ;   in Loop: Header=BB106_184 Depth=2
	s_and_b64 s[20:21], exec, s[44:45]
	s_or_b64 s[12:13], s[20:21], s[12:13]
	s_andn2_b64 s[14:15], s[14:15], exec
	s_and_b64 s[20:21], s[46:47], exec
	s_or_b64 s[14:15], s[14:15], s[20:21]
	s_andn2_b64 exec, exec, s[12:13]
	s_cbranch_execz .LBB106_188
.LBB106_184:                            ;   Parent Loop BB106_11 Depth=1
                                        ; =>  This Inner Loop Header: Depth=2
	v_cmp_gt_u32_e32 vcc, s36, v4
	s_and_saveexec_b64 s[50:51], vcc
	s_cbranch_execz .LBB106_182
; %bb.185:                              ;   in Loop: Header=BB106_184 Depth=2
	v_lshlrev_b64 v[13:14], 1, v[6:7]
	v_mov_b32_e32 v15, s37
	v_add_co_u32_e32 v13, vcc, s60, v13
	v_addc_co_u32_e32 v14, vcc, v15, v14, vcc
	global_load_ushort v13, v[13:14], off
	s_waitcnt vmcnt(0)
	v_add_u32_sdwa v14, sext(v13), s34 dst_sel:DWORD dst_unused:UNUSED_PAD src0_sel:WORD_0 src1_sel:DWORD
	v_and_b32_e32 v14, v14, v43
	v_cmp_eq_u32_e32 vcc, v14, v38
	s_and_b64 exec, exec, vcc
	s_cbranch_execz .LBB106_182
; %bb.186:                              ;   in Loop: Header=BB106_184 Depth=2
	v_perm_b32 v13, v13, 1, v41
	ds_write_b32 v7, v13 offset:3072
	s_branch .LBB106_182
.LBB106_187:                            ;   in Loop: Header=BB106_184 Depth=2
	v_add_u32_e32 v4, s39, v4
	v_cmp_le_u32_e32 vcc, s62, v4
	v_add_u32_e32 v6, s30, v6
	s_mov_b64 s[46:47], 0
	s_orn2_b64 s[44:45], vcc, exec
	s_branch .LBB106_183
.LBB106_188:                            ;   in Loop: Header=BB106_11 Depth=1
	s_or_b64 exec, exec, s[12:13]
	s_andn2_b64 s[12:13], s[42:43], exec
	s_and_b64 s[14:15], s[14:15], exec
	v_lshrrev_b32_e32 v44, 16, v13
	s_or_b64 s[42:43], s[12:13], s[14:15]
.LBB106_189:                            ;   in Loop: Header=BB106_11 Depth=1
	s_or_b64 exec, exec, s[10:11]
	s_mov_b64 s[86:87], 0
	s_mov_b64 s[88:89], -1
.LBB106_190:                            ;   in Loop: Header=BB106_11 Depth=1
	s_orn2_b64 s[10:11], s[42:43], exec
.LBB106_191:                            ;   in Loop: Header=BB106_11 Depth=1
	s_or_b64 exec, exec, s[40:41]
	s_mov_b64 s[12:13], 0
	s_and_saveexec_b64 s[90:91], s[10:11]
	s_cbranch_execz .LBB106_241
; %bb.192:                              ;   in Loop: Header=BB106_11 Depth=1
	s_xor_b64 s[14:15], s[48:49], -1
	v_mov_b32_e32 v4, 1
	v_mov_b32_e32 v2, 1
	s_and_saveexec_b64 s[10:11], s[14:15]
	s_cbranch_execz .LBB106_201
; %bb.193:                              ;   in Loop: Header=BB106_11 Depth=1
	v_cmp_ge_u32_e32 vcc, s92, v12
	s_and_saveexec_b64 s[12:13], vcc
	s_xor_b64 s[12:13], exec, s[12:13]
	s_cbranch_execz .LBB106_198
; %bb.194:                              ;   in Loop: Header=BB106_11 Depth=1
	v_and_b32_e32 v2, v38, v3
	v_lshl_or_b32 v38, 2, v42, v2
	ds_read_b32 v2, v7 offset:4104
	v_or_b32_e32 v43, v43, v1
	s_waitcnt lgkmcnt(0)
	v_cmp_ne_u32_e32 vcc, 0, v2
	s_cbranch_vccnz .LBB106_198
; %bb.195:                              ;   in Loop: Header=BB106_11 Depth=1
	s_and_saveexec_b64 s[14:15], s[0:1]
; %bb.196:                              ;   in Loop: Header=BB106_11 Depth=1
	v_mov_b32_e32 v2, s92
	ds_write_b32 v7, v2 offset:4108
; %bb.197:                              ;   in Loop: Header=BB106_11 Depth=1
	s_or_b64 exec, exec, s[14:15]
	s_waitcnt lgkmcnt(0)
	s_barrier
.LBB106_198:                            ;   in Loop: Header=BB106_11 Depth=1
	s_or_saveexec_b64 s[12:13], s[12:13]
	s_mov_b64 s[14:15], 0
	v_mov_b32_e32 v2, 8
	s_xor_b64 exec, exec, s[12:13]
; %bb.199:                              ;   in Loop: Header=BB106_11 Depth=1
	v_subrev_u32_e32 v12, s92, v12
	v_mov_b32_e32 v2, 0
	s_mov_b64 s[14:15], exec
; %bb.200:                              ;   in Loop: Header=BB106_11 Depth=1
	s_or_b64 exec, exec, s[12:13]
	s_and_b64 s[12:13], s[14:15], exec
	v_mov_b32_e32 v4, v12
.LBB106_201:                            ;   in Loop: Header=BB106_11 Depth=1
	s_or_b64 exec, exec, s[10:11]
	s_mov_b64 s[10:11], -1
                                        ; implicit-def: $sgpr48_sgpr49
                                        ; implicit-def: $sgpr94_sgpr95
	s_and_saveexec_b64 s[92:93], s[12:13]
	s_cbranch_execz .LBB106_240
; %bb.202:                              ;   in Loop: Header=BB106_11 Depth=1
	s_cmp_eq_u32 s33, 1
	s_cselect_b64 s[10:11], -1, 0
	v_cmp_eq_u32_e32 vcc, 1, v4
	s_and_b64 s[40:41], s[10:11], vcc
	s_mov_b64 s[12:13], -1
                                        ; implicit-def: $sgpr48_sgpr49
                                        ; implicit-def: $sgpr94_sgpr95
	s_and_saveexec_b64 s[42:43], s[40:41]
	s_cbranch_execz .LBB106_228
; %bb.203:                              ;   in Loop: Header=BB106_11 Depth=1
	ds_read_b32 v3, v7 offset:4104
	s_waitcnt lgkmcnt(0)
	s_barrier
	v_readfirstlane_b32 s20, v3
	s_and_saveexec_b64 s[10:11], s[24:25]
; %bb.204:                              ;   in Loop: Header=BB106_11 Depth=1
	ds_write_b16 v23, v7
; %bb.205:                              ;   in Loop: Header=BB106_11 Depth=1
	s_or_b64 exec, exec, s[10:11]
	v_or_b32_e32 v38, v38, v1
	v_or_b32_e32 v43, v43, v1
	s_mov_b64 s[94:95], -1
	s_mov_b64 s[48:49], 0
	s_cmp_eq_u32 s20, 0
	s_mov_b64 s[10:11], 0
	s_waitcnt lgkmcnt(0)
	s_barrier
                                        ; implicit-def: $vgpr44
	s_cbranch_scc1 .LBB106_216
; %bb.206:                              ;   in Loop: Header=BB106_11 Depth=1
	s_add_i32 s10, s20, s3
	s_mul_hi_u32 s11, s10, s59
	s_mul_i32 s11, s11, s39
	s_sub_i32 s11, s10, s11
	s_sub_i32 s12, s11, s39
	s_cmp_ge_u32 s11, s39
	s_cselect_b32 s11, s12, s11
	s_sub_i32 s12, s11, s39
	s_cmp_ge_u32 s11, s39
	s_cselect_b32 s11, s12, s11
	s_sub_i32 s21, s10, s11
	v_cmp_gt_u32_e32 vcc, s21, v0
	s_mov_b64 s[12:13], 0
	s_mov_b64 s[10:11], 0
                                        ; implicit-def: $vgpr44
	s_and_saveexec_b64 s[14:15], vcc
	s_cbranch_execz .LBB106_215
; %bb.207:                              ;   in Loop: Header=BB106_11 Depth=1
	v_mov_b32_e32 v3, v22
	v_mov_b32_e32 v6, v0
                                        ; implicit-def: $sgpr50_sgpr51
	s_branch .LBB106_210
.LBB106_208:                            ;   in Loop: Header=BB106_210 Depth=2
	s_or_b64 exec, exec, s[44:45]
	s_waitcnt lgkmcnt(0)
	s_barrier
	ds_read_b32 v12, v7 offset:3072
	s_mov_b64 s[44:45], -1
	s_waitcnt lgkmcnt(0)
	s_barrier
	v_cmp_ne_u32_sdwa s[46:47], v12, v7 src0_sel:WORD_0 src1_sel:DWORD
	s_and_b64 vcc, exec, s[46:47]
	s_mov_b64 s[46:47], -1
	s_cbranch_vccz .LBB106_213
.LBB106_209:                            ;   in Loop: Header=BB106_210 Depth=2
	s_and_b64 s[44:45], exec, s[44:45]
	s_or_b64 s[10:11], s[44:45], s[10:11]
	s_andn2_b64 s[44:45], s[50:51], exec
	s_and_b64 s[46:47], s[46:47], exec
	s_or_b64 s[50:51], s[44:45], s[46:47]
	s_andn2_b64 exec, exec, s[10:11]
	s_cbranch_execz .LBB106_214
.LBB106_210:                            ;   Parent Loop BB106_11 Depth=1
                                        ; =>  This Inner Loop Header: Depth=2
	v_cmp_gt_u32_e32 vcc, s20, v6
	s_and_saveexec_b64 s[44:45], vcc
	s_cbranch_execz .LBB106_208
; %bb.211:                              ;   in Loop: Header=BB106_210 Depth=2
	ds_read_u16 v12, v3
	s_waitcnt lgkmcnt(0)
	v_add_u32_sdwa v13, sext(v12), s34 dst_sel:DWORD dst_unused:UNUSED_PAD src0_sel:WORD_0 src1_sel:DWORD
	v_and_b32_e32 v13, v13, v43
	v_cmp_eq_u32_e32 vcc, v13, v38
	s_and_b64 exec, exec, vcc
	s_cbranch_execz .LBB106_208
; %bb.212:                              ;   in Loop: Header=BB106_210 Depth=2
	v_perm_b32 v12, v12, 1, v41
	ds_write_b32 v7, v12 offset:3072
	s_branch .LBB106_208
.LBB106_213:                            ;   in Loop: Header=BB106_210 Depth=2
	v_add_u32_e32 v6, s39, v6
	v_cmp_le_u32_e32 vcc, s21, v6
	v_add_u32_e32 v3, s65, v3
	s_mov_b64 s[46:47], 0
	s_orn2_b64 s[44:45], vcc, exec
	s_branch .LBB106_209
.LBB106_214:                            ;   in Loop: Header=BB106_11 Depth=1
	s_or_b64 exec, exec, s[10:11]
	v_lshrrev_b32_e32 v44, 16, v12
	s_and_b64 s[10:11], s[50:51], exec
.LBB106_215:                            ;   in Loop: Header=BB106_11 Depth=1
	s_or_b64 exec, exec, s[14:15]
.LBB106_216:                            ;   in Loop: Header=BB106_11 Depth=1
	s_and_b64 vcc, exec, s[12:13]
	s_cbranch_vccz .LBB106_227
; %bb.217:                              ;   in Loop: Header=BB106_11 Depth=1
                                        ; implicit-def: $vgpr44
	s_mov_b64 s[12:13], exec
	v_readlane_b32 s14, v50, 38
	v_readlane_b32 s15, v50, 39
	s_and_b64 s[14:15], s[12:13], s[14:15]
	s_mov_b64 exec, s[14:15]
	s_cbranch_execz .LBB106_226
; %bb.218:                              ;   in Loop: Header=BB106_11 Depth=1
	s_mov_b64 s[14:15], 0
	v_mov_b32_e32 v6, v5
	v_mov_b32_e32 v3, v0
                                        ; implicit-def: $sgpr48_sgpr49
	s_branch .LBB106_221
.LBB106_219:                            ;   in Loop: Header=BB106_221 Depth=2
	s_or_b64 exec, exec, s[50:51]
	s_waitcnt lgkmcnt(0)
	s_barrier
	ds_read_b32 v12, v7 offset:3072
	s_mov_b64 s[44:45], -1
	s_mov_b64 s[46:47], -1
	s_waitcnt lgkmcnt(0)
	s_barrier
	v_cmp_eq_u32_sdwa s[20:21], v12, v7 src0_sel:WORD_0 src1_sel:DWORD
	s_and_b64 vcc, exec, s[20:21]
	s_cbranch_vccnz .LBB106_224
.LBB106_220:                            ;   in Loop: Header=BB106_221 Depth=2
	s_and_b64 s[20:21], exec, s[44:45]
	s_or_b64 s[14:15], s[20:21], s[14:15]
	s_andn2_b64 s[20:21], s[48:49], exec
	s_and_b64 s[44:45], s[46:47], exec
	s_or_b64 s[48:49], s[20:21], s[44:45]
	s_andn2_b64 exec, exec, s[14:15]
	s_cbranch_execz .LBB106_225
.LBB106_221:                            ;   Parent Loop BB106_11 Depth=1
                                        ; =>  This Inner Loop Header: Depth=2
	v_cmp_gt_u32_e32 vcc, s36, v3
	s_and_saveexec_b64 s[50:51], vcc
	s_cbranch_execz .LBB106_219
; %bb.222:                              ;   in Loop: Header=BB106_221 Depth=2
	v_lshlrev_b64 v[12:13], 1, v[6:7]
	v_mov_b32_e32 v14, s37
	v_add_co_u32_e32 v12, vcc, s60, v12
	v_addc_co_u32_e32 v13, vcc, v14, v13, vcc
	global_load_ushort v12, v[12:13], off
	s_waitcnt vmcnt(0)
	v_add_u32_sdwa v13, sext(v12), s34 dst_sel:DWORD dst_unused:UNUSED_PAD src0_sel:WORD_0 src1_sel:DWORD
	v_and_b32_e32 v13, v13, v43
	v_cmp_eq_u32_e32 vcc, v13, v38
	s_and_b64 exec, exec, vcc
	s_cbranch_execz .LBB106_219
; %bb.223:                              ;   in Loop: Header=BB106_221 Depth=2
	v_perm_b32 v12, v12, 1, v41
	ds_write_b32 v7, v12 offset:3072
	s_branch .LBB106_219
.LBB106_224:                            ;   in Loop: Header=BB106_221 Depth=2
	v_add_u32_e32 v3, s39, v3
	v_cmp_le_u32_e32 vcc, s62, v3
	v_add_u32_e32 v6, s30, v6
	s_mov_b64 s[46:47], 0
	s_orn2_b64 s[44:45], vcc, exec
	s_branch .LBB106_220
.LBB106_225:                            ;   in Loop: Header=BB106_11 Depth=1
	s_or_b64 exec, exec, s[14:15]
	s_andn2_b64 s[10:11], s[10:11], exec
	s_and_b64 s[14:15], s[48:49], exec
	v_lshrrev_b32_e32 v44, 16, v12
	s_or_b64 s[10:11], s[10:11], s[14:15]
.LBB106_226:                            ;   in Loop: Header=BB106_11 Depth=1
	s_or_b64 exec, exec, s[12:13]
	s_mov_b64 s[94:95], 0
	s_mov_b64 s[48:49], -1
.LBB106_227:                            ;   in Loop: Header=BB106_11 Depth=1
	s_orn2_b64 s[12:13], s[10:11], exec
.LBB106_228:                            ;   in Loop: Header=BB106_11 Depth=1
	s_or_b64 exec, exec, s[42:43]
	s_mov_b64 s[14:15], 0
	s_and_saveexec_b64 s[10:11], s[12:13]
	s_cbranch_execz .LBB106_239
; %bb.229:                              ;   in Loop: Header=BB106_11 Depth=1
	s_xor_b64 s[14:15], s[40:41], -1
	v_mov_b32_e32 v2, 1
	v_mov_b32_e32 v3, 1
	s_and_saveexec_b64 s[12:13], s[14:15]
	s_cbranch_execz .LBB106_238
; %bb.230:                              ;   in Loop: Header=BB106_11 Depth=1
	v_cmp_ge_u32_e32 vcc, s33, v4
	s_and_saveexec_b64 s[14:15], vcc
	s_xor_b64 s[14:15], exec, s[14:15]
	s_cbranch_execz .LBB106_235
; %bb.231:                              ;   in Loop: Header=BB106_11 Depth=1
	v_or_b32_e32 v38, v38, v1
	v_or_b32_e32 v43, v43, v1
	ds_read_b32 v1, v7 offset:4104
	s_waitcnt lgkmcnt(0)
	v_cmp_ne_u32_e32 vcc, 0, v1
	s_cbranch_vccnz .LBB106_235
; %bb.232:                              ;   in Loop: Header=BB106_11 Depth=1
	s_and_saveexec_b64 s[40:41], s[0:1]
; %bb.233:                              ;   in Loop: Header=BB106_11 Depth=1
	v_mov_b32_e32 v1, s33
	ds_write_b32 v7, v1 offset:4108
; %bb.234:                              ;   in Loop: Header=BB106_11 Depth=1
	s_or_b64 exec, exec, s[40:41]
	s_waitcnt lgkmcnt(0)
	s_barrier
.LBB106_235:                            ;   in Loop: Header=BB106_11 Depth=1
	s_andn2_saveexec_b64 s[14:15], s[14:15]
; %bb.236:                              ;   in Loop: Header=BB106_11 Depth=1
	v_subrev_u32_e32 v4, s33, v4
; %bb.237:                              ;   in Loop: Header=BB106_11 Depth=1
	s_or_b64 exec, exec, s[14:15]
	v_mov_b32_e32 v2, 8
	v_mov_b32_e32 v3, v4
.LBB106_238:                            ;   in Loop: Header=BB106_11 Depth=1
	s_or_b64 exec, exec, s[12:13]
	s_mov_b64 s[14:15], exec
	v_mov_b32_e32 v4, v3
.LBB106_239:                            ;   in Loop: Header=BB106_11 Depth=1
	s_or_b64 exec, exec, s[10:11]
	s_orn2_b64 s[10:11], s[14:15], exec
.LBB106_240:                            ;   in Loop: Header=BB106_11 Depth=1
	s_or_b64 exec, exec, s[92:93]
	s_andn2_b64 s[12:13], s[88:89], exec
	s_and_b64 s[14:15], s[48:49], exec
	s_or_b64 s[88:89], s[12:13], s[14:15]
	s_andn2_b64 s[12:13], s[86:87], exec
	s_and_b64 s[14:15], s[94:95], exec
	s_or_b64 s[86:87], s[12:13], s[14:15]
	s_and_b64 s[12:13], s[10:11], exec
	v_mov_b32_e32 v12, v4
.LBB106_241:                            ;   in Loop: Header=BB106_11 Depth=1
	s_or_b64 exec, exec, s[90:91]
	s_orn2_b64 s[10:11], s[12:13], exec
.LBB106_242:                            ;   in Loop: Header=BB106_11 Depth=1
	s_or_b64 exec, exec, s[84:85]
	s_andn2_b64 s[12:13], s[80:81], exec
	s_and_b64 s[14:15], s[88:89], exec
	s_or_b64 s[80:81], s[12:13], s[14:15]
	s_andn2_b64 s[12:13], s[28:29], exec
	s_and_b64 s[14:15], s[86:87], exec
	s_or_b64 s[28:29], s[12:13], s[14:15]
	s_and_b64 s[12:13], s[10:11], exec
	v_mov_b32_e32 v4, v12
.LBB106_243:                            ;   in Loop: Header=BB106_11 Depth=1
	s_or_b64 exec, exec, s[82:83]
	s_orn2_b64 s[10:11], s[12:13], exec
.LBB106_244:                            ;   in Loop: Header=BB106_11 Depth=1
	s_or_b64 exec, exec, s[26:27]
	s_mov_b64 s[12:13], 0
                                        ; implicit-def: $sgpr42
	s_and_saveexec_b64 s[14:15], s[10:11]
	s_xor_b64 s[10:11], exec, s[14:15]
	s_cbranch_execz .LBB106_9
; %bb.245:                              ;   in Loop: Header=BB106_11 Depth=1
	v_and_b32_e32 v1, 7, v2
	v_cmp_eq_u32_e32 vcc, 0, v1
	s_mov_b64 s[14:15], -1
	s_mov_b64 s[12:13], -1
                                        ; implicit-def: $sgpr42
	s_and_saveexec_b64 s[22:23], vcc
	s_cbranch_execz .LBB106_8
; %bb.246:                              ;   in Loop: Header=BB106_11 Depth=1
	v_add_u32_e32 v1, -2, v42
	v_cmp_eq_u32_e32 vcc, 0, v42
	s_xor_b32 s42, s61, 1
	s_xor_b64 s[12:13], exec, -1
	s_orn2_b64 s[14:15], vcc, exec
	v_mov_b32_e32 v42, v1
	s_branch .LBB106_8
.LBB106_247:
	s_or_b64 exec, exec, s[66:67]
	s_xor_b64 s[8:9], s[72:73], -1
	s_xor_b64 s[0:1], s[68:69], -1
	;; [unrolled: 1-line block ×3, first 2 shown]
	s_mov_b64 s[4:5], 0
	s_and_saveexec_b64 s[2:3], s[0:1]
	s_xor_b64 s[0:1], exec, s[2:3]
	s_cbranch_execnz .LBB106_252
; %bb.248:
	s_andn2_saveexec_b64 s[0:1], s[0:1]
	s_cbranch_execnz .LBB106_265
.LBB106_249:
	s_or_b64 exec, exec, s[0:1]
	s_and_saveexec_b64 s[0:1], s[4:5]
.LBB106_250:
	; divergent unreachable
.LBB106_251:
	s_endpgm
.LBB106_252:
	s_and_saveexec_b64 s[2:3], s[8:9]
	s_xor_b64 s[4:5], exec, s[2:3]
	s_cbranch_execz .LBB106_263
; %bb.253:
	s_and_saveexec_b64 s[2:3], s[6:7]
	s_xor_b64 s[6:7], exec, s[2:3]
; %bb.254:
	v_xor_b32_e32 v44, 0xffff8000, v38
; %bb.255:
	s_or_b64 exec, exec, s[6:7]
	v_readlane_b32 s8, v50, 1
	v_readlane_b32 s9, v50, 2
	;; [unrolled: 1-line block ×3, first 2 shown]
	s_mul_i32 s2, s10, s9
	v_readlane_b32 s9, v50, 18
	s_mul_i32 s3, s9, s8
	v_readlane_b32 s18, v50, 20
	s_sub_i32 s3, s10, s3
	s_sub_i32 s2, s18, s2
	s_add_i32 s6, s9, 1
	s_sub_i32 s7, s3, s8
	s_cmp_ge_u32 s3, s8
	s_cselect_b32 s6, s6, s9
	s_cselect_b32 s3, s7, s3
	s_add_i32 s7, s6, 1
	s_cmp_ge_u32 s3, s8
	s_cselect_b32 s3, s7, s6
	v_readlane_b32 s12, v50, 10
	s_mul_i32 s6, s3, s8
	v_readlane_b32 s13, v50, 11
	v_readlane_b32 s14, v50, 12
	s_sub_i32 s6, s10, s6
	s_mul_i32 s2, s2, s14
	s_mul_i32 s6, s6, s13
	s_add_i32 s2, s6, s2
	s_mul_i32 s3, s3, s12
	s_add_i32 s2, s2, s3
	s_mov_b32 s3, 0
	s_lshl_b64 s[2:3], s[2:3], 1
	v_readlane_b32 s6, v50, 16
	v_readlane_b32 s7, v50, 17
	s_add_u32 s2, s6, s2
	s_addc_u32 s3, s7, s3
	v_mov_b32_e32 v6, 0
	v_readlane_b32 s15, v50, 13
	global_store_short v6, v44, s[2:3]
	s_mov_b64 s[6:7], exec
	v_readlane_b32 s2, v50, 21
	v_readlane_b32 s3, v50, 22
	s_and_b64 s[2:3], s[6:7], s[2:3]
	s_mov_b64 exec, s[2:3]
	s_cbranch_execz .LBB106_262
; %bb.256:
	s_mov_b64 s[2:3], 0
	v_mov_b32_e32 v2, s37
                                        ; implicit-def: $sgpr8_sgpr9
                                        ; implicit-def: $sgpr12_sgpr13
                                        ; implicit-def: $sgpr10_sgpr11
	s_branch .LBB106_258
.LBB106_257:                            ;   in Loop: Header=BB106_258 Depth=1
	s_or_b64 exec, exec, s[14:15]
	s_and_b64 s[14:15], exec, s[12:13]
	s_or_b64 s[2:3], s[14:15], s[2:3]
	s_andn2_b64 s[8:9], s[8:9], exec
	s_and_b64 s[14:15], s[10:11], exec
	s_or_b64 s[8:9], s[8:9], s[14:15]
	s_andn2_b64 exec, exec, s[2:3]
	s_cbranch_execz .LBB106_260
.LBB106_258:                            ; =>This Inner Loop Header: Depth=1
	v_lshlrev_b64 v[3:4], 1, v[5:6]
	v_mov_b32_e32 v1, v0
	v_add_co_u32_e32 v3, vcc, s60, v3
	v_addc_co_u32_e32 v4, vcc, v2, v4, vcc
	global_load_ushort v3, v[3:4], off
	s_or_b64 s[10:11], s[10:11], exec
	s_or_b64 s[12:13], s[12:13], exec
                                        ; implicit-def: $vgpr0
	s_waitcnt vmcnt(0)
	v_cmp_ne_u16_e32 vcc, v3, v44
	s_and_saveexec_b64 s[14:15], vcc
	s_cbranch_execz .LBB106_257
; %bb.259:                              ;   in Loop: Header=BB106_258 Depth=1
	v_add_u32_e32 v0, s39, v1
	v_cmp_le_u32_e32 vcc, s36, v0
	s_andn2_b64 s[12:13], s[12:13], exec
	s_and_b64 s[16:17], vcc, exec
	v_add_u32_e32 v5, s30, v5
	s_andn2_b64 s[10:11], s[10:11], exec
	s_or_b64 s[12:13], s[12:13], s[16:17]
	s_branch .LBB106_257
.LBB106_260:
	s_or_b64 exec, exec, s[2:3]
	s_and_saveexec_b64 s[2:3], s[8:9]
	s_xor_b64 s[2:3], exec, s[2:3]
	s_cbranch_execz .LBB106_262
; %bb.261:
	v_readlane_b32 s10, v50, 4
	v_readlane_b32 s11, v50, 5
	;; [unrolled: 1-line block ×3, first 2 shown]
	s_mul_i32 s2, s12, s11
	v_readlane_b32 s11, v50, 19
	s_mul_i32 s3, s11, s10
	s_sub_i32 s3, s12, s3
	s_sub_i32 s2, s18, s2
	s_add_i32 s8, s11, 1
	s_sub_i32 s9, s3, s10
	s_cmp_ge_u32 s3, s10
	s_cselect_b32 s8, s8, s11
	s_cselect_b32 s3, s9, s3
	s_add_i32 s9, s8, 1
	s_cmp_ge_u32 s3, s10
	s_cselect_b32 s3, s9, s8
	v_readlane_b32 s16, v50, 6
	s_mul_i32 s8, s3, s10
	v_readlane_b32 s17, v50, 7
	v_readlane_b32 s18, v50, 8
	s_sub_i32 s8, s12, s8
	s_mul_i32 s2, s2, s18
	s_mul_i32 s8, s8, s17
	s_add_i32 s2, s8, s2
	s_mul_i32 s3, s3, s16
	s_add_i32 s2, s2, s3
	s_mov_b32 s3, 0
	s_lshl_b64 s[2:3], s[2:3], 3
	v_readlane_b32 s8, v50, 14
	v_readlane_b32 s9, v50, 15
	s_add_u32 s2, s8, s2
	s_addc_u32 s3, s9, s3
	v_mov_b32_e32 v2, 0
	v_readlane_b32 s19, v50, 9
	global_store_dwordx2 v2, v[1:2], s[2:3]
.LBB106_262:
	s_or_b64 exec, exec, s[6:7]
.LBB106_263:
	s_or_saveexec_b64 s[2:3], s[4:5]
	s_mov_b64 s[4:5], 0
	s_xor_b64 exec, exec, s[2:3]
	s_cbranch_execnz .LBB106_266
.LBB106_264:
	s_or_b64 exec, exec, s[2:3]
	s_and_b64 s[4:5], s[4:5], exec
	s_andn2_saveexec_b64 s[0:1], s[0:1]
	s_cbranch_execz .LBB106_249
.LBB106_265:
	s_or_b64 s[4:5], s[4:5], exec
	s_trap 2
	s_or_b64 exec, exec, s[0:1]
	s_and_saveexec_b64 s[0:1], s[4:5]
	s_cbranch_execnz .LBB106_250
	s_branch .LBB106_251
.LBB106_266:
	s_mov_b64 s[4:5], exec
	s_trap 2
	s_branch .LBB106_264
	.section	.rodata,"a",@progbits
	.p2align	6, 0x0
	.amdhsa_kernel _ZN2at6native12_GLOBAL__N_112gatherMedianIsjLi3EEEvNS_4cuda6detail10TensorInfoIT_T0_EENS5_IlS7_EENS5_IKS6_S7_EES7_S7_S7_b
		.amdhsa_group_segment_fixed_size 4120
		.amdhsa_private_segment_fixed_size 0
		.amdhsa_kernarg_size 920
		.amdhsa_user_sgpr_count 6
		.amdhsa_user_sgpr_private_segment_buffer 1
		.amdhsa_user_sgpr_dispatch_ptr 0
		.amdhsa_user_sgpr_queue_ptr 0
		.amdhsa_user_sgpr_kernarg_segment_ptr 1
		.amdhsa_user_sgpr_dispatch_id 0
		.amdhsa_user_sgpr_flat_scratch_init 0
		.amdhsa_user_sgpr_private_segment_size 0
		.amdhsa_uses_dynamic_stack 0
		.amdhsa_system_sgpr_private_segment_wavefront_offset 0
		.amdhsa_system_sgpr_workgroup_id_x 1
		.amdhsa_system_sgpr_workgroup_id_y 1
		.amdhsa_system_sgpr_workgroup_id_z 1
		.amdhsa_system_sgpr_workgroup_info 0
		.amdhsa_system_vgpr_workitem_id 0
		.amdhsa_next_free_vgpr 51
		.amdhsa_next_free_sgpr 96
		.amdhsa_reserve_vcc 1
		.amdhsa_reserve_flat_scratch 0
		.amdhsa_float_round_mode_32 0
		.amdhsa_float_round_mode_16_64 0
		.amdhsa_float_denorm_mode_32 3
		.amdhsa_float_denorm_mode_16_64 3
		.amdhsa_dx10_clamp 1
		.amdhsa_ieee_mode 1
		.amdhsa_fp16_overflow 0
		.amdhsa_exception_fp_ieee_invalid_op 0
		.amdhsa_exception_fp_denorm_src 0
		.amdhsa_exception_fp_ieee_div_zero 0
		.amdhsa_exception_fp_ieee_overflow 0
		.amdhsa_exception_fp_ieee_underflow 0
		.amdhsa_exception_fp_ieee_inexact 0
		.amdhsa_exception_int_div_zero 0
	.end_amdhsa_kernel
	.section	.text._ZN2at6native12_GLOBAL__N_112gatherMedianIsjLi3EEEvNS_4cuda6detail10TensorInfoIT_T0_EENS5_IlS7_EENS5_IKS6_S7_EES7_S7_S7_b,"axG",@progbits,_ZN2at6native12_GLOBAL__N_112gatherMedianIsjLi3EEEvNS_4cuda6detail10TensorInfoIT_T0_EENS5_IlS7_EENS5_IKS6_S7_EES7_S7_S7_b,comdat
.Lfunc_end106:
	.size	_ZN2at6native12_GLOBAL__N_112gatherMedianIsjLi3EEEvNS_4cuda6detail10TensorInfoIT_T0_EENS5_IlS7_EENS5_IKS6_S7_EES7_S7_S7_b, .Lfunc_end106-_ZN2at6native12_GLOBAL__N_112gatherMedianIsjLi3EEEvNS_4cuda6detail10TensorInfoIT_T0_EENS5_IlS7_EENS5_IKS6_S7_EES7_S7_S7_b
                                        ; -- End function
	.set _ZN2at6native12_GLOBAL__N_112gatherMedianIsjLi3EEEvNS_4cuda6detail10TensorInfoIT_T0_EENS5_IlS7_EENS5_IKS6_S7_EES7_S7_S7_b.num_vgpr, 51
	.set _ZN2at6native12_GLOBAL__N_112gatherMedianIsjLi3EEEvNS_4cuda6detail10TensorInfoIT_T0_EENS5_IlS7_EENS5_IKS6_S7_EES7_S7_S7_b.num_agpr, 0
	.set _ZN2at6native12_GLOBAL__N_112gatherMedianIsjLi3EEEvNS_4cuda6detail10TensorInfoIT_T0_EENS5_IlS7_EENS5_IKS6_S7_EES7_S7_S7_b.numbered_sgpr, 96
	.set _ZN2at6native12_GLOBAL__N_112gatherMedianIsjLi3EEEvNS_4cuda6detail10TensorInfoIT_T0_EENS5_IlS7_EENS5_IKS6_S7_EES7_S7_S7_b.num_named_barrier, 0
	.set _ZN2at6native12_GLOBAL__N_112gatherMedianIsjLi3EEEvNS_4cuda6detail10TensorInfoIT_T0_EENS5_IlS7_EENS5_IKS6_S7_EES7_S7_S7_b.private_seg_size, 0
	.set _ZN2at6native12_GLOBAL__N_112gatherMedianIsjLi3EEEvNS_4cuda6detail10TensorInfoIT_T0_EENS5_IlS7_EENS5_IKS6_S7_EES7_S7_S7_b.uses_vcc, 1
	.set _ZN2at6native12_GLOBAL__N_112gatherMedianIsjLi3EEEvNS_4cuda6detail10TensorInfoIT_T0_EENS5_IlS7_EENS5_IKS6_S7_EES7_S7_S7_b.uses_flat_scratch, 0
	.set _ZN2at6native12_GLOBAL__N_112gatherMedianIsjLi3EEEvNS_4cuda6detail10TensorInfoIT_T0_EENS5_IlS7_EENS5_IKS6_S7_EES7_S7_S7_b.has_dyn_sized_stack, 0
	.set _ZN2at6native12_GLOBAL__N_112gatherMedianIsjLi3EEEvNS_4cuda6detail10TensorInfoIT_T0_EENS5_IlS7_EENS5_IKS6_S7_EES7_S7_S7_b.has_recursion, 0
	.set _ZN2at6native12_GLOBAL__N_112gatherMedianIsjLi3EEEvNS_4cuda6detail10TensorInfoIT_T0_EENS5_IlS7_EENS5_IKS6_S7_EES7_S7_S7_b.has_indirect_call, 0
	.section	.AMDGPU.csdata,"",@progbits
; Kernel info:
; codeLenInByte = 11072
; TotalNumSgprs: 100
; NumVgprs: 51
; ScratchSize: 0
; MemoryBound: 0
; FloatMode: 240
; IeeeMode: 1
; LDSByteSize: 4120 bytes/workgroup (compile time only)
; SGPRBlocks: 12
; VGPRBlocks: 12
; NumSGPRsForWavesPerEU: 100
; NumVGPRsForWavesPerEU: 51
; Occupancy: 4
; WaveLimiterHint : 1
; COMPUTE_PGM_RSRC2:SCRATCH_EN: 0
; COMPUTE_PGM_RSRC2:USER_SGPR: 6
; COMPUTE_PGM_RSRC2:TRAP_HANDLER: 0
; COMPUTE_PGM_RSRC2:TGID_X_EN: 1
; COMPUTE_PGM_RSRC2:TGID_Y_EN: 1
; COMPUTE_PGM_RSRC2:TGID_Z_EN: 1
; COMPUTE_PGM_RSRC2:TIDIG_COMP_CNT: 0
	.section	.text._ZN2at6native12_GLOBAL__N_112gatherMedianIsjLin1EEEvNS_4cuda6detail10TensorInfoIT_T0_EENS5_IlS7_EENS5_IKS6_S7_EES7_S7_S7_b,"axG",@progbits,_ZN2at6native12_GLOBAL__N_112gatherMedianIsjLin1EEEvNS_4cuda6detail10TensorInfoIT_T0_EENS5_IlS7_EENS5_IKS6_S7_EES7_S7_S7_b,comdat
	.globl	_ZN2at6native12_GLOBAL__N_112gatherMedianIsjLin1EEEvNS_4cuda6detail10TensorInfoIT_T0_EENS5_IlS7_EENS5_IKS6_S7_EES7_S7_S7_b ; -- Begin function _ZN2at6native12_GLOBAL__N_112gatherMedianIsjLin1EEEvNS_4cuda6detail10TensorInfoIT_T0_EENS5_IlS7_EENS5_IKS6_S7_EES7_S7_S7_b
	.p2align	8
	.type	_ZN2at6native12_GLOBAL__N_112gatherMedianIsjLin1EEEvNS_4cuda6detail10TensorInfoIT_T0_EENS5_IlS7_EENS5_IKS6_S7_EES7_S7_S7_b,@function
_ZN2at6native12_GLOBAL__N_112gatherMedianIsjLin1EEEvNS_4cuda6detail10TensorInfoIT_T0_EENS5_IlS7_EENS5_IKS6_S7_EES7_S7_S7_b: ; @_ZN2at6native12_GLOBAL__N_112gatherMedianIsjLin1EEEvNS_4cuda6detail10TensorInfoIT_T0_EENS5_IlS7_EENS5_IKS6_S7_EES7_S7_S7_b
; %bb.0:
	s_load_dwordx2 s[12:13], s[4:5], 0x298
	s_load_dwordx4 s[36:39], s[4:5], 0x288
	s_add_u32 s10, s4, 0x298
	s_addc_u32 s11, s5, 0
	s_waitcnt lgkmcnt(0)
	s_mul_i32 s0, s13, s8
	s_add_i32 s0, s0, s7
	s_mul_i32 s0, s0, s12
	s_add_i32 s7, s0, s6
	s_cmp_ge_u32 s7, s37
	s_cbranch_scc1 .LBB107_260
; %bb.1:
	s_load_dword s0, s[4:5], 0xd0
	s_mov_b32 s35, 0
	s_mov_b32 s33, s7
	s_waitcnt lgkmcnt(0)
	s_cmp_lt_i32 s0, 2
	s_cbranch_scc1 .LBB107_4
; %bb.2:
	s_add_i32 s34, s0, -1
	s_add_i32 s2, s0, 1
	s_lshl_b64 s[0:1], s[34:35], 2
	s_add_u32 s0, s4, s0
	s_addc_u32 s1, s5, s1
	s_add_u32 s0, s0, 8
	s_addc_u32 s1, s1, 0
	s_mov_b32 s33, s7
.LBB107_3:                              ; =>This Inner Loop Header: Depth=1
	s_load_dword s3, s[0:1], 0x0
	s_load_dword s9, s[0:1], 0x64
	s_mov_b32 s8, s33
	s_waitcnt lgkmcnt(0)
	v_cvt_f32_u32_e32 v1, s3
	s_sub_i32 s13, 0, s3
	v_rcp_iflag_f32_e32 v1, v1
	v_mul_f32_e32 v1, 0x4f7ffffe, v1
	v_cvt_u32_f32_e32 v1, v1
	v_readfirstlane_b32 s14, v1
	s_mul_i32 s13, s13, s14
	s_mul_hi_u32 s13, s14, s13
	s_add_i32 s14, s14, s13
	s_mul_hi_u32 s13, s33, s14
	s_mul_i32 s14, s13, s3
	s_sub_i32 s14, s33, s14
	s_add_i32 s15, s13, 1
	s_sub_i32 s16, s14, s3
	s_cmp_ge_u32 s14, s3
	s_cselect_b32 s13, s15, s13
	s_cselect_b32 s14, s16, s14
	s_add_i32 s15, s13, 1
	s_cmp_ge_u32 s14, s3
	s_cselect_b32 s33, s15, s13
	s_mul_i32 s3, s33, s3
	s_sub_i32 s3, s8, s3
	s_mul_i32 s3, s9, s3
	s_add_i32 s2, s2, -1
	s_add_i32 s35, s3, s35
	s_add_u32 s0, s0, -4
	s_addc_u32 s1, s1, -1
	s_cmp_gt_u32 s2, 2
	s_cbranch_scc1 .LBB107_3
.LBB107_4:
	s_load_dword s2, s[4:5], 0x1a8
	s_add_u32 s0, s4, 0xd8
	s_addc_u32 s1, s5, 0
	s_mov_b32 s41, 0
	s_mov_b32 s34, s7
	s_waitcnt lgkmcnt(0)
	s_cmp_lt_i32 s2, 2
	s_cbranch_scc1 .LBB107_7
; %bb.5:
	s_add_i32 s40, s2, -1
	s_add_i32 s8, s2, 1
	s_lshl_b64 s[2:3], s[40:41], 2
	s_add_u32 s2, s0, s2
	s_addc_u32 s3, s1, s3
	s_add_u32 s2, s2, 8
	s_addc_u32 s3, s3, 0
	s_mov_b32 s34, s7
.LBB107_6:                              ; =>This Inner Loop Header: Depth=1
	s_load_dword s9, s[2:3], 0x0
	s_load_dword s14, s[2:3], 0x64
	s_mov_b32 s13, s34
	s_waitcnt lgkmcnt(0)
	v_cvt_f32_u32_e32 v1, s9
	s_sub_i32 s15, 0, s9
	v_rcp_iflag_f32_e32 v1, v1
	v_mul_f32_e32 v1, 0x4f7ffffe, v1
	v_cvt_u32_f32_e32 v1, v1
	v_readfirstlane_b32 s16, v1
	s_mul_i32 s15, s15, s16
	s_mul_hi_u32 s15, s16, s15
	s_add_i32 s16, s16, s15
	s_mul_hi_u32 s15, s34, s16
	s_mul_i32 s16, s15, s9
	s_sub_i32 s16, s34, s16
	s_add_i32 s17, s15, 1
	s_sub_i32 s18, s16, s9
	s_cmp_ge_u32 s16, s9
	s_cselect_b32 s15, s17, s15
	s_cselect_b32 s16, s18, s16
	s_add_i32 s17, s15, 1
	s_cmp_ge_u32 s16, s9
	s_cselect_b32 s34, s17, s15
	s_mul_i32 s9, s34, s9
	s_sub_i32 s9, s13, s9
	s_mul_i32 s9, s14, s9
	s_add_i32 s8, s8, -1
	s_add_i32 s41, s9, s41
	s_add_u32 s2, s2, -4
	s_addc_u32 s3, s3, -1
	s_cmp_gt_u32 s8, 2
	s_cbranch_scc1 .LBB107_6
.LBB107_7:
	s_load_dword s2, s[4:5], 0x6c
                                        ; implicit-def: $vgpr50 : SGPR spill to VGPR lane
	s_add_u32 s8, s4, 0x1b0
	s_addc_u32 s9, s5, 0
	s_mov_b32 s3, 0
	s_waitcnt lgkmcnt(0)
	v_writelane_b32 v50, s2, 0
	s_load_dword s2, s[4:5], 0x280
	s_waitcnt lgkmcnt(0)
	s_cmp_lt_i32 s2, 2
	s_cbranch_scc1 .LBB107_10
; %bb.8:
	s_add_i32 s13, s2, 1
	s_add_i32 s2, s2, -1
	s_lshl_b64 s[14:15], s[2:3], 2
	s_add_u32 s2, s8, s14
	s_addc_u32 s9, s9, s15
	s_add_u32 s8, s2, 8
	s_addc_u32 s9, s9, 0
.LBB107_9:                              ; =>This Inner Loop Header: Depth=1
	s_load_dword s2, s[8:9], 0x0
	s_load_dword s15, s[8:9], 0x64
	s_mov_b32 s14, s7
	s_waitcnt lgkmcnt(0)
	v_cvt_f32_u32_e32 v1, s2
	s_sub_i32 s7, 0, s2
	v_rcp_iflag_f32_e32 v1, v1
	v_mul_f32_e32 v1, 0x4f7ffffe, v1
	v_cvt_u32_f32_e32 v1, v1
	v_readfirstlane_b32 s16, v1
	s_mul_i32 s7, s7, s16
	s_mul_hi_u32 s7, s16, s7
	s_add_i32 s16, s16, s7
	s_mul_hi_u32 s7, s14, s16
	s_mul_i32 s16, s7, s2
	s_sub_i32 s16, s14, s16
	s_add_i32 s17, s7, 1
	s_sub_i32 s18, s16, s2
	s_cmp_ge_u32 s16, s2
	s_cselect_b32 s7, s17, s7
	s_cselect_b32 s16, s18, s16
	s_add_i32 s17, s7, 1
	s_cmp_ge_u32 s16, s2
	s_cselect_b32 s7, s17, s7
	s_mul_i32 s2, s7, s2
	s_sub_i32 s2, s14, s2
	s_mul_i32 s2, s15, s2
	s_add_i32 s13, s13, -1
	s_add_i32 s3, s2, s3
	s_add_u32 s8, s8, -4
	s_addc_u32 s9, s9, -1
	s_cmp_gt_u32 s13, 2
	s_cbranch_scc1 .LBB107_9
.LBB107_10:
	s_load_dword s0, s[0:1], 0x6c
	v_cmp_eq_u32_e64 s[90:91], 0, v0
	s_waitcnt lgkmcnt(0)
	v_writelane_b32 v50, s0, 1
	s_and_saveexec_b64 s[8:9], s[90:91]
; %bb.11:
	v_mov_b32_e32 v1, 0
	v_mov_b32_e32 v2, v1
	ds_write_b64 v1, v[1:2] offset:4096
; %bb.12:
	s_or_b64 exec, exec, s[8:9]
	v_mov_b32_e32 v1, 0
	s_waitcnt lgkmcnt(0)
	s_barrier
	s_barrier
	ds_read_b64 v[1:2], v1 offset:4096
	s_load_dwordx2 s[8:9], s[4:5], 0x1b0
	s_bitcmp1_b32 s39, 0
	s_cselect_b64 s[16:17], -1, 0
	s_mov_b32 s13, s36
	s_waitcnt lgkmcnt(0)
	v_readfirstlane_b32 s14, v1
	v_readfirstlane_b32 s15, v2
	v_cmp_lt_i64_e64 s[0:1], s[14:15], 1
	s_or_b64 s[0:1], s[16:17], s[0:1]
	s_andn2_b64 vcc, exec, s[0:1]
	s_cbranch_vccnz .LBB107_14
; %bb.13:
	s_not_b64 s[0:1], s[14:15]
	s_add_u32 s0, s0, s36
	s_addc_u32 s1, s1, 0
	s_lshr_b32 s2, s1, 31
	s_add_u32 s0, s0, s2
	s_addc_u32 s1, s1, 0
	s_lshr_b64 s[0:1], s[0:1], 1
	s_add_i32 s13, s0, 1
.LBB107_14:
	s_load_dwordx2 s[0:1], s[4:5], 0x0
                                        ; kill: killed $sgpr4 killed $sgpr5
	s_waitcnt lgkmcnt(0)
	v_writelane_b32 v50, s0, 2
	v_writelane_b32 v50, s1, 3
	s_load_dwordx2 s[0:1], s[4:5], 0xd8
	s_waitcnt lgkmcnt(0)
	v_writelane_b32 v50, s0, 4
	v_writelane_b32 v50, s1, 5
	s_load_dword s0, s[4:5], 0x21c
	s_and_saveexec_b64 s[4:5], s[90:91]
	s_cbranch_execz .LBB107_16
; %bb.15:
	v_mov_b32_e32 v1, 0
	v_mov_b32_e32 v2, s36
	ds_write_b32 v1, v1 offset:4112
	ds_write_b64 v1, v[1:2] offset:4104
.LBB107_16:
	s_or_b64 exec, exec, s[4:5]
	s_waitcnt lgkmcnt(0)
	s_barrier
	s_load_dword s2, s[10:11], 0xc
	s_mul_i32 s0, s0, s7
	v_mul_lo_u32 v5, s38, v0
	s_add_i32 s54, s0, s3
	s_mov_b32 s55, 0
	s_lshl_b64 s[0:1], s[54:55], 1
	v_mbcnt_lo_u32_b32 v1, -1, 0
	v_mov_b32_e32 v7, 0
	s_add_u32 s39, s8, s0
	v_mbcnt_hi_u32_b32 v21, -1, v1
	v_mov_b32_e32 v6, v7
	s_addc_u32 s40, s9, s1
	v_cmp_gt_u32_e64 s[0:1], s36, v0
	s_waitcnt lgkmcnt(0)
	s_and_b32 s54, s2, 0xffff
	v_cmp_gt_u32_e32 vcc, 64, v0
	v_cmp_gt_i32_e64 s[8:9], 4, v21
	v_lshlrev_b64 v[1:2], 1, v[5:6]
	v_writelane_b32 v50, s0, 6
	s_and_b64 s[46:47], vcc, s[8:9]
	s_add_i32 s8, s54, -1
	v_writelane_b32 v50, s1, 7
	s_lshl_b32 s37, s54, 2
	s_bfe_u32 s0, s2, 0xa0006
	s_add_i32 s1, s8, s36
	v_mov_b32_e32 v3, s40
	v_add_co_u32_e32 v8, vcc, s39, v1
	s_cmpk_gt_u32 s36, 0x600
	v_addc_co_u32_e32 v9, vcc, v3, v2, vcc
	v_lshlrev_b64 v[2:3], v21, -1
	s_cselect_b64 s[2:3], -1, 0
	s_cmp_gt_u32 s54, 63
	v_writelane_b32 v50, s2, 8
	s_cselect_b64 s[50:51], -1, 0
	v_not_b32_e32 v26, v2
	v_lshrrev_b32_e32 v2, 2, v0
	s_cmp_lt_u32 s6, s12
	v_writelane_b32 v50, s3, 9
	v_and_b32_e32 v2, 0xf0, v2
	s_cselect_b32 s2, 12, 18
	v_or_b32_e32 v27, 0xc00, v2
	s_add_u32 s2, s10, s2
	v_add_u32_e32 v2, 2, v0
	s_addc_u32 s3, s11, 0
	v_max_u32_e32 v2, s36, v2
	v_writelane_b32 v50, s2, 10
	v_xad_u32 v2, v0, -1, v2
	v_not_b32_e32 v25, v3
	v_writelane_b32 v50, s3, 11
	v_add_u32_e32 v3, -2, v2
	v_cmp_lt_u32_e64 s[2:3], 31, v2
	v_lshrrev_b32_e32 v4, 1, v3
	v_writelane_b32 v50, s2, 12
	v_add_u32_e32 v4, 1, v4
	v_writelane_b32 v50, s3, 13
	v_cmp_lt_u32_e64 s[2:3], 13, v3
	v_and_b32_e32 v12, 7, v4
	v_writelane_b32 v50, s2, 14
	v_writelane_b32 v50, s3, 15
	v_cmp_ne_u32_e64 s[2:3], 0, v12
	v_and_b32_e32 v28, -2, v2
	v_writelane_b32 v50, s2, 16
	v_writelane_b32 v50, s3, 17
	v_cmp_ne_u32_e64 s[2:3], v2, v28
	v_cvt_f32_u32_e32 v2, s37
	v_writelane_b32 v50, s2, 18
	v_writelane_b32 v50, s3, 19
	s_add_i32 s2, s0, -1
	v_rcp_iflag_f32_e32 v2, v2
	s_bfe_u32 s3, s54, 0x30006
	s_and_b32 s2, s2, 0xffff
	s_cmp_gt_u32 s2, 6
	s_cselect_b64 s[6:7], -1, 0
	v_mul_f32_e32 v2, 0x4f7ffffe, v2
	v_writelane_b32 v50, s6, 20
	s_and_b32 s53, s0, 0x3f8
	v_cvt_u32_f32_e32 v2, v2
	v_writelane_b32 v50, s7, 21
	s_cmp_lg_u32 s3, 0
	v_writelane_b32 v50, s3, 22
	s_cselect_b64 s[2:3], -1, 0
	v_writelane_b32 v50, s2, 23
	v_writelane_b32 v50, s3, 24
	s_sub_i32 s0, 0, s37
	v_readfirstlane_b32 s2, v2
	v_cvt_f32_u32_e32 v2, s54
	s_mul_i32 s0, s0, s2
	s_mul_hi_u32 s0, s2, s0
	s_add_i32 s2, s2, s0
	v_and_b32_e32 v30, -8, v4
	s_mul_hi_u32 s0, s36, s2
	v_rcp_iflag_f32_e32 v4, v2
	s_mul_i32 s0, s0, s37
	s_sub_i32 s0, s36, s0
	s_sub_i32 s3, s0, s37
	s_cmp_ge_u32 s0, s37
	v_mul_f32_e32 v4, 0x4f7ffffe, v4
	s_cselect_b32 s0, s3, s0
	v_cvt_u32_f32_e32 v4, v4
	s_sub_i32 s3, s0, s37
	s_cmp_ge_u32 s0, s37
	s_cselect_b32 s0, s3, s0
	s_sub_i32 s3, s36, s0
	s_sub_i32 s6, 0, s54
	v_readfirstlane_b32 s7, v4
	v_add_u32_e32 v31, s3, v0
	s_mul_i32 s6, s6, s7
	v_mul_lo_u32 v6, v31, s38
	s_mul_hi_u32 s6, s7, s6
	s_add_i32 s56, s7, s6
	s_mul_hi_u32 s6, s1, s56
	s_mul_i32 s6, s6, s54
	v_lshlrev_b64 v[2:3], 1, v[6:7]
	s_sub_i32 s6, s1, s6
	v_lshlrev_b32_e32 v20, 2, v0
	s_sub_i32 s7, s6, s54
	v_add_co_u32_e32 v10, vcc, s39, v2
	s_cmp_ge_u32 s6, s54
	v_mul_lo_u32 v2, s38, v20
	s_cselect_b32 s6, s7, s6
	s_sub_i32 s7, s6, s54
	s_cmp_ge_u32 s6, s54
	s_cselect_b32 s6, s7, s6
	v_add_u32_e32 v33, s38, v2
	v_or_b32_e32 v2, 2, v20
	s_sub_i32 s57, s1, s6
	v_mul_lo_u32 v34, s38, v2
	v_or_b32_e32 v2, 3, v20
	s_add_i32 s1, s54, s36
	v_mul_lo_u32 v35, s38, v2
	v_add_u32_e32 v2, s1, v0
	v_subrev_u32_e32 v2, s0, v2
	v_mul_lo_u32 v37, s38, v2
	v_lshlrev_b32_e32 v22, 1, v0
	v_lshlrev_b32_e32 v1, 2, v21
	v_mov_b32_e32 v6, s40
	v_cmp_gt_u32_e64 s[6:7], s57, v0
	s_mul_i32 s52, s38, s54
	v_cmp_eq_u32_e64 s[4:5], 0, v21
	v_cmp_gt_u32_e64 s[24:25], 2, v0
	v_add_u32_e32 v23, 0xc00, v22
	v_and_b32_e32 v24, 0x100, v1
	v_add_u32_e32 v29, v0, v28
	s_mov_b32 s9, s38
	v_cmp_gt_u32_e64 s[16:17], s3, v20
	v_cmp_gt_u32_e64 s[18:19], s36, v31
	v_addc_co_u32_e32 v11, vcc, v6, v3, vcc
	v_writelane_b32 v50, s6, 25
	v_lshlrev_b32_e32 v32, 2, v12
	s_lshl_b32 s58, s52, 2
	v_lshlrev_b32_e32 v36, 2, v5
	s_lshl_b32 s59, s54, 3
	s_lshl_b32 s20, s54, 1
	v_or_b32_e32 v39, 0xc00, v1
	s_mov_b64 s[60:61], 0
	s_mov_b32 s21, 0x8000
	s_mov_b32 s48, 0x5040100
	v_lshlrev_b32_e32 v40, 3, v0
	v_mov_b32_e32 v42, 14
	v_mov_b32_e32 v45, s13
	;; [unrolled: 1-line block ×6, first 2 shown]
	v_writelane_b32 v50, s7, 26
                                        ; implicit-def: $sgpr62_sgpr63
                                        ; implicit-def: $sgpr66_sgpr67
                                        ; implicit-def: $sgpr64_sgpr65
                                        ; implicit-def: $sgpr70_sgpr71
                                        ; implicit-def: $sgpr72_sgpr73
                                        ; implicit-def: $sgpr68_sgpr69
	s_branch .LBB107_20
.LBB107_17:                             ;   in Loop: Header=BB107_20 Depth=1
	s_or_b64 exec, exec, s[14:15]
	s_and_b64 s[12:13], s[12:13], exec
	s_andn2_b64 s[30:31], s[30:31], exec
	s_andn2_b64 s[28:29], s[28:29], exec
	s_orn2_b64 s[22:23], s[22:23], exec
.LBB107_18:                             ;   in Loop: Header=BB107_20 Depth=1
	s_or_b64 exec, exec, s[10:11]
	s_andn2_b64 s[0:1], s[68:69], exec
	s_and_b64 s[10:11], s[12:13], exec
	s_or_b64 s[68:69], s[0:1], s[10:11]
	s_andn2_b64 s[0:1], s[72:73], exec
	s_and_b64 s[10:11], s[30:31], exec
	s_or_b64 s[72:73], s[0:1], s[10:11]
	;; [unrolled: 3-line block ×3, first 2 shown]
	s_orn2_b64 s[22:23], s[22:23], exec
.LBB107_19:                             ;   in Loop: Header=BB107_20 Depth=1
	s_or_b64 exec, exec, s[6:7]
	s_and_b64 s[0:1], exec, s[22:23]
	s_or_b64 s[60:61], s[0:1], s[60:61]
	s_andn2_b64 s[0:1], s[64:65], exec
	s_and_b64 s[6:7], s[68:69], exec
	s_or_b64 s[64:65], s[0:1], s[6:7]
	s_andn2_b64 s[0:1], s[66:67], exec
	s_and_b64 s[6:7], s[72:73], exec
	s_or_b64 s[66:67], s[0:1], s[6:7]
	s_andn2_b64 s[0:1], s[62:63], exec
	s_and_b64 s[6:7], s[70:71], exec
	s_or_b64 s[62:63], s[0:1], s[6:7]
	s_mov_b32 s55, s42
	v_mov_b32_e32 v45, v4
	s_andn2_b64 exec, exec, s[60:61]
	s_cbranch_execz .LBB107_256
.LBB107_20:                             ; =>This Loop Header: Depth=1
                                        ;     Child Loop BB107_25 Depth 2
                                        ;     Child Loop BB107_46 Depth 2
	;; [unrolled: 1-line block ×18, first 2 shown]
	ds_read_b64 v[1:2], v7 offset:4104
	s_waitcnt lgkmcnt(0)
	v_readfirstlane_b32 s14, v1
	s_cmp_lg_u32 s14, 0
	s_cbranch_scc1 .LBB107_65
; %bb.21:                               ;   in Loop: Header=BB107_20 Depth=1
	v_readlane_b32 s0, v50, 8
	v_readlane_b32 s1, v50, 9
	s_and_b64 vcc, exec, s[0:1]
	s_cbranch_vccz .LBB107_33
; %bb.22:                               ;   in Loop: Header=BB107_20 Depth=1
	s_movk_i32 s0, 0x601
	v_cmp_gt_u32_e32 vcc, s0, v2
	s_mov_b64 s[26:27], 0
	s_mov_b64 s[6:7], 0
	s_cbranch_vccz .LBB107_34
; %bb.23:                               ;   in Loop: Header=BB107_20 Depth=1
	v_readlane_b32 s0, v50, 10
	v_readlane_b32 s1, v50, 11
	s_nop 4
	global_load_ushort v1, v7, s[0:1]
	global_load_ushort v3, v[8:9], off
	s_mov_b64 s[28:29], 0
	v_mov_b32_e32 v4, v0
	s_waitcnt vmcnt(1)
	v_add_u32_e32 v2, v0, v1
	v_mul_lo_u32 v6, s38, v2
	v_mul_lo_u32 v2, s38, v1
	s_branch .LBB107_25
.LBB107_24:                             ;   in Loop: Header=BB107_25 Depth=2
	s_or_b64 exec, exec, s[6:7]
	v_add_u32_e32 v6, v6, v2
	v_mov_b32_e32 v3, v12
	s_andn2_b64 exec, exec, s[28:29]
	s_cbranch_execz .LBB107_40
.LBB107_25:                             ;   Parent Loop BB107_20 Depth=1
                                        ; =>  This Inner Loop Header: Depth=2
	v_add_u32_e32 v4, v4, v1
	v_cmp_gt_u32_e64 s[6:7], s36, v4
	v_cmp_le_u32_e32 vcc, s36, v4
	s_waitcnt lgkmcnt(0)
	v_mov_b32_e32 v13, 0
	v_mov_b32_e32 v12, 0
	s_and_saveexec_b64 s[10:11], s[6:7]
	s_cbranch_execz .LBB107_27
; %bb.26:                               ;   in Loop: Header=BB107_25 Depth=2
	v_lshlrev_b64 v[14:15], 1, v[6:7]
	v_mov_b32_e32 v12, s40
	v_add_co_u32_e64 v14, s[6:7], s39, v14
	v_addc_co_u32_e64 v15, s[6:7], v12, v15, s[6:7]
	global_load_ushort v12, v[14:15], off
.LBB107_27:                             ;   in Loop: Header=BB107_25 Depth=2
	s_or_b64 exec, exec, s[10:11]
	s_waitcnt vmcnt(0)
	v_add_u32_sdwa v14, sext(v3), s21 dst_sel:DWORD dst_unused:UNUSED_PAD src0_sel:WORD_0 src1_sel:DWORD
	v_and_b32_e32 v14, v14, v43
	v_cmp_eq_u32_e64 s[22:23], v14, v38
	s_cmp_lg_u64 s[22:23], 0
	s_cselect_b64 s[0:1], -1, 0
	s_and_b64 s[0:1], s[4:5], s[0:1]
	s_and_saveexec_b64 s[10:11], s[0:1]
	s_cbranch_execz .LBB107_31
; %bb.28:                               ;   in Loop: Header=BB107_25 Depth=2
	s_mov_b64 s[14:15], exec
	v_mbcnt_lo_u32_b32 v13, s14, 0
	v_mbcnt_hi_u32_b32 v13, s15, v13
	s_bcnt1_i32_b64 s0, s[22:23]
	v_cmp_eq_u32_e64 s[6:7], 0, v13
                                        ; implicit-def: $vgpr14
	s_and_saveexec_b64 s[12:13], s[6:7]
; %bb.29:                               ;   in Loop: Header=BB107_25 Depth=2
	s_bcnt1_i32_b64 s1, s[14:15]
	s_mul_i32 s1, s0, s1
	v_mov_b32_e32 v14, s1
	ds_add_rtn_u32 v14, v7, v14 offset:4112
; %bb.30:                               ;   in Loop: Header=BB107_25 Depth=2
	s_or_b64 exec, exec, s[12:13]
	s_waitcnt lgkmcnt(0)
	v_readfirstlane_b32 s1, v14
	v_mov_b32_e32 v14, s1
	v_mad_u32_u24 v13, s0, v13, v14
.LBB107_31:                             ;   in Loop: Header=BB107_25 Depth=2
	s_or_b64 exec, exec, s[10:11]
	ds_bpermute_b32 v13, v24, v13
	s_and_b64 s[0:1], exec, vcc
	s_or_b64 s[28:29], s[0:1], s[28:29]
	s_and_saveexec_b64 s[6:7], s[22:23]
	s_cbranch_execz .LBB107_24
; %bb.32:                               ;   in Loop: Header=BB107_25 Depth=2
	v_and_b32_e32 v15, s22, v26
	v_and_b32_e32 v14, s23, v25
	v_bcnt_u32_b32 v15, v15, 0
	v_bcnt_u32_b32 v14, v14, v15
	v_lshlrev_b32_e32 v14, 1, v14
	s_waitcnt lgkmcnt(0)
	v_lshl_add_u32 v13, v13, 1, v14
	ds_write_b16 v13, v3
	s_branch .LBB107_24
.LBB107_33:                             ;   in Loop: Header=BB107_20 Depth=1
	s_mov_b64 s[26:27], -1
	s_mov_b64 s[6:7], 0
.LBB107_34:                             ;   in Loop: Header=BB107_20 Depth=1
	s_and_b64 vcc, exec, s[26:27]
	s_cbranch_vccz .LBB107_63
.LBB107_35:                             ;   in Loop: Header=BB107_20 Depth=1
	s_mov_b64 s[22:23], exec
	v_readlane_b32 s0, v50, 6
	v_readlane_b32 s1, v50, 7
	s_and_b64 s[0:1], s[22:23], s[0:1]
	s_mov_b64 exec, s[0:1]
	s_cbranch_execz .LBB107_60
; %bb.36:                               ;   in Loop: Header=BB107_20 Depth=1
	v_readlane_b32 s0, v50, 10
	v_readlane_b32 s1, v50, 11
	s_nop 4
	global_load_ushort v1, v7, s[0:1]
	global_load_ushort v16, v[8:9], off
	s_waitcnt vmcnt(1)
	v_add_u32_e32 v12, v0, v1
	v_readfirstlane_b32 s14, v1
	v_cmp_gt_u32_e32 vcc, s36, v12
	v_mov_b32_e32 v1, v0
	s_and_saveexec_b64 s[26:27], vcc
	s_cbranch_execz .LBB107_59
; %bb.37:                               ;   in Loop: Header=BB107_20 Depth=1
	s_mov_b64 s[6:7], 0
	s_mul_i32 s15, s38, s14
                                        ; implicit-def: $vgpr1
                                        ; implicit-def: $vgpr4
                                        ; implicit-def: $vgpr2
                                        ; implicit-def: $vgpr3
	s_mov_b64 s[0:1], exec
	v_readlane_b32 s10, v50, 12
	v_readlane_b32 s11, v50, 13
	s_and_b64 s[10:11], s[0:1], s[10:11]
	s_xor_b64 s[28:29], s[10:11], s[0:1]
	s_mov_b64 exec, s[10:11]
	s_cbranch_execnz .LBB107_43
; %bb.38:                               ;   in Loop: Header=BB107_20 Depth=1
	s_andn2_saveexec_b64 s[10:11], s[28:29]
	s_cbranch_execnz .LBB107_54
.LBB107_39:                             ;   in Loop: Header=BB107_20 Depth=1
	s_or_b64 exec, exec, s[10:11]
	s_and_saveexec_b64 s[10:11], s[6:7]
	s_cbranch_execnz .LBB107_55
	s_branch .LBB107_58
.LBB107_40:                             ;   in Loop: Header=BB107_20 Depth=1
	s_or_b64 exec, exec, s[28:29]
	s_waitcnt lgkmcnt(0)
	s_barrier
	s_and_saveexec_b64 s[6:7], s[90:91]
	s_cbranch_execz .LBB107_42
; %bb.41:                               ;   in Loop: Header=BB107_20 Depth=1
	ds_read_b32 v1, v7 offset:4112
	s_waitcnt lgkmcnt(0)
	ds_write_b32 v7, v1 offset:4104
.LBB107_42:                             ;   in Loop: Header=BB107_20 Depth=1
	s_or_b64 exec, exec, s[6:7]
	s_waitcnt lgkmcnt(0)
	s_barrier
	s_mov_b64 s[6:7], -1
	s_and_b64 vcc, exec, s[26:27]
	s_cbranch_vccnz .LBB107_35
	s_branch .LBB107_63
.LBB107_43:                             ;   in Loop: Header=BB107_20 Depth=1
	v_cvt_f32_u32_e32 v1, s14
	s_sub_i32 s1, 0, s14
	v_add_u32_e32 v3, s14, v12
	v_max_u32_e32 v3, s36, v3
	v_rcp_iflag_f32_e32 v1, v1
	s_lshl_b32 s0, s14, 1
	v_sub_u32_e32 v3, v3, v0
	v_cmp_ne_u32_e32 vcc, s0, v3
	v_mul_f32_e32 v1, 0x4f7ffffe, v1
	v_cvt_u32_f32_e32 v1, v1
	v_cndmask_b32_e64 v4, 0, 1, vcc
	v_or_b32_e32 v4, s0, v4
	v_sub_u32_e32 v3, v3, v4
	v_mul_lo_u32 v2, s1, v1
	s_abs_i32 s0, s15
	s_not_b32 s1, s15
	s_ashr_i32 s10, s1, 31
	v_mul_hi_u32 v2, v1, v2
	s_cmp_eq_u32 s14, 1
	v_add_u32_e32 v1, v1, v2
	v_mul_hi_u32 v1, v3, v1
	v_mul_lo_u32 v2, s38, v12
	v_mul_lo_u32 v4, v1, s14
	v_add_u32_e32 v6, 1, v1
	v_xor_b32_e32 v2, s10, v2
	s_mov_b64 s[10:11], -1
	v_sub_u32_e32 v3, v3, v4
	v_cmp_le_u32_e64 s[6:7], s14, v3
	v_subrev_u32_e32 v4, s14, v3
	v_cndmask_b32_e64 v1, v1, v6, s[6:7]
	v_cndmask_b32_e64 v3, v3, v4, s[6:7]
	v_add_u32_e32 v4, 1, v1
	v_cmp_le_u32_e64 s[6:7], s14, v3
	v_cndmask_b32_e64 v1, v1, v4, s[6:7]
	v_addc_co_u32_e32 v1, vcc, 0, v1, vcc
	v_mul_hi_u32 v3, s0, v1
	v_mul_lo_u32 v1, s0, v1
	s_cselect_b64 s[0:1], -1, 0
	v_cmp_eq_u32_e32 vcc, 0, v3
	v_cmp_le_u32_e64 s[6:7], v1, v2
	s_and_b64 s[0:1], vcc, s[0:1]
	s_and_b64 s[0:1], s[0:1], s[6:7]
	v_mov_b32_e32 v2, v0
                                        ; implicit-def: $vgpr1
	s_and_saveexec_b64 s[6:7], s[0:1]
	s_cbranch_execz .LBB107_53
; %bb.44:                               ;   in Loop: Header=BB107_20 Depth=1
	v_add_u32_e32 v13, 1, v12
	v_mov_b32_e32 v15, v13
	s_waitcnt vmcnt(0)
	v_lshlrev_b32_e32 v17, 16, v16
	v_mov_b32_e32 v1, 0
	v_mov_b32_e32 v14, v12
                                        ; implicit-def: $vgpr16
	s_mov_b64 s[30:31], exec
	v_readlane_b32 s0, v50, 14
	v_readlane_b32 s1, v50, 15
	s_and_b64 s[0:1], s[30:31], s[0:1]
	s_mov_b64 exec, s[0:1]
	s_cbranch_execz .LBB107_48
; %bb.45:                               ;   in Loop: Header=BB107_20 Depth=1
	v_mov_b32_e32 v15, v13
	s_mov_b32 s10, 0
	s_mov_b64 s[74:75], 0
	v_mov_b32_e32 v46, v30
	v_mov_b32_e32 v47, v22
	;; [unrolled: 1-line block ×3, first 2 shown]
.LBB107_46:                             ;   Parent Loop BB107_20 Depth=1
                                        ; =>  This Inner Loop Header: Depth=2
	v_mul_lo_u32 v6, v14, s38
	v_mul_lo_u32 v1, v15, s9
	v_mov_b32_e32 v13, s40
	v_add_u32_e32 v46, -8, v46
	v_lshlrev_b64 v[2:3], 1, v[6:7]
	s_add_i32 s10, s10, 16
	v_add_co_u32_e32 v18, vcc, s39, v2
	v_mov_b32_e32 v2, v7
	v_lshlrev_b64 v[1:2], 1, v[1:2]
	v_addc_co_u32_e32 v19, vcc, v13, v3, vcc
	v_add_co_u32_e32 v1, vcc, s39, v1
	v_addc_co_u32_e32 v2, vcc, v13, v2, vcc
	global_load_ushort v3, v[18:19], off
	s_nop 0
	global_load_ushort v18, v[1:2], off
	v_add_u32_e32 v2, 2, v15
	v_mul_lo_u32 v2, v2, s9
	s_waitcnt vmcnt(1)
	v_alignbit_b32 v1, v3, v17, 16
	v_add_u32_e32 v3, 2, v14
	v_mul_lo_u32 v6, v3, s38
	v_lshlrev_b64 v[3:4], 1, v[6:7]
	v_add_co_u32_e32 v16, vcc, s39, v3
	v_mov_b32_e32 v3, v7
	v_lshlrev_b64 v[2:3], 1, v[2:3]
	v_addc_co_u32_e32 v17, vcc, v13, v4, vcc
	v_add_co_u32_e32 v2, vcc, s39, v2
	v_addc_co_u32_e32 v3, vcc, v13, v3, vcc
	global_load_ushort v4, v[16:17], off
	global_load_ushort v19, v[2:3], off
	v_add_u32_e32 v3, 4, v15
	v_mul_lo_u32 v3, v3, s9
	s_waitcnt vmcnt(1)
	v_perm_b32 v2, v4, v18, s48
	v_add_u32_e32 v4, 4, v14
	v_mul_lo_u32 v6, v4, s38
	v_mov_b32_e32 v4, v7
	v_lshlrev_b64 v[3:4], 1, v[3:4]
	v_lshlrev_b64 v[16:17], 1, v[6:7]
	v_add_co_u32_e32 v16, vcc, s39, v16
	v_addc_co_u32_e32 v17, vcc, v13, v17, vcc
	v_add_co_u32_e32 v3, vcc, s39, v3
	v_addc_co_u32_e32 v4, vcc, v13, v4, vcc
	global_load_ushort v6, v[16:17], off
	s_nop 0
	global_load_ushort v4, v[3:4], off
	v_add_u32_e32 v16, 6, v15
	v_mul_lo_u32 v16, v16, s9
	s_waitcnt vmcnt(1)
	v_perm_b32 v3, v6, v19, s48
	v_add_u32_e32 v6, 6, v14
	v_mul_lo_u32 v6, v6, s38
	v_lshlrev_b64 v[17:18], 1, v[6:7]
	v_add_co_u32_e32 v48, vcc, s39, v17
	v_mov_b32_e32 v17, v7
	v_lshlrev_b64 v[16:17], 1, v[16:17]
	v_addc_co_u32_e32 v49, vcc, v13, v18, vcc
	v_add_co_u32_e32 v16, vcc, s39, v16
	v_addc_co_u32_e32 v17, vcc, v13, v17, vcc
	global_load_ushort v6, v[48:49], off
	global_load_ushort v18, v[16:17], off
	s_waitcnt vmcnt(1)
	v_perm_b32 v4, v6, v4, s48
	ds_write_b128 v47, v[1:4]
	v_add_u32_e32 v2, 8, v14
	v_mul_lo_u32 v6, v2, s38
	v_add_u32_e32 v1, 8, v15
	v_mul_lo_u32 v1, v1, s9
	v_lshlrev_b64 v[2:3], 1, v[6:7]
	v_add_co_u32_e32 v16, vcc, s39, v2
	v_mov_b32_e32 v2, v7
	v_lshlrev_b64 v[1:2], 1, v[1:2]
	v_addc_co_u32_e32 v17, vcc, v13, v3, vcc
	v_add_co_u32_e32 v1, vcc, s39, v1
	v_addc_co_u32_e32 v2, vcc, v13, v2, vcc
	global_load_ushort v3, v[16:17], off
	global_load_ushort v19, v[1:2], off
	v_add_u32_e32 v2, 10, v15
	v_mul_lo_u32 v2, v2, s9
	s_waitcnt vmcnt(1)
	v_perm_b32 v1, v3, v18, s48
	v_add_u32_e32 v3, 10, v14
	v_mul_lo_u32 v6, v3, s38
	v_lshlrev_b64 v[3:4], 1, v[6:7]
	v_add_co_u32_e32 v16, vcc, s39, v3
	v_mov_b32_e32 v3, v7
	v_lshlrev_b64 v[2:3], 1, v[2:3]
	v_addc_co_u32_e32 v17, vcc, v13, v4, vcc
	v_add_co_u32_e32 v2, vcc, s39, v2
	v_addc_co_u32_e32 v3, vcc, v13, v3, vcc
	global_load_ushort v4, v[16:17], off
	global_load_ushort v18, v[2:3], off
	v_add_u32_e32 v3, 12, v15
	v_mul_lo_u32 v3, v3, s9
	s_waitcnt vmcnt(1)
	v_perm_b32 v2, v4, v19, s48
	v_add_u32_e32 v4, 12, v14
	v_mul_lo_u32 v6, v4, s38
	v_mov_b32_e32 v4, v7
	v_lshlrev_b64 v[3:4], 1, v[3:4]
	v_mov_b32_e32 v19, v7
	v_lshlrev_b64 v[16:17], 1, v[6:7]
	v_add_co_u32_e32 v16, vcc, s39, v16
	v_addc_co_u32_e32 v17, vcc, v13, v17, vcc
	v_add_co_u32_e32 v3, vcc, s39, v3
	v_addc_co_u32_e32 v4, vcc, v13, v4, vcc
	global_load_ushort v6, v[16:17], off
	s_nop 0
	global_load_ushort v4, v[3:4], off
	v_add_u32_e32 v16, 14, v15
	v_add_u32_e32 v15, 16, v15
	s_waitcnt vmcnt(1)
	v_perm_b32 v3, v6, v18, s48
	v_add_u32_e32 v6, 14, v14
	v_mul_lo_u32 v6, v6, s38
	v_mul_lo_u32 v18, v16, s9
	v_add_u32_e32 v14, 16, v14
	v_lshlrev_b64 v[16:17], 1, v[6:7]
	v_lshlrev_b64 v[18:19], 1, v[18:19]
	v_add_co_u32_e32 v16, vcc, s39, v16
	v_addc_co_u32_e32 v17, vcc, v13, v17, vcc
	v_add_co_u32_e32 v18, vcc, s39, v18
	v_addc_co_u32_e32 v19, vcc, v13, v19, vcc
	global_load_ushort v6, v[16:17], off
	s_nop 0
	global_load_ushort v16, v[18:19], off
	v_cmp_eq_u32_e32 vcc, 0, v46
	s_or_b64 s[74:75], vcc, s[74:75]
	s_waitcnt vmcnt(1)
	v_perm_b32 v4, v6, v4, s48
	s_waitcnt vmcnt(0)
	v_perm_b32 v17, v16, v6, s48
	ds_write_b128 v47, v[1:4] offset:16
	v_add_u32_e32 v47, 32, v47
	v_mov_b32_e32 v1, s10
	s_andn2_b64 exec, exec, s[74:75]
	s_cbranch_execnz .LBB107_46
; %bb.47:                               ;   in Loop: Header=BB107_20 Depth=1
	s_or_b64 exec, exec, s[74:75]
.LBB107_48:                             ;   in Loop: Header=BB107_20 Depth=1
	s_or_b64 exec, exec, s[30:31]
	s_mov_b64 s[10:11], exec
	v_readlane_b32 s0, v50, 16
	v_readlane_b32 s1, v50, 17
	s_and_b64 s[0:1], s[10:11], s[0:1]
	s_mov_b64 exec, s[0:1]
	s_cbranch_execz .LBB107_52
; %bb.49:                               ;   in Loop: Header=BB107_20 Depth=1
	v_lshl_add_u32 v1, v1, 1, v22
	s_mov_b64 s[12:13], 0
	v_mov_b32_e32 v2, v32
.LBB107_50:                             ;   Parent Loop BB107_20 Depth=1
                                        ; =>  This Inner Loop Header: Depth=2
	v_mul_lo_u32 v6, v14, s38
	v_mul_lo_u32 v3, v15, s9
	v_mov_b32_e32 v4, v7
	v_mov_b32_e32 v13, s40
	v_lshlrev_b64 v[18:19], 1, v[6:7]
	v_lshlrev_b64 v[3:4], 1, v[3:4]
	v_add_co_u32_e32 v18, vcc, s39, v18
	v_addc_co_u32_e32 v19, vcc, v13, v19, vcc
	v_add_co_u32_e32 v3, vcc, s39, v3
	v_addc_co_u32_e32 v4, vcc, v13, v4, vcc
	global_load_ushort v6, v[18:19], off
	global_load_ushort v16, v[3:4], off
	v_add_u32_e32 v2, -4, v2
	v_cmp_eq_u32_e32 vcc, 0, v2
	v_add_u32_e32 v15, 2, v15
	v_add_u32_e32 v14, 2, v14
	s_or_b64 s[12:13], vcc, s[12:13]
	s_waitcnt vmcnt(1)
	v_alignbit_b32 v4, v6, v17, 16
	s_waitcnt vmcnt(0)
	v_perm_b32 v3, v16, v6, s48
	ds_write_b32 v1, v4
	v_add_u32_e32 v1, 4, v1
	v_mov_b32_e32 v17, v3
	s_andn2_b64 exec, exec, s[12:13]
	s_cbranch_execnz .LBB107_50
; %bb.51:                               ;   in Loop: Header=BB107_20 Depth=1
	s_or_b64 exec, exec, s[12:13]
.LBB107_52:                             ;   in Loop: Header=BB107_20 Depth=1
	s_or_b64 exec, exec, s[10:11]
	v_readlane_b32 s0, v50, 18
	v_add_u32_e32 v12, v12, v28
	v_readlane_b32 s1, v50, 19
	v_add_u32_e32 v1, -1, v12
	s_orn2_b64 s[10:11], s[0:1], exec
	v_mov_b32_e32 v2, v29
.LBB107_53:                             ;   in Loop: Header=BB107_20 Depth=1
	s_or_b64 exec, exec, s[6:7]
	v_mov_b32_e32 v3, s15
	s_and_b64 s[6:7], s[10:11], exec
	s_waitcnt vmcnt(0)
	v_mov_b32_e32 v4, v16
	s_andn2_saveexec_b64 s[10:11], s[28:29]
	s_cbranch_execz .LBB107_39
.LBB107_54:                             ;   in Loop: Header=BB107_20 Depth=1
	v_mov_b32_e32 v3, s15
	s_or_b64 s[6:7], s[6:7], exec
	s_waitcnt vmcnt(0)
	v_mov_b32_e32 v4, v16
	v_mov_b32_e32 v2, v0
	s_or_b64 exec, exec, s[10:11]
	s_and_saveexec_b64 s[10:11], s[6:7]
	s_cbranch_execz .LBB107_58
.LBB107_55:                             ;   in Loop: Header=BB107_20 Depth=1
	v_mul_lo_u32 v6, s38, v12
	s_sub_i32 s0, 0, s14
	s_mov_b64 s[6:7], 0
.LBB107_56:                             ;   Parent Loop BB107_20 Depth=1
                                        ; =>  This Inner Loop Header: Depth=2
	v_lshlrev_b64 v[13:14], 1, v[6:7]
	v_mov_b32_e32 v1, s40
	v_add_co_u32_e32 v13, vcc, s39, v13
	v_addc_co_u32_e32 v14, vcc, v1, v14, vcc
	global_load_ushort v16, v[13:14], off
	v_mov_b32_e32 v1, v12
	v_add_u32_e32 v12, s14, v1
	v_lshlrev_b32_e32 v2, 1, v2
	v_cmp_le_u32_e32 vcc, s36, v12
	v_add_u32_e32 v6, v6, v3
	ds_write_b16 v2, v4
	v_mov_b32_e32 v2, v1
	s_or_b64 s[6:7], vcc, s[6:7]
	s_waitcnt vmcnt(0)
	v_mov_b32_e32 v4, v16
	s_andn2_b64 exec, exec, s[6:7]
	s_cbranch_execnz .LBB107_56
; %bb.57:                               ;   in Loop: Header=BB107_20 Depth=1
	s_or_b64 exec, exec, s[6:7]
	v_add_u32_e32 v1, s0, v12
.LBB107_58:                             ;   in Loop: Header=BB107_20 Depth=1
	s_or_b64 exec, exec, s[10:11]
.LBB107_59:                             ;   in Loop: Header=BB107_20 Depth=1
	s_or_b64 exec, exec, s[26:27]
	v_lshlrev_b32_e32 v1, 1, v1
	s_waitcnt vmcnt(0)
	ds_write_b16 v1, v16
.LBB107_60:                             ;   in Loop: Header=BB107_20 Depth=1
	s_or_b64 exec, exec, s[22:23]
	s_waitcnt lgkmcnt(0)
	s_barrier
	s_and_saveexec_b64 s[6:7], s[90:91]
; %bb.61:                               ;   in Loop: Header=BB107_20 Depth=1
	v_mov_b32_e32 v1, s36
	ds_write_b32 v7, v1 offset:4104
; %bb.62:                               ;   in Loop: Header=BB107_20 Depth=1
	s_or_b64 exec, exec, s[6:7]
	s_mov_b64 s[6:7], -1
	s_waitcnt lgkmcnt(0)
	s_barrier
.LBB107_63:                             ;   in Loop: Header=BB107_20 Depth=1
	s_mov_b32 s14, 0
	s_and_b64 vcc, exec, s[6:7]
	s_cbranch_vccz .LBB107_65
; %bb.64:                               ;   in Loop: Header=BB107_20 Depth=1
	ds_read_b32 v1, v7 offset:4104
	s_waitcnt lgkmcnt(0)
	v_readfirstlane_b32 s14, v1
.LBB107_65:                             ;   in Loop: Header=BB107_20 Depth=1
	s_cmp_lt_i32 s14, 1
	s_mov_b64 s[6:7], -1
                                        ; implicit-def: $vgpr1
	s_cbranch_scc1 .LBB107_75
; %bb.66:                               ;   in Loop: Header=BB107_20 Depth=1
	s_and_b64 vcc, exec, s[6:7]
	s_cbranch_vccnz .LBB107_86
.LBB107_67:                             ;   in Loop: Header=BB107_20 Depth=1
	s_lshl_b32 s10, s55, 6
	s_and_saveexec_b64 s[6:7], s[4:5]
.LBB107_68:                             ;   in Loop: Header=BB107_20 Depth=1
	v_lshl_add_u32 v6, s10, 2, v27
	ds_write_b128 v6, v[1:4]
.LBB107_69:                             ;   in Loop: Header=BB107_20 Depth=1
	s_or_b64 exec, exec, s[6:7]
	s_waitcnt lgkmcnt(0)
	s_barrier
	s_and_saveexec_b64 s[6:7], s[46:47]
	s_cbranch_execz .LBB107_100
; %bb.70:                               ;   in Loop: Header=BB107_20 Depth=1
	s_andn2_b64 vcc, exec, s[50:51]
	v_mov_b32_e32 v1, 0
	s_cbranch_vccnz .LBB107_99
; %bb.71:                               ;   in Loop: Header=BB107_20 Depth=1
	v_readlane_b32 s0, v50, 20
	v_readlane_b32 s1, v50, 21
	s_andn2_b64 vcc, exec, s[0:1]
	s_cbranch_vccnz .LBB107_95
; %bb.72:                               ;   in Loop: Header=BB107_20 Depth=1
	v_lshl_add_u32 v2, s55, 8, v39
	s_mov_b32 s0, 0
	v_mov_b32_e32 v1, 0
.LBB107_73:                             ;   Parent Loop BB107_20 Depth=1
                                        ; =>  This Inner Loop Header: Depth=2
	ds_read2_b32 v[3:4], v2 offset1:4
	ds_read2_b32 v[12:13], v2 offset0:8 offset1:12
	ds_read2_b32 v[14:15], v2 offset0:16 offset1:20
	;; [unrolled: 1-line block ×3, first 2 shown]
	s_add_i32 s0, s0, 8
	s_waitcnt lgkmcnt(3)
	v_add3_u32 v1, v3, v1, v4
	s_waitcnt lgkmcnt(2)
	v_add3_u32 v1, v12, v1, v13
	;; [unrolled: 2-line block ×3, first 2 shown]
	v_add_u32_e32 v2, 0x80, v2
	s_cmp_eq_u32 s53, s0
	s_waitcnt lgkmcnt(0)
	v_add3_u32 v1, v16, v1, v17
	s_cbranch_scc0 .LBB107_73
; %bb.74:                               ;   in Loop: Header=BB107_20 Depth=1
	s_mov_b32 s0, s53
	s_branch .LBB107_96
.LBB107_75:                             ;   in Loop: Header=BB107_20 Depth=1
	v_mov_b32_e32 v1, 0
	v_mov_b32_e32 v2, 0
	;; [unrolled: 1-line block ×4, first 2 shown]
	s_and_saveexec_b64 s[30:31], s[16:17]
	s_cbranch_execz .LBB107_79
; %bb.76:                               ;   in Loop: Header=BB107_20 Depth=1
	s_mov_b32 s10, 0
	s_mov_b64 s[74:75], 0
	s_mov_b32 s11, 0
	s_mov_b32 s12, 0
	;; [unrolled: 1-line block ×4, first 2 shown]
	v_mov_b32_e32 v12, v20
.LBB107_77:                             ;   Parent Loop BB107_20 Depth=1
                                        ; =>  This Inner Loop Header: Depth=2
	v_add_u32_e32 v6, s10, v36
	v_lshlrev_b64 v[1:2], 1, v[6:7]
	v_mov_b32_e32 v3, s40
	v_add_co_u32_e32 v1, vcc, s39, v1
	v_addc_co_u32_e32 v2, vcc, v3, v2, vcc
	v_add_u32_e32 v6, s10, v33
	global_load_sshort v4, v[1:2], off
	v_lshlrev_b64 v[1:2], 1, v[6:7]
	v_add_u32_e32 v6, s10, v34
	v_add_co_u32_e32 v1, vcc, s39, v1
	v_addc_co_u32_e32 v2, vcc, v3, v2, vcc
	global_load_sshort v13, v[1:2], off
	v_lshlrev_b64 v[1:2], 1, v[6:7]
	v_add_u32_e32 v6, s10, v35
	v_add_co_u32_e32 v1, vcc, s39, v1
	v_addc_co_u32_e32 v2, vcc, v3, v2, vcc
	;; [unrolled: 5-line block ×3, first 2 shown]
	global_load_sshort v1, v[1:2], off
	s_add_i32 s10, s10, s58
	s_waitcnt vmcnt(3)
	v_add_u32_e32 v2, 0x8000, v4
	v_and_b32_e32 v6, v2, v43
	v_bfe_u32 v2, v2, v42, 2
	v_cmp_eq_u32_e32 vcc, v6, v38
	v_cmp_eq_u32_e64 s[28:29], 0, v2
	s_and_b64 s[0:1], vcc, s[28:29]
	s_waitcnt vmcnt(2)
	v_add_u32_e32 v3, 0x8000, v13
	v_and_b32_e32 v6, v3, v43
	v_bfe_u32 v3, v3, v42, 2
	v_cmp_eq_u32_e64 s[6:7], v6, v38
	v_cmp_eq_u32_e64 s[28:29], 0, v3
	s_and_b64 s[42:43], s[6:7], s[28:29]
	s_waitcnt vmcnt(1)
	v_add_u32_e32 v4, 0x8000, v14
	v_and_b32_e32 v6, v4, v43
	v_bfe_u32 v4, v4, v42, 2
	v_cmp_eq_u32_e64 s[22:23], v6, v38
	v_cmp_eq_u32_e64 s[28:29], 0, v4
	s_and_b64 s[44:45], s[22:23], s[28:29]
	s_waitcnt vmcnt(0)
	v_add_u32_e32 v1, 0x8000, v1
	v_and_b32_e32 v6, v1, v43
	v_bfe_u32 v1, v1, v42, 2
	v_cmp_eq_u32_e64 s[26:27], v6, v38
	v_cmp_eq_u32_e64 s[28:29], 0, v1
	v_cndmask_b32_e64 v6, 0, 1, s[0:1]
	s_and_b64 s[76:77], s[26:27], s[28:29]
	v_cmp_ne_u32_e64 s[28:29], 0, v6
	v_cndmask_b32_e64 v6, 0, 1, s[42:43]
	s_bcnt1_i32_b64 s0, s[28:29]
	v_cmp_ne_u32_e64 s[28:29], 0, v6
	v_cndmask_b32_e64 v6, 0, 1, s[44:45]
	s_bcnt1_i32_b64 s1, s[28:29]
	v_cmp_ne_u32_e64 s[28:29], 0, v6
	v_cndmask_b32_e64 v6, 0, 1, s[76:77]
	s_add_i32 s0, s15, s0
	s_bcnt1_i32_b64 s42, s[28:29]
	v_cmp_ne_u32_e64 s[28:29], 0, v6
	s_add_i32 s0, s0, s1
	s_bcnt1_i32_b64 s28, s[28:29]
	s_add_i32 s0, s0, s42
	s_add_i32 s15, s0, s28
	v_cmp_eq_u32_e64 s[28:29], 1, v2
	s_and_b64 s[0:1], vcc, s[28:29]
	v_cmp_eq_u32_e64 s[28:29], 1, v3
	s_and_b64 s[42:43], s[6:7], s[28:29]
	v_cmp_eq_u32_e64 s[28:29], 1, v4
	s_and_b64 s[44:45], s[22:23], s[28:29]
	v_cmp_eq_u32_e64 s[28:29], 1, v1
	v_cndmask_b32_e64 v6, 0, 1, s[0:1]
	s_and_b64 s[76:77], s[26:27], s[28:29]
	v_cmp_ne_u32_e64 s[28:29], 0, v6
	v_cndmask_b32_e64 v6, 0, 1, s[42:43]
	s_bcnt1_i32_b64 s0, s[28:29]
	v_cmp_ne_u32_e64 s[28:29], 0, v6
	v_cndmask_b32_e64 v6, 0, 1, s[44:45]
	s_bcnt1_i32_b64 s1, s[28:29]
	v_cmp_ne_u32_e64 s[28:29], 0, v6
	v_cndmask_b32_e64 v6, 0, 1, s[76:77]
	s_add_i32 s0, s13, s0
	s_bcnt1_i32_b64 s42, s[28:29]
	v_cmp_ne_u32_e64 s[28:29], 0, v6
	s_add_i32 s0, s0, s1
	s_bcnt1_i32_b64 s28, s[28:29]
	s_add_i32 s0, s0, s42
	s_add_i32 s13, s0, s28
	v_cmp_eq_u32_e64 s[28:29], 2, v2
	s_and_b64 s[0:1], vcc, s[28:29]
	v_cmp_eq_u32_e64 s[28:29], 2, v3
	s_and_b64 s[42:43], s[6:7], s[28:29]
	v_cmp_eq_u32_e64 s[28:29], 2, v4
	s_and_b64 s[44:45], s[22:23], s[28:29]
	v_cmp_eq_u32_e64 s[28:29], 2, v1
	v_cndmask_b32_e64 v6, 0, 1, s[0:1]
	s_and_b64 s[76:77], s[26:27], s[28:29]
	v_cmp_ne_u32_e64 s[28:29], 0, v6
	v_cndmask_b32_e64 v6, 0, 1, s[42:43]
	s_bcnt1_i32_b64 s0, s[28:29]
	v_cmp_ne_u32_e64 s[28:29], 0, v6
	v_cndmask_b32_e64 v6, 0, 1, s[44:45]
	s_bcnt1_i32_b64 s1, s[28:29]
	v_cmp_ne_u32_e64 s[28:29], 0, v6
	v_cndmask_b32_e64 v6, 0, 1, s[76:77]
	s_add_i32 s0, s12, s0
	s_bcnt1_i32_b64 s42, s[28:29]
	v_cmp_ne_u32_e64 s[28:29], 0, v6
	s_add_i32 s0, s0, s1
	s_bcnt1_i32_b64 s28, s[28:29]
	s_add_i32 s0, s0, s42
	s_add_i32 s12, s0, s28
	v_cmp_eq_u32_e64 s[28:29], 3, v2
	s_and_b64 s[0:1], vcc, s[28:29]
	v_cmp_eq_u32_e32 vcc, 3, v3
	s_and_b64 s[6:7], s[6:7], vcc
	v_cmp_eq_u32_e32 vcc, 3, v4
	s_and_b64 s[22:23], s[22:23], vcc
	v_cmp_eq_u32_e32 vcc, 3, v1
	v_cndmask_b32_e64 v1, 0, 1, s[0:1]
	s_and_b64 s[26:27], s[26:27], vcc
	v_cmp_ne_u32_e32 vcc, 0, v1
	v_cndmask_b32_e64 v1, 0, 1, s[6:7]
	s_bcnt1_i32_b64 s0, vcc
	v_cmp_ne_u32_e32 vcc, 0, v1
	v_cndmask_b32_e64 v1, 0, 1, s[22:23]
	s_bcnt1_i32_b64 s1, vcc
	v_cmp_ne_u32_e32 vcc, 0, v1
	v_cndmask_b32_e64 v1, 0, 1, s[26:27]
	s_add_i32 s0, s11, s0
	s_bcnt1_i32_b64 s6, vcc
	v_cmp_ne_u32_e32 vcc, 0, v1
	s_add_i32 s0, s0, s1
	s_bcnt1_i32_b64 s7, vcc
	s_add_i32 s0, s0, s6
	s_add_i32 s11, s0, s7
	v_cmp_le_u32_e32 vcc, s3, v12
	s_or_b64 s[74:75], vcc, s[74:75]
	v_mov_b32_e32 v1, s15
	v_mov_b32_e32 v2, s13
	;; [unrolled: 1-line block ×4, first 2 shown]
	s_andn2_b64 exec, exec, s[74:75]
	s_cbranch_execnz .LBB107_77
; %bb.78:                               ;   in Loop: Header=BB107_20 Depth=1
	s_or_b64 exec, exec, s[74:75]
.LBB107_79:                             ;   in Loop: Header=BB107_20 Depth=1
	s_or_b64 exec, exec, s[30:31]
	s_and_saveexec_b64 s[22:23], s[18:19]
	s_cbranch_execz .LBB107_85
; %bb.80:                               ;   in Loop: Header=BB107_20 Depth=1
	global_load_ushort v13, v[10:11], off
	s_mov_b64 s[10:11], 0
	v_mov_b32_e32 v6, v37
	v_mov_b32_e32 v12, v31
	s_branch .LBB107_82
.LBB107_81:                             ;   in Loop: Header=BB107_82 Depth=2
	s_or_b64 exec, exec, s[12:13]
	s_waitcnt vmcnt(0)
	v_add_u32_sdwa v13, sext(v13), s21 dst_sel:DWORD dst_unused:UNUSED_PAD src0_sel:WORD_0 src1_sel:DWORD
	s_and_b64 s[0:1], exec, vcc
	v_and_b32_e32 v15, v13, v43
	v_bfe_u32 v13, v13, v42, 2
	s_or_b64 s[10:11], s[0:1], s[10:11]
	v_cmp_eq_u32_e32 vcc, v15, v38
	v_cmp_eq_u32_e64 s[6:7], 0, v13
	s_and_b64 s[0:1], vcc, s[6:7]
	v_cndmask_b32_e64 v15, 0, 1, s[0:1]
	v_cmp_ne_u32_e64 s[6:7], 0, v15
	s_bcnt1_i32_b64 s0, s[6:7]
	v_cmp_eq_u32_e64 s[6:7], 1, v13
	v_add_u32_e32 v1, s0, v1
	s_and_b64 s[0:1], vcc, s[6:7]
	v_cndmask_b32_e64 v15, 0, 1, s[0:1]
	v_cmp_ne_u32_e64 s[6:7], 0, v15
	s_bcnt1_i32_b64 s0, s[6:7]
	v_cmp_eq_u32_e64 s[6:7], 2, v13
	v_add_u32_e32 v2, s0, v2
	;; [unrolled: 6-line block ×3, first 2 shown]
	s_and_b64 s[0:1], vcc, s[6:7]
	v_cndmask_b32_e64 v13, 0, 1, s[0:1]
	v_cmp_ne_u32_e32 vcc, 0, v13
	s_bcnt1_i32_b64 s0, vcc
	v_add_u32_e32 v4, s0, v4
	v_add_u32_e32 v6, s52, v6
	v_mov_b32_e32 v13, v14
	s_andn2_b64 exec, exec, s[10:11]
	s_cbranch_execz .LBB107_84
.LBB107_82:                             ;   Parent Loop BB107_20 Depth=1
                                        ; =>  This Inner Loop Header: Depth=2
	v_add_u32_e32 v12, s54, v12
	v_cmp_gt_u32_e64 s[6:7], s36, v12
	v_cmp_le_u32_e32 vcc, s36, v12
	v_mov_b32_e32 v14, 0
	s_and_saveexec_b64 s[12:13], s[6:7]
	s_cbranch_execz .LBB107_81
; %bb.83:                               ;   in Loop: Header=BB107_82 Depth=2
	v_lshlrev_b64 v[14:15], 1, v[6:7]
	v_mov_b32_e32 v16, s40
	v_add_co_u32_e64 v14, s[6:7], s39, v14
	v_addc_co_u32_e64 v15, s[6:7], v16, v15, s[6:7]
	global_load_ushort v14, v[14:15], off
	s_branch .LBB107_81
.LBB107_84:                             ;   in Loop: Header=BB107_20 Depth=1
	s_or_b64 exec, exec, s[10:11]
.LBB107_85:                             ;   in Loop: Header=BB107_20 Depth=1
	s_or_b64 exec, exec, s[22:23]
	s_branch .LBB107_67
.LBB107_86:                             ;   in Loop: Header=BB107_20 Depth=1
	s_mul_hi_u32 s0, s14, s2
	s_mul_i32 s0, s0, s37
	s_sub_i32 s0, s14, s0
	s_sub_i32 s1, s0, s37
	s_cmp_ge_u32 s0, s37
	s_cselect_b32 s0, s1, s0
	s_sub_i32 s1, s0, s37
	s_cmp_ge_u32 s0, s37
	s_cselect_b32 s0, s1, s0
	s_sub_i32 s10, s14, s0
	v_cmp_gt_u32_e32 vcc, s10, v20
	v_mov_b32_e32 v1, 0
	v_mov_b32_e32 v2, 0
	;; [unrolled: 1-line block ×4, first 2 shown]
	s_and_saveexec_b64 s[30:31], vcc
	s_cbranch_execz .LBB107_90
; %bb.87:                               ;   in Loop: Header=BB107_20 Depth=1
	s_mov_b32 s11, 0
	s_mov_b64 s[74:75], 0
	v_mov_b32_e32 v6, v40
	s_mov_b32 s12, 0
	s_mov_b32 s13, 0
	s_mov_b32 s15, 0
	v_mov_b32_e32 v12, v20
.LBB107_88:                             ;   Parent Loop BB107_20 Depth=1
                                        ; =>  This Inner Loop Header: Depth=2
	ds_read_b64 v[1:2], v6
	v_add_u32_e32 v12, s37, v12
	v_add_u32_e32 v6, s59, v6
	s_waitcnt lgkmcnt(0)
	v_add_u32_sdwa v3, sext(v1), s21 dst_sel:DWORD dst_unused:UNUSED_PAD src0_sel:WORD_0 src1_sel:DWORD
	v_add_u32_sdwa v1, sext(v1), s21 dst_sel:DWORD dst_unused:UNUSED_PAD src0_sel:WORD_1 src1_sel:DWORD
	v_and_b32_e32 v13, v3, v43
	v_bfe_u32 v3, v3, v42, 2
	v_add_u32_sdwa v4, sext(v2), s21 dst_sel:DWORD dst_unused:UNUSED_PAD src0_sel:WORD_0 src1_sel:DWORD
	v_cmp_eq_u32_e32 vcc, v13, v38
	v_and_b32_e32 v13, v1, v43
	v_bfe_u32 v1, v1, v42, 2
	v_cmp_eq_u32_e64 s[28:29], 0, v3
	v_add_u32_sdwa v2, sext(v2), s21 dst_sel:DWORD dst_unused:UNUSED_PAD src0_sel:WORD_1 src1_sel:DWORD
	v_cmp_eq_u32_e64 s[6:7], v13, v38
	v_and_b32_e32 v13, v4, v43
	v_bfe_u32 v4, v4, v42, 2
	s_and_b64 s[0:1], vcc, s[28:29]
	v_cmp_eq_u32_e64 s[28:29], 0, v1
	v_cmp_eq_u32_e64 s[22:23], v13, v38
	v_and_b32_e32 v13, v2, v43
	v_bfe_u32 v2, v2, v42, 2
	s_and_b64 s[42:43], s[6:7], s[28:29]
	v_cmp_eq_u32_e64 s[28:29], 0, v4
	v_cmp_eq_u32_e64 s[26:27], v13, v38
	s_and_b64 s[44:45], s[22:23], s[28:29]
	v_cmp_eq_u32_e64 s[28:29], 0, v2
	v_cndmask_b32_e64 v13, 0, 1, s[0:1]
	s_and_b64 s[76:77], s[26:27], s[28:29]
	v_cmp_ne_u32_e64 s[28:29], 0, v13
	v_cndmask_b32_e64 v13, 0, 1, s[42:43]
	s_bcnt1_i32_b64 s0, s[28:29]
	v_cmp_ne_u32_e64 s[28:29], 0, v13
	v_cndmask_b32_e64 v13, 0, 1, s[44:45]
	s_bcnt1_i32_b64 s1, s[28:29]
	v_cmp_ne_u32_e64 s[28:29], 0, v13
	v_cndmask_b32_e64 v13, 0, 1, s[76:77]
	s_add_i32 s0, s15, s0
	s_bcnt1_i32_b64 s42, s[28:29]
	v_cmp_ne_u32_e64 s[28:29], 0, v13
	s_add_i32 s0, s0, s1
	s_bcnt1_i32_b64 s28, s[28:29]
	s_add_i32 s0, s0, s42
	s_add_i32 s15, s0, s28
	v_cmp_eq_u32_e64 s[28:29], 1, v3
	s_and_b64 s[0:1], vcc, s[28:29]
	v_cmp_eq_u32_e64 s[28:29], 1, v1
	s_and_b64 s[42:43], s[6:7], s[28:29]
	v_cmp_eq_u32_e64 s[28:29], 1, v4
	s_and_b64 s[44:45], s[22:23], s[28:29]
	v_cmp_eq_u32_e64 s[28:29], 1, v2
	v_cndmask_b32_e64 v13, 0, 1, s[0:1]
	s_and_b64 s[76:77], s[26:27], s[28:29]
	v_cmp_ne_u32_e64 s[28:29], 0, v13
	v_cndmask_b32_e64 v13, 0, 1, s[42:43]
	s_bcnt1_i32_b64 s0, s[28:29]
	v_cmp_ne_u32_e64 s[28:29], 0, v13
	v_cndmask_b32_e64 v13, 0, 1, s[44:45]
	s_bcnt1_i32_b64 s1, s[28:29]
	v_cmp_ne_u32_e64 s[28:29], 0, v13
	v_cndmask_b32_e64 v13, 0, 1, s[76:77]
	s_add_i32 s0, s13, s0
	s_bcnt1_i32_b64 s42, s[28:29]
	v_cmp_ne_u32_e64 s[28:29], 0, v13
	s_add_i32 s0, s0, s1
	s_bcnt1_i32_b64 s28, s[28:29]
	s_add_i32 s0, s0, s42
	s_add_i32 s13, s0, s28
	v_cmp_eq_u32_e64 s[28:29], 2, v3
	s_and_b64 s[0:1], vcc, s[28:29]
	v_cmp_eq_u32_e64 s[28:29], 2, v1
	s_and_b64 s[42:43], s[6:7], s[28:29]
	v_cmp_eq_u32_e64 s[28:29], 2, v4
	s_and_b64 s[44:45], s[22:23], s[28:29]
	v_cmp_eq_u32_e64 s[28:29], 2, v2
	v_cndmask_b32_e64 v13, 0, 1, s[0:1]
	s_and_b64 s[76:77], s[26:27], s[28:29]
	v_cmp_ne_u32_e64 s[28:29], 0, v13
	v_cndmask_b32_e64 v13, 0, 1, s[42:43]
	s_bcnt1_i32_b64 s0, s[28:29]
	v_cmp_ne_u32_e64 s[28:29], 0, v13
	v_cndmask_b32_e64 v13, 0, 1, s[44:45]
	s_bcnt1_i32_b64 s1, s[28:29]
	v_cmp_ne_u32_e64 s[28:29], 0, v13
	v_cndmask_b32_e64 v13, 0, 1, s[76:77]
	s_add_i32 s0, s12, s0
	s_bcnt1_i32_b64 s42, s[28:29]
	v_cmp_ne_u32_e64 s[28:29], 0, v13
	s_add_i32 s0, s0, s1
	s_bcnt1_i32_b64 s28, s[28:29]
	s_add_i32 s0, s0, s42
	s_add_i32 s12, s0, s28
	v_cmp_eq_u32_e64 s[28:29], 3, v3
	s_and_b64 s[0:1], vcc, s[28:29]
	v_cmp_eq_u32_e32 vcc, 3, v1
	s_and_b64 s[6:7], s[6:7], vcc
	v_cmp_eq_u32_e32 vcc, 3, v4
	s_and_b64 s[22:23], s[22:23], vcc
	v_cmp_eq_u32_e32 vcc, 3, v2
	v_cndmask_b32_e64 v1, 0, 1, s[0:1]
	s_and_b64 s[26:27], s[26:27], vcc
	v_cmp_ne_u32_e32 vcc, 0, v1
	v_cndmask_b32_e64 v1, 0, 1, s[6:7]
	s_bcnt1_i32_b64 s0, vcc
	v_cmp_ne_u32_e32 vcc, 0, v1
	v_cndmask_b32_e64 v1, 0, 1, s[22:23]
	s_bcnt1_i32_b64 s1, vcc
	v_cmp_ne_u32_e32 vcc, 0, v1
	v_cndmask_b32_e64 v1, 0, 1, s[26:27]
	s_add_i32 s0, s11, s0
	s_bcnt1_i32_b64 s6, vcc
	v_cmp_ne_u32_e32 vcc, 0, v1
	s_add_i32 s0, s0, s1
	s_bcnt1_i32_b64 s7, vcc
	s_add_i32 s0, s0, s6
	s_add_i32 s11, s0, s7
	v_cmp_le_u32_e32 vcc, s10, v12
	s_or_b64 s[74:75], vcc, s[74:75]
	v_mov_b32_e32 v1, s15
	v_mov_b32_e32 v2, s13
	;; [unrolled: 1-line block ×4, first 2 shown]
	s_andn2_b64 exec, exec, s[74:75]
	s_cbranch_execnz .LBB107_88
; %bb.89:                               ;   in Loop: Header=BB107_20 Depth=1
	s_or_b64 exec, exec, s[74:75]
.LBB107_90:                             ;   in Loop: Header=BB107_20 Depth=1
	s_or_b64 exec, exec, s[30:31]
	v_add_u32_e32 v6, s10, v0
	v_cmp_gt_u32_e32 vcc, s14, v6
	s_and_saveexec_b64 s[42:43], vcc
	s_cbranch_execz .LBB107_94
; %bb.91:                               ;   in Loop: Header=BB107_20 Depth=1
	v_lshlrev_b32_e32 v12, 1, v6
	s_mov_b64 s[10:11], 0
.LBB107_92:                             ;   Parent Loop BB107_20 Depth=1
                                        ; =>  This Inner Loop Header: Depth=2
	ds_read_i16 v13, v12
	v_add_u32_e32 v6, s54, v6
	v_cmp_le_u32_e32 vcc, s14, v6
	v_add_u32_e32 v12, s20, v12
	s_waitcnt lgkmcnt(0)
	v_add_u32_e32 v13, 0x8000, v13
	v_and_b32_e32 v14, v13, v43
	v_bfe_u32 v13, v13, v42, 2
	v_cmp_eq_u32_e64 s[6:7], v14, v38
	v_cmp_eq_u32_e64 s[22:23], 0, v13
	;; [unrolled: 1-line block ×3, first 2 shown]
	s_and_b64 s[0:1], s[6:7], s[22:23]
	v_cmp_eq_u32_e64 s[28:29], 2, v13
	v_cmp_eq_u32_e64 s[30:31], 3, v13
	v_cndmask_b32_e64 v13, 0, 1, s[0:1]
	s_and_b64 s[0:1], s[6:7], s[26:27]
	v_cndmask_b32_e64 v14, 0, 1, s[0:1]
	s_and_b64 s[0:1], s[6:7], s[28:29]
	;; [unrolled: 2-line block ×3, first 2 shown]
	v_cndmask_b32_e64 v16, 0, 1, s[0:1]
	v_cmp_ne_u32_e64 s[6:7], 0, v13
	v_cmp_ne_u32_e64 s[22:23], 0, v14
	;; [unrolled: 1-line block ×4, first 2 shown]
	s_bcnt1_i32_b64 s0, s[6:7]
	s_bcnt1_i32_b64 s1, s[22:23]
	;; [unrolled: 1-line block ×4, first 2 shown]
	v_add_u32_e32 v1, s0, v1
	v_add_u32_e32 v2, s1, v2
	;; [unrolled: 1-line block ×3, first 2 shown]
	s_or_b64 s[10:11], vcc, s[10:11]
	v_add_u32_e32 v4, s7, v4
	s_andn2_b64 exec, exec, s[10:11]
	s_cbranch_execnz .LBB107_92
; %bb.93:                               ;   in Loop: Header=BB107_20 Depth=1
	s_or_b64 exec, exec, s[10:11]
.LBB107_94:                             ;   in Loop: Header=BB107_20 Depth=1
	s_or_b64 exec, exec, s[42:43]
	s_lshl_b32 s10, s55, 6
	s_and_saveexec_b64 s[6:7], s[4:5]
	s_cbranch_execnz .LBB107_68
	s_branch .LBB107_69
.LBB107_95:                             ;   in Loop: Header=BB107_20 Depth=1
	v_mov_b32_e32 v1, 0
	s_mov_b32 s0, 0
.LBB107_96:                             ;   in Loop: Header=BB107_20 Depth=1
	v_readlane_b32 s12, v50, 23
	v_readlane_b32 s13, v50, 24
	s_andn2_b64 vcc, exec, s[12:13]
	s_cbranch_vccnz .LBB107_99
; %bb.97:                               ;   in Loop: Header=BB107_20 Depth=1
	s_lshl_b32 s1, s55, 8
	s_lshl_b32 s0, s0, 4
	s_add_i32 s1, s1, s0
	v_add_u32_e32 v2, s1, v39
	v_readlane_b32 s0, v50, 22
.LBB107_98:                             ;   Parent Loop BB107_20 Depth=1
                                        ; =>  This Inner Loop Header: Depth=2
	ds_read_b32 v3, v2
	s_add_i32 s0, s0, -1
	v_add_u32_e32 v2, 16, v2
	s_cmp_lg_u32 s0, 0
	s_waitcnt lgkmcnt(0)
	v_add_u32_e32 v1, v3, v1
	s_cbranch_scc1 .LBB107_98
.LBB107_99:                             ;   in Loop: Header=BB107_20 Depth=1
	v_add_lshl_u32 v2, s10, v21, 2
	ds_write_b32 v2, v1 offset:3072
.LBB107_100:                            ;   in Loop: Header=BB107_20 Depth=1
	s_or_b64 exec, exec, s[6:7]
	s_lshl_b32 s0, s10, 2
	v_mov_b32_e32 v1, s0
	s_waitcnt lgkmcnt(0)
	s_barrier
	ds_read_b128 v[1:4], v1 offset:3072
	v_cmp_eq_u32_e32 vcc, 1, v45
	s_mov_b64 s[22:23], -1
	s_mov_b64 s[10:11], -1
                                        ; implicit-def: $sgpr30_sgpr31
                                        ; implicit-def: $sgpr28_sgpr29
	s_waitcnt lgkmcnt(0)
	v_readfirstlane_b32 s78, v1
	s_cmp_eq_u32 s78, 1
	v_lshlrev_b32_e64 v1, v42, 3
	s_cselect_b64 s[0:1], -1, 0
	v_readfirstlane_b32 s45, v2
	v_readfirstlane_b32 s44, v3
	;; [unrolled: 1-line block ×3, first 2 shown]
	v_not_b32_e32 v3, v1
	s_and_b64 s[26:27], s[0:1], vcc
	s_and_saveexec_b64 s[6:7], s[26:27]
	s_cbranch_execz .LBB107_126
; %bb.101:                              ;   in Loop: Header=BB107_20 Depth=1
	ds_read_b32 v2, v7 offset:4104
	s_waitcnt lgkmcnt(0)
	s_barrier
	v_readfirstlane_b32 s0, v2
	s_and_saveexec_b64 s[10:11], s[24:25]
; %bb.102:                              ;   in Loop: Header=BB107_20 Depth=1
	ds_write_b16 v23, v7
; %bb.103:                              ;   in Loop: Header=BB107_20 Depth=1
	s_or_b64 exec, exec, s[10:11]
	v_and_b32_e32 v38, v38, v3
	v_or_b32_e32 v43, v43, v1
	s_mov_b64 s[28:29], -1
	s_mov_b64 s[30:31], 0
	s_cmp_eq_u32 s0, 0
	s_mov_b64 s[74:75], 0
	s_mov_b64 s[76:77], -1
	s_waitcnt lgkmcnt(0)
	s_barrier
                                        ; implicit-def: $vgpr44
	s_cbranch_scc1 .LBB107_114
; %bb.104:                              ;   in Loop: Header=BB107_20 Depth=1
	s_add_i32 s1, s0, s8
	s_mul_hi_u32 s10, s1, s56
	s_mul_i32 s10, s10, s54
	s_sub_i32 s10, s1, s10
	s_sub_i32 s11, s10, s54
	s_cmp_ge_u32 s10, s54
	s_cselect_b32 s10, s11, s10
	s_sub_i32 s11, s10, s54
	s_cmp_ge_u32 s10, s54
	s_cselect_b32 s10, s11, s10
	s_sub_i32 s1, s1, s10
	v_cmp_gt_u32_e32 vcc, s1, v0
	s_mov_b64 s[76:77], 0
                                        ; implicit-def: $vgpr44
	s_and_saveexec_b64 s[10:11], vcc
	s_cbranch_execz .LBB107_113
; %bb.105:                              ;   in Loop: Header=BB107_20 Depth=1
	s_mov_b64 s[42:43], 0
	v_mov_b32_e32 v2, v22
	v_mov_b32_e32 v4, v0
                                        ; implicit-def: $sgpr12_sgpr13
	s_branch .LBB107_108
.LBB107_106:                            ;   in Loop: Header=BB107_108 Depth=2
	s_or_b64 exec, exec, s[14:15]
	s_waitcnt lgkmcnt(0)
	s_barrier
	ds_read_b32 v6, v7 offset:3072
	s_mov_b64 s[14:15], -1
	s_waitcnt lgkmcnt(0)
	s_barrier
	v_cmp_ne_u32_sdwa s[74:75], v6, v7 src0_sel:WORD_0 src1_sel:DWORD
	s_and_b64 vcc, exec, s[74:75]
	s_mov_b64 s[74:75], -1
	s_cbranch_vccz .LBB107_111
.LBB107_107:                            ;   in Loop: Header=BB107_108 Depth=2
	s_and_b64 s[14:15], exec, s[14:15]
	s_or_b64 s[42:43], s[14:15], s[42:43]
	s_andn2_b64 s[12:13], s[12:13], exec
	s_and_b64 s[14:15], s[74:75], exec
	s_or_b64 s[12:13], s[12:13], s[14:15]
	s_andn2_b64 exec, exec, s[42:43]
	s_cbranch_execz .LBB107_112
.LBB107_108:                            ;   Parent Loop BB107_20 Depth=1
                                        ; =>  This Inner Loop Header: Depth=2
	v_cmp_gt_u32_e32 vcc, s0, v4
	s_and_saveexec_b64 s[14:15], vcc
	s_cbranch_execz .LBB107_106
; %bb.109:                              ;   in Loop: Header=BB107_108 Depth=2
	ds_read_u16 v6, v2
	s_waitcnt lgkmcnt(0)
	v_add_u32_sdwa v12, sext(v6), s21 dst_sel:DWORD dst_unused:UNUSED_PAD src0_sel:WORD_0 src1_sel:DWORD
	v_and_b32_e32 v12, v12, v43
	v_cmp_eq_u32_e32 vcc, v12, v38
	s_and_b64 exec, exec, vcc
	s_cbranch_execz .LBB107_106
; %bb.110:                              ;   in Loop: Header=BB107_108 Depth=2
	v_perm_b32 v6, v6, 1, v41
	ds_write_b32 v7, v6 offset:3072
	s_branch .LBB107_106
.LBB107_111:                            ;   in Loop: Header=BB107_108 Depth=2
	v_add_u32_e32 v4, s54, v4
	v_cmp_le_u32_e32 vcc, s1, v4
	v_add_u32_e32 v2, s20, v2
	s_mov_b64 s[74:75], 0
	s_orn2_b64 s[14:15], vcc, exec
	s_branch .LBB107_107
.LBB107_112:                            ;   in Loop: Header=BB107_20 Depth=1
	s_or_b64 exec, exec, s[42:43]
	v_lshrrev_b32_e32 v44, 16, v6
	s_and_b64 s[74:75], s[12:13], exec
.LBB107_113:                            ;   in Loop: Header=BB107_20 Depth=1
	s_or_b64 exec, exec, s[10:11]
.LBB107_114:                            ;   in Loop: Header=BB107_20 Depth=1
	s_and_b64 vcc, exec, s[76:77]
	s_cbranch_vccz .LBB107_125
; %bb.115:                              ;   in Loop: Header=BB107_20 Depth=1
                                        ; implicit-def: $vgpr44
	s_mov_b64 s[28:29], exec
	v_readlane_b32 s0, v50, 25
	v_readlane_b32 s1, v50, 26
	s_and_b64 s[0:1], s[28:29], s[0:1]
	s_mov_b64 exec, s[0:1]
	s_cbranch_execz .LBB107_124
; %bb.116:                              ;   in Loop: Header=BB107_20 Depth=1
	s_mov_b64 s[10:11], 0
	v_mov_b32_e32 v6, v5
	v_mov_b32_e32 v2, v0
                                        ; implicit-def: $sgpr30_sgpr31
	s_branch .LBB107_119
.LBB107_117:                            ;   in Loop: Header=BB107_119 Depth=2
	s_or_b64 exec, exec, s[12:13]
	s_waitcnt lgkmcnt(0)
	s_barrier
	ds_read_b32 v4, v7 offset:3072
	s_mov_b64 s[12:13], -1
	s_mov_b64 s[14:15], -1
	s_waitcnt lgkmcnt(0)
	s_barrier
	v_cmp_ne_u32_sdwa s[0:1], v4, v7 src0_sel:WORD_0 src1_sel:DWORD
	s_and_b64 vcc, exec, s[0:1]
	s_cbranch_vccz .LBB107_122
.LBB107_118:                            ;   in Loop: Header=BB107_119 Depth=2
	s_and_b64 s[0:1], exec, s[12:13]
	s_or_b64 s[10:11], s[0:1], s[10:11]
	s_andn2_b64 s[0:1], s[30:31], exec
	s_and_b64 s[12:13], s[14:15], exec
	s_or_b64 s[30:31], s[0:1], s[12:13]
	s_andn2_b64 exec, exec, s[10:11]
	s_cbranch_execz .LBB107_123
.LBB107_119:                            ;   Parent Loop BB107_20 Depth=1
                                        ; =>  This Inner Loop Header: Depth=2
	v_cmp_gt_u32_e32 vcc, s36, v2
	s_and_saveexec_b64 s[12:13], vcc
	s_cbranch_execz .LBB107_117
; %bb.120:                              ;   in Loop: Header=BB107_119 Depth=2
	v_lshlrev_b64 v[12:13], 1, v[6:7]
	v_mov_b32_e32 v4, s40
	v_add_co_u32_e32 v12, vcc, s39, v12
	v_addc_co_u32_e32 v13, vcc, v4, v13, vcc
	global_load_ushort v4, v[12:13], off
	s_waitcnt vmcnt(0)
	v_add_u32_sdwa v12, sext(v4), s21 dst_sel:DWORD dst_unused:UNUSED_PAD src0_sel:WORD_0 src1_sel:DWORD
	v_and_b32_e32 v12, v12, v43
	v_cmp_eq_u32_e32 vcc, v12, v38
	s_and_b64 exec, exec, vcc
	s_cbranch_execz .LBB107_117
; %bb.121:                              ;   in Loop: Header=BB107_119 Depth=2
	v_perm_b32 v4, v4, 1, v41
	ds_write_b32 v7, v4 offset:3072
	s_branch .LBB107_117
.LBB107_122:                            ;   in Loop: Header=BB107_119 Depth=2
	v_add_u32_e32 v2, s54, v2
	v_cmp_le_u32_e32 vcc, s57, v2
	v_add_u32_e32 v6, s52, v6
	s_mov_b64 s[14:15], 0
	s_orn2_b64 s[12:13], vcc, exec
	s_branch .LBB107_118
.LBB107_123:                            ;   in Loop: Header=BB107_20 Depth=1
	s_or_b64 exec, exec, s[10:11]
	s_andn2_b64 s[0:1], s[74:75], exec
	s_and_b64 s[10:11], s[30:31], exec
	v_lshrrev_b32_e32 v44, 16, v4
	s_or_b64 s[74:75], s[0:1], s[10:11]
.LBB107_124:                            ;   in Loop: Header=BB107_20 Depth=1
	s_or_b64 exec, exec, s[28:29]
	s_mov_b64 s[28:29], 0
	s_mov_b64 s[30:31], -1
.LBB107_125:                            ;   in Loop: Header=BB107_20 Depth=1
	s_orn2_b64 s[10:11], s[74:75], exec
.LBB107_126:                            ;   in Loop: Header=BB107_20 Depth=1
	s_or_b64 exec, exec, s[6:7]
	s_andn2_b64 s[0:1], s[72:73], exec
	s_and_b64 s[6:7], s[30:31], exec
	s_or_b64 s[72:73], s[0:1], s[6:7]
	s_andn2_b64 s[0:1], s[70:71], exec
	s_and_b64 s[6:7], s[28:29], exec
	v_readfirstlane_b32 s42, v0
	s_andn2_b64 s[68:69], s[68:69], exec
	s_or_b64 s[70:71], s[0:1], s[6:7]
                                        ; implicit-def: $vgpr4
	s_and_saveexec_b64 s[6:7], s[10:11]
	s_cbranch_execz .LBB107_19
; %bb.127:                              ;   in Loop: Header=BB107_20 Depth=1
	s_xor_b64 s[0:1], s[26:27], -1
	s_mov_b64 s[12:13], 0
	v_mov_b32_e32 v4, 1
	v_mov_b32_e32 v2, 1
	s_and_saveexec_b64 s[22:23], s[0:1]
	s_cbranch_execz .LBB107_136
; %bb.128:                              ;   in Loop: Header=BB107_20 Depth=1
	v_cmp_ge_u32_e32 vcc, s78, v45
	s_and_saveexec_b64 s[0:1], vcc
	s_xor_b64 s[10:11], exec, s[0:1]
	s_cbranch_execz .LBB107_133
; %bb.129:                              ;   in Loop: Header=BB107_20 Depth=1
	ds_read_b32 v2, v7 offset:4104
	v_and_b32_e32 v38, v38, v3
	v_or_b32_e32 v43, v43, v1
	s_waitcnt lgkmcnt(0)
	v_cmp_ne_u32_e32 vcc, 0, v2
	s_cbranch_vccnz .LBB107_133
; %bb.130:                              ;   in Loop: Header=BB107_20 Depth=1
	s_and_saveexec_b64 s[12:13], s[90:91]
; %bb.131:                              ;   in Loop: Header=BB107_20 Depth=1
	v_mov_b32_e32 v2, s78
	ds_write_b32 v7, v2 offset:4108
; %bb.132:                              ;   in Loop: Header=BB107_20 Depth=1
	s_or_b64 exec, exec, s[12:13]
	s_waitcnt lgkmcnt(0)
	s_barrier
.LBB107_133:                            ;   in Loop: Header=BB107_20 Depth=1
	s_or_saveexec_b64 s[10:11], s[10:11]
	s_mov_b64 s[12:13], 0
	v_mov_b32_e32 v2, 8
	s_xor_b64 exec, exec, s[10:11]
; %bb.134:                              ;   in Loop: Header=BB107_20 Depth=1
	s_mov_b64 s[12:13], exec
	v_subrev_u32_e32 v45, s78, v45
	v_mov_b32_e32 v2, 0
; %bb.135:                              ;   in Loop: Header=BB107_20 Depth=1
	s_or_b64 exec, exec, s[10:11]
	s_and_b64 s[12:13], s[12:13], exec
	v_mov_b32_e32 v4, v45
.LBB107_136:                            ;   in Loop: Header=BB107_20 Depth=1
	s_or_b64 exec, exec, s[22:23]
	s_mov_b64 s[22:23], -1
	s_mov_b64 s[10:11], -1
                                        ; implicit-def: $sgpr28_sgpr29
                                        ; implicit-def: $sgpr30_sgpr31
	s_and_saveexec_b64 s[0:1], s[12:13]
	s_xor_b64 s[26:27], exec, s[0:1]
	s_cbranch_execz .LBB107_253
; %bb.137:                              ;   in Loop: Header=BB107_20 Depth=1
	s_cmp_eq_u32 s45, 1
	s_cselect_b64 s[0:1], -1, 0
	v_cmp_eq_u32_e32 vcc, 1, v4
	s_and_b64 s[76:77], s[0:1], vcc
                                        ; implicit-def: $sgpr30_sgpr31
                                        ; implicit-def: $sgpr28_sgpr29
	s_and_saveexec_b64 s[74:75], s[76:77]
	s_cbranch_execz .LBB107_163
; %bb.138:                              ;   in Loop: Header=BB107_20 Depth=1
	ds_read_b32 v6, v7 offset:4104
	s_waitcnt lgkmcnt(0)
	s_barrier
	v_readfirstlane_b32 s82, v6
	s_and_saveexec_b64 s[10:11], s[24:25]
; %bb.139:                              ;   in Loop: Header=BB107_20 Depth=1
	ds_write_b16 v23, v7
; %bb.140:                              ;   in Loop: Header=BB107_20 Depth=1
	s_or_b64 exec, exec, s[10:11]
	v_and_b32_e32 v6, v38, v3
	v_lshl_or_b32 v38, 1, v42, v6
	v_or_b32_e32 v43, v43, v1
	s_mov_b64 s[28:29], -1
	s_mov_b64 s[30:31], 0
	s_cmp_eq_u32 s82, 0
	s_mov_b64 s[78:79], 0
	s_mov_b64 s[80:81], -1
	s_waitcnt lgkmcnt(0)
	s_barrier
                                        ; implicit-def: $vgpr44
	s_cbranch_scc1 .LBB107_151
; %bb.141:                              ;   in Loop: Header=BB107_20 Depth=1
	s_add_i32 s0, s82, s8
	s_mul_hi_u32 s1, s0, s56
	s_mul_i32 s1, s1, s54
	s_sub_i32 s1, s0, s1
	s_sub_i32 s10, s1, s54
	s_cmp_ge_u32 s1, s54
	s_cselect_b32 s1, s10, s1
	s_sub_i32 s10, s1, s54
	s_cmp_ge_u32 s1, s54
	s_cselect_b32 s1, s10, s1
	s_sub_i32 s0, s0, s1
	v_cmp_gt_u32_e32 vcc, s0, v0
	s_mov_b64 s[80:81], 0
                                        ; implicit-def: $vgpr44
	s_and_saveexec_b64 s[42:43], vcc
	s_cbranch_execz .LBB107_150
; %bb.142:                              ;   in Loop: Header=BB107_20 Depth=1
	s_mov_b64 s[10:11], 0
	v_mov_b32_e32 v6, v22
	v_mov_b32_e32 v12, v0
                                        ; implicit-def: $sgpr78_sgpr79
	s_branch .LBB107_145
.LBB107_143:                            ;   in Loop: Header=BB107_145 Depth=2
	s_or_b64 exec, exec, s[12:13]
	s_waitcnt lgkmcnt(0)
	s_barrier
	ds_read_b32 v13, v7 offset:3072
	s_mov_b64 s[12:13], -1
	s_waitcnt lgkmcnt(0)
	s_barrier
	v_cmp_ne_u32_sdwa s[14:15], v13, v7 src0_sel:WORD_0 src1_sel:DWORD
	s_and_b64 vcc, exec, s[14:15]
	s_mov_b64 s[14:15], -1
	s_cbranch_vccz .LBB107_148
.LBB107_144:                            ;   in Loop: Header=BB107_145 Depth=2
	s_and_b64 s[12:13], exec, s[12:13]
	s_or_b64 s[10:11], s[12:13], s[10:11]
	s_andn2_b64 s[12:13], s[78:79], exec
	s_and_b64 s[14:15], s[14:15], exec
	s_or_b64 s[78:79], s[12:13], s[14:15]
	s_andn2_b64 exec, exec, s[10:11]
	s_cbranch_execz .LBB107_149
.LBB107_145:                            ;   Parent Loop BB107_20 Depth=1
                                        ; =>  This Inner Loop Header: Depth=2
	v_cmp_gt_u32_e32 vcc, s82, v12
	s_and_saveexec_b64 s[12:13], vcc
	s_cbranch_execz .LBB107_143
; %bb.146:                              ;   in Loop: Header=BB107_145 Depth=2
	ds_read_u16 v13, v6
	s_waitcnt lgkmcnt(0)
	v_add_u32_sdwa v14, sext(v13), s21 dst_sel:DWORD dst_unused:UNUSED_PAD src0_sel:WORD_0 src1_sel:DWORD
	v_and_b32_e32 v14, v14, v43
	v_cmp_eq_u32_e32 vcc, v14, v38
	s_and_b64 exec, exec, vcc
	s_cbranch_execz .LBB107_143
; %bb.147:                              ;   in Loop: Header=BB107_145 Depth=2
	v_perm_b32 v13, v13, 1, v41
	ds_write_b32 v7, v13 offset:3072
	s_branch .LBB107_143
.LBB107_148:                            ;   in Loop: Header=BB107_145 Depth=2
	v_add_u32_e32 v12, s54, v12
	v_cmp_le_u32_e32 vcc, s0, v12
	v_add_u32_e32 v6, s20, v6
	s_mov_b64 s[14:15], 0
	s_orn2_b64 s[12:13], vcc, exec
	s_branch .LBB107_144
.LBB107_149:                            ;   in Loop: Header=BB107_20 Depth=1
	s_or_b64 exec, exec, s[10:11]
	v_lshrrev_b32_e32 v44, 16, v13
	s_and_b64 s[78:79], s[78:79], exec
.LBB107_150:                            ;   in Loop: Header=BB107_20 Depth=1
	s_or_b64 exec, exec, s[42:43]
.LBB107_151:                            ;   in Loop: Header=BB107_20 Depth=1
	s_and_b64 vcc, exec, s[80:81]
	s_cbranch_vccz .LBB107_162
; %bb.152:                              ;   in Loop: Header=BB107_20 Depth=1
                                        ; implicit-def: $vgpr44
	s_mov_b64 s[28:29], exec
	v_readlane_b32 s0, v50, 25
	v_readlane_b32 s1, v50, 26
	s_and_b64 s[0:1], s[28:29], s[0:1]
	s_mov_b64 exec, s[0:1]
	s_cbranch_execz .LBB107_161
; %bb.153:                              ;   in Loop: Header=BB107_20 Depth=1
	s_mov_b64 s[10:11], 0
	v_mov_b32_e32 v6, v5
	v_mov_b32_e32 v12, v0
                                        ; implicit-def: $sgpr30_sgpr31
	s_branch .LBB107_156
.LBB107_154:                            ;   in Loop: Header=BB107_156 Depth=2
	s_or_b64 exec, exec, s[12:13]
	s_waitcnt lgkmcnt(0)
	s_barrier
	ds_read_b32 v13, v7 offset:3072
	s_mov_b64 s[12:13], -1
	s_mov_b64 s[14:15], -1
	s_waitcnt lgkmcnt(0)
	s_barrier
	v_cmp_eq_u32_sdwa s[0:1], v13, v7 src0_sel:WORD_0 src1_sel:DWORD
	s_and_b64 vcc, exec, s[0:1]
	s_cbranch_vccnz .LBB107_159
.LBB107_155:                            ;   in Loop: Header=BB107_156 Depth=2
	s_and_b64 s[0:1], exec, s[12:13]
	s_or_b64 s[10:11], s[0:1], s[10:11]
	s_andn2_b64 s[0:1], s[30:31], exec
	s_and_b64 s[12:13], s[14:15], exec
	s_or_b64 s[30:31], s[0:1], s[12:13]
	s_andn2_b64 exec, exec, s[10:11]
	s_cbranch_execz .LBB107_160
.LBB107_156:                            ;   Parent Loop BB107_20 Depth=1
                                        ; =>  This Inner Loop Header: Depth=2
	v_cmp_gt_u32_e32 vcc, s36, v12
	s_and_saveexec_b64 s[12:13], vcc
	s_cbranch_execz .LBB107_154
; %bb.157:                              ;   in Loop: Header=BB107_156 Depth=2
	v_lshlrev_b64 v[13:14], 1, v[6:7]
	v_mov_b32_e32 v15, s40
	v_add_co_u32_e32 v13, vcc, s39, v13
	v_addc_co_u32_e32 v14, vcc, v15, v14, vcc
	global_load_ushort v13, v[13:14], off
	s_waitcnt vmcnt(0)
	v_add_u32_sdwa v14, sext(v13), s21 dst_sel:DWORD dst_unused:UNUSED_PAD src0_sel:WORD_0 src1_sel:DWORD
	v_and_b32_e32 v14, v14, v43
	v_cmp_eq_u32_e32 vcc, v14, v38
	s_and_b64 exec, exec, vcc
	s_cbranch_execz .LBB107_154
; %bb.158:                              ;   in Loop: Header=BB107_156 Depth=2
	v_perm_b32 v13, v13, 1, v41
	ds_write_b32 v7, v13 offset:3072
	s_branch .LBB107_154
.LBB107_159:                            ;   in Loop: Header=BB107_156 Depth=2
	v_add_u32_e32 v12, s54, v12
	v_cmp_le_u32_e32 vcc, s57, v12
	v_add_u32_e32 v6, s52, v6
	s_mov_b64 s[14:15], 0
	s_orn2_b64 s[12:13], vcc, exec
	s_branch .LBB107_155
.LBB107_160:                            ;   in Loop: Header=BB107_20 Depth=1
	s_or_b64 exec, exec, s[10:11]
	s_andn2_b64 s[0:1], s[78:79], exec
	s_and_b64 s[10:11], s[30:31], exec
	v_lshrrev_b32_e32 v44, 16, v13
	s_or_b64 s[78:79], s[0:1], s[10:11]
.LBB107_161:                            ;   in Loop: Header=BB107_20 Depth=1
	s_or_b64 exec, exec, s[28:29]
	s_mov_b64 s[28:29], 0
	s_mov_b64 s[30:31], -1
.LBB107_162:                            ;   in Loop: Header=BB107_20 Depth=1
	s_orn2_b64 s[10:11], s[78:79], exec
.LBB107_163:                            ;   in Loop: Header=BB107_20 Depth=1
	s_or_b64 exec, exec, s[74:75]
	s_mov_b64 s[12:13], 0
	s_and_saveexec_b64 s[74:75], s[10:11]
	s_cbranch_execz .LBB107_252
; %bb.164:                              ;   in Loop: Header=BB107_20 Depth=1
	s_xor_b64 s[0:1], s[76:77], -1
	v_mov_b32_e32 v12, 1
	v_mov_b32_e32 v2, 1
	s_and_saveexec_b64 s[42:43], s[0:1]
	s_cbranch_execz .LBB107_173
; %bb.165:                              ;   in Loop: Header=BB107_20 Depth=1
	v_cmp_ge_u32_e32 vcc, s45, v4
	s_and_saveexec_b64 s[0:1], vcc
	s_xor_b64 s[10:11], exec, s[0:1]
	s_cbranch_execz .LBB107_170
; %bb.166:                              ;   in Loop: Header=BB107_20 Depth=1
	ds_read_b32 v2, v7 offset:4104
	v_and_b32_e32 v6, v38, v3
	v_lshl_or_b32 v38, 1, v42, v6
	v_or_b32_e32 v43, v43, v1
	s_waitcnt lgkmcnt(0)
	v_cmp_ne_u32_e32 vcc, 0, v2
	s_cbranch_vccnz .LBB107_170
; %bb.167:                              ;   in Loop: Header=BB107_20 Depth=1
	s_and_saveexec_b64 s[12:13], s[90:91]
; %bb.168:                              ;   in Loop: Header=BB107_20 Depth=1
	v_mov_b32_e32 v2, s45
	ds_write_b32 v7, v2 offset:4108
; %bb.169:                              ;   in Loop: Header=BB107_20 Depth=1
	s_or_b64 exec, exec, s[12:13]
	s_waitcnt lgkmcnt(0)
	s_barrier
.LBB107_170:                            ;   in Loop: Header=BB107_20 Depth=1
	s_or_saveexec_b64 s[10:11], s[10:11]
	s_mov_b64 s[12:13], 0
	v_mov_b32_e32 v2, 8
	s_xor_b64 exec, exec, s[10:11]
; %bb.171:                              ;   in Loop: Header=BB107_20 Depth=1
	s_mov_b64 s[12:13], exec
	v_subrev_u32_e32 v4, s45, v4
	v_mov_b32_e32 v2, 0
; %bb.172:                              ;   in Loop: Header=BB107_20 Depth=1
	s_or_b64 exec, exec, s[10:11]
	s_and_b64 s[12:13], s[12:13], exec
	v_mov_b32_e32 v12, v4
.LBB107_173:                            ;   in Loop: Header=BB107_20 Depth=1
	s_or_b64 exec, exec, s[42:43]
	s_mov_b64 s[10:11], -1
                                        ; implicit-def: $sgpr78_sgpr79
                                        ; implicit-def: $sgpr80_sgpr81
	s_and_saveexec_b64 s[76:77], s[12:13]
	s_cbranch_execz .LBB107_251
; %bb.174:                              ;   in Loop: Header=BB107_20 Depth=1
	s_cmp_eq_u32 s44, 1
	s_cselect_b64 s[0:1], -1, 0
	v_cmp_eq_u32_e32 vcc, 1, v12
	s_and_b64 s[84:85], s[0:1], vcc
                                        ; implicit-def: $sgpr80_sgpr81
                                        ; implicit-def: $sgpr78_sgpr79
	s_and_saveexec_b64 s[82:83], s[84:85]
	s_cbranch_execz .LBB107_200
; %bb.175:                              ;   in Loop: Header=BB107_20 Depth=1
	ds_read_b32 v4, v7 offset:4104
	s_waitcnt lgkmcnt(0)
	s_barrier
	v_readfirstlane_b32 s45, v4
	s_and_saveexec_b64 s[10:11], s[24:25]
; %bb.176:                              ;   in Loop: Header=BB107_20 Depth=1
	ds_write_b16 v23, v7
; %bb.177:                              ;   in Loop: Header=BB107_20 Depth=1
	s_or_b64 exec, exec, s[10:11]
	v_and_b32_e32 v4, v38, v3
	v_lshl_or_b32 v38, 2, v42, v4
	v_or_b32_e32 v43, v43, v1
	s_mov_b64 s[78:79], -1
	s_mov_b64 s[80:81], 0
	s_cmp_eq_u32 s45, 0
	s_mov_b64 s[86:87], 0
	s_mov_b64 s[88:89], -1
	s_waitcnt lgkmcnt(0)
	s_barrier
                                        ; implicit-def: $vgpr44
	s_cbranch_scc1 .LBB107_188
; %bb.178:                              ;   in Loop: Header=BB107_20 Depth=1
	s_add_i32 s0, s45, s8
	s_mul_hi_u32 s1, s0, s56
	s_mul_i32 s1, s1, s54
	s_sub_i32 s1, s0, s1
	s_sub_i32 s10, s1, s54
	s_cmp_ge_u32 s1, s54
	s_cselect_b32 s1, s10, s1
	s_sub_i32 s10, s1, s54
	s_cmp_ge_u32 s1, s54
	s_cselect_b32 s1, s10, s1
	s_sub_i32 s0, s0, s1
	v_cmp_gt_u32_e32 vcc, s0, v0
	s_mov_b64 s[88:89], 0
                                        ; implicit-def: $vgpr44
	s_and_saveexec_b64 s[42:43], vcc
	s_cbranch_execz .LBB107_187
; %bb.179:                              ;   in Loop: Header=BB107_20 Depth=1
	s_mov_b64 s[10:11], 0
	v_mov_b32_e32 v4, v22
	v_mov_b32_e32 v6, v0
                                        ; implicit-def: $sgpr86_sgpr87
	s_branch .LBB107_182
.LBB107_180:                            ;   in Loop: Header=BB107_182 Depth=2
	s_or_b64 exec, exec, s[12:13]
	s_waitcnt lgkmcnt(0)
	s_barrier
	ds_read_b32 v13, v7 offset:3072
	s_mov_b64 s[12:13], -1
	s_waitcnt lgkmcnt(0)
	s_barrier
	v_cmp_ne_u32_sdwa s[14:15], v13, v7 src0_sel:WORD_0 src1_sel:DWORD
	s_and_b64 vcc, exec, s[14:15]
	s_mov_b64 s[14:15], -1
	s_cbranch_vccz .LBB107_185
.LBB107_181:                            ;   in Loop: Header=BB107_182 Depth=2
	s_and_b64 s[12:13], exec, s[12:13]
	s_or_b64 s[10:11], s[12:13], s[10:11]
	s_andn2_b64 s[12:13], s[86:87], exec
	s_and_b64 s[14:15], s[14:15], exec
	s_or_b64 s[86:87], s[12:13], s[14:15]
	s_andn2_b64 exec, exec, s[10:11]
	s_cbranch_execz .LBB107_186
.LBB107_182:                            ;   Parent Loop BB107_20 Depth=1
                                        ; =>  This Inner Loop Header: Depth=2
	v_cmp_gt_u32_e32 vcc, s45, v6
	s_and_saveexec_b64 s[12:13], vcc
	s_cbranch_execz .LBB107_180
; %bb.183:                              ;   in Loop: Header=BB107_182 Depth=2
	ds_read_u16 v13, v4
	s_waitcnt lgkmcnt(0)
	v_add_u32_sdwa v14, sext(v13), s21 dst_sel:DWORD dst_unused:UNUSED_PAD src0_sel:WORD_0 src1_sel:DWORD
	v_and_b32_e32 v14, v14, v43
	v_cmp_eq_u32_e32 vcc, v14, v38
	s_and_b64 exec, exec, vcc
	s_cbranch_execz .LBB107_180
; %bb.184:                              ;   in Loop: Header=BB107_182 Depth=2
	v_perm_b32 v13, v13, 1, v41
	ds_write_b32 v7, v13 offset:3072
	s_branch .LBB107_180
.LBB107_185:                            ;   in Loop: Header=BB107_182 Depth=2
	v_add_u32_e32 v6, s54, v6
	v_cmp_le_u32_e32 vcc, s0, v6
	v_add_u32_e32 v4, s20, v4
	s_mov_b64 s[14:15], 0
	s_orn2_b64 s[12:13], vcc, exec
	s_branch .LBB107_181
.LBB107_186:                            ;   in Loop: Header=BB107_20 Depth=1
	s_or_b64 exec, exec, s[10:11]
	v_lshrrev_b32_e32 v44, 16, v13
	s_and_b64 s[86:87], s[86:87], exec
.LBB107_187:                            ;   in Loop: Header=BB107_20 Depth=1
	s_or_b64 exec, exec, s[42:43]
.LBB107_188:                            ;   in Loop: Header=BB107_20 Depth=1
	s_and_b64 vcc, exec, s[88:89]
	s_cbranch_vccz .LBB107_199
; %bb.189:                              ;   in Loop: Header=BB107_20 Depth=1
                                        ; implicit-def: $vgpr44
	s_mov_b64 s[42:43], exec
	v_readlane_b32 s0, v50, 25
	v_readlane_b32 s1, v50, 26
	s_and_b64 s[0:1], s[42:43], s[0:1]
	s_mov_b64 exec, s[0:1]
	s_cbranch_execz .LBB107_198
; %bb.190:                              ;   in Loop: Header=BB107_20 Depth=1
	s_mov_b64 s[10:11], 0
	v_mov_b32_e32 v6, v5
	v_mov_b32_e32 v4, v0
                                        ; implicit-def: $sgpr78_sgpr79
	s_branch .LBB107_193
.LBB107_191:                            ;   in Loop: Header=BB107_193 Depth=2
	s_or_b64 exec, exec, s[12:13]
	s_waitcnt lgkmcnt(0)
	s_barrier
	ds_read_b32 v13, v7 offset:3072
	s_mov_b64 s[12:13], -1
	s_mov_b64 s[14:15], -1
	s_waitcnt lgkmcnt(0)
	s_barrier
	v_cmp_eq_u32_sdwa s[0:1], v13, v7 src0_sel:WORD_0 src1_sel:DWORD
	s_and_b64 vcc, exec, s[0:1]
	s_cbranch_vccnz .LBB107_196
.LBB107_192:                            ;   in Loop: Header=BB107_193 Depth=2
	s_and_b64 s[0:1], exec, s[12:13]
	s_or_b64 s[10:11], s[0:1], s[10:11]
	s_andn2_b64 s[0:1], s[78:79], exec
	s_and_b64 s[12:13], s[14:15], exec
	s_or_b64 s[78:79], s[0:1], s[12:13]
	s_andn2_b64 exec, exec, s[10:11]
	s_cbranch_execz .LBB107_197
.LBB107_193:                            ;   Parent Loop BB107_20 Depth=1
                                        ; =>  This Inner Loop Header: Depth=2
	v_cmp_gt_u32_e32 vcc, s36, v4
	s_and_saveexec_b64 s[12:13], vcc
	s_cbranch_execz .LBB107_191
; %bb.194:                              ;   in Loop: Header=BB107_193 Depth=2
	v_lshlrev_b64 v[13:14], 1, v[6:7]
	v_mov_b32_e32 v15, s40
	v_add_co_u32_e32 v13, vcc, s39, v13
	v_addc_co_u32_e32 v14, vcc, v15, v14, vcc
	global_load_ushort v13, v[13:14], off
	s_waitcnt vmcnt(0)
	v_add_u32_sdwa v14, sext(v13), s21 dst_sel:DWORD dst_unused:UNUSED_PAD src0_sel:WORD_0 src1_sel:DWORD
	v_and_b32_e32 v14, v14, v43
	v_cmp_eq_u32_e32 vcc, v14, v38
	s_and_b64 exec, exec, vcc
	s_cbranch_execz .LBB107_191
; %bb.195:                              ;   in Loop: Header=BB107_193 Depth=2
	v_perm_b32 v13, v13, 1, v41
	ds_write_b32 v7, v13 offset:3072
	s_branch .LBB107_191
.LBB107_196:                            ;   in Loop: Header=BB107_193 Depth=2
	v_add_u32_e32 v4, s54, v4
	v_cmp_le_u32_e32 vcc, s57, v4
	v_add_u32_e32 v6, s52, v6
	s_mov_b64 s[14:15], 0
	s_orn2_b64 s[12:13], vcc, exec
	s_branch .LBB107_192
.LBB107_197:                            ;   in Loop: Header=BB107_20 Depth=1
	s_or_b64 exec, exec, s[10:11]
	s_andn2_b64 s[0:1], s[86:87], exec
	s_and_b64 s[10:11], s[78:79], exec
	v_lshrrev_b32_e32 v44, 16, v13
	s_or_b64 s[86:87], s[0:1], s[10:11]
.LBB107_198:                            ;   in Loop: Header=BB107_20 Depth=1
	s_or_b64 exec, exec, s[42:43]
	s_mov_b64 s[78:79], 0
	s_mov_b64 s[80:81], -1
.LBB107_199:                            ;   in Loop: Header=BB107_20 Depth=1
	s_orn2_b64 s[10:11], s[86:87], exec
.LBB107_200:                            ;   in Loop: Header=BB107_20 Depth=1
	s_or_b64 exec, exec, s[82:83]
	s_mov_b64 s[12:13], 0
	s_and_saveexec_b64 s[82:83], s[10:11]
	s_cbranch_execz .LBB107_250
; %bb.201:                              ;   in Loop: Header=BB107_20 Depth=1
	s_xor_b64 s[0:1], s[84:85], -1
	v_mov_b32_e32 v4, 1
	v_mov_b32_e32 v2, 1
	s_and_saveexec_b64 s[84:85], s[0:1]
	s_cbranch_execz .LBB107_210
; %bb.202:                              ;   in Loop: Header=BB107_20 Depth=1
	v_cmp_ge_u32_e32 vcc, s44, v12
	s_and_saveexec_b64 s[0:1], vcc
	s_xor_b64 s[10:11], exec, s[0:1]
	s_cbranch_execz .LBB107_207
; %bb.203:                              ;   in Loop: Header=BB107_20 Depth=1
	v_and_b32_e32 v2, v38, v3
	v_lshl_or_b32 v38, 2, v42, v2
	ds_read_b32 v2, v7 offset:4104
	v_or_b32_e32 v43, v43, v1
	s_waitcnt lgkmcnt(0)
	v_cmp_ne_u32_e32 vcc, 0, v2
	s_cbranch_vccnz .LBB107_207
; %bb.204:                              ;   in Loop: Header=BB107_20 Depth=1
	s_and_saveexec_b64 s[12:13], s[90:91]
; %bb.205:                              ;   in Loop: Header=BB107_20 Depth=1
	v_mov_b32_e32 v2, s44
	ds_write_b32 v7, v2 offset:4108
; %bb.206:                              ;   in Loop: Header=BB107_20 Depth=1
	s_or_b64 exec, exec, s[12:13]
	s_waitcnt lgkmcnt(0)
	s_barrier
.LBB107_207:                            ;   in Loop: Header=BB107_20 Depth=1
	s_or_saveexec_b64 s[10:11], s[10:11]
	s_mov_b64 s[12:13], 0
	v_mov_b32_e32 v2, 8
	s_xor_b64 exec, exec, s[10:11]
; %bb.208:                              ;   in Loop: Header=BB107_20 Depth=1
	v_subrev_u32_e32 v12, s44, v12
	v_mov_b32_e32 v2, 0
	s_mov_b64 s[12:13], exec
; %bb.209:                              ;   in Loop: Header=BB107_20 Depth=1
	s_or_b64 exec, exec, s[10:11]
	s_and_b64 s[12:13], s[12:13], exec
	v_mov_b32_e32 v4, v12
.LBB107_210:                            ;   in Loop: Header=BB107_20 Depth=1
	s_or_b64 exec, exec, s[84:85]
	s_mov_b64 s[10:11], -1
                                        ; implicit-def: $sgpr88_sgpr89
                                        ; implicit-def: $sgpr86_sgpr87
	s_and_saveexec_b64 s[84:85], s[12:13]
	s_cbranch_execz .LBB107_249
; %bb.211:                              ;   in Loop: Header=BB107_20 Depth=1
	s_cmp_eq_u32 s49, 1
	v_writelane_b32 v50, s90, 27
	s_cselect_b64 s[0:1], -1, 0
	v_cmp_eq_u32_e32 vcc, 1, v4
	v_writelane_b32 v50, s91, 28
	s_and_b64 s[90:91], s[0:1], vcc
                                        ; implicit-def: $sgpr88_sgpr89
                                        ; implicit-def: $sgpr86_sgpr87
	s_and_saveexec_b64 s[92:93], s[90:91]
	s_cbranch_execz .LBB107_237
; %bb.212:                              ;   in Loop: Header=BB107_20 Depth=1
	ds_read_b32 v3, v7 offset:4104
	s_waitcnt lgkmcnt(0)
	s_barrier
	v_readfirstlane_b32 s0, v3
	s_and_saveexec_b64 s[10:11], s[24:25]
; %bb.213:                              ;   in Loop: Header=BB107_20 Depth=1
	ds_write_b16 v23, v7
; %bb.214:                              ;   in Loop: Header=BB107_20 Depth=1
	s_or_b64 exec, exec, s[10:11]
	v_or_b32_e32 v38, v38, v1
	v_or_b32_e32 v43, v43, v1
	s_mov_b64 s[86:87], -1
	s_mov_b64 s[88:89], 0
	s_cmp_eq_u32 s0, 0
	s_mov_b64 s[94:95], 0
	s_mov_b64 s[42:43], -1
	s_waitcnt lgkmcnt(0)
	s_barrier
                                        ; implicit-def: $vgpr44
	s_cbranch_scc1 .LBB107_225
; %bb.215:                              ;   in Loop: Header=BB107_20 Depth=1
	s_add_i32 s1, s0, s8
	s_mul_hi_u32 s10, s1, s56
	s_mul_i32 s10, s10, s54
	s_sub_i32 s10, s1, s10
	s_sub_i32 s11, s10, s54
	s_cmp_ge_u32 s10, s54
	s_cselect_b32 s10, s11, s10
	s_sub_i32 s11, s10, s54
	s_cmp_ge_u32 s10, s54
	s_cselect_b32 s10, s11, s10
	s_sub_i32 s1, s1, s10
	v_cmp_gt_u32_e32 vcc, s1, v0
	s_mov_b64 s[42:43], 0
                                        ; implicit-def: $vgpr44
	s_and_saveexec_b64 s[10:11], vcc
	s_cbranch_execz .LBB107_224
; %bb.216:                              ;   in Loop: Header=BB107_20 Depth=1
	v_mov_b32_e32 v3, v22
	v_mov_b32_e32 v6, v0
                                        ; implicit-def: $sgpr12_sgpr13
	s_branch .LBB107_219
.LBB107_217:                            ;   in Loop: Header=BB107_219 Depth=2
	s_or_b64 exec, exec, s[14:15]
	s_waitcnt lgkmcnt(0)
	s_barrier
	ds_read_b32 v12, v7 offset:3072
	s_mov_b64 s[14:15], -1
	s_waitcnt lgkmcnt(0)
	s_barrier
	v_cmp_ne_u32_sdwa s[44:45], v12, v7 src0_sel:WORD_0 src1_sel:DWORD
	s_and_b64 vcc, exec, s[44:45]
	s_mov_b64 s[44:45], -1
	s_cbranch_vccz .LBB107_222
.LBB107_218:                            ;   in Loop: Header=BB107_219 Depth=2
	s_and_b64 s[14:15], exec, s[14:15]
	s_or_b64 s[94:95], s[14:15], s[94:95]
	s_andn2_b64 s[12:13], s[12:13], exec
	s_and_b64 s[14:15], s[44:45], exec
	s_or_b64 s[12:13], s[12:13], s[14:15]
	s_andn2_b64 exec, exec, s[94:95]
	s_cbranch_execz .LBB107_223
.LBB107_219:                            ;   Parent Loop BB107_20 Depth=1
                                        ; =>  This Inner Loop Header: Depth=2
	v_cmp_gt_u32_e32 vcc, s0, v6
	s_and_saveexec_b64 s[14:15], vcc
	s_cbranch_execz .LBB107_217
; %bb.220:                              ;   in Loop: Header=BB107_219 Depth=2
	ds_read_u16 v12, v3
	s_waitcnt lgkmcnt(0)
	v_add_u32_sdwa v13, sext(v12), s21 dst_sel:DWORD dst_unused:UNUSED_PAD src0_sel:WORD_0 src1_sel:DWORD
	v_and_b32_e32 v13, v13, v43
	v_cmp_eq_u32_e32 vcc, v13, v38
	s_and_b64 exec, exec, vcc
	s_cbranch_execz .LBB107_217
; %bb.221:                              ;   in Loop: Header=BB107_219 Depth=2
	v_perm_b32 v12, v12, 1, v41
	ds_write_b32 v7, v12 offset:3072
	s_branch .LBB107_217
.LBB107_222:                            ;   in Loop: Header=BB107_219 Depth=2
	v_add_u32_e32 v6, s54, v6
	v_cmp_le_u32_e32 vcc, s1, v6
	v_add_u32_e32 v3, s20, v3
	s_mov_b64 s[44:45], 0
	s_orn2_b64 s[14:15], vcc, exec
	s_branch .LBB107_218
.LBB107_223:                            ;   in Loop: Header=BB107_20 Depth=1
	s_or_b64 exec, exec, s[94:95]
	v_lshrrev_b32_e32 v44, 16, v12
	s_and_b64 s[94:95], s[12:13], exec
.LBB107_224:                            ;   in Loop: Header=BB107_20 Depth=1
	s_or_b64 exec, exec, s[10:11]
.LBB107_225:                            ;   in Loop: Header=BB107_20 Depth=1
	s_and_b64 vcc, exec, s[42:43]
	s_cbranch_vccz .LBB107_236
; %bb.226:                              ;   in Loop: Header=BB107_20 Depth=1
                                        ; implicit-def: $vgpr44
	s_mov_b64 s[42:43], exec
	v_readlane_b32 s0, v50, 25
	v_readlane_b32 s1, v50, 26
	s_and_b64 s[0:1], s[42:43], s[0:1]
	s_mov_b64 exec, s[0:1]
	s_cbranch_execz .LBB107_235
; %bb.227:                              ;   in Loop: Header=BB107_20 Depth=1
	s_mov_b64 s[10:11], 0
	v_mov_b32_e32 v6, v5
	v_mov_b32_e32 v3, v0
                                        ; implicit-def: $sgpr86_sgpr87
	s_branch .LBB107_230
.LBB107_228:                            ;   in Loop: Header=BB107_230 Depth=2
	s_or_b64 exec, exec, s[12:13]
	s_waitcnt lgkmcnt(0)
	s_barrier
	ds_read_b32 v12, v7 offset:3072
	s_mov_b64 s[12:13], -1
	s_mov_b64 s[14:15], -1
	s_waitcnt lgkmcnt(0)
	s_barrier
	v_cmp_eq_u32_sdwa s[0:1], v12, v7 src0_sel:WORD_0 src1_sel:DWORD
	s_and_b64 vcc, exec, s[0:1]
	s_cbranch_vccnz .LBB107_233
.LBB107_229:                            ;   in Loop: Header=BB107_230 Depth=2
	s_and_b64 s[0:1], exec, s[12:13]
	s_or_b64 s[10:11], s[0:1], s[10:11]
	s_andn2_b64 s[0:1], s[86:87], exec
	s_and_b64 s[12:13], s[14:15], exec
	s_or_b64 s[86:87], s[0:1], s[12:13]
	s_andn2_b64 exec, exec, s[10:11]
	s_cbranch_execz .LBB107_234
.LBB107_230:                            ;   Parent Loop BB107_20 Depth=1
                                        ; =>  This Inner Loop Header: Depth=2
	v_cmp_gt_u32_e32 vcc, s36, v3
	s_and_saveexec_b64 s[12:13], vcc
	s_cbranch_execz .LBB107_228
; %bb.231:                              ;   in Loop: Header=BB107_230 Depth=2
	v_lshlrev_b64 v[12:13], 1, v[6:7]
	v_mov_b32_e32 v14, s40
	v_add_co_u32_e32 v12, vcc, s39, v12
	v_addc_co_u32_e32 v13, vcc, v14, v13, vcc
	global_load_ushort v12, v[12:13], off
	s_waitcnt vmcnt(0)
	v_add_u32_sdwa v13, sext(v12), s21 dst_sel:DWORD dst_unused:UNUSED_PAD src0_sel:WORD_0 src1_sel:DWORD
	v_and_b32_e32 v13, v13, v43
	v_cmp_eq_u32_e32 vcc, v13, v38
	s_and_b64 exec, exec, vcc
	s_cbranch_execz .LBB107_228
; %bb.232:                              ;   in Loop: Header=BB107_230 Depth=2
	v_perm_b32 v12, v12, 1, v41
	ds_write_b32 v7, v12 offset:3072
	s_branch .LBB107_228
.LBB107_233:                            ;   in Loop: Header=BB107_230 Depth=2
	v_add_u32_e32 v3, s54, v3
	v_cmp_le_u32_e32 vcc, s57, v3
	v_add_u32_e32 v6, s52, v6
	s_mov_b64 s[14:15], 0
	s_orn2_b64 s[12:13], vcc, exec
	s_branch .LBB107_229
.LBB107_234:                            ;   in Loop: Header=BB107_20 Depth=1
	s_or_b64 exec, exec, s[10:11]
	s_andn2_b64 s[0:1], s[94:95], exec
	s_and_b64 s[10:11], s[86:87], exec
	v_lshrrev_b32_e32 v44, 16, v12
	s_or_b64 s[94:95], s[0:1], s[10:11]
.LBB107_235:                            ;   in Loop: Header=BB107_20 Depth=1
	s_or_b64 exec, exec, s[42:43]
	s_mov_b64 s[86:87], 0
	s_mov_b64 s[88:89], -1
.LBB107_236:                            ;   in Loop: Header=BB107_20 Depth=1
	s_orn2_b64 s[10:11], s[94:95], exec
.LBB107_237:                            ;   in Loop: Header=BB107_20 Depth=1
	s_or_b64 exec, exec, s[92:93]
	s_mov_b64 s[12:13], 0
	s_and_saveexec_b64 s[92:93], s[10:11]
	s_cbranch_execz .LBB107_248
; %bb.238:                              ;   in Loop: Header=BB107_20 Depth=1
	s_xor_b64 s[0:1], s[90:91], -1
	v_mov_b32_e32 v2, 1
	v_mov_b32_e32 v3, 1
	s_and_saveexec_b64 s[42:43], s[0:1]
	s_cbranch_execz .LBB107_247
; %bb.239:                              ;   in Loop: Header=BB107_20 Depth=1
	v_cmp_ge_u32_e32 vcc, s49, v4
	s_and_saveexec_b64 s[0:1], vcc
	s_xor_b64 s[10:11], exec, s[0:1]
	s_cbranch_execz .LBB107_244
; %bb.240:                              ;   in Loop: Header=BB107_20 Depth=1
	v_or_b32_e32 v38, v38, v1
	v_or_b32_e32 v43, v43, v1
	ds_read_b32 v1, v7 offset:4104
	v_readlane_b32 s0, v50, 27
	v_readlane_b32 s1, v50, 28
	s_waitcnt lgkmcnt(0)
	v_cmp_ne_u32_e32 vcc, 0, v1
	s_cbranch_vccnz .LBB107_244
; %bb.241:                              ;   in Loop: Header=BB107_20 Depth=1
	s_and_saveexec_b64 s[12:13], s[0:1]
; %bb.242:                              ;   in Loop: Header=BB107_20 Depth=1
	v_mov_b32_e32 v1, s49
	ds_write_b32 v7, v1 offset:4108
; %bb.243:                              ;   in Loop: Header=BB107_20 Depth=1
	s_or_b64 exec, exec, s[12:13]
	s_waitcnt lgkmcnt(0)
	s_barrier
.LBB107_244:                            ;   in Loop: Header=BB107_20 Depth=1
	s_andn2_saveexec_b64 s[10:11], s[10:11]
; %bb.245:                              ;   in Loop: Header=BB107_20 Depth=1
	v_subrev_u32_e32 v4, s49, v4
; %bb.246:                              ;   in Loop: Header=BB107_20 Depth=1
	s_or_b64 exec, exec, s[10:11]
	v_mov_b32_e32 v2, 8
	v_mov_b32_e32 v3, v4
.LBB107_247:                            ;   in Loop: Header=BB107_20 Depth=1
	s_or_b64 exec, exec, s[42:43]
	s_mov_b64 s[12:13], exec
	v_mov_b32_e32 v4, v3
.LBB107_248:                            ;   in Loop: Header=BB107_20 Depth=1
	s_or_b64 exec, exec, s[92:93]
	v_readlane_b32 s90, v50, 27
	s_orn2_b64 s[10:11], s[12:13], exec
	v_readlane_b32 s91, v50, 28
.LBB107_249:                            ;   in Loop: Header=BB107_20 Depth=1
	s_or_b64 exec, exec, s[84:85]
	s_andn2_b64 s[0:1], s[80:81], exec
	s_and_b64 s[12:13], s[88:89], exec
	s_or_b64 s[80:81], s[0:1], s[12:13]
	s_andn2_b64 s[0:1], s[78:79], exec
	s_and_b64 s[12:13], s[86:87], exec
	s_or_b64 s[78:79], s[0:1], s[12:13]
	s_and_b64 s[12:13], s[10:11], exec
	v_mov_b32_e32 v12, v4
.LBB107_250:                            ;   in Loop: Header=BB107_20 Depth=1
	s_or_b64 exec, exec, s[82:83]
	s_orn2_b64 s[10:11], s[12:13], exec
.LBB107_251:                            ;   in Loop: Header=BB107_20 Depth=1
	s_or_b64 exec, exec, s[76:77]
	s_andn2_b64 s[0:1], s[30:31], exec
	s_and_b64 s[12:13], s[80:81], exec
	s_or_b64 s[30:31], s[0:1], s[12:13]
	s_andn2_b64 s[0:1], s[28:29], exec
	s_and_b64 s[12:13], s[78:79], exec
	s_or_b64 s[28:29], s[0:1], s[12:13]
	s_and_b64 s[12:13], s[10:11], exec
	v_mov_b32_e32 v4, v12
.LBB107_252:                            ;   in Loop: Header=BB107_20 Depth=1
	s_or_b64 exec, exec, s[74:75]
	s_orn2_b64 s[10:11], s[12:13], exec
.LBB107_253:                            ;   in Loop: Header=BB107_20 Depth=1
	s_or_b64 exec, exec, s[26:27]
	s_mov_b64 s[12:13], 0
                                        ; implicit-def: $sgpr42
	s_and_saveexec_b64 s[0:1], s[10:11]
	s_xor_b64 s[10:11], exec, s[0:1]
	s_cbranch_execz .LBB107_18
; %bb.254:                              ;   in Loop: Header=BB107_20 Depth=1
	v_and_b32_e32 v1, 7, v2
	v_cmp_eq_u32_e32 vcc, 0, v1
	s_mov_b64 s[22:23], -1
	s_mov_b64 s[12:13], -1
                                        ; implicit-def: $sgpr42
	s_and_saveexec_b64 s[14:15], vcc
	s_cbranch_execz .LBB107_17
; %bb.255:                              ;   in Loop: Header=BB107_20 Depth=1
	v_add_u32_e32 v1, -2, v42
	v_cmp_eq_u32_e32 vcc, 0, v42
	s_xor_b32 s42, s55, 1
	s_xor_b64 s[12:13], exec, -1
	s_orn2_b64 s[22:23], vcc, exec
	v_mov_b32_e32 v42, v1
	s_branch .LBB107_17
.LBB107_256:
	s_or_b64 exec, exec, s[60:61]
	s_xor_b64 s[8:9], s[66:67], -1
	s_xor_b64 s[0:1], s[62:63], -1
	;; [unrolled: 1-line block ×3, first 2 shown]
	s_mov_b64 s[4:5], 0
	s_and_saveexec_b64 s[2:3], s[0:1]
	s_xor_b64 s[0:1], exec, s[2:3]
	s_cbranch_execnz .LBB107_261
; %bb.257:
	s_andn2_saveexec_b64 s[0:1], s[0:1]
	s_cbranch_execnz .LBB107_274
.LBB107_258:
	s_or_b64 exec, exec, s[0:1]
	s_and_saveexec_b64 s[0:1], s[4:5]
.LBB107_259:
	; divergent unreachable
.LBB107_260:
	s_endpgm
.LBB107_261:
	s_and_saveexec_b64 s[2:3], s[8:9]
	s_xor_b64 s[4:5], exec, s[2:3]
	s_cbranch_execz .LBB107_272
; %bb.262:
	s_and_saveexec_b64 s[2:3], s[6:7]
	s_xor_b64 s[6:7], exec, s[2:3]
; %bb.263:
	v_xor_b32_e32 v44, 0xffff8000, v38
; %bb.264:
	s_or_b64 exec, exec, s[6:7]
	v_readlane_b32 s2, v50, 0
	s_mul_i32 s2, s2, s33
	s_add_i32 s2, s2, s35
	s_mov_b32 s3, 0
	s_lshl_b64 s[2:3], s[2:3], 1
	v_readlane_b32 s6, v50, 2
	v_readlane_b32 s7, v50, 3
	s_add_u32 s2, s6, s2
	s_addc_u32 s3, s7, s3
	v_mov_b32_e32 v6, 0
	global_store_short v6, v44, s[2:3]
	s_mov_b64 s[6:7], exec
	v_readlane_b32 s2, v50, 6
	v_readlane_b32 s3, v50, 7
	s_and_b64 s[2:3], s[6:7], s[2:3]
	s_mov_b64 exec, s[2:3]
	s_cbranch_execz .LBB107_271
; %bb.265:
	s_mov_b64 s[2:3], 0
	v_mov_b32_e32 v2, s40
                                        ; implicit-def: $sgpr8_sgpr9
                                        ; implicit-def: $sgpr12_sgpr13
                                        ; implicit-def: $sgpr10_sgpr11
	s_branch .LBB107_267
.LBB107_266:                            ;   in Loop: Header=BB107_267 Depth=1
	s_or_b64 exec, exec, s[14:15]
	s_and_b64 s[14:15], exec, s[12:13]
	s_or_b64 s[2:3], s[14:15], s[2:3]
	s_andn2_b64 s[8:9], s[8:9], exec
	s_and_b64 s[14:15], s[10:11], exec
	s_or_b64 s[8:9], s[8:9], s[14:15]
	s_andn2_b64 exec, exec, s[2:3]
	s_cbranch_execz .LBB107_269
.LBB107_267:                            ; =>This Inner Loop Header: Depth=1
	v_lshlrev_b64 v[3:4], 1, v[5:6]
	v_mov_b32_e32 v1, v0
	v_add_co_u32_e32 v3, vcc, s39, v3
	v_addc_co_u32_e32 v4, vcc, v2, v4, vcc
	global_load_ushort v3, v[3:4], off
	s_or_b64 s[10:11], s[10:11], exec
	s_or_b64 s[12:13], s[12:13], exec
                                        ; implicit-def: $vgpr0
	s_waitcnt vmcnt(0)
	v_cmp_ne_u16_e32 vcc, v3, v44
	s_and_saveexec_b64 s[14:15], vcc
	s_cbranch_execz .LBB107_266
; %bb.268:                              ;   in Loop: Header=BB107_267 Depth=1
	v_add_u32_e32 v0, s54, v1
	v_cmp_le_u32_e32 vcc, s36, v0
	s_andn2_b64 s[12:13], s[12:13], exec
	s_and_b64 s[16:17], vcc, exec
	v_add_u32_e32 v5, s52, v5
	s_andn2_b64 s[10:11], s[10:11], exec
	s_or_b64 s[12:13], s[12:13], s[16:17]
	s_branch .LBB107_266
.LBB107_269:
	s_or_b64 exec, exec, s[2:3]
	s_and_saveexec_b64 s[2:3], s[8:9]
	s_xor_b64 s[2:3], exec, s[2:3]
	s_cbranch_execz .LBB107_271
; %bb.270:
	v_readlane_b32 s2, v50, 1
	s_mul_i32 s2, s2, s34
	s_add_i32 s2, s2, s41
	s_mov_b32 s3, 0
	s_lshl_b64 s[2:3], s[2:3], 3
	v_readlane_b32 s8, v50, 4
	v_readlane_b32 s9, v50, 5
	s_add_u32 s2, s8, s2
	s_addc_u32 s3, s9, s3
	v_mov_b32_e32 v2, 0
	global_store_dwordx2 v2, v[1:2], s[2:3]
.LBB107_271:
	s_or_b64 exec, exec, s[6:7]
.LBB107_272:
	s_or_saveexec_b64 s[2:3], s[4:5]
	s_mov_b64 s[4:5], 0
	s_xor_b64 exec, exec, s[2:3]
	s_cbranch_execnz .LBB107_275
.LBB107_273:
	s_or_b64 exec, exec, s[2:3]
	s_and_b64 s[4:5], s[4:5], exec
	s_andn2_saveexec_b64 s[0:1], s[0:1]
	s_cbranch_execz .LBB107_258
.LBB107_274:
	s_or_b64 s[4:5], s[4:5], exec
	s_trap 2
	s_or_b64 exec, exec, s[0:1]
	s_and_saveexec_b64 s[0:1], s[4:5]
	s_cbranch_execnz .LBB107_259
	s_branch .LBB107_260
.LBB107_275:
	s_mov_b64 s[4:5], exec
	s_trap 2
	s_branch .LBB107_273
	.section	.rodata,"a",@progbits
	.p2align	6, 0x0
	.amdhsa_kernel _ZN2at6native12_GLOBAL__N_112gatherMedianIsjLin1EEEvNS_4cuda6detail10TensorInfoIT_T0_EENS5_IlS7_EENS5_IKS6_S7_EES7_S7_S7_b
		.amdhsa_group_segment_fixed_size 4120
		.amdhsa_private_segment_fixed_size 0
		.amdhsa_kernarg_size 920
		.amdhsa_user_sgpr_count 6
		.amdhsa_user_sgpr_private_segment_buffer 1
		.amdhsa_user_sgpr_dispatch_ptr 0
		.amdhsa_user_sgpr_queue_ptr 0
		.amdhsa_user_sgpr_kernarg_segment_ptr 1
		.amdhsa_user_sgpr_dispatch_id 0
		.amdhsa_user_sgpr_flat_scratch_init 0
		.amdhsa_user_sgpr_private_segment_size 0
		.amdhsa_uses_dynamic_stack 0
		.amdhsa_system_sgpr_private_segment_wavefront_offset 0
		.amdhsa_system_sgpr_workgroup_id_x 1
		.amdhsa_system_sgpr_workgroup_id_y 1
		.amdhsa_system_sgpr_workgroup_id_z 1
		.amdhsa_system_sgpr_workgroup_info 0
		.amdhsa_system_vgpr_workitem_id 0
		.amdhsa_next_free_vgpr 51
		.amdhsa_next_free_sgpr 96
		.amdhsa_reserve_vcc 1
		.amdhsa_reserve_flat_scratch 0
		.amdhsa_float_round_mode_32 0
		.amdhsa_float_round_mode_16_64 0
		.amdhsa_float_denorm_mode_32 3
		.amdhsa_float_denorm_mode_16_64 3
		.amdhsa_dx10_clamp 1
		.amdhsa_ieee_mode 1
		.amdhsa_fp16_overflow 0
		.amdhsa_exception_fp_ieee_invalid_op 0
		.amdhsa_exception_fp_denorm_src 0
		.amdhsa_exception_fp_ieee_div_zero 0
		.amdhsa_exception_fp_ieee_overflow 0
		.amdhsa_exception_fp_ieee_underflow 0
		.amdhsa_exception_fp_ieee_inexact 0
		.amdhsa_exception_int_div_zero 0
	.end_amdhsa_kernel
	.section	.text._ZN2at6native12_GLOBAL__N_112gatherMedianIsjLin1EEEvNS_4cuda6detail10TensorInfoIT_T0_EENS5_IlS7_EENS5_IKS6_S7_EES7_S7_S7_b,"axG",@progbits,_ZN2at6native12_GLOBAL__N_112gatherMedianIsjLin1EEEvNS_4cuda6detail10TensorInfoIT_T0_EENS5_IlS7_EENS5_IKS6_S7_EES7_S7_S7_b,comdat
.Lfunc_end107:
	.size	_ZN2at6native12_GLOBAL__N_112gatherMedianIsjLin1EEEvNS_4cuda6detail10TensorInfoIT_T0_EENS5_IlS7_EENS5_IKS6_S7_EES7_S7_S7_b, .Lfunc_end107-_ZN2at6native12_GLOBAL__N_112gatherMedianIsjLin1EEEvNS_4cuda6detail10TensorInfoIT_T0_EENS5_IlS7_EENS5_IKS6_S7_EES7_S7_S7_b
                                        ; -- End function
	.set _ZN2at6native12_GLOBAL__N_112gatherMedianIsjLin1EEEvNS_4cuda6detail10TensorInfoIT_T0_EENS5_IlS7_EENS5_IKS6_S7_EES7_S7_S7_b.num_vgpr, 51
	.set _ZN2at6native12_GLOBAL__N_112gatherMedianIsjLin1EEEvNS_4cuda6detail10TensorInfoIT_T0_EENS5_IlS7_EENS5_IKS6_S7_EES7_S7_S7_b.num_agpr, 0
	.set _ZN2at6native12_GLOBAL__N_112gatherMedianIsjLin1EEEvNS_4cuda6detail10TensorInfoIT_T0_EENS5_IlS7_EENS5_IKS6_S7_EES7_S7_S7_b.numbered_sgpr, 96
	.set _ZN2at6native12_GLOBAL__N_112gatherMedianIsjLin1EEEvNS_4cuda6detail10TensorInfoIT_T0_EENS5_IlS7_EENS5_IKS6_S7_EES7_S7_S7_b.num_named_barrier, 0
	.set _ZN2at6native12_GLOBAL__N_112gatherMedianIsjLin1EEEvNS_4cuda6detail10TensorInfoIT_T0_EENS5_IlS7_EENS5_IKS6_S7_EES7_S7_S7_b.private_seg_size, 0
	.set _ZN2at6native12_GLOBAL__N_112gatherMedianIsjLin1EEEvNS_4cuda6detail10TensorInfoIT_T0_EENS5_IlS7_EENS5_IKS6_S7_EES7_S7_S7_b.uses_vcc, 1
	.set _ZN2at6native12_GLOBAL__N_112gatherMedianIsjLin1EEEvNS_4cuda6detail10TensorInfoIT_T0_EENS5_IlS7_EENS5_IKS6_S7_EES7_S7_S7_b.uses_flat_scratch, 0
	.set _ZN2at6native12_GLOBAL__N_112gatherMedianIsjLin1EEEvNS_4cuda6detail10TensorInfoIT_T0_EENS5_IlS7_EENS5_IKS6_S7_EES7_S7_S7_b.has_dyn_sized_stack, 0
	.set _ZN2at6native12_GLOBAL__N_112gatherMedianIsjLin1EEEvNS_4cuda6detail10TensorInfoIT_T0_EENS5_IlS7_EENS5_IKS6_S7_EES7_S7_S7_b.has_recursion, 0
	.set _ZN2at6native12_GLOBAL__N_112gatherMedianIsjLin1EEEvNS_4cuda6detail10TensorInfoIT_T0_EENS5_IlS7_EENS5_IKS6_S7_EES7_S7_S7_b.has_indirect_call, 0
	.section	.AMDGPU.csdata,"",@progbits
; Kernel info:
; codeLenInByte = 10912
; TotalNumSgprs: 100
; NumVgprs: 51
; ScratchSize: 0
; MemoryBound: 0
; FloatMode: 240
; IeeeMode: 1
; LDSByteSize: 4120 bytes/workgroup (compile time only)
; SGPRBlocks: 12
; VGPRBlocks: 12
; NumSGPRsForWavesPerEU: 100
; NumVGPRsForWavesPerEU: 51
; Occupancy: 4
; WaveLimiterHint : 1
; COMPUTE_PGM_RSRC2:SCRATCH_EN: 0
; COMPUTE_PGM_RSRC2:USER_SGPR: 6
; COMPUTE_PGM_RSRC2:TRAP_HANDLER: 0
; COMPUTE_PGM_RSRC2:TGID_X_EN: 1
; COMPUTE_PGM_RSRC2:TGID_Y_EN: 1
; COMPUTE_PGM_RSRC2:TGID_Z_EN: 1
; COMPUTE_PGM_RSRC2:TIDIG_COMP_CNT: 0
	.section	.text._ZN2at6native12_GLOBAL__N_112gatherMedianIsmLi1EEEvNS_4cuda6detail10TensorInfoIT_T0_EENS5_IlS7_EENS5_IKS6_S7_EES7_S7_S7_b,"axG",@progbits,_ZN2at6native12_GLOBAL__N_112gatherMedianIsmLi1EEEvNS_4cuda6detail10TensorInfoIT_T0_EENS5_IlS7_EENS5_IKS6_S7_EES7_S7_S7_b,comdat
	.globl	_ZN2at6native12_GLOBAL__N_112gatherMedianIsmLi1EEEvNS_4cuda6detail10TensorInfoIT_T0_EENS5_IlS7_EENS5_IKS6_S7_EES7_S7_S7_b ; -- Begin function _ZN2at6native12_GLOBAL__N_112gatherMedianIsmLi1EEEvNS_4cuda6detail10TensorInfoIT_T0_EENS5_IlS7_EENS5_IKS6_S7_EES7_S7_S7_b
	.p2align	8
	.type	_ZN2at6native12_GLOBAL__N_112gatherMedianIsmLi1EEEvNS_4cuda6detail10TensorInfoIT_T0_EENS5_IlS7_EENS5_IKS6_S7_EES7_S7_S7_b,@function
_ZN2at6native12_GLOBAL__N_112gatherMedianIsmLi1EEEvNS_4cuda6detail10TensorInfoIT_T0_EENS5_IlS7_EENS5_IKS6_S7_EES7_S7_S7_b: ; @_ZN2at6native12_GLOBAL__N_112gatherMedianIsmLi1EEEvNS_4cuda6detail10TensorInfoIT_T0_EENS5_IlS7_EENS5_IKS6_S7_EES7_S7_S7_b
; %bb.0:
	s_load_dwordx2 s[14:15], s[4:5], 0x500
	s_load_dwordx4 s[24:27], s[4:5], 0x4e0
	s_add_u32 s18, s4, 0x500
	s_addc_u32 s19, s5, 0
	s_mov_b32 s11, 0
	s_waitcnt lgkmcnt(0)
	s_mul_i32 s0, s15, s8
	s_add_i32 s0, s0, s7
	s_mul_i32 s0, s0, s14
	s_add_i32 s10, s0, s6
	v_mov_b32_e32 v1, s10
	v_mov_b32_e32 v2, s11
	v_cmp_le_u64_e32 vcc, s[26:27], v[1:2]
	s_cbranch_vccnz .LBB108_278
; %bb.1:
	s_load_dwordx2 s[34:35], s[4:5], 0x4f0
	v_cmp_eq_u32_e64 s[0:1], 0, v0
	s_mov_b64 s[2:3], exec
                                        ; implicit-def: $vgpr57 : SGPR spill to VGPR lane
	v_writelane_b32 v57, s0, 0
	v_writelane_b32 v57, s1, 1
	s_and_b64 s[0:1], s[2:3], s[0:1]
	s_mov_b64 exec, s[0:1]
; %bb.2:
	v_mov_b32_e32 v1, 0
	v_mov_b32_e32 v2, v1
	ds_write_b64 v1, v[1:2] offset:5136
; %bb.3:
	s_or_b64 exec, exec, s[2:3]
	v_mov_b32_e32 v1, 0
	s_load_dword s0, s[4:5], 0x4f8
	s_waitcnt lgkmcnt(0)
	s_barrier
	s_barrier
	ds_read_b64 v[1:2], v1 offset:5136
	s_load_dwordx2 s[8:9], s[4:5], 0x410
	s_load_dwordx2 s[2:3], s[4:5], 0x340
	s_bitcmp1_b32 s0, 0
	s_cselect_b64 s[0:1], -1, 0
	v_mov_b32_e32 v24, s24
	s_waitcnt lgkmcnt(0)
	v_cmp_gt_i64_e32 vcc, 1, v[1:2]
	v_mov_b32_e32 v25, s25
	s_or_b64 s[0:1], s[0:1], vcc
	s_andn2_b64 vcc, exec, s[0:1]
	s_cbranch_vccnz .LBB108_5
; %bb.4:
	v_not_b32_e32 v1, v1
	v_not_b32_e32 v2, v2
	v_mov_b32_e32 v3, s25
	v_add_co_u32_e32 v1, vcc, s24, v1
	v_addc_co_u32_e32 v2, vcc, v3, v2, vcc
	v_lshrrev_b64 v[1:2], 1, v[1:2]
	v_add_co_u32_e32 v24, vcc, 1, v1
	v_addc_co_u32_e32 v25, vcc, 0, v2, vcc
.LBB108_5:
	s_load_dwordx2 s[0:1], s[4:5], 0x270
                                        ; kill: killed $sgpr4 killed $sgpr5
	s_waitcnt lgkmcnt(0)
	v_writelane_b32 v57, s0, 2
	v_writelane_b32 v57, s1, 3
	s_load_dwordx2 s[0:1], s[4:5], 0x1a0
	s_waitcnt lgkmcnt(0)
	v_writelane_b32 v57, s0, 4
	v_writelane_b32 v57, s1, 5
	s_load_dwordx2 s[0:1], s[4:5], 0xd0
	;; [unrolled: 4-line block ×3, first 2 shown]
	s_waitcnt lgkmcnt(0)
	v_writelane_b32 v57, s0, 8
	v_writelane_b32 v57, s1, 9
	s_mov_b64 s[4:5], exec
	v_readlane_b32 s0, v57, 0
	v_readlane_b32 s1, v57, 1
	s_and_b64 s[0:1], s[4:5], s[0:1]
	s_mov_b64 exec, s[0:1]
	s_cbranch_execz .LBB108_7
; %bb.6:
	v_mov_b32_e32 v1, 0
	v_mov_b32_e32 v3, s24
	;; [unrolled: 1-line block ×4, first 2 shown]
	ds_write_b32 v1, v1 offset:5144
	ds_write_b128 v1, v[1:4] offset:5120
.LBB108_7:
	s_or_b64 exec, exec, s[4:5]
	s_mul_i32 s0, s9, s10
	s_mul_hi_u32 s1, s8, s10
	s_add_i32 s1, s1, s0
	s_mov_b32 s0, s10
	v_writelane_b32 v57, s0, 10
	v_writelane_b32 v57, s1, 11
	s_mul_i32 s0, s8, s10
	s_lshl_b64 s[0:1], s[0:1], 1
	v_mov_b32_e32 v3, 0
	s_add_u32 s40, s2, s0
	v_mov_b32_e32 v1, v3
	s_addc_u32 s41, s3, s1
	v_cmp_gt_u64_e64 s[0:1], s[24:25], v[0:1]
	v_mbcnt_lo_u32_b32 v2, -1, 0
	v_writelane_b32 v57, s0, 12
	v_writelane_b32 v57, s1, 13
	v_mad_u64_u32 v[4:5], s[0:1], s34, v0, 0
	v_mbcnt_hi_u32_b32 v28, -1, v2
	v_cmp_gt_u32_e32 vcc, 64, v0
	v_mov_b32_e32 v2, v5
	v_mad_u64_u32 v[5:6], s[0:1], s35, v0, v[2:3]
	v_mov_b32_e32 v6, 0x600
	v_mov_b32_e32 v7, 0
	v_cmp_gt_u64_e64 s[56:57], s[24:25], v[6:7]
	v_lshlrev_b64 v[6:7], 1, v[4:5]
	v_cmp_gt_i32_e64 s[8:9], 4, v28
	s_and_b64 s[44:45], vcc, s[8:9]
	v_mov_b32_e32 v2, s41
	v_add_co_u32_e32 v12, vcc, s40, v6
	v_addc_co_u32_e32 v13, vcc, v2, v7, vcc
	v_add_u32_e32 v2, 2, v0
	v_cmp_gt_u64_e32 vcc, s[24:25], v[2:3]
	v_mov_b32_e32 v6, s25
	v_cndmask_b32_e32 v7, 0, v6, vcc
	v_mov_b32_e32 v6, s24
	v_cndmask_b32_e32 v2, v2, v6, vcc
	v_not_b32_e32 v6, v0
	v_add_co_u32_e32 v6, vcc, v2, v6
	v_addc_co_u32_e32 v7, vcc, -1, v7, vcc
	v_cmp_lt_u64_e64 s[0:1], 1, v[6:7]
	v_and_b32_e32 v14, -2, v6
	v_writelane_b32 v57, s0, 14
	v_mov_b32_e32 v15, v7
	v_writelane_b32 v57, s1, 15
	v_cmp_ne_u64_e64 s[0:1], v[6:7], v[14:15]
	v_lshlrev_b32_e32 v30, 3, v0
	v_writelane_b32 v57, s0, 16
	v_or_b32_e32 v6, 6, v30
	v_lshlrev_b64 v[8:9], v28, -1
	v_writelane_b32 v57, s1, 17
	v_mad_u64_u32 v[16:17], s[0:1], s34, v6, 0
	v_not_b32_e32 v29, v9
	v_or_b32_e32 v9, 4, v30
	v_mad_u64_u32 v[18:19], s[0:1], s34, v9, 0
	v_mov_b32_e32 v2, v17
	v_mad_u64_u32 v[6:7], s[0:1], s35, v6, v[2:3]
	v_or_b32_e32 v7, 2, v30
	v_mov_b32_e32 v2, v19
	v_mad_u64_u32 v[19:20], s[0:1], s34, v7, 0
	v_mad_u64_u32 v[9:10], s[0:1], s35, v9, v[2:3]
	v_mov_b32_e32 v2, v20
	v_mov_b32_e32 v32, v6
	v_mad_u64_u32 v[6:7], s[0:1], s35, v7, v[2:3]
	s_waitcnt lgkmcnt(0)
	s_barrier
	s_load_dword s0, s[18:19], 0xc
	v_lshlrev_b32_e32 v2, 2, v28
	v_and_b32_e32 v35, 0x100, v2
	v_lshrrev_b32_e32 v2, 1, v0
	v_and_b32_e32 v2, 0x1e0, v2
	s_waitcnt lgkmcnt(0)
	s_and_b32 s29, s0, 0xffff
	s_bfe_u32 s1, s0, 0xa0006
	s_cmp_gt_u32 s29, 63
	s_cselect_b64 s[54:55], -1, 0
	s_add_u32 s0, s29, -1
	s_addc_u32 s2, 0, -1
	s_add_u32 s8, s0, s24
	s_addc_u32 s51, s2, s25
	s_cmp_lt_u32 s6, s14
	v_writelane_b32 v57, s0, 18
	s_cselect_b32 s0, 12, 18
	s_add_u32 s52, s18, s0
	v_writelane_b32 v57, s2, 19
	s_addc_u32 s53, s19, 0
	s_add_i32 s2, s1, -1
	s_bfe_u32 s3, s29, 0x30006
	s_and_b32 s2, s2, 0xffff
	s_cmp_gt_u32 s2, 6
	s_cselect_b64 s[6:7], -1, 0
	v_writelane_b32 v57, s6, 20
	s_and_b32 s1, s1, 0x3f8
	v_writelane_b32 v57, s7, 21
	s_cmp_lg_u32 s3, 0
	v_writelane_b32 v57, s3, 22
	s_cselect_b64 s[2:3], -1, 0
	v_writelane_b32 v57, s2, 23
	v_writelane_b32 v57, s3, 24
	s_mul_i32 s2, s35, s29
	s_mul_hi_u32 s3, s34, s29
	v_or_b32_e32 v36, 0xc00, v2
	v_lshlrev_b64 v[22:23], 3, v[4:5]
	v_mov_b32_e32 v2, 0xc00
	s_add_i32 s3, s3, s2
	s_mul_i32 s2, s34, s29
	v_lshlrev_b32_e32 v39, 1, v0
	s_mov_b32 s43, 0
	v_cmp_eq_u32_e64 s[4:5], 0, v28
	v_cmp_gt_u32_e64 s[16:17], 2, v0
	v_not_b32_e32 v31, v8
	v_mov_b32_e32 v33, v9
	v_lshlrev_b32_e32 v20, 2, v0
	v_mov_b32_e32 v21, v3
	v_mov_b32_e32 v34, v6
	s_mov_b32 s9, s34
	s_mov_b32 s0, s35
	s_lshl_b64 s[58:59], s[34:35], 1
	s_lshl_b64 s[60:61], s[34:35], 3
	v_lshl_or_b32 v37, v28, 3, v2
	s_lshl_b32 s33, s29, 1
	s_lshl_b64 s[46:47], s[2:3], 1
	s_mov_b32 s92, 14
	s_mov_b64 s[62:63], 0
	s_mov_b32 s28, 0x8000
	s_mov_b32 s93, 0
	v_add_u32_e32 v40, 0xc00, v39
	v_mov_b32_e32 v41, 0x4f800000
	v_mov_b32_e32 v42, 0x5040100
	;; [unrolled: 1-line block ×5, first 2 shown]
	v_add_co_u32_e32 v17, vcc, v14, v0
	v_writelane_b32 v57, s54, 25
                                        ; implicit-def: $sgpr64_sgpr65
                                        ; implicit-def: $sgpr68_sgpr69
                                        ; implicit-def: $sgpr66_sgpr67
                                        ; implicit-def: $sgpr72_sgpr73
                                        ; implicit-def: $sgpr74_sgpr75
                                        ; implicit-def: $sgpr70_sgpr71
	v_writelane_b32 v57, s55, 26
	s_branch .LBB108_11
.LBB108_8:                              ;   in Loop: Header=BB108_11 Depth=1
	s_or_b64 exec, exec, s[14:15]
	s_and_b64 s[10:11], s[10:11], exec
	s_andn2_b64 s[78:79], s[78:79], exec
	s_andn2_b64 s[6:7], s[6:7], exec
	s_orn2_b64 s[20:21], s[12:13], exec
.LBB108_9:                              ;   in Loop: Header=BB108_11 Depth=1
	s_or_b64 exec, exec, s[2:3]
	s_andn2_b64 s[2:3], s[70:71], exec
	s_and_b64 s[10:11], s[10:11], exec
	s_or_b64 s[70:71], s[2:3], s[10:11]
	s_andn2_b64 s[2:3], s[74:75], exec
	s_and_b64 s[10:11], s[78:79], exec
	s_or_b64 s[74:75], s[2:3], s[10:11]
	;; [unrolled: 3-line block ×3, first 2 shown]
	s_orn2_b64 s[6:7], s[20:21], exec
.LBB108_10:                             ;   in Loop: Header=BB108_11 Depth=1
	s_or_b64 exec, exec, s[18:19]
	s_and_b64 s[2:3], exec, s[6:7]
	s_or_b64 s[62:63], s[2:3], s[62:63]
	s_andn2_b64 s[2:3], s[66:67], exec
	s_and_b64 s[6:7], s[70:71], exec
	s_or_b64 s[66:67], s[2:3], s[6:7]
	s_andn2_b64 s[2:3], s[68:69], exec
	s_and_b64 s[6:7], s[74:75], exec
	s_or_b64 s[68:69], s[2:3], s[6:7]
	s_andn2_b64 s[2:3], s[64:65], exec
	s_and_b64 s[6:7], s[72:73], exec
	v_mov_b32_e32 v25, v9
	s_or_b64 s[64:65], s[2:3], s[6:7]
	v_mov_b32_e32 v24, v8
	s_andn2_b64 exec, exec, s[62:63]
	s_cbranch_execz .LBB108_274
.LBB108_11:                             ; =>This Loop Header: Depth=1
                                        ;     Child Loop BB108_16 Depth 2
                                        ;     Child Loop BB108_30 Depth 2
	;; [unrolled: 1-line block ×17, first 2 shown]
	ds_read_b128 v[4:7], v3 offset:5120
	s_waitcnt lgkmcnt(0)
	v_readfirstlane_b32 s23, v5
	v_readfirstlane_b32 s22, v4
	s_cmp_lg_u64 s[22:23], 0
	s_cbranch_scc1 .LBB108_43
; %bb.12:                               ;   in Loop: Header=BB108_11 Depth=1
	s_and_b64 vcc, exec, s[56:57]
	s_cbranch_vccz .LBB108_24
; %bb.13:                               ;   in Loop: Header=BB108_11 Depth=1
	s_mov_b64 s[2:3], 0x601
	v_cmp_gt_u64_e32 vcc, s[2:3], v[6:7]
	s_mov_b64 s[18:19], 0
	s_mov_b64 s[2:3], 0
	s_cbranch_vccz .LBB108_25
; %bb.14:                               ;   in Loop: Header=BB108_11 Depth=1
	global_load_ushort v6, v3, s[52:53]
	global_load_ushort v2, v[12:13], off
	v_mov_b32_e32 v4, s40
	v_mov_b32_e32 v5, s41
	s_mov_b64 s[20:21], 0
	s_waitcnt vmcnt(1)
	v_and_b32_e32 v8, 0xffff, v6
	v_readfirstlane_b32 s6, v6
	v_add_co_u32_e32 v6, vcc, v0, v8
	v_addc_co_u32_e64 v7, s[2:3], 0, 0, vcc
	v_mul_lo_u32 v7, s58, v7
	v_mul_lo_u32 v9, s59, v6
	v_mad_u64_u32 v[4:5], s[2:3], s58, v6, v[4:5]
	s_and_b32 s6, 0xffff, s6
	s_mul_i32 s2, s59, s6
	s_mul_hi_u32 s3, s58, s6
	v_add3_u32 v5, v9, v5, v7
	v_mov_b32_e32 v7, v1
	s_mul_i32 s22, s58, s6
	s_add_i32 s23, s3, s2
	v_mov_b32_e32 v6, v0
	s_branch .LBB108_16
.LBB108_15:                             ;   in Loop: Header=BB108_16 Depth=2
	s_or_b64 exec, exec, s[2:3]
	v_mov_b32_e32 v2, s23
	v_add_co_u32_e32 v4, vcc, s22, v4
	v_addc_co_u32_e32 v5, vcc, v5, v2, vcc
	v_mov_b32_e32 v2, v9
	s_andn2_b64 exec, exec, s[20:21]
	s_cbranch_execz .LBB108_141
.LBB108_16:                             ;   Parent Loop BB108_11 Depth=1
                                        ; =>  This Inner Loop Header: Depth=2
	v_add_co_u32_e32 v6, vcc, v6, v8
	v_addc_co_u32_e32 v7, vcc, 0, v7, vcc
	v_cmp_gt_u64_e64 s[6:7], s[24:25], v[6:7]
	v_cmp_le_u64_e32 vcc, s[24:25], v[6:7]
	s_waitcnt lgkmcnt(0)
	v_mov_b32_e32 v10, 0
	v_mov_b32_e32 v9, 0
	s_and_saveexec_b64 s[2:3], s[6:7]
	s_cbranch_execz .LBB108_18
; %bb.17:                               ;   in Loop: Header=BB108_16 Depth=2
	global_load_ushort v9, v[4:5], off
.LBB108_18:                             ;   in Loop: Header=BB108_16 Depth=2
	s_or_b64 exec, exec, s[2:3]
	s_waitcnt vmcnt(0)
	v_add_u32_sdwa v11, sext(v2), s28 dst_sel:DWORD dst_unused:UNUSED_PAD src0_sel:WORD_0 src1_sel:DWORD
	v_and_b32_e32 v11, v11, v43
	v_cmp_eq_u32_e64 s[14:15], v11, v38
	s_cmp_lg_u64 s[14:15], 0
	s_cselect_b64 s[2:3], -1, 0
	s_and_b64 s[6:7], s[4:5], s[2:3]
	s_and_saveexec_b64 s[2:3], s[6:7]
	s_cbranch_execz .LBB108_22
; %bb.19:                               ;   in Loop: Header=BB108_16 Depth=2
	s_mov_b64 s[12:13], exec
	v_mbcnt_lo_u32_b32 v10, s12, 0
	v_mbcnt_hi_u32_b32 v10, s13, v10
	s_bcnt1_i32_b64 s26, s[14:15]
	v_cmp_eq_u32_e64 s[6:7], 0, v10
                                        ; implicit-def: $vgpr11
	s_and_saveexec_b64 s[10:11], s[6:7]
; %bb.20:                               ;   in Loop: Header=BB108_16 Depth=2
	s_bcnt1_i32_b64 s6, s[12:13]
	s_mul_i32 s6, s26, s6
	v_mov_b32_e32 v11, s6
	ds_add_rtn_u32 v11, v3, v11 offset:5144
; %bb.21:                               ;   in Loop: Header=BB108_16 Depth=2
	s_or_b64 exec, exec, s[10:11]
	s_waitcnt lgkmcnt(0)
	v_readfirstlane_b32 s6, v11
	v_mov_b32_e32 v11, s6
	v_mad_u32_u24 v10, s26, v10, v11
.LBB108_22:                             ;   in Loop: Header=BB108_16 Depth=2
	s_or_b64 exec, exec, s[2:3]
	ds_bpermute_b32 v10, v35, v10
	s_and_b64 s[2:3], exec, vcc
	s_or_b64 s[20:21], s[2:3], s[20:21]
	s_and_saveexec_b64 s[2:3], s[14:15]
	s_cbranch_execz .LBB108_15
; %bb.23:                               ;   in Loop: Header=BB108_16 Depth=2
	v_and_b32_e32 v26, s14, v31
	v_and_b32_e32 v11, s15, v29
	v_bcnt_u32_b32 v26, v26, 0
	v_bcnt_u32_b32 v11, v11, v26
	v_lshlrev_b32_e32 v11, 1, v11
	s_waitcnt lgkmcnt(0)
	v_lshl_add_u32 v10, v10, 1, v11
	ds_write_b16 v10, v2
	s_branch .LBB108_15
.LBB108_24:                             ;   in Loop: Header=BB108_11 Depth=1
	s_mov_b64 s[18:19], -1
	s_mov_b64 s[2:3], 0
.LBB108_25:                             ;   in Loop: Header=BB108_11 Depth=1
	s_and_b64 vcc, exec, s[18:19]
	s_cbranch_vccz .LBB108_41
.LBB108_26:                             ;   in Loop: Header=BB108_11 Depth=1
	s_mov_b64 s[14:15], exec
	v_readlane_b32 s2, v57, 12
	v_readlane_b32 s3, v57, 13
	s_and_b64 s[2:3], s[14:15], s[2:3]
	s_mov_b64 exec, s[2:3]
	s_cbranch_execz .LBB108_38
; %bb.27:                               ;   in Loop: Header=BB108_11 Depth=1
	global_load_ushort v2, v3, s[52:53]
	global_load_ushort v11, v[12:13], off
	v_mov_b32_e32 v6, v0
	s_waitcnt vmcnt(1)
	v_readfirstlane_b32 s2, v2
	v_add_u32_sdwa v2, v2, v0 dst_sel:DWORD dst_unused:UNUSED_PAD src0_sel:WORD_0 src1_sel:DWORD
	v_cmp_gt_u64_e32 vcc, s[24:25], v[2:3]
	s_and_saveexec_b64 s[18:19], vcc
	s_cbranch_execz .LBB108_37
; %bb.28:                               ;   in Loop: Header=BB108_11 Depth=1
	s_and_b32 s12, s2, 0xffff
	s_cmp_eq_u32 s12, 1
	v_readlane_b32 s6, v57, 14
                                        ; implicit-def: $vgpr6_vgpr7
	s_cselect_b64 s[2:3], -1, 0
	v_readlane_b32 s7, v57, 15
	v_mov_b32_e32 v8, v1
	v_mov_b32_e32 v5, v3
	s_and_b64 s[2:3], s[6:7], s[2:3]
	s_mov_b64 s[10:11], -1
	v_mov_b32_e32 v7, v0
	v_mov_b32_e32 v4, v2
	s_and_saveexec_b64 s[6:7], s[2:3]
	s_cbranch_execz .LBB108_32
; %bb.29:                               ;   in Loop: Header=BB108_11 Depth=1
	v_add_co_u32_e32 v4, vcc, 1, v2
	v_addc_co_u32_e64 v5, s[2:3], 0, 0, vcc
	v_mov_b32_e32 v8, v14
	v_mov_b32_e32 v7, v5
	s_waitcnt vmcnt(0)
	v_lshlrev_b32_e32 v26, 16, v11
	s_mov_b64 s[10:11], 0
	v_mov_b32_e32 v9, v15
	v_mov_b32_e32 v10, v39
	;; [unrolled: 1-line block ×5, first 2 shown]
.LBB108_30:                             ;   Parent Loop BB108_11 Depth=1
                                        ; =>  This Inner Loop Header: Depth=2
	v_mul_lo_u32 v49, v5, s34
	v_mul_lo_u32 v50, v4, s35
	v_mad_u64_u32 v[47:48], s[2:3], v4, s34, 0
	v_mul_lo_u32 v11, v7, s9
	v_mul_lo_u32 v27, v6, s0
	v_mad_u64_u32 v[45:46], s[2:3], v6, s9, 0
	v_add3_u32 v48, v48, v50, v49
	v_lshlrev_b64 v[47:48], 1, v[47:48]
	v_add3_u32 v46, v46, v27, v11
	v_mov_b32_e32 v51, s41
	v_lshlrev_b64 v[45:46], 1, v[45:46]
	v_add_co_u32_e32 v47, vcc, s40, v47
	v_addc_co_u32_e32 v48, vcc, v51, v48, vcc
	v_mov_b32_e32 v52, s41
	v_add_co_u32_e32 v45, vcc, s40, v45
	v_addc_co_u32_e32 v46, vcc, v52, v46, vcc
	global_load_ushort v27, v[47:48], off
	global_load_ushort v11, v[45:46], off
	v_add_co_u32_e32 v6, vcc, 2, v6
	v_addc_co_u32_e32 v7, vcc, 0, v7, vcc
	v_add_co_u32_e32 v4, vcc, 2, v4
	v_addc_co_u32_e32 v5, vcc, 0, v5, vcc
	v_add_co_u32_e32 v8, vcc, -2, v8
	v_addc_co_u32_e32 v9, vcc, -1, v9, vcc
	s_mov_b32 s2, 0x5040100
	v_cmp_eq_u64_e32 vcc, 0, v[8:9]
	s_or_b64 s[10:11], vcc, s[10:11]
	s_waitcnt vmcnt(1)
	v_alignbit_b32 v26, v27, v26, 16
	s_waitcnt vmcnt(0)
	v_perm_b32 v45, v11, v27, s2
	ds_write_b32 v10, v26
	v_add_u32_e32 v10, 4, v10
	v_mov_b32_e32 v26, v45
	s_andn2_b64 exec, exec, s[10:11]
	s_cbranch_execnz .LBB108_30
; %bb.31:                               ;   in Loop: Header=BB108_11 Depth=1
	s_or_b64 exec, exec, s[10:11]
	v_readlane_b32 s2, v57, 16
	v_add_co_u32_e32 v4, vcc, v2, v14
	v_readlane_b32 s3, v57, 17
	v_addc_co_u32_e32 v5, vcc, 0, v15, vcc
	v_add_co_u32_e32 v6, vcc, -1, v4
	s_orn2_b64 s[10:11], s[2:3], exec
	v_mov_b32_e32 v7, v17
	v_mov_b32_e32 v8, v18
.LBB108_32:                             ;   in Loop: Header=BB108_11 Depth=1
	s_or_b64 exec, exec, s[6:7]
	s_and_saveexec_b64 s[2:3], s[10:11]
	s_cbranch_execz .LBB108_36
; %bb.33:                               ;   in Loop: Header=BB108_11 Depth=1
	v_mov_b32_e32 v8, s40
	v_mov_b32_e32 v9, s41
	v_mad_u64_u32 v[9:10], s[6:7], s58, v4, v[8:9]
	v_mul_lo_u32 v2, s58, v5
	v_mul_lo_u32 v6, s59, v4
	s_mul_i32 s6, s59, s12
	s_mul_hi_u32 s7, s58, s12
	s_mov_b64 s[10:11], 0
	s_sub_u32 s13, 0, s12
	v_add3_u32 v10, v6, v10, v2
	s_add_i32 s20, s7, s6
	s_mul_i32 s21, s58, s12
.LBB108_34:                             ;   Parent Loop BB108_11 Depth=1
                                        ; =>  This Inner Loop Header: Depth=2
	global_load_ushort v2, v[9:10], off
	v_mov_b32_e32 v27, v5
	v_mov_b32_e32 v26, v4
	v_lshlrev_b32_e32 v4, 1, v7
	v_mov_b32_e32 v6, s20
	v_add_co_u32_e32 v9, vcc, s21, v9
	s_waitcnt vmcnt(1)
	ds_write_b16 v4, v11
	v_add_co_u32_e64 v4, s[6:7], s12, v26
	v_addc_co_u32_e64 v5, s[6:7], 0, v27, s[6:7]
	v_addc_co_u32_e32 v10, vcc, v10, v6, vcc
	v_cmp_le_u64_e32 vcc, s[24:25], v[4:5]
	v_mov_b32_e32 v7, v26
	v_add_co_u32_e64 v6, s[6:7], s13, v4
	s_or_b64 s[10:11], vcc, s[10:11]
	v_mov_b32_e32 v8, v27
	s_waitcnt vmcnt(0)
	v_mov_b32_e32 v11, v2
	s_andn2_b64 exec, exec, s[10:11]
	s_cbranch_execnz .LBB108_34
; %bb.35:                               ;   in Loop: Header=BB108_11 Depth=1
	s_or_b64 exec, exec, s[10:11]
	v_mov_b32_e32 v11, v2
.LBB108_36:                             ;   in Loop: Header=BB108_11 Depth=1
	s_or_b64 exec, exec, s[2:3]
.LBB108_37:                             ;   in Loop: Header=BB108_11 Depth=1
	s_or_b64 exec, exec, s[18:19]
	v_lshlrev_b32_e32 v2, 1, v6
	s_waitcnt vmcnt(0)
	ds_write_b16 v2, v11
.LBB108_38:                             ;   in Loop: Header=BB108_11 Depth=1
	s_or_b64 exec, exec, s[14:15]
	s_waitcnt lgkmcnt(0)
	s_barrier
	s_mov_b64 s[2:3], exec
	v_readlane_b32 s6, v57, 0
	v_readlane_b32 s7, v57, 1
	s_and_b64 s[6:7], s[2:3], s[6:7]
	s_mov_b64 exec, s[6:7]
; %bb.39:                               ;   in Loop: Header=BB108_11 Depth=1
	v_mov_b32_e32 v4, s24
	v_mov_b32_e32 v5, s25
	ds_write_b64 v3, v[4:5] offset:5120
; %bb.40:                               ;   in Loop: Header=BB108_11 Depth=1
	s_or_b64 exec, exec, s[2:3]
	s_mov_b64 s[2:3], -1
	s_waitcnt lgkmcnt(0)
	s_barrier
.LBB108_41:                             ;   in Loop: Header=BB108_11 Depth=1
	s_mov_b64 s[22:23], 0
	s_and_b64 vcc, exec, s[2:3]
	s_cbranch_vccz .LBB108_43
; %bb.42:                               ;   in Loop: Header=BB108_11 Depth=1
	ds_read_b64 v[4:5], v3 offset:5120
	s_waitcnt lgkmcnt(0)
	v_readfirstlane_b32 s22, v4
.LBB108_43:                             ;   in Loop: Header=BB108_11 Depth=1
	s_cmp_lt_i32 s22, 1
	s_mov_b64 s[2:3], -1
                                        ; implicit-def: $vgpr4_vgpr5
                                        ; implicit-def: $vgpr8_vgpr9
	s_cbranch_scc1 .LBB108_53
; %bb.44:                               ;   in Loop: Header=BB108_11 Depth=1
	s_and_b64 vcc, exec, s[2:3]
	s_cbranch_vccnz .LBB108_67
.LBB108_45:                             ;   in Loop: Header=BB108_11 Depth=1
	s_lshl_b32 s10, s93, 6
	s_and_saveexec_b64 s[2:3], s[4:5]
	s_cbranch_execz .LBB108_47
.LBB108_46:                             ;   in Loop: Header=BB108_11 Depth=1
	v_lshl_add_u32 v2, s10, 3, v36
	ds_write_b128 v2, v[4:7]
	ds_write_b128 v2, v[8:11] offset:16
.LBB108_47:                             ;   in Loop: Header=BB108_11 Depth=1
	s_or_b64 exec, exec, s[2:3]
	s_waitcnt lgkmcnt(0)
	s_barrier
	s_and_saveexec_b64 s[6:7], s[44:45]
	s_cbranch_execz .LBB108_82
; %bb.48:                               ;   in Loop: Header=BB108_11 Depth=1
	v_mov_b32_e32 v4, 0
	v_mov_b32_e32 v5, 0
	s_andn2_b64 vcc, exec, s[54:55]
	s_cbranch_vccnz .LBB108_81
; %bb.49:                               ;   in Loop: Header=BB108_11 Depth=1
	v_readlane_b32 s2, v57, 20
	v_readlane_b32 s3, v57, 21
	s_andn2_b64 vcc, exec, s[2:3]
	s_cbranch_vccnz .LBB108_77
; %bb.50:                               ;   in Loop: Header=BB108_11 Depth=1
	v_mov_b32_e32 v4, 0
	v_lshl_add_u32 v2, s93, 9, v37
	v_mov_b32_e32 v5, 0
	s_mov_b32 s2, 0
.LBB108_51:                             ;   Parent Loop BB108_11 Depth=1
                                        ; =>  This Inner Loop Header: Depth=2
	ds_read2_b64 v[6:9], v2 offset1:4
	ds_read2_b64 v[45:48], v2 offset0:8 offset1:12
	ds_read2_b64 v[49:52], v2 offset0:16 offset1:20
	;; [unrolled: 1-line block ×3, first 2 shown]
	s_add_i32 s2, s2, 8
	s_waitcnt lgkmcnt(3)
	v_add_co_u32_e32 v4, vcc, v6, v4
	v_addc_co_u32_e32 v5, vcc, v7, v5, vcc
	v_add_co_u32_e32 v4, vcc, v8, v4
	v_addc_co_u32_e32 v5, vcc, v9, v5, vcc
	s_waitcnt lgkmcnt(2)
	v_add_co_u32_e32 v4, vcc, v45, v4
	v_addc_co_u32_e32 v5, vcc, v46, v5, vcc
	v_add_co_u32_e32 v4, vcc, v47, v4
	v_addc_co_u32_e32 v5, vcc, v48, v5, vcc
	;; [unrolled: 5-line block ×3, first 2 shown]
	s_waitcnt lgkmcnt(0)
	v_add_co_u32_e32 v4, vcc, v53, v4
	v_addc_co_u32_e32 v5, vcc, v54, v5, vcc
	v_add_co_u32_e32 v4, vcc, v55, v4
	v_add_u32_e32 v2, 0x100, v2
	s_cmp_eq_u32 s1, s2
	v_addc_co_u32_e32 v5, vcc, v56, v5, vcc
	s_cbranch_scc0 .LBB108_51
; %bb.52:                               ;   in Loop: Header=BB108_11 Depth=1
	s_mov_b32 s2, s1
	s_branch .LBB108_78
.LBB108_53:                             ;   in Loop: Header=BB108_11 Depth=1
	global_load_ushort v2, v3, s[52:53]
	s_mov_b32 s2, s43
	s_waitcnt vmcnt(0)
	v_readfirstlane_b32 s3, v2
	s_and_b32 s10, s3, 0xffff
	s_lshl_b32 s11, s10, 2
	s_mov_b32 s3, s25
	s_cmp_lg_u64 s[2:3], 0
	s_cbranch_scc0 .LBB108_76
; %bb.54:                               ;   in Loop: Header=BB108_11 Depth=1
	v_cvt_f32_u32_e32 v2, s11
	s_sub_u32 s6, 0, s11
	s_subb_u32 s7, 0, 0
	v_mac_f32_e32 v2, 0, v41
	v_rcp_f32_e32 v2, v2
	v_mul_f32_e32 v2, 0x5f7ffffc, v2
	v_mul_f32_e32 v4, 0x2f800000, v2
	v_trunc_f32_e32 v4, v4
	v_mac_f32_e32 v2, 0xcf800000, v4
	v_cvt_u32_f32_e32 v4, v4
	v_cvt_u32_f32_e32 v2, v2
	v_readfirstlane_b32 s12, v4
	v_readfirstlane_b32 s2, v2
	s_mul_i32 s3, s6, s12
	s_mul_hi_u32 s14, s6, s2
	s_mul_i32 s13, s7, s2
	s_add_i32 s3, s14, s3
	s_mul_i32 s15, s6, s2
	s_add_i32 s3, s3, s13
	s_mul_hi_u32 s14, s2, s15
	s_mul_i32 s18, s2, s3
	s_mul_hi_u32 s13, s2, s3
	s_add_u32 s14, s14, s18
	s_addc_u32 s13, 0, s13
	s_mul_hi_u32 s19, s12, s15
	s_mul_i32 s15, s12, s15
	s_add_u32 s14, s14, s15
	s_mul_hi_u32 s18, s12, s3
	s_addc_u32 s13, s13, s19
	s_addc_u32 s14, s18, 0
	s_mul_i32 s3, s12, s3
	s_add_u32 s3, s13, s3
	s_addc_u32 s13, 0, s14
	s_add_u32 s14, s2, s3
	s_cselect_b64 s[2:3], -1, 0
	s_cmp_lg_u64 s[2:3], 0
	s_addc_u32 s12, s12, s13
	s_mul_i32 s2, s6, s12
	s_mul_hi_u32 s3, s6, s14
	s_add_i32 s2, s3, s2
	s_mul_i32 s7, s7, s14
	s_add_i32 s2, s2, s7
	s_mul_i32 s6, s6, s14
	s_mul_hi_u32 s7, s12, s6
	s_mul_i32 s13, s12, s6
	s_mul_i32 s18, s14, s2
	s_mul_hi_u32 s6, s14, s6
	s_mul_hi_u32 s15, s14, s2
	s_add_u32 s6, s6, s18
	s_addc_u32 s15, 0, s15
	s_add_u32 s6, s6, s13
	s_mul_hi_u32 s3, s12, s2
	s_addc_u32 s6, s15, s7
	s_addc_u32 s3, s3, 0
	s_mul_i32 s2, s12, s2
	s_add_u32 s2, s6, s2
	s_addc_u32 s6, 0, s3
	s_add_u32 s7, s14, s2
	s_cselect_b64 s[2:3], -1, 0
	s_cmp_lg_u64 s[2:3], 0
	s_addc_u32 s2, s12, s6
	s_mul_i32 s6, s24, s2
	s_mul_hi_u32 s12, s24, s7
	s_mul_hi_u32 s3, s24, s2
	s_add_u32 s6, s12, s6
	s_addc_u32 s3, 0, s3
	s_mul_hi_u32 s13, s25, s7
	s_mul_i32 s7, s25, s7
	s_add_u32 s6, s6, s7
	s_mul_hi_u32 s12, s25, s2
	s_addc_u32 s3, s3, s13
	s_addc_u32 s6, s12, 0
	s_mul_i32 s2, s25, s2
	s_add_u32 s2, s3, s2
	s_addc_u32 s3, 0, s6
	s_mul_i32 s3, s11, s3
	s_mul_hi_u32 s6, s11, s2
	s_add_i32 s6, s6, s3
	s_mul_i32 s2, s11, s2
	s_sub_u32 s7, s24, s2
	s_cselect_b64 s[2:3], -1, 0
	s_cmp_lg_u64 s[2:3], 0
	s_subb_u32 s6, s25, s6
	s_sub_u32 s12, s7, s11
	s_cselect_b64 s[2:3], -1, 0
	s_cmp_lg_u64 s[2:3], 0
	s_subb_u32 s13, s6, 0
	s_sub_u32 s14, s12, s11
	s_cselect_b64 s[2:3], -1, 0
	s_cmp_lg_u64 s[2:3], 0
	s_subb_u32 s2, s13, 0
	s_cmp_ge_u32 s12, s11
	s_cselect_b32 s3, -1, 0
	s_cmp_eq_u32 s13, 0
	s_cselect_b32 s3, s3, -1
	s_cmp_lg_u32 s3, 0
	s_cselect_b32 s2, s2, s13
	s_cselect_b32 s12, s14, s12
	s_cmp_ge_u32 s7, s11
	s_cselect_b32 s3, -1, 0
	s_cmp_eq_u32 s6, 0
	s_cselect_b32 s3, s3, -1
	s_cmp_lg_u32 s3, 0
	s_cselect_b32 s3, s2, s6
	s_cselect_b32 s2, s12, s7
	s_cbranch_execnz .LBB108_56
.LBB108_55:                             ;   in Loop: Header=BB108_11 Depth=1
	v_cvt_f32_u32_e32 v2, s11
	s_sub_i32 s2, 0, s11
	v_rcp_iflag_f32_e32 v2, v2
	v_mul_f32_e32 v2, 0x4f7ffffe, v2
	v_cvt_u32_f32_e32 v2, v2
	v_readfirstlane_b32 s3, v2
	s_mul_i32 s2, s2, s3
	s_mul_hi_u32 s2, s3, s2
	s_add_i32 s3, s3, s2
	s_mul_hi_u32 s2, s24, s3
	s_mul_i32 s2, s2, s11
	s_sub_i32 s2, s24, s2
	s_sub_i32 s3, s2, s11
	s_cmp_ge_u32 s2, s11
	s_cselect_b32 s2, s3, s2
	s_sub_i32 s3, s2, s11
	s_cmp_ge_u32 s2, s11
	s_cselect_b32 s42, s3, s2
	s_mov_b64 s[2:3], s[42:43]
.LBB108_56:                             ;   in Loop: Header=BB108_11 Depth=1
	s_sub_u32 s76, s24, s2
	s_subb_u32 s77, s25, s3
	v_cmp_gt_u64_e32 vcc, s[76:77], v[20:21]
	v_mov_b32_e32 v4, 0
	v_mov_b32_e32 v6, 0
	v_mov_b32_e32 v8, 0
	v_mov_b32_e32 v10, 0
	v_mov_b32_e32 v5, 0
	v_mov_b32_e32 v7, 0
	v_mov_b32_e32 v9, 0
	v_mov_b32_e32 v11, 0
	s_and_saveexec_b64 s[78:79], vcc
	s_cbranch_execz .LBB108_60
; %bb.57:                               ;   in Loop: Header=BB108_11 Depth=1
	s_mul_i32 s2, s61, s10
	s_mul_hi_u32 s3, s60, s10
	v_mov_b32_e32 v27, v21
	s_add_i32 s2, s3, s2
	s_mov_b64 s[80:81], 0
	s_mov_b64 s[82:83], s[40:41]
	;; [unrolled: 1-line block ×6, first 2 shown]
	v_mov_b32_e32 v26, v20
.LBB108_58:                             ;   Parent Loop BB108_11 Depth=1
                                        ; =>  This Inner Loop Header: Depth=2
	v_add_co_u32_e32 v4, vcc, s82, v22
	v_mov_b32_e32 v2, s83
	v_addc_co_u32_e32 v5, vcc, v2, v23, vcc
	global_load_sshort v6, v[4:5], off
	v_add_co_u32_e32 v4, vcc, s82, v19
	v_addc_co_u32_e32 v5, vcc, v2, v34, vcc
	global_load_sshort v7, v[4:5], off
	v_add_co_u32_e32 v4, vcc, s82, v18
	;; [unrolled: 3-line block ×3, first 2 shown]
	v_addc_co_u32_e32 v5, vcc, v2, v32, vcc
	global_load_sshort v2, v[4:5], off
	s_waitcnt vmcnt(3)
	v_add_u32_e32 v4, 0x8000, v6
	s_waitcnt vmcnt(2)
	v_add_u32_e32 v5, 0x8000, v7
	v_and_b32_e32 v7, v4, v43
	v_bfe_u32 v4, v4, s92, 2
	v_cmp_eq_u32_e32 vcc, v7, v38
	v_and_b32_e32 v7, v5, v43
	s_waitcnt vmcnt(1)
	v_add_u32_e32 v6, 0x8000, v8
	v_bfe_u32 v5, v5, s92, 2
	v_cmp_eq_u32_e64 s[20:21], 0, v4
	v_cmp_eq_u32_e64 s[6:7], v7, v38
	v_and_b32_e32 v7, v6, v43
	s_waitcnt vmcnt(0)
	v_add_u32_e32 v2, 0x8000, v2
	v_bfe_u32 v6, v6, s92, 2
	s_and_b64 s[12:13], vcc, s[20:21]
	v_cmp_eq_u32_e64 s[20:21], 0, v5
	v_cmp_eq_u32_e64 s[14:15], v7, v38
	v_and_b32_e32 v7, v2, v43
	v_bfe_u32 v2, v2, s92, 2
	s_and_b64 s[26:27], s[6:7], s[20:21]
	v_cmp_eq_u32_e64 s[20:21], 0, v6
	v_cmp_eq_u32_e64 s[18:19], v7, v38
	s_and_b64 s[30:31], s[14:15], s[20:21]
	v_cmp_eq_u32_e64 s[20:21], 0, v2
	v_cndmask_b32_e64 v7, 0, 1, s[12:13]
	s_and_b64 s[36:37], s[18:19], s[20:21]
	v_cmp_ne_u32_e64 s[20:21], 0, v7
	v_cndmask_b32_e64 v7, 0, 1, s[26:27]
	s_bcnt1_i32_b64 s3, s[20:21]
	v_cmp_ne_u32_e64 s[20:21], 0, v7
	v_cndmask_b32_e64 v7, 0, 1, s[30:31]
	s_bcnt1_i32_b64 s12, s[20:21]
	;; [unrolled: 3-line block ×3, first 2 shown]
	v_cmp_ne_u32_e64 s[20:21], 0, v7
	s_bcnt1_i32_b64 s20, s[20:21]
	s_add_u32 s3, s3, s90
	s_addc_u32 s21, 0, s91
	s_add_u32 s3, s3, s12
	s_addc_u32 s12, s21, 0
	;; [unrolled: 2-line block ×3, first 2 shown]
	s_add_u32 s90, s3, s20
	v_cmp_eq_u32_e64 s[20:21], 1, v4
	s_addc_u32 s91, s12, 0
	s_and_b64 s[12:13], vcc, s[20:21]
	v_cmp_eq_u32_e64 s[20:21], 1, v5
	s_and_b64 s[26:27], s[6:7], s[20:21]
	v_cmp_eq_u32_e64 s[20:21], 1, v6
	s_and_b64 s[30:31], s[14:15], s[20:21]
	v_cmp_eq_u32_e64 s[20:21], 1, v2
	v_cndmask_b32_e64 v7, 0, 1, s[12:13]
	s_and_b64 s[36:37], s[18:19], s[20:21]
	v_cmp_ne_u32_e64 s[20:21], 0, v7
	v_cndmask_b32_e64 v7, 0, 1, s[26:27]
	s_bcnt1_i32_b64 s3, s[20:21]
	v_cmp_ne_u32_e64 s[20:21], 0, v7
	v_cndmask_b32_e64 v7, 0, 1, s[30:31]
	s_bcnt1_i32_b64 s12, s[20:21]
	v_cmp_ne_u32_e64 s[20:21], 0, v7
	v_cndmask_b32_e64 v7, 0, 1, s[36:37]
	s_bcnt1_i32_b64 s13, s[20:21]
	v_cmp_ne_u32_e64 s[20:21], 0, v7
	s_bcnt1_i32_b64 s20, s[20:21]
	s_add_u32 s3, s3, s88
	s_addc_u32 s21, 0, s89
	s_add_u32 s3, s3, s12
	s_addc_u32 s12, s21, 0
	s_add_u32 s3, s3, s13
	s_addc_u32 s12, s12, 0
	s_add_u32 s88, s3, s20
	v_cmp_eq_u32_e64 s[20:21], 2, v4
	s_addc_u32 s89, s12, 0
	s_and_b64 s[12:13], vcc, s[20:21]
	v_cmp_eq_u32_e64 s[20:21], 2, v5
	s_and_b64 s[26:27], s[6:7], s[20:21]
	v_cmp_eq_u32_e64 s[20:21], 2, v6
	s_and_b64 s[30:31], s[14:15], s[20:21]
	v_cmp_eq_u32_e64 s[20:21], 2, v2
	v_cndmask_b32_e64 v7, 0, 1, s[12:13]
	s_and_b64 s[36:37], s[18:19], s[20:21]
	v_cmp_ne_u32_e64 s[20:21], 0, v7
	v_cndmask_b32_e64 v7, 0, 1, s[26:27]
	s_bcnt1_i32_b64 s3, s[20:21]
	v_cmp_ne_u32_e64 s[20:21], 0, v7
	v_cndmask_b32_e64 v7, 0, 1, s[30:31]
	s_bcnt1_i32_b64 s12, s[20:21]
	;; [unrolled: 3-line block ×3, first 2 shown]
	v_cmp_ne_u32_e64 s[20:21], 0, v7
	s_bcnt1_i32_b64 s20, s[20:21]
	s_add_u32 s3, s3, s86
	s_addc_u32 s21, 0, s87
	s_add_u32 s3, s3, s12
	s_addc_u32 s12, s21, 0
	;; [unrolled: 2-line block ×3, first 2 shown]
	s_add_u32 s86, s3, s20
	v_cmp_eq_u32_e64 s[20:21], 3, v4
	s_addc_u32 s87, s12, 0
	s_and_b64 s[12:13], vcc, s[20:21]
	v_cmp_eq_u32_e32 vcc, 3, v5
	s_and_b64 s[6:7], s[6:7], vcc
	v_cmp_eq_u32_e32 vcc, 3, v6
	s_and_b64 s[14:15], s[14:15], vcc
	v_cmp_eq_u32_e32 vcc, 3, v2
	v_cndmask_b32_e64 v2, 0, 1, s[12:13]
	s_and_b64 s[18:19], s[18:19], vcc
	v_cmp_ne_u32_e32 vcc, 0, v2
	v_cndmask_b32_e64 v2, 0, 1, s[6:7]
	s_bcnt1_i32_b64 s3, vcc
	v_cmp_ne_u32_e32 vcc, 0, v2
	v_cndmask_b32_e64 v2, 0, 1, s[14:15]
	s_bcnt1_i32_b64 s6, vcc
	;; [unrolled: 3-line block ×3, first 2 shown]
	v_cmp_ne_u32_e32 vcc, 0, v2
	s_bcnt1_i32_b64 s12, vcc
	s_add_u32 s3, s3, s84
	s_addc_u32 s13, 0, s85
	s_add_u32 s3, s3, s6
	s_addc_u32 s6, s13, 0
	;; [unrolled: 2-line block ×3, first 2 shown]
	s_add_u32 s84, s3, s12
	v_add_co_u32_e32 v26, vcc, s11, v26
	s_addc_u32 s85, s6, 0
	v_addc_co_u32_e32 v27, vcc, 0, v27, vcc
	s_mul_i32 s3, s60, s10
	s_add_u32 s82, s82, s3
	v_cmp_le_u64_e32 vcc, s[76:77], v[26:27]
	s_addc_u32 s83, s83, s2
	v_mov_b32_e32 v4, s90
	v_mov_b32_e32 v6, s88
	v_mov_b32_e32 v8, s86
	v_mov_b32_e32 v10, s84
	s_or_b64 s[80:81], vcc, s[80:81]
	v_mov_b32_e32 v5, s91
	v_mov_b32_e32 v7, s89
	;; [unrolled: 1-line block ×4, first 2 shown]
	s_andn2_b64 exec, exec, s[80:81]
	s_cbranch_execnz .LBB108_58
; %bb.59:                               ;   in Loop: Header=BB108_11 Depth=1
	s_or_b64 exec, exec, s[80:81]
.LBB108_60:                             ;   in Loop: Header=BB108_11 Depth=1
	s_or_b64 exec, exec, s[78:79]
	v_mov_b32_e32 v2, s77
	v_add_co_u32_e32 v26, vcc, s76, v0
	v_addc_co_u32_e32 v27, vcc, 0, v2, vcc
	v_cmp_gt_u64_e32 vcc, s[24:25], v[26:27]
	s_and_saveexec_b64 s[14:15], vcc
	s_cbranch_execz .LBB108_66
; %bb.61:                               ;   in Loop: Header=BB108_11 Depth=1
	v_mul_lo_u32 v2, v27, s34
	v_mul_lo_u32 v47, v26, s35
	v_mad_u64_u32 v[45:46], s[2:3], v26, s34, 0
	s_mov_b64 s[18:19], 0
	v_add3_u32 v46, v46, v47, v2
	v_lshlrev_b64 v[45:46], 1, v[45:46]
	v_mov_b32_e32 v2, s41
	v_add_co_u32_e32 v45, vcc, s40, v45
	v_addc_co_u32_e32 v46, vcc, v2, v46, vcc
	global_load_ushort v45, v[45:46], off
	s_branch .LBB108_63
.LBB108_62:                             ;   in Loop: Header=BB108_63 Depth=2
	s_or_b64 exec, exec, s[2:3]
	s_waitcnt vmcnt(0)
	v_add_u32_sdwa v45, sext(v45), s28 dst_sel:DWORD dst_unused:UNUSED_PAD src0_sel:WORD_0 src1_sel:DWORD
	s_and_b64 s[2:3], exec, vcc
	v_and_b32_e32 v46, v45, v43
	v_bfe_u32 v45, v45, s92, 2
	s_or_b64 s[18:19], s[2:3], s[18:19]
	v_cmp_eq_u32_e32 vcc, v46, v38
	v_cmp_eq_u32_e64 s[6:7], 0, v45
	s_and_b64 s[2:3], vcc, s[6:7]
	v_cndmask_b32_e64 v46, 0, 1, s[2:3]
	v_cmp_ne_u32_e64 s[6:7], 0, v46
	s_bcnt1_i32_b64 s2, s[6:7]
	v_add_co_u32_e64 v4, s[6:7], s2, v4
	v_addc_co_u32_e64 v5, s[6:7], 0, v5, s[6:7]
	v_cmp_eq_u32_e64 s[6:7], 1, v45
	s_and_b64 s[2:3], vcc, s[6:7]
	v_cndmask_b32_e64 v46, 0, 1, s[2:3]
	v_cmp_ne_u32_e64 s[6:7], 0, v46
	s_bcnt1_i32_b64 s2, s[6:7]
	v_add_co_u32_e64 v6, s[6:7], s2, v6
	v_addc_co_u32_e64 v7, s[6:7], 0, v7, s[6:7]
	;; [unrolled: 7-line block ×3, first 2 shown]
	v_cmp_eq_u32_e64 s[6:7], 3, v45
	s_and_b64 s[2:3], vcc, s[6:7]
	v_cndmask_b32_e64 v45, 0, 1, s[2:3]
	v_cmp_ne_u32_e32 vcc, 0, v45
	s_bcnt1_i32_b64 s2, vcc
	v_add_co_u32_e32 v10, vcc, s2, v10
	v_addc_co_u32_e32 v11, vcc, 0, v11, vcc
	v_mov_b32_e32 v45, v2
	s_andn2_b64 exec, exec, s[18:19]
	s_cbranch_execz .LBB108_65
.LBB108_63:                             ;   Parent Loop BB108_11 Depth=1
                                        ; =>  This Inner Loop Header: Depth=2
	v_add_co_u32_e32 v26, vcc, s10, v26
	v_addc_co_u32_e32 v27, vcc, 0, v27, vcc
	v_cmp_gt_u64_e64 s[6:7], s[24:25], v[26:27]
	v_cmp_le_u64_e32 vcc, s[24:25], v[26:27]
	v_mov_b32_e32 v2, 0
	s_and_saveexec_b64 s[2:3], s[6:7]
	s_cbranch_execz .LBB108_62
; %bb.64:                               ;   in Loop: Header=BB108_63 Depth=2
	v_mul_lo_u32 v2, v27, s34
	v_mul_lo_u32 v48, v26, s35
	v_mad_u64_u32 v[46:47], s[6:7], v26, s34, 0
	v_add3_u32 v47, v47, v48, v2
	v_lshlrev_b64 v[46:47], 1, v[46:47]
	v_mov_b32_e32 v2, s41
	v_add_co_u32_e64 v46, s[6:7], s40, v46
	v_addc_co_u32_e64 v47, s[6:7], v2, v47, s[6:7]
	global_load_ushort v2, v[46:47], off
	s_branch .LBB108_62
.LBB108_65:                             ;   in Loop: Header=BB108_11 Depth=1
	s_or_b64 exec, exec, s[18:19]
.LBB108_66:                             ;   in Loop: Header=BB108_11 Depth=1
	s_or_b64 exec, exec, s[14:15]
	s_branch .LBB108_45
.LBB108_67:                             ;   in Loop: Header=BB108_11 Depth=1
	global_load_ushort v2, v3, s[52:53]
	v_mov_b32_e32 v8, 0
	v_mov_b32_e32 v9, 0
	s_waitcnt vmcnt(0)
	v_readfirstlane_b32 s2, v2
	s_and_b32 s2, 0xffff, s2
	s_lshl_b32 s3, s2, 2
	v_cvt_f32_u32_e32 v4, s3
	s_sub_i32 s6, 0, s3
	v_rcp_iflag_f32_e32 v6, v4
	v_mov_b32_e32 v4, 0
	v_mov_b32_e32 v5, 0
	v_mul_f32_e32 v6, 0x4f7ffffe, v6
	v_cvt_u32_f32_e32 v10, v6
	v_mov_b32_e32 v6, 0
	v_mov_b32_e32 v7, 0
	v_readfirstlane_b32 s7, v10
	s_mul_i32 s6, s6, s7
	s_mul_hi_u32 s6, s7, s6
	s_add_i32 s7, s7, s6
	s_mul_hi_u32 s6, s22, s7
	s_mul_i32 s7, s6, s3
	s_sub_i32 s7, s22, s7
	s_add_i32 s10, s6, 1
	s_sub_i32 s11, s7, s3
	s_cmp_ge_u32 s7, s3
	s_cselect_b32 s6, s10, s6
	s_cselect_b32 s7, s11, s7
	s_add_i32 s10, s6, 1
	s_cmp_ge_u32 s7, s3
	s_cselect_b32 s6, s10, s6
	s_mul_hi_u32 s77, s2, s6
	s_mul_i32 s76, s2, s6
	s_lshl_b64 s[78:79], s[76:77], 2
	v_cmp_gt_u64_e32 vcc, s[78:79], v[20:21]
	v_mov_b32_e32 v10, 0
	v_mov_b32_e32 v11, 0
	s_and_saveexec_b64 s[80:81], vcc
	s_cbranch_execz .LBB108_71
; %bb.68:                               ;   in Loop: Header=BB108_11 Depth=1
	v_mov_b32_e32 v27, v21
	s_lshl_b32 s10, s2, 3
	s_mov_b64 s[82:83], 0
	v_mov_b32_e32 v45, v30
	s_mov_b64 s[84:85], 0
	s_mov_b64 s[86:87], 0
	;; [unrolled: 1-line block ×4, first 2 shown]
	v_mov_b32_e32 v26, v20
.LBB108_69:                             ;   Parent Loop BB108_11 Depth=1
                                        ; =>  This Inner Loop Header: Depth=2
	ds_read_b64 v[4:5], v45
	v_add_u32_e32 v45, s10, v45
	s_waitcnt lgkmcnt(0)
	v_add_u32_sdwa v6, sext(v4), s28 dst_sel:DWORD dst_unused:UNUSED_PAD src0_sel:WORD_0 src1_sel:DWORD
	v_add_u32_sdwa v4, sext(v4), s28 dst_sel:DWORD dst_unused:UNUSED_PAD src0_sel:WORD_1 src1_sel:DWORD
	v_and_b32_e32 v8, v6, v43
	v_bfe_u32 v6, v6, s92, 2
	v_add_u32_sdwa v7, sext(v5), s28 dst_sel:DWORD dst_unused:UNUSED_PAD src0_sel:WORD_0 src1_sel:DWORD
	v_cmp_eq_u32_e32 vcc, v8, v38
	v_and_b32_e32 v8, v4, v43
	v_bfe_u32 v4, v4, s92, 2
	v_cmp_eq_u32_e64 s[20:21], 0, v6
	v_add_u32_sdwa v5, sext(v5), s28 dst_sel:DWORD dst_unused:UNUSED_PAD src0_sel:WORD_1 src1_sel:DWORD
	v_cmp_eq_u32_e64 s[6:7], v8, v38
	v_and_b32_e32 v8, v7, v43
	v_bfe_u32 v7, v7, s92, 2
	s_and_b64 s[12:13], vcc, s[20:21]
	v_cmp_eq_u32_e64 s[20:21], 0, v4
	v_cmp_eq_u32_e64 s[14:15], v8, v38
	v_and_b32_e32 v8, v5, v43
	v_bfe_u32 v5, v5, s92, 2
	s_and_b64 s[26:27], s[6:7], s[20:21]
	v_cmp_eq_u32_e64 s[20:21], 0, v7
	v_cmp_eq_u32_e64 s[18:19], v8, v38
	s_and_b64 s[30:31], s[14:15], s[20:21]
	v_cmp_eq_u32_e64 s[20:21], 0, v5
	v_cndmask_b32_e64 v8, 0, 1, s[12:13]
	s_and_b64 s[36:37], s[18:19], s[20:21]
	v_cmp_ne_u32_e64 s[20:21], 0, v8
	v_cndmask_b32_e64 v8, 0, 1, s[26:27]
	s_bcnt1_i32_b64 s11, s[20:21]
	v_cmp_ne_u32_e64 s[20:21], 0, v8
	v_cndmask_b32_e64 v8, 0, 1, s[30:31]
	s_bcnt1_i32_b64 s12, s[20:21]
	;; [unrolled: 3-line block ×3, first 2 shown]
	v_cmp_ne_u32_e64 s[20:21], 0, v8
	s_bcnt1_i32_b64 s20, s[20:21]
	s_add_u32 s11, s11, s90
	s_addc_u32 s21, 0, s91
	s_add_u32 s11, s11, s12
	s_addc_u32 s12, s21, 0
	;; [unrolled: 2-line block ×3, first 2 shown]
	s_add_u32 s90, s11, s20
	v_cmp_eq_u32_e64 s[20:21], 1, v6
	s_addc_u32 s91, s12, 0
	s_and_b64 s[12:13], vcc, s[20:21]
	v_cmp_eq_u32_e64 s[20:21], 1, v4
	s_and_b64 s[26:27], s[6:7], s[20:21]
	v_cmp_eq_u32_e64 s[20:21], 1, v7
	s_and_b64 s[30:31], s[14:15], s[20:21]
	v_cmp_eq_u32_e64 s[20:21], 1, v5
	v_cndmask_b32_e64 v8, 0, 1, s[12:13]
	s_and_b64 s[36:37], s[18:19], s[20:21]
	v_cmp_ne_u32_e64 s[20:21], 0, v8
	v_cndmask_b32_e64 v8, 0, 1, s[26:27]
	s_bcnt1_i32_b64 s11, s[20:21]
	v_cmp_ne_u32_e64 s[20:21], 0, v8
	v_cndmask_b32_e64 v8, 0, 1, s[30:31]
	s_bcnt1_i32_b64 s12, s[20:21]
	;; [unrolled: 3-line block ×3, first 2 shown]
	v_cmp_ne_u32_e64 s[20:21], 0, v8
	s_bcnt1_i32_b64 s20, s[20:21]
	s_add_u32 s11, s11, s88
	s_addc_u32 s21, 0, s89
	s_add_u32 s11, s11, s12
	s_addc_u32 s12, s21, 0
	s_add_u32 s11, s11, s13
	s_addc_u32 s12, s12, 0
	s_add_u32 s88, s11, s20
	v_cmp_eq_u32_e64 s[20:21], 2, v6
	s_addc_u32 s89, s12, 0
	s_and_b64 s[12:13], vcc, s[20:21]
	v_cmp_eq_u32_e64 s[20:21], 2, v4
	s_and_b64 s[26:27], s[6:7], s[20:21]
	v_cmp_eq_u32_e64 s[20:21], 2, v7
	s_and_b64 s[30:31], s[14:15], s[20:21]
	v_cmp_eq_u32_e64 s[20:21], 2, v5
	v_cndmask_b32_e64 v8, 0, 1, s[12:13]
	s_and_b64 s[36:37], s[18:19], s[20:21]
	v_cmp_ne_u32_e64 s[20:21], 0, v8
	v_cndmask_b32_e64 v8, 0, 1, s[26:27]
	s_bcnt1_i32_b64 s11, s[20:21]
	v_cmp_ne_u32_e64 s[20:21], 0, v8
	v_cndmask_b32_e64 v8, 0, 1, s[30:31]
	s_bcnt1_i32_b64 s12, s[20:21]
	;; [unrolled: 3-line block ×3, first 2 shown]
	v_cmp_ne_u32_e64 s[20:21], 0, v8
	s_bcnt1_i32_b64 s20, s[20:21]
	s_add_u32 s11, s11, s86
	s_addc_u32 s21, 0, s87
	s_add_u32 s11, s11, s12
	s_addc_u32 s12, s21, 0
	s_add_u32 s11, s11, s13
	s_addc_u32 s12, s12, 0
	s_add_u32 s86, s11, s20
	v_cmp_eq_u32_e64 s[20:21], 3, v6
	s_addc_u32 s87, s12, 0
	s_and_b64 s[12:13], vcc, s[20:21]
	v_cmp_eq_u32_e32 vcc, 3, v4
	s_and_b64 s[6:7], s[6:7], vcc
	v_cmp_eq_u32_e32 vcc, 3, v7
	s_and_b64 s[14:15], s[14:15], vcc
	v_cmp_eq_u32_e32 vcc, 3, v5
	v_cndmask_b32_e64 v4, 0, 1, s[12:13]
	s_and_b64 s[18:19], s[18:19], vcc
	v_cmp_ne_u32_e32 vcc, 0, v4
	v_cndmask_b32_e64 v4, 0, 1, s[6:7]
	s_bcnt1_i32_b64 s11, vcc
	v_cmp_ne_u32_e32 vcc, 0, v4
	v_cndmask_b32_e64 v4, 0, 1, s[14:15]
	s_bcnt1_i32_b64 s6, vcc
	;; [unrolled: 3-line block ×3, first 2 shown]
	v_cmp_ne_u32_e32 vcc, 0, v4
	s_bcnt1_i32_b64 s12, vcc
	s_add_u32 s11, s11, s84
	s_addc_u32 s13, 0, s85
	s_add_u32 s6, s11, s6
	s_addc_u32 s11, s13, 0
	s_add_u32 s6, s6, s7
	v_add_co_u32_e32 v26, vcc, s3, v26
	s_addc_u32 s7, s11, 0
	v_addc_co_u32_e32 v27, vcc, 0, v27, vcc
	s_add_u32 s84, s6, s12
	v_cmp_le_u64_e32 vcc, s[78:79], v[26:27]
	s_addc_u32 s85, s7, 0
	v_mov_b32_e32 v4, s90
	v_mov_b32_e32 v6, s88
	;; [unrolled: 1-line block ×4, first 2 shown]
	s_or_b64 s[82:83], vcc, s[82:83]
	v_mov_b32_e32 v5, s91
	v_mov_b32_e32 v7, s89
	;; [unrolled: 1-line block ×4, first 2 shown]
	s_andn2_b64 exec, exec, s[82:83]
	s_cbranch_execnz .LBB108_69
; %bb.70:                               ;   in Loop: Header=BB108_11 Depth=1
	s_or_b64 exec, exec, s[82:83]
.LBB108_71:                             ;   in Loop: Header=BB108_11 Depth=1
	s_or_b64 exec, exec, s[80:81]
	v_mov_b32_e32 v27, s79
	v_add_co_u32_e32 v26, vcc, s78, v0
	s_and_b32 s42, s22, 0x7fffffff
	v_addc_co_u32_e32 v27, vcc, 0, v27, vcc
	v_cmp_gt_u64_e32 vcc, s[42:43], v[26:27]
	s_and_saveexec_b64 s[26:27], vcc
	s_cbranch_execz .LBB108_75
; %bb.72:                               ;   in Loop: Header=BB108_11 Depth=1
	v_lshl_add_u32 v45, s76, 3, v39
	s_lshl_b32 s2, s2, 1
	s_mov_b64 s[30:31], 0
.LBB108_73:                             ;   Parent Loop BB108_11 Depth=1
                                        ; =>  This Inner Loop Header: Depth=2
	ds_read_i16 v46, v45
	v_add_co_u32_sdwa v26, vcc, v26, v2 dst_sel:DWORD dst_unused:UNUSED_PAD src0_sel:DWORD src1_sel:WORD_0
	v_addc_co_u32_e32 v27, vcc, 0, v27, vcc
	s_waitcnt lgkmcnt(0)
	v_add_u32_e32 v46, 0x8000, v46
	v_and_b32_e32 v47, v46, v43
	v_bfe_u32 v46, v46, s92, 2
	v_cmp_eq_u32_e64 s[6:7], v47, v38
	v_cmp_eq_u32_e64 s[14:15], 0, v46
	;; [unrolled: 1-line block ×3, first 2 shown]
	s_and_b64 s[10:11], s[6:7], s[14:15]
	v_cmp_eq_u32_e64 s[20:21], 2, v46
	v_cmp_eq_u32_e64 s[22:23], 3, v46
	v_cndmask_b32_e64 v46, 0, 1, s[10:11]
	s_and_b64 s[10:11], s[6:7], s[18:19]
	v_cndmask_b32_e64 v47, 0, 1, s[10:11]
	s_and_b64 s[10:11], s[6:7], s[20:21]
	s_and_b64 s[6:7], s[6:7], s[22:23]
	v_cndmask_b32_e64 v49, 0, 1, s[6:7]
	v_cmp_ne_u32_e64 s[6:7], 0, v46
	s_bcnt1_i32_b64 s3, s[6:7]
	v_cmp_ne_u32_e64 s[14:15], 0, v47
	v_add_co_u32_e64 v4, s[6:7], s3, v4
	v_cndmask_b32_e64 v48, 0, 1, s[10:11]
	s_bcnt1_i32_b64 s10, s[14:15]
	v_addc_co_u32_e64 v5, s[6:7], 0, v5, s[6:7]
	v_cmp_le_u64_e32 vcc, s[42:43], v[26:27]
	v_cmp_ne_u32_e64 s[18:19], 0, v48
	v_cmp_ne_u32_e64 s[20:21], 0, v49
	v_add_co_u32_e64 v6, s[6:7], s10, v6
	s_bcnt1_i32_b64 s11, s[18:19]
	s_bcnt1_i32_b64 s12, s[20:21]
	v_addc_co_u32_e64 v7, s[6:7], 0, v7, s[6:7]
	v_add_co_u32_e64 v8, s[6:7], s11, v8
	s_or_b64 s[30:31], vcc, s[30:31]
	v_add_co_u32_e32 v10, vcc, s12, v10
	v_add_u32_e32 v45, s2, v45
	v_addc_co_u32_e64 v9, s[6:7], 0, v9, s[6:7]
	v_addc_co_u32_e32 v11, vcc, 0, v11, vcc
	s_andn2_b64 exec, exec, s[30:31]
	s_cbranch_execnz .LBB108_73
; %bb.74:                               ;   in Loop: Header=BB108_11 Depth=1
	s_or_b64 exec, exec, s[30:31]
.LBB108_75:                             ;   in Loop: Header=BB108_11 Depth=1
	s_or_b64 exec, exec, s[26:27]
	s_lshl_b32 s10, s93, 6
	s_and_saveexec_b64 s[2:3], s[4:5]
	s_cbranch_execnz .LBB108_46
	s_branch .LBB108_47
.LBB108_76:                             ;   in Loop: Header=BB108_11 Depth=1
                                        ; implicit-def: $sgpr2_sgpr3
	s_branch .LBB108_55
.LBB108_77:                             ;   in Loop: Header=BB108_11 Depth=1
	v_mov_b32_e32 v4, 0
	v_mov_b32_e32 v5, 0
	s_mov_b32 s2, 0
.LBB108_78:                             ;   in Loop: Header=BB108_11 Depth=1
	v_readlane_b32 s12, v57, 23
	v_readlane_b32 s13, v57, 24
	s_andn2_b64 vcc, exec, s[12:13]
	s_cbranch_vccnz .LBB108_81
; %bb.79:                               ;   in Loop: Header=BB108_11 Depth=1
	s_lshl_b32 s3, s93, 9
	s_lshl_b32 s2, s2, 5
	s_add_i32 s3, s3, s2
	v_add_u32_e32 v2, s3, v37
	v_readlane_b32 s2, v57, 22
.LBB108_80:                             ;   Parent Loop BB108_11 Depth=1
                                        ; =>  This Inner Loop Header: Depth=2
	ds_read_b64 v[6:7], v2
	s_add_i32 s2, s2, -1
	v_add_u32_e32 v2, 32, v2
	s_cmp_lg_u32 s2, 0
	s_waitcnt lgkmcnt(0)
	v_add_co_u32_e32 v4, vcc, v6, v4
	v_addc_co_u32_e32 v5, vcc, v7, v5, vcc
	s_cbranch_scc1 .LBB108_80
.LBB108_81:                             ;   in Loop: Header=BB108_11 Depth=1
	v_add_lshl_u32 v2, s10, v28, 3
	ds_write_b64 v2, v[4:5] offset:3072
.LBB108_82:                             ;   in Loop: Header=BB108_11 Depth=1
	s_or_b64 exec, exec, s[6:7]
	s_lshl_b32 s2, s10, 3
	v_mov_b32_e32 v2, s2
	s_waitcnt lgkmcnt(0)
	s_barrier
	ds_read_b128 v[8:11], v2 offset:3088
	ds_read_b128 v[4:7], v2 offset:3072
	v_cmp_eq_u64_e64 s[6:7], 1, v[24:25]
	s_lshl_b32 s48, 3, s92
	s_not_b32 s49, s48
	s_waitcnt lgkmcnt(1)
	v_readfirstlane_b32 s76, v8
	s_waitcnt lgkmcnt(0)
	v_cmp_eq_u64_e32 vcc, 1, v[4:5]
	v_readfirstlane_b32 s77, v9
	v_readfirstlane_b32 s14, v10
	;; [unrolled: 1-line block ×3, first 2 shown]
	s_and_b64 s[20:21], vcc, s[6:7]
	s_mov_b64 s[6:7], -1
	s_mov_b64 s[2:3], -1
                                        ; implicit-def: $sgpr26_sgpr27
                                        ; implicit-def: $sgpr22_sgpr23
	s_and_saveexec_b64 s[18:19], s[20:21]
	s_cbranch_execz .LBB108_114
; %bb.83:                               ;   in Loop: Header=BB108_11 Depth=1
	ds_read_b64 v[8:9], v3 offset:5120
	s_waitcnt lgkmcnt(0)
	s_barrier
	v_readfirstlane_b32 s36, v8
	v_readfirstlane_b32 s37, v9
	s_and_saveexec_b64 s[2:3], s[16:17]
; %bb.84:                               ;   in Loop: Header=BB108_11 Depth=1
	ds_write_b16 v40, v3
; %bb.85:                               ;   in Loop: Header=BB108_11 Depth=1
	s_or_b64 exec, exec, s[2:3]
	v_and_b32_e32 v38, s49, v38
	v_or_b32_e32 v43, s48, v43
	s_mov_b64 s[22:23], -1
	s_mov_b64 s[26:27], 0
	s_cmp_eq_u64 s[36:37], 0
	s_mov_b64 s[30:31], 0
	s_mov_b64 s[38:39], -1
	s_waitcnt lgkmcnt(0)
	s_barrier
                                        ; implicit-def: $vgpr44
	s_cbranch_scc1 .LBB108_99
; %bb.86:                               ;   in Loop: Header=BB108_11 Depth=1
	v_readlane_b32 s2, v57, 18
	s_add_u32 s12, s36, s2
	v_readlane_b32 s2, v57, 19
	s_addc_u32 s31, s37, s2
	s_mov_b32 s30, s43
	s_cmp_lg_u64 s[30:31], 0
	s_cbranch_scc0 .LBB108_140
; %bb.87:                               ;   in Loop: Header=BB108_11 Depth=1
	v_cvt_f32_u32_e32 v2, s29
	s_sub_u32 s10, 0, s29
	s_subb_u32 s11, 0, 0
	v_mac_f32_e32 v2, 0, v41
	v_rcp_f32_e32 v2, v2
	v_mul_f32_e32 v2, 0x5f7ffffc, v2
	v_mul_f32_e32 v8, 0x2f800000, v2
	v_trunc_f32_e32 v8, v8
	v_mac_f32_e32 v2, 0xcf800000, v8
	v_cvt_u32_f32_e32 v8, v8
	v_cvt_u32_f32_e32 v2, v2
	v_readfirstlane_b32 s13, v8
	v_readfirstlane_b32 s2, v2
	s_mul_i32 s3, s10, s13
	s_mul_hi_u32 s38, s10, s2
	s_mul_i32 s30, s11, s2
	s_add_i32 s3, s38, s3
	s_mul_i32 s39, s10, s2
	s_add_i32 s3, s3, s30
	s_mul_hi_u32 s38, s2, s39
	s_mul_i32 s42, s2, s3
	s_mul_hi_u32 s30, s2, s3
	s_add_u32 s38, s38, s42
	s_addc_u32 s30, 0, s30
	s_mul_hi_u32 s50, s13, s39
	s_mul_i32 s39, s13, s39
	s_add_u32 s38, s38, s39
	s_mul_hi_u32 s42, s13, s3
	s_addc_u32 s30, s30, s50
	s_addc_u32 s38, s42, 0
	s_mul_i32 s3, s13, s3
	s_add_u32 s3, s30, s3
	s_addc_u32 s30, 0, s38
	s_add_u32 s38, s2, s3
	s_cselect_b64 s[2:3], -1, 0
	s_cmp_lg_u64 s[2:3], 0
	s_addc_u32 s13, s13, s30
	s_mul_i32 s2, s10, s13
	s_mul_hi_u32 s3, s10, s38
	s_add_i32 s2, s3, s2
	s_mul_i32 s11, s11, s38
	s_add_i32 s2, s2, s11
	s_mul_i32 s10, s10, s38
	s_mul_hi_u32 s11, s13, s10
	s_mul_i32 s30, s13, s10
	s_mul_i32 s42, s38, s2
	s_mul_hi_u32 s10, s38, s10
	s_mul_hi_u32 s39, s38, s2
	s_add_u32 s10, s10, s42
	s_addc_u32 s39, 0, s39
	s_add_u32 s10, s10, s30
	s_mul_hi_u32 s3, s13, s2
	s_addc_u32 s10, s39, s11
	s_addc_u32 s3, s3, 0
	s_mul_i32 s2, s13, s2
	s_add_u32 s2, s10, s2
	s_addc_u32 s10, 0, s3
	s_add_u32 s11, s38, s2
	s_cselect_b64 s[2:3], -1, 0
	s_cmp_lg_u64 s[2:3], 0
	s_addc_u32 s2, s13, s10
	s_mul_i32 s10, s12, s2
	s_mul_hi_u32 s13, s12, s11
	s_mul_hi_u32 s3, s12, s2
	s_add_u32 s10, s13, s10
	s_addc_u32 s3, 0, s3
	s_mul_hi_u32 s30, s31, s11
	s_mul_i32 s11, s31, s11
	s_add_u32 s10, s10, s11
	s_mul_hi_u32 s13, s31, s2
	s_addc_u32 s3, s3, s30
	s_addc_u32 s10, s13, 0
	s_mul_i32 s2, s31, s2
	s_add_u32 s2, s3, s2
	s_addc_u32 s3, 0, s10
	s_mul_i32 s3, s29, s3
	s_mul_hi_u32 s10, s29, s2
	s_add_i32 s10, s10, s3
	s_mul_i32 s2, s29, s2
	s_sub_u32 s11, s12, s2
	s_cselect_b64 s[2:3], -1, 0
	s_cmp_lg_u64 s[2:3], 0
	s_subb_u32 s10, s31, s10
	s_sub_u32 s13, s11, s29
	s_cselect_b64 s[2:3], -1, 0
	s_cmp_lg_u64 s[2:3], 0
	s_subb_u32 s30, s10, 0
	;; [unrolled: 4-line block ×3, first 2 shown]
	s_cmp_ge_u32 s13, s29
	s_cselect_b32 s3, -1, 0
	s_cmp_eq_u32 s30, 0
	s_cselect_b32 s3, s3, -1
	s_cmp_lg_u32 s3, 0
	s_cselect_b32 s2, s2, s30
	s_cselect_b32 s13, s38, s13
	s_cmp_ge_u32 s11, s29
	s_cselect_b32 s3, -1, 0
	s_cmp_eq_u32 s10, 0
	s_cselect_b32 s3, s3, -1
	s_cmp_lg_u32 s3, 0
	s_cselect_b32 s3, s2, s10
	s_cselect_b32 s2, s13, s11
	s_cbranch_execnz .LBB108_89
.LBB108_88:                             ;   in Loop: Header=BB108_11 Depth=1
	v_cvt_f32_u32_e32 v2, s29
	s_sub_i32 s2, 0, s29
	v_rcp_iflag_f32_e32 v2, v2
	v_mul_f32_e32 v2, 0x4f7ffffe, v2
	v_cvt_u32_f32_e32 v2, v2
	v_readfirstlane_b32 s3, v2
	s_mul_i32 s2, s2, s3
	s_mul_hi_u32 s2, s3, s2
	s_add_i32 s3, s3, s2
	s_mul_hi_u32 s2, s12, s3
	s_mul_i32 s2, s2, s29
	s_sub_i32 s2, s12, s2
	s_sub_i32 s3, s2, s29
	s_cmp_ge_u32 s2, s29
	s_cselect_b32 s2, s3, s2
	s_sub_i32 s3, s2, s29
	s_cmp_ge_u32 s2, s29
	s_cselect_b32 s42, s3, s2
	s_mov_b64 s[2:3], s[42:43]
.LBB108_89:                             ;   in Loop: Header=BB108_11 Depth=1
	s_sub_u32 s10, s12, s2
	s_subb_u32 s11, s31, s3
	v_cmp_gt_u64_e32 vcc, s[10:11], v[0:1]
	s_mov_b64 s[38:39], 0
	s_mov_b64 s[30:31], 0
                                        ; implicit-def: $vgpr44
	s_and_saveexec_b64 s[12:13], vcc
	s_cbranch_execz .LBB108_98
; %bb.90:                               ;   in Loop: Header=BB108_11 Depth=1
	v_mov_b32_e32 v9, v1
	s_mov_b64 s[80:81], s[56:57]
	v_mov_b32_e32 v2, v39
	v_mov_b32_e32 v8, v0
                                        ; implicit-def: $sgpr2_sgpr3
	s_branch .LBB108_93
.LBB108_91:                             ;   in Loop: Header=BB108_93 Depth=2
	s_or_b64 exec, exec, s[54:55]
	s_waitcnt lgkmcnt(0)
	s_barrier
	ds_read_b32 v10, v3 offset:3072
	s_mov_b64 s[54:55], -1
	s_mov_b64 s[78:79], -1
	s_waitcnt lgkmcnt(0)
	s_barrier
	v_cmp_ne_u32_sdwa s[56:57], v10, v3 src0_sel:WORD_0 src1_sel:DWORD
	s_and_b64 vcc, exec, s[56:57]
	s_cbranch_vccz .LBB108_96
.LBB108_92:                             ;   in Loop: Header=BB108_93 Depth=2
	s_and_b64 s[54:55], exec, s[54:55]
	s_or_b64 s[30:31], s[54:55], s[30:31]
	s_andn2_b64 s[2:3], s[2:3], exec
	s_and_b64 s[54:55], s[78:79], exec
	s_or_b64 s[2:3], s[2:3], s[54:55]
	s_andn2_b64 exec, exec, s[30:31]
	s_cbranch_execz .LBB108_97
.LBB108_93:                             ;   Parent Loop BB108_11 Depth=1
                                        ; =>  This Inner Loop Header: Depth=2
	v_cmp_gt_u64_e32 vcc, s[36:37], v[8:9]
	s_and_saveexec_b64 s[54:55], vcc
	s_cbranch_execz .LBB108_91
; %bb.94:                               ;   in Loop: Header=BB108_93 Depth=2
	ds_read_u16 v10, v2
	s_waitcnt lgkmcnt(0)
	v_add_u32_sdwa v11, sext(v10), s28 dst_sel:DWORD dst_unused:UNUSED_PAD src0_sel:WORD_0 src1_sel:DWORD
	v_and_b32_e32 v11, v11, v43
	v_cmp_eq_u32_e32 vcc, v11, v38
	s_and_b64 exec, exec, vcc
	s_cbranch_execz .LBB108_91
; %bb.95:                               ;   in Loop: Header=BB108_93 Depth=2
	v_perm_b32 v10, v10, 1, v42
	ds_write_b32 v3, v10 offset:3072
	s_branch .LBB108_91
.LBB108_96:                             ;   in Loop: Header=BB108_93 Depth=2
	v_add_co_u32_e32 v8, vcc, s29, v8
	v_addc_co_u32_e32 v9, vcc, 0, v9, vcc
	v_cmp_le_u64_e32 vcc, s[10:11], v[8:9]
	v_add_u32_e32 v2, s33, v2
	s_mov_b64 s[78:79], 0
	s_orn2_b64 s[54:55], vcc, exec
	s_branch .LBB108_92
.LBB108_97:                             ;   in Loop: Header=BB108_11 Depth=1
	s_or_b64 exec, exec, s[30:31]
	v_readlane_b32 s54, v57, 25
	v_lshrrev_b32_e32 v44, 16, v10
	s_and_b64 s[30:31], s[2:3], exec
	s_mov_b64 s[56:57], s[80:81]
	v_readlane_b32 s55, v57, 26
.LBB108_98:                             ;   in Loop: Header=BB108_11 Depth=1
	s_or_b64 exec, exec, s[12:13]
.LBB108_99:                             ;   in Loop: Header=BB108_11 Depth=1
	s_and_b64 vcc, exec, s[38:39]
	s_cbranch_vccz .LBB108_113
; %bb.100:                              ;   in Loop: Header=BB108_11 Depth=1
	s_mov_b32 s50, s43
	s_cmp_lg_u64 s[50:51], 0
	s_cbranch_scc0 .LBB108_144
; %bb.101:                              ;   in Loop: Header=BB108_11 Depth=1
	v_cvt_f32_u32_e32 v2, s29
	s_sub_u32 s10, 0, s29
	s_subb_u32 s11, 0, 0
	v_mac_f32_e32 v2, 0, v41
	v_rcp_f32_e32 v2, v2
	v_mul_f32_e32 v2, 0x5f7ffffc, v2
	v_mul_f32_e32 v8, 0x2f800000, v2
	v_trunc_f32_e32 v8, v8
	v_mac_f32_e32 v2, 0xcf800000, v8
	v_cvt_u32_f32_e32 v8, v8
	v_cvt_u32_f32_e32 v2, v2
	v_readfirstlane_b32 s12, v8
	v_readfirstlane_b32 s2, v2
	s_mul_i32 s3, s10, s12
	s_mul_hi_u32 s22, s10, s2
	s_mul_i32 s13, s11, s2
	s_add_i32 s3, s22, s3
	s_mul_i32 s23, s10, s2
	s_add_i32 s3, s3, s13
	s_mul_hi_u32 s22, s2, s23
	s_mul_i32 s26, s2, s3
	s_mul_hi_u32 s13, s2, s3
	s_add_u32 s22, s22, s26
	s_addc_u32 s13, 0, s13
	s_mul_hi_u32 s27, s12, s23
	s_mul_i32 s23, s12, s23
	s_add_u32 s22, s22, s23
	s_mul_hi_u32 s26, s12, s3
	s_addc_u32 s13, s13, s27
	s_addc_u32 s22, s26, 0
	s_mul_i32 s3, s12, s3
	s_add_u32 s3, s13, s3
	s_addc_u32 s13, 0, s22
	s_add_u32 s22, s2, s3
	s_cselect_b64 s[2:3], -1, 0
	s_cmp_lg_u64 s[2:3], 0
	s_addc_u32 s12, s12, s13
	s_mul_i32 s2, s10, s12
	s_mul_hi_u32 s3, s10, s22
	s_add_i32 s2, s3, s2
	s_mul_i32 s11, s11, s22
	s_add_i32 s2, s2, s11
	s_mul_i32 s10, s10, s22
	s_mul_hi_u32 s11, s12, s10
	s_mul_i32 s13, s12, s10
	s_mul_i32 s26, s22, s2
	s_mul_hi_u32 s10, s22, s10
	s_mul_hi_u32 s23, s22, s2
	s_add_u32 s10, s10, s26
	s_addc_u32 s23, 0, s23
	s_add_u32 s10, s10, s13
	s_mul_hi_u32 s3, s12, s2
	s_addc_u32 s10, s23, s11
	s_addc_u32 s3, s3, 0
	s_mul_i32 s2, s12, s2
	s_add_u32 s2, s10, s2
	s_addc_u32 s10, 0, s3
	s_add_u32 s11, s22, s2
	s_cselect_b64 s[2:3], -1, 0
	s_cmp_lg_u64 s[2:3], 0
	s_addc_u32 s2, s12, s10
	s_mul_i32 s10, s8, s2
	s_mul_hi_u32 s12, s8, s11
	s_mul_hi_u32 s3, s8, s2
	s_add_u32 s10, s12, s10
	s_addc_u32 s3, 0, s3
	s_mul_hi_u32 s13, s51, s11
	s_mul_i32 s11, s51, s11
	s_add_u32 s10, s10, s11
	s_mul_hi_u32 s12, s51, s2
	s_addc_u32 s3, s3, s13
	s_addc_u32 s10, s12, 0
	s_mul_i32 s2, s51, s2
	s_add_u32 s2, s3, s2
	s_addc_u32 s3, 0, s10
	s_mul_i32 s3, s29, s3
	s_mul_hi_u32 s10, s29, s2
	s_add_i32 s10, s10, s3
	s_mul_i32 s2, s29, s2
	s_sub_u32 s11, s8, s2
	s_cselect_b64 s[2:3], -1, 0
	s_cmp_lg_u64 s[2:3], 0
	s_subb_u32 s10, s51, s10
	s_sub_u32 s12, s11, s29
	s_cselect_b64 s[2:3], -1, 0
	s_cmp_lg_u64 s[2:3], 0
	s_subb_u32 s13, s10, 0
	;; [unrolled: 4-line block ×3, first 2 shown]
	s_cmp_ge_u32 s12, s29
	s_cselect_b32 s3, -1, 0
	s_cmp_eq_u32 s13, 0
	s_cselect_b32 s3, s3, -1
	s_cmp_lg_u32 s3, 0
	s_cselect_b32 s2, s2, s13
	s_cselect_b32 s12, s22, s12
	s_cmp_ge_u32 s11, s29
	s_cselect_b32 s3, -1, 0
	s_cmp_eq_u32 s10, 0
	s_cselect_b32 s3, s3, -1
	s_cmp_lg_u32 s3, 0
	s_cselect_b32 s3, s2, s10
	s_cselect_b32 s2, s12, s11
	s_cbranch_execnz .LBB108_103
.LBB108_102:                            ;   in Loop: Header=BB108_11 Depth=1
	v_cvt_f32_u32_e32 v2, s29
	s_sub_i32 s2, 0, s29
	v_rcp_iflag_f32_e32 v2, v2
	v_mul_f32_e32 v2, 0x4f7ffffe, v2
	v_cvt_u32_f32_e32 v2, v2
	v_readfirstlane_b32 s3, v2
	s_mul_i32 s2, s2, s3
	s_mul_hi_u32 s2, s3, s2
	s_add_i32 s3, s3, s2
	s_mul_hi_u32 s2, s8, s3
	s_mul_i32 s2, s2, s29
	s_sub_i32 s2, s8, s2
	s_sub_i32 s3, s2, s29
	s_cmp_ge_u32 s2, s29
	s_cselect_b32 s2, s3, s2
	s_sub_i32 s3, s2, s29
	s_cmp_ge_u32 s2, s29
	s_cselect_b32 s42, s3, s2
	s_mov_b64 s[2:3], s[42:43]
.LBB108_103:                            ;   in Loop: Header=BB108_11 Depth=1
	s_sub_u32 s26, s8, s2
	s_subb_u32 s27, s51, s3
	v_cmp_gt_u64_e32 vcc, s[26:27], v[0:1]
                                        ; implicit-def: $vgpr44
	s_and_saveexec_b64 s[22:23], vcc
	s_cbranch_execz .LBB108_112
; %bb.104:                              ;   in Loop: Header=BB108_11 Depth=1
	v_mov_b32_e32 v8, v12
	v_mov_b32_e32 v11, v1
	s_mov_b64 s[10:11], 0
	v_mov_b32_e32 v9, v13
	v_mov_b32_e32 v10, v0
                                        ; implicit-def: $sgpr12_sgpr13
	s_branch .LBB108_107
.LBB108_105:                            ;   in Loop: Header=BB108_107 Depth=2
	s_or_b64 exec, exec, s[2:3]
	s_waitcnt lgkmcnt(0)
	s_barrier
	ds_read_b32 v2, v3 offset:3072
	s_mov_b64 s[2:3], -1
	s_waitcnt lgkmcnt(0)
	s_barrier
	v_cmp_ne_u32_sdwa s[36:37], v2, v3 src0_sel:WORD_0 src1_sel:DWORD
	s_and_b64 vcc, exec, s[36:37]
	s_mov_b64 s[36:37], -1
	s_cbranch_vccz .LBB108_110
.LBB108_106:                            ;   in Loop: Header=BB108_107 Depth=2
	s_and_b64 s[2:3], exec, s[2:3]
	s_or_b64 s[10:11], s[2:3], s[10:11]
	s_andn2_b64 s[2:3], s[12:13], exec
	s_and_b64 s[12:13], s[36:37], exec
	s_or_b64 s[12:13], s[2:3], s[12:13]
	s_andn2_b64 exec, exec, s[10:11]
	s_cbranch_execz .LBB108_111
.LBB108_107:                            ;   Parent Loop BB108_11 Depth=1
                                        ; =>  This Inner Loop Header: Depth=2
	v_cmp_gt_u64_e32 vcc, s[24:25], v[10:11]
	s_and_saveexec_b64 s[2:3], vcc
	s_cbranch_execz .LBB108_105
; %bb.108:                              ;   in Loop: Header=BB108_107 Depth=2
	global_load_ushort v2, v[8:9], off
	s_waitcnt vmcnt(0)
	v_add_u32_sdwa v26, sext(v2), s28 dst_sel:DWORD dst_unused:UNUSED_PAD src0_sel:WORD_0 src1_sel:DWORD
	v_and_b32_e32 v26, v26, v43
	v_cmp_eq_u32_e32 vcc, v26, v38
	s_and_b64 exec, exec, vcc
	s_cbranch_execz .LBB108_105
; %bb.109:                              ;   in Loop: Header=BB108_107 Depth=2
	v_perm_b32 v2, v2, 1, v42
	ds_write_b32 v3, v2 offset:3072
	s_branch .LBB108_105
.LBB108_110:                            ;   in Loop: Header=BB108_107 Depth=2
	v_add_co_u32_e32 v10, vcc, s29, v10
	v_addc_co_u32_e32 v11, vcc, 0, v11, vcc
	v_mov_b32_e32 v26, s47
	v_add_co_u32_e32 v8, vcc, s46, v8
	v_addc_co_u32_e32 v9, vcc, v9, v26, vcc
	v_cmp_le_u64_e32 vcc, s[26:27], v[10:11]
	s_mov_b64 s[36:37], 0
	s_orn2_b64 s[2:3], vcc, exec
	s_branch .LBB108_106
.LBB108_111:                            ;   in Loop: Header=BB108_11 Depth=1
	s_or_b64 exec, exec, s[10:11]
	s_andn2_b64 s[2:3], s[30:31], exec
	s_and_b64 s[10:11], s[12:13], exec
	v_lshrrev_b32_e32 v44, 16, v2
	s_or_b64 s[30:31], s[2:3], s[10:11]
.LBB108_112:                            ;   in Loop: Header=BB108_11 Depth=1
	s_or_b64 exec, exec, s[22:23]
	s_mov_b64 s[22:23], 0
	s_mov_b64 s[26:27], -1
.LBB108_113:                            ;   in Loop: Header=BB108_11 Depth=1
	s_orn2_b64 s[2:3], s[30:31], exec
.LBB108_114:                            ;   in Loop: Header=BB108_11 Depth=1
	s_or_b64 exec, exec, s[18:19]
	s_andn2_b64 s[10:11], s[74:75], exec
	s_and_b64 s[12:13], s[26:27], exec
	s_or_b64 s[74:75], s[10:11], s[12:13]
	s_andn2_b64 s[10:11], s[72:73], exec
	s_and_b64 s[12:13], s[22:23], exec
	s_andn2_b64 s[70:71], s[70:71], exec
	s_or_b64 s[72:73], s[10:11], s[12:13]
                                        ; implicit-def: $vgpr8_vgpr9
	s_and_saveexec_b64 s[18:19], s[2:3]
	s_cbranch_execz .LBB108_10
; %bb.115:                              ;   in Loop: Header=BB108_11 Depth=1
	v_mov_b32_e32 v8, 1
	s_xor_b64 s[2:3], s[20:21], -1
	v_mov_b32_e32 v2, 1
	v_mov_b32_e32 v9, 0
	s_mov_b64 s[10:11], 0
	s_and_saveexec_b64 s[6:7], s[2:3]
	s_cbranch_execz .LBB108_124
; %bb.116:                              ;   in Loop: Header=BB108_11 Depth=1
	v_cmp_le_u64_e32 vcc, v[24:25], v[4:5]
	s_and_saveexec_b64 s[2:3], vcc
	s_xor_b64 s[2:3], exec, s[2:3]
	s_cbranch_execz .LBB108_121
; %bb.117:                              ;   in Loop: Header=BB108_11 Depth=1
	ds_read_b64 v[8:9], v3 offset:5120
	v_and_b32_e32 v38, s49, v38
	v_or_b32_e32 v43, s48, v43
	s_waitcnt lgkmcnt(0)
	v_cmp_ne_u64_e32 vcc, 0, v[8:9]
	s_cbranch_vccnz .LBB108_121
; %bb.118:                              ;   in Loop: Header=BB108_11 Depth=1
	s_mov_b64 s[10:11], exec
	v_readlane_b32 s12, v57, 0
	v_readlane_b32 s13, v57, 1
	s_and_b64 s[12:13], s[10:11], s[12:13]
	s_mov_b64 exec, s[12:13]
; %bb.119:                              ;   in Loop: Header=BB108_11 Depth=1
	ds_write_b64 v3, v[4:5] offset:5128
; %bb.120:                              ;   in Loop: Header=BB108_11 Depth=1
	s_or_b64 exec, exec, s[10:11]
	s_waitcnt lgkmcnt(0)
	s_barrier
.LBB108_121:                            ;   in Loop: Header=BB108_11 Depth=1
	s_or_saveexec_b64 s[2:3], s[2:3]
	s_mov_b64 s[10:11], 0
	v_mov_b32_e32 v2, 8
	s_xor_b64 exec, exec, s[2:3]
; %bb.122:                              ;   in Loop: Header=BB108_11 Depth=1
	v_sub_co_u32_e32 v24, vcc, v24, v4
	s_mov_b64 s[10:11], exec
	v_subb_co_u32_e32 v25, vcc, v25, v5, vcc
	v_mov_b32_e32 v2, 0
; %bb.123:                              ;   in Loop: Header=BB108_11 Depth=1
	s_or_b64 exec, exec, s[2:3]
	v_mov_b32_e32 v8, v24
	s_and_b64 s[10:11], s[10:11], exec
	v_mov_b32_e32 v9, v25
.LBB108_124:                            ;   in Loop: Header=BB108_11 Depth=1
	s_or_b64 exec, exec, s[6:7]
	s_mov_b64 s[20:21], -1
	s_mov_b64 s[2:3], -1
                                        ; implicit-def: $sgpr6_sgpr7
                                        ; implicit-def: $sgpr78_sgpr79
	s_and_saveexec_b64 s[12:13], s[10:11]
	s_xor_b64 s[22:23], exec, s[12:13]
	s_cbranch_execz .LBB108_269
; %bb.125:                              ;   in Loop: Header=BB108_11 Depth=1
	v_cmp_eq_u64_e32 vcc, 1, v[6:7]
	v_cmp_eq_u64_e64 s[6:7], 1, v[8:9]
                                        ; implicit-def: $sgpr78_sgpr79
	s_and_b64 s[82:83], vcc, s[6:7]
                                        ; implicit-def: $sgpr6_sgpr7
	s_and_saveexec_b64 s[80:81], s[82:83]
	s_cbranch_execz .LBB108_162
; %bb.126:                              ;   in Loop: Header=BB108_11 Depth=1
	ds_read_b64 v[4:5], v3 offset:5120
	s_waitcnt lgkmcnt(0)
	s_barrier
	v_readfirstlane_b32 s30, v4
	v_readfirstlane_b32 s31, v5
	s_and_saveexec_b64 s[2:3], s[16:17]
; %bb.127:                              ;   in Loop: Header=BB108_11 Depth=1
	ds_write_b16 v40, v3
; %bb.128:                              ;   in Loop: Header=BB108_11 Depth=1
	s_or_b64 exec, exec, s[2:3]
	v_and_b32_e32 v4, s49, v38
	v_lshl_or_b32 v38, 1, s92, v4
	v_or_b32_e32 v43, s48, v43
	s_mov_b64 s[6:7], -1
	s_mov_b64 s[78:79], 0
	s_cmp_eq_u64 s[30:31], 0
	s_mov_b64 s[26:27], 0
	s_mov_b64 s[36:37], -1
	s_waitcnt lgkmcnt(0)
	s_barrier
                                        ; implicit-def: $vgpr44
	s_cbranch_scc1 .LBB108_147
; %bb.129:                              ;   in Loop: Header=BB108_11 Depth=1
	v_readlane_b32 s2, v57, 18
	s_add_u32 s12, s30, s2
	v_readlane_b32 s2, v57, 19
	s_addc_u32 s27, s31, s2
	s_mov_b32 s26, s43
	s_cmp_lg_u64 s[26:27], 0
	s_cbranch_scc0 .LBB108_189
; %bb.130:                              ;   in Loop: Header=BB108_11 Depth=1
	v_cvt_f32_u32_e32 v4, s29
	s_sub_u32 s10, 0, s29
	s_subb_u32 s11, 0, 0
	v_mac_f32_e32 v4, 0, v41
	v_rcp_f32_e32 v4, v4
	v_mul_f32_e32 v4, 0x5f7ffffc, v4
	v_mul_f32_e32 v5, 0x2f800000, v4
	v_trunc_f32_e32 v5, v5
	v_mac_f32_e32 v4, 0xcf800000, v5
	v_cvt_u32_f32_e32 v5, v5
	v_cvt_u32_f32_e32 v4, v4
	v_readfirstlane_b32 s13, v5
	v_readfirstlane_b32 s2, v4
	s_mul_i32 s3, s10, s13
	s_mul_hi_u32 s36, s10, s2
	s_mul_i32 s26, s11, s2
	s_add_i32 s3, s36, s3
	s_mul_i32 s37, s10, s2
	s_add_i32 s3, s3, s26
	s_mul_hi_u32 s36, s2, s37
	s_mul_i32 s38, s2, s3
	s_mul_hi_u32 s26, s2, s3
	s_add_u32 s36, s36, s38
	s_addc_u32 s26, 0, s26
	s_mul_hi_u32 s39, s13, s37
	s_mul_i32 s37, s13, s37
	s_add_u32 s36, s36, s37
	s_mul_hi_u32 s38, s13, s3
	s_addc_u32 s26, s26, s39
	s_addc_u32 s36, s38, 0
	s_mul_i32 s3, s13, s3
	s_add_u32 s3, s26, s3
	s_addc_u32 s26, 0, s36
	s_add_u32 s36, s2, s3
	s_cselect_b64 s[2:3], -1, 0
	s_cmp_lg_u64 s[2:3], 0
	s_addc_u32 s13, s13, s26
	s_mul_i32 s2, s10, s13
	s_mul_hi_u32 s3, s10, s36
	s_add_i32 s2, s3, s2
	s_mul_i32 s11, s11, s36
	s_add_i32 s2, s2, s11
	s_mul_i32 s10, s10, s36
	s_mul_hi_u32 s11, s13, s10
	s_mul_i32 s26, s13, s10
	s_mul_i32 s38, s36, s2
	s_mul_hi_u32 s10, s36, s10
	s_mul_hi_u32 s37, s36, s2
	s_add_u32 s10, s10, s38
	s_addc_u32 s37, 0, s37
	s_add_u32 s10, s10, s26
	s_mul_hi_u32 s3, s13, s2
	s_addc_u32 s10, s37, s11
	s_addc_u32 s3, s3, 0
	s_mul_i32 s2, s13, s2
	s_add_u32 s2, s10, s2
	s_addc_u32 s10, 0, s3
	s_add_u32 s11, s36, s2
	s_cselect_b64 s[2:3], -1, 0
	s_cmp_lg_u64 s[2:3], 0
	s_addc_u32 s2, s13, s10
	s_mul_i32 s10, s12, s2
	s_mul_hi_u32 s13, s12, s11
	s_mul_hi_u32 s3, s12, s2
	s_add_u32 s10, s13, s10
	s_addc_u32 s3, 0, s3
	s_mul_hi_u32 s26, s27, s11
	s_mul_i32 s11, s27, s11
	s_add_u32 s10, s10, s11
	s_mul_hi_u32 s13, s27, s2
	s_addc_u32 s3, s3, s26
	s_addc_u32 s10, s13, 0
	s_mul_i32 s2, s27, s2
	s_add_u32 s2, s3, s2
	s_addc_u32 s3, 0, s10
	s_mul_i32 s3, s29, s3
	s_mul_hi_u32 s10, s29, s2
	s_add_i32 s10, s10, s3
	s_mul_i32 s2, s29, s2
	s_sub_u32 s11, s12, s2
	s_cselect_b64 s[2:3], -1, 0
	s_cmp_lg_u64 s[2:3], 0
	s_subb_u32 s10, s27, s10
	s_sub_u32 s13, s11, s29
	s_cselect_b64 s[2:3], -1, 0
	s_cmp_lg_u64 s[2:3], 0
	s_subb_u32 s26, s10, 0
	;; [unrolled: 4-line block ×3, first 2 shown]
	s_cmp_ge_u32 s13, s29
	s_cselect_b32 s3, -1, 0
	s_cmp_eq_u32 s26, 0
	s_cselect_b32 s3, s3, -1
	s_cmp_lg_u32 s3, 0
	s_cselect_b32 s2, s2, s26
	s_cselect_b32 s13, s36, s13
	s_cmp_ge_u32 s11, s29
	s_cselect_b32 s3, -1, 0
	s_cmp_eq_u32 s10, 0
	s_cselect_b32 s3, s3, -1
	s_cmp_lg_u32 s3, 0
	s_cselect_b32 s3, s2, s10
	s_cselect_b32 s2, s13, s11
	s_cbranch_execnz .LBB108_132
.LBB108_131:                            ;   in Loop: Header=BB108_11 Depth=1
	v_cvt_f32_u32_e32 v4, s29
	s_sub_i32 s2, 0, s29
	v_rcp_iflag_f32_e32 v4, v4
	v_mul_f32_e32 v4, 0x4f7ffffe, v4
	v_cvt_u32_f32_e32 v4, v4
	v_readfirstlane_b32 s3, v4
	s_mul_i32 s2, s2, s3
	s_mul_hi_u32 s2, s3, s2
	s_add_i32 s3, s3, s2
	s_mul_hi_u32 s2, s12, s3
	s_mul_i32 s2, s2, s29
	s_sub_i32 s2, s12, s2
	s_sub_i32 s3, s2, s29
	s_cmp_ge_u32 s2, s29
	s_cselect_b32 s2, s3, s2
	s_sub_i32 s3, s2, s29
	s_cmp_ge_u32 s2, s29
	s_cselect_b32 s42, s3, s2
	s_mov_b64 s[2:3], s[42:43]
.LBB108_132:                            ;   in Loop: Header=BB108_11 Depth=1
	s_sub_u32 s12, s12, s2
	s_subb_u32 s13, s27, s3
	v_cmp_gt_u64_e32 vcc, s[12:13], v[0:1]
	s_mov_b64 s[36:37], 0
	s_mov_b64 s[26:27], 0
                                        ; implicit-def: $vgpr44
	s_and_saveexec_b64 s[38:39], vcc
	s_cbranch_execz .LBB108_146
; %bb.133:                              ;   in Loop: Header=BB108_11 Depth=1
	v_mov_b32_e32 v5, v1
	s_mov_b64 s[10:11], 0
	v_mov_b32_e32 v10, v39
	v_mov_b32_e32 v4, v0
                                        ; implicit-def: $sgpr26_sgpr27
	s_branch .LBB108_136
.LBB108_134:                            ;   in Loop: Header=BB108_136 Depth=2
	s_or_b64 exec, exec, s[2:3]
	s_waitcnt lgkmcnt(0)
	s_barrier
	ds_read_b32 v11, v3 offset:3072
	s_mov_b64 s[2:3], -1
	s_waitcnt lgkmcnt(0)
	s_barrier
	v_cmp_ne_u32_sdwa s[54:55], v11, v3 src0_sel:WORD_0 src1_sel:DWORD
	s_and_b64 vcc, exec, s[54:55]
	s_mov_b64 s[54:55], -1
	s_cbranch_vccz .LBB108_139
.LBB108_135:                            ;   in Loop: Header=BB108_136 Depth=2
	s_and_b64 s[2:3], exec, s[2:3]
	s_or_b64 s[10:11], s[2:3], s[10:11]
	s_andn2_b64 s[2:3], s[26:27], exec
	s_and_b64 s[26:27], s[54:55], exec
	s_or_b64 s[26:27], s[2:3], s[26:27]
	s_andn2_b64 exec, exec, s[10:11]
	s_cbranch_execz .LBB108_145
.LBB108_136:                            ;   Parent Loop BB108_11 Depth=1
                                        ; =>  This Inner Loop Header: Depth=2
	v_cmp_gt_u64_e32 vcc, s[30:31], v[4:5]
	s_and_saveexec_b64 s[2:3], vcc
	s_cbranch_execz .LBB108_134
; %bb.137:                              ;   in Loop: Header=BB108_136 Depth=2
	ds_read_u16 v11, v10
	s_waitcnt lgkmcnt(0)
	v_add_u32_sdwa v24, sext(v11), s28 dst_sel:DWORD dst_unused:UNUSED_PAD src0_sel:WORD_0 src1_sel:DWORD
	v_and_b32_e32 v24, v24, v43
	v_cmp_eq_u32_e32 vcc, v24, v38
	s_and_b64 exec, exec, vcc
	s_cbranch_execz .LBB108_134
; %bb.138:                              ;   in Loop: Header=BB108_136 Depth=2
	v_perm_b32 v11, v11, 1, v42
	ds_write_b32 v3, v11 offset:3072
	s_branch .LBB108_134
.LBB108_139:                            ;   in Loop: Header=BB108_136 Depth=2
	v_add_co_u32_e32 v4, vcc, s29, v4
	v_addc_co_u32_e32 v5, vcc, 0, v5, vcc
	v_cmp_le_u64_e32 vcc, s[12:13], v[4:5]
	v_add_u32_e32 v10, s33, v10
	s_mov_b64 s[54:55], 0
	s_orn2_b64 s[2:3], vcc, exec
	s_branch .LBB108_135
.LBB108_140:                            ;   in Loop: Header=BB108_11 Depth=1
                                        ; implicit-def: $sgpr2_sgpr3
	s_branch .LBB108_88
.LBB108_141:                            ;   in Loop: Header=BB108_11 Depth=1
	s_or_b64 exec, exec, s[20:21]
	s_waitcnt lgkmcnt(0)
	s_barrier
	s_mov_b64 s[2:3], exec
	v_readlane_b32 s6, v57, 0
	v_readlane_b32 s7, v57, 1
	s_and_b64 s[6:7], s[2:3], s[6:7]
	s_mov_b64 exec, s[6:7]
	s_cbranch_execz .LBB108_143
; %bb.142:                              ;   in Loop: Header=BB108_11 Depth=1
	ds_read_b32 v4, v3 offset:5144
	s_waitcnt lgkmcnt(0)
	v_ashrrev_i32_e32 v5, 31, v4
	ds_write_b64 v3, v[4:5] offset:5120
.LBB108_143:                            ;   in Loop: Header=BB108_11 Depth=1
	s_or_b64 exec, exec, s[2:3]
	s_waitcnt lgkmcnt(0)
	s_barrier
	s_mov_b64 s[2:3], -1
	s_and_b64 vcc, exec, s[18:19]
	s_cbranch_vccnz .LBB108_26
	s_branch .LBB108_41
.LBB108_144:                            ;   in Loop: Header=BB108_11 Depth=1
                                        ; implicit-def: $sgpr2_sgpr3
	s_branch .LBB108_102
.LBB108_145:                            ;   in Loop: Header=BB108_11 Depth=1
	s_or_b64 exec, exec, s[10:11]
	v_readlane_b32 s54, v57, 25
	v_lshrrev_b32_e32 v44, 16, v11
	s_and_b64 s[26:27], s[26:27], exec
	v_readlane_b32 s55, v57, 26
.LBB108_146:                            ;   in Loop: Header=BB108_11 Depth=1
	s_or_b64 exec, exec, s[38:39]
.LBB108_147:                            ;   in Loop: Header=BB108_11 Depth=1
	s_and_b64 vcc, exec, s[36:37]
	s_cbranch_vccz .LBB108_161
; %bb.148:                              ;   in Loop: Header=BB108_11 Depth=1
	s_mov_b32 s50, s43
	s_cmp_lg_u64 s[50:51], 0
	s_cbranch_scc0 .LBB108_190
; %bb.149:                              ;   in Loop: Header=BB108_11 Depth=1
	v_cvt_f32_u32_e32 v4, s29
	s_sub_u32 s6, 0, s29
	s_subb_u32 s7, 0, 0
	v_mac_f32_e32 v4, 0, v41
	v_rcp_f32_e32 v4, v4
	v_mul_f32_e32 v4, 0x5f7ffffc, v4
	v_mul_f32_e32 v5, 0x2f800000, v4
	v_trunc_f32_e32 v5, v5
	v_mac_f32_e32 v4, 0xcf800000, v5
	v_cvt_u32_f32_e32 v5, v5
	v_cvt_u32_f32_e32 v4, v4
	v_readfirstlane_b32 s10, v5
	v_readfirstlane_b32 s2, v4
	s_mul_i32 s3, s6, s10
	s_mul_hi_u32 s12, s6, s2
	s_mul_i32 s11, s7, s2
	s_add_i32 s3, s12, s3
	s_mul_i32 s13, s6, s2
	s_add_i32 s3, s3, s11
	s_mul_hi_u32 s12, s2, s13
	s_mul_i32 s30, s2, s3
	s_mul_hi_u32 s11, s2, s3
	s_add_u32 s12, s12, s30
	s_addc_u32 s11, 0, s11
	s_mul_hi_u32 s31, s10, s13
	s_mul_i32 s13, s10, s13
	s_add_u32 s12, s12, s13
	s_mul_hi_u32 s30, s10, s3
	s_addc_u32 s11, s11, s31
	s_addc_u32 s12, s30, 0
	s_mul_i32 s3, s10, s3
	s_add_u32 s3, s11, s3
	s_addc_u32 s11, 0, s12
	s_add_u32 s12, s2, s3
	s_cselect_b64 s[2:3], -1, 0
	s_cmp_lg_u64 s[2:3], 0
	s_addc_u32 s10, s10, s11
	s_mul_i32 s2, s6, s10
	s_mul_hi_u32 s3, s6, s12
	s_add_i32 s2, s3, s2
	s_mul_i32 s7, s7, s12
	s_add_i32 s2, s2, s7
	s_mul_i32 s6, s6, s12
	s_mul_hi_u32 s7, s10, s6
	s_mul_i32 s11, s10, s6
	s_mul_i32 s30, s12, s2
	s_mul_hi_u32 s6, s12, s6
	s_mul_hi_u32 s13, s12, s2
	s_add_u32 s6, s6, s30
	s_addc_u32 s13, 0, s13
	s_add_u32 s6, s6, s11
	s_mul_hi_u32 s3, s10, s2
	s_addc_u32 s6, s13, s7
	s_addc_u32 s3, s3, 0
	s_mul_i32 s2, s10, s2
	s_add_u32 s2, s6, s2
	s_addc_u32 s6, 0, s3
	s_add_u32 s7, s12, s2
	s_cselect_b64 s[2:3], -1, 0
	s_cmp_lg_u64 s[2:3], 0
	s_addc_u32 s2, s10, s6
	s_mul_i32 s6, s8, s2
	s_mul_hi_u32 s10, s8, s7
	s_mul_hi_u32 s3, s8, s2
	s_add_u32 s6, s10, s6
	s_addc_u32 s3, 0, s3
	s_mul_hi_u32 s11, s51, s7
	s_mul_i32 s7, s51, s7
	s_add_u32 s6, s6, s7
	s_mul_hi_u32 s10, s51, s2
	s_addc_u32 s3, s3, s11
	s_addc_u32 s6, s10, 0
	s_mul_i32 s2, s51, s2
	s_add_u32 s2, s3, s2
	s_addc_u32 s3, 0, s6
	s_mul_i32 s3, s29, s3
	s_mul_hi_u32 s6, s29, s2
	s_add_i32 s6, s6, s3
	s_mul_i32 s2, s29, s2
	s_sub_u32 s7, s8, s2
	s_cselect_b64 s[2:3], -1, 0
	s_cmp_lg_u64 s[2:3], 0
	s_subb_u32 s6, s51, s6
	s_sub_u32 s10, s7, s29
	s_cselect_b64 s[2:3], -1, 0
	s_cmp_lg_u64 s[2:3], 0
	s_subb_u32 s11, s6, 0
	;; [unrolled: 4-line block ×3, first 2 shown]
	s_cmp_ge_u32 s10, s29
	s_cselect_b32 s3, -1, 0
	s_cmp_eq_u32 s11, 0
	s_cselect_b32 s3, s3, -1
	s_cmp_lg_u32 s3, 0
	s_cselect_b32 s2, s2, s11
	s_cselect_b32 s10, s12, s10
	s_cmp_ge_u32 s7, s29
	s_cselect_b32 s3, -1, 0
	s_cmp_eq_u32 s6, 0
	s_cselect_b32 s3, s3, -1
	s_cmp_lg_u32 s3, 0
	s_cselect_b32 s3, s2, s6
	s_cselect_b32 s2, s10, s7
	s_cbranch_execnz .LBB108_151
.LBB108_150:                            ;   in Loop: Header=BB108_11 Depth=1
	v_cvt_f32_u32_e32 v4, s29
	s_sub_i32 s2, 0, s29
	v_rcp_iflag_f32_e32 v4, v4
	v_mul_f32_e32 v4, 0x4f7ffffe, v4
	v_cvt_u32_f32_e32 v4, v4
	v_readfirstlane_b32 s3, v4
	s_mul_i32 s2, s2, s3
	s_mul_hi_u32 s2, s3, s2
	s_add_i32 s3, s3, s2
	s_mul_hi_u32 s2, s8, s3
	s_mul_i32 s2, s2, s29
	s_sub_i32 s2, s8, s2
	s_sub_i32 s3, s2, s29
	s_cmp_ge_u32 s2, s29
	s_cselect_b32 s2, s3, s2
	s_sub_i32 s3, s2, s29
	s_cmp_ge_u32 s2, s29
	s_cselect_b32 s42, s3, s2
	s_mov_b64 s[2:3], s[42:43]
.LBB108_151:                            ;   in Loop: Header=BB108_11 Depth=1
	s_sub_u32 s30, s8, s2
	s_subb_u32 s31, s51, s3
	v_cmp_gt_u64_e32 vcc, s[30:31], v[0:1]
                                        ; implicit-def: $vgpr44
	s_and_saveexec_b64 s[6:7], vcc
	s_cbranch_execz .LBB108_160
; %bb.152:                              ;   in Loop: Header=BB108_11 Depth=1
	v_mov_b32_e32 v4, v12
	v_mov_b32_e32 v11, v1
	s_mov_b64 s[10:11], 0
	v_mov_b32_e32 v5, v13
	v_mov_b32_e32 v10, v0
                                        ; implicit-def: $sgpr12_sgpr13
	s_branch .LBB108_155
.LBB108_153:                            ;   in Loop: Header=BB108_155 Depth=2
	s_or_b64 exec, exec, s[2:3]
	s_waitcnt lgkmcnt(0)
	s_barrier
	ds_read_b32 v24, v3 offset:3072
	s_mov_b64 s[2:3], -1
	s_waitcnt lgkmcnt(0)
	s_barrier
	v_cmp_eq_u32_sdwa s[36:37], v24, v3 src0_sel:WORD_0 src1_sel:DWORD
	s_and_b64 vcc, exec, s[36:37]
	s_mov_b64 s[36:37], -1
	s_cbranch_vccnz .LBB108_158
.LBB108_154:                            ;   in Loop: Header=BB108_155 Depth=2
	s_and_b64 s[2:3], exec, s[2:3]
	s_or_b64 s[10:11], s[2:3], s[10:11]
	s_andn2_b64 s[2:3], s[12:13], exec
	s_and_b64 s[12:13], s[36:37], exec
	s_or_b64 s[12:13], s[2:3], s[12:13]
	s_andn2_b64 exec, exec, s[10:11]
	s_cbranch_execz .LBB108_159
.LBB108_155:                            ;   Parent Loop BB108_11 Depth=1
                                        ; =>  This Inner Loop Header: Depth=2
	v_cmp_gt_u64_e32 vcc, s[24:25], v[10:11]
	s_and_saveexec_b64 s[2:3], vcc
	s_cbranch_execz .LBB108_153
; %bb.156:                              ;   in Loop: Header=BB108_155 Depth=2
	global_load_ushort v24, v[4:5], off
	s_waitcnt vmcnt(0)
	v_add_u32_sdwa v25, sext(v24), s28 dst_sel:DWORD dst_unused:UNUSED_PAD src0_sel:WORD_0 src1_sel:DWORD
	v_and_b32_e32 v25, v25, v43
	v_cmp_eq_u32_e32 vcc, v25, v38
	s_and_b64 exec, exec, vcc
	s_cbranch_execz .LBB108_153
; %bb.157:                              ;   in Loop: Header=BB108_155 Depth=2
	v_perm_b32 v24, v24, 1, v42
	ds_write_b32 v3, v24 offset:3072
	s_branch .LBB108_153
.LBB108_158:                            ;   in Loop: Header=BB108_155 Depth=2
	v_add_co_u32_e32 v10, vcc, s29, v10
	v_addc_co_u32_e32 v11, vcc, 0, v11, vcc
	v_mov_b32_e32 v25, s47
	v_add_co_u32_e32 v4, vcc, s46, v4
	v_addc_co_u32_e32 v5, vcc, v5, v25, vcc
	v_cmp_le_u64_e32 vcc, s[30:31], v[10:11]
	s_mov_b64 s[36:37], 0
	s_orn2_b64 s[2:3], vcc, exec
	s_branch .LBB108_154
.LBB108_159:                            ;   in Loop: Header=BB108_11 Depth=1
	s_or_b64 exec, exec, s[10:11]
	s_andn2_b64 s[2:3], s[26:27], exec
	s_and_b64 s[10:11], s[12:13], exec
	v_lshrrev_b32_e32 v44, 16, v24
	s_or_b64 s[26:27], s[2:3], s[10:11]
.LBB108_160:                            ;   in Loop: Header=BB108_11 Depth=1
	s_or_b64 exec, exec, s[6:7]
	s_mov_b64 s[6:7], 0
	s_mov_b64 s[78:79], -1
.LBB108_161:                            ;   in Loop: Header=BB108_11 Depth=1
	s_orn2_b64 s[2:3], s[26:27], exec
.LBB108_162:                            ;   in Loop: Header=BB108_11 Depth=1
	s_or_b64 exec, exec, s[80:81]
	s_mov_b64 s[10:11], 0
	s_and_saveexec_b64 s[80:81], s[2:3]
	s_cbranch_execz .LBB108_268
; %bb.163:                              ;   in Loop: Header=BB108_11 Depth=1
	v_mov_b32_e32 v4, 1
	s_xor_b64 s[2:3], s[82:83], -1
	v_mov_b32_e32 v2, 1
	v_mov_b32_e32 v5, 0
	s_and_saveexec_b64 s[26:27], s[2:3]
	s_cbranch_execz .LBB108_173
; %bb.164:                              ;   in Loop: Header=BB108_11 Depth=1
	v_cmp_le_u64_e32 vcc, v[8:9], v[6:7]
	s_and_saveexec_b64 s[2:3], vcc
	s_xor_b64 s[2:3], exec, s[2:3]
	s_cbranch_execz .LBB108_170
; %bb.165:                              ;   in Loop: Header=BB108_11 Depth=1
	ds_read_b64 v[4:5], v3 offset:5120
	v_and_b32_e32 v2, s49, v38
	v_lshl_or_b32 v38, 1, s92, v2
	v_or_b32_e32 v43, s48, v43
	s_waitcnt lgkmcnt(0)
	v_cmp_ne_u64_e32 vcc, 0, v[4:5]
	s_cbranch_vccnz .LBB108_169
; %bb.166:                              ;   in Loop: Header=BB108_11 Depth=1
	s_mov_b64 s[10:11], exec
	v_readlane_b32 s12, v57, 0
	v_readlane_b32 s13, v57, 1
	s_and_b64 s[12:13], s[10:11], s[12:13]
	s_mov_b64 exec, s[12:13]
; %bb.167:                              ;   in Loop: Header=BB108_11 Depth=1
	ds_write_b64 v3, v[6:7] offset:5128
; %bb.168:                              ;   in Loop: Header=BB108_11 Depth=1
	s_or_b64 exec, exec, s[10:11]
	s_waitcnt lgkmcnt(0)
	s_barrier
.LBB108_169:                            ;   in Loop: Header=BB108_11 Depth=1
                                        ; implicit-def: $vgpr4_vgpr5_vgpr6_vgpr7
.LBB108_170:                            ;   in Loop: Header=BB108_11 Depth=1
	s_or_saveexec_b64 s[2:3], s[2:3]
	s_mov_b64 s[10:11], 0
	v_mov_b32_e32 v2, 8
	s_xor_b64 exec, exec, s[2:3]
; %bb.171:                              ;   in Loop: Header=BB108_11 Depth=1
	v_sub_co_u32_e32 v8, vcc, v8, v6
	v_subb_co_u32_e32 v9, vcc, v9, v7, vcc
	v_mov_b32_e32 v2, 0
	s_mov_b64 s[10:11], exec
; %bb.172:                              ;   in Loop: Header=BB108_11 Depth=1
	s_or_b64 exec, exec, s[2:3]
	v_mov_b32_e32 v4, v8
	s_and_b64 s[10:11], s[10:11], exec
	v_mov_b32_e32 v5, v9
.LBB108_173:                            ;   in Loop: Header=BB108_11 Depth=1
	s_or_b64 exec, exec, s[26:27]
	s_mov_b64 s[2:3], -1
                                        ; implicit-def: $sgpr84_sgpr85
                                        ; implicit-def: $sgpr86_sgpr87
	s_and_saveexec_b64 s[82:83], s[10:11]
	s_cbranch_execz .LBB108_267
; %bb.174:                              ;   in Loop: Header=BB108_11 Depth=1
	s_cmp_eq_u64 s[76:77], 1
	v_cmp_eq_u64_e32 vcc, 1, v[4:5]
	s_cselect_b64 s[2:3], -1, 0
	s_and_b64 s[90:91], s[2:3], vcc
	s_mov_b64 s[2:3], -1
                                        ; implicit-def: $sgpr86_sgpr87
                                        ; implicit-def: $sgpr84_sgpr85
	s_and_saveexec_b64 s[88:89], s[90:91]
	s_cbranch_execz .LBB108_208
; %bb.175:                              ;   in Loop: Header=BB108_11 Depth=1
	ds_read_b64 v[6:7], v3 offset:5120
	s_waitcnt lgkmcnt(0)
	s_barrier
	v_readfirstlane_b32 s30, v6
	v_readfirstlane_b32 s31, v7
	s_and_saveexec_b64 s[2:3], s[16:17]
; %bb.176:                              ;   in Loop: Header=BB108_11 Depth=1
	ds_write_b16 v40, v3
; %bb.177:                              ;   in Loop: Header=BB108_11 Depth=1
	s_or_b64 exec, exec, s[2:3]
	v_and_b32_e32 v6, s49, v38
	v_lshl_or_b32 v38, 2, s92, v6
	v_or_b32_e32 v43, s48, v43
	s_mov_b64 s[84:85], -1
	s_mov_b64 s[86:87], 0
	s_cmp_eq_u64 s[30:31], 0
	s_mov_b64 s[26:27], 0
	s_mov_b64 s[36:37], -1
	s_waitcnt lgkmcnt(0)
	s_barrier
                                        ; implicit-def: $vgpr44
	s_cbranch_scc1 .LBB108_193
; %bb.178:                              ;   in Loop: Header=BB108_11 Depth=1
	v_readlane_b32 s2, v57, 18
	s_add_u32 s12, s30, s2
	v_readlane_b32 s2, v57, 19
	s_addc_u32 s27, s31, s2
	s_mov_b32 s26, s43
	s_cmp_lg_u64 s[26:27], 0
	s_cbranch_scc0 .LBB108_234
; %bb.179:                              ;   in Loop: Header=BB108_11 Depth=1
	v_cvt_f32_u32_e32 v6, s29
	s_sub_u32 s10, 0, s29
	s_subb_u32 s11, 0, 0
	v_mac_f32_e32 v6, 0, v41
	v_rcp_f32_e32 v6, v6
	v_mul_f32_e32 v6, 0x5f7ffffc, v6
	v_mul_f32_e32 v7, 0x2f800000, v6
	v_trunc_f32_e32 v7, v7
	v_mac_f32_e32 v6, 0xcf800000, v7
	v_cvt_u32_f32_e32 v7, v7
	v_cvt_u32_f32_e32 v6, v6
	v_readfirstlane_b32 s13, v7
	v_readfirstlane_b32 s2, v6
	s_mul_i32 s3, s10, s13
	s_mul_hi_u32 s36, s10, s2
	s_mul_i32 s26, s11, s2
	s_add_i32 s3, s36, s3
	s_mul_i32 s37, s10, s2
	s_add_i32 s3, s3, s26
	s_mul_hi_u32 s36, s2, s37
	s_mul_i32 s38, s2, s3
	s_mul_hi_u32 s26, s2, s3
	s_add_u32 s36, s36, s38
	s_addc_u32 s26, 0, s26
	s_mul_hi_u32 s39, s13, s37
	s_mul_i32 s37, s13, s37
	s_add_u32 s36, s36, s37
	s_mul_hi_u32 s38, s13, s3
	s_addc_u32 s26, s26, s39
	s_addc_u32 s36, s38, 0
	s_mul_i32 s3, s13, s3
	s_add_u32 s3, s26, s3
	s_addc_u32 s26, 0, s36
	s_add_u32 s36, s2, s3
	s_cselect_b64 s[2:3], -1, 0
	s_cmp_lg_u64 s[2:3], 0
	s_addc_u32 s13, s13, s26
	s_mul_i32 s2, s10, s13
	s_mul_hi_u32 s3, s10, s36
	s_add_i32 s2, s3, s2
	s_mul_i32 s11, s11, s36
	s_add_i32 s2, s2, s11
	s_mul_i32 s10, s10, s36
	s_mul_hi_u32 s11, s13, s10
	s_mul_i32 s26, s13, s10
	s_mul_i32 s38, s36, s2
	s_mul_hi_u32 s10, s36, s10
	s_mul_hi_u32 s37, s36, s2
	s_add_u32 s10, s10, s38
	s_addc_u32 s37, 0, s37
	s_add_u32 s10, s10, s26
	s_mul_hi_u32 s3, s13, s2
	s_addc_u32 s10, s37, s11
	s_addc_u32 s3, s3, 0
	s_mul_i32 s2, s13, s2
	s_add_u32 s2, s10, s2
	s_addc_u32 s10, 0, s3
	s_add_u32 s11, s36, s2
	s_cselect_b64 s[2:3], -1, 0
	s_cmp_lg_u64 s[2:3], 0
	s_addc_u32 s2, s13, s10
	s_mul_i32 s10, s12, s2
	s_mul_hi_u32 s13, s12, s11
	s_mul_hi_u32 s3, s12, s2
	s_add_u32 s10, s13, s10
	s_addc_u32 s3, 0, s3
	s_mul_hi_u32 s26, s27, s11
	s_mul_i32 s11, s27, s11
	s_add_u32 s10, s10, s11
	s_mul_hi_u32 s13, s27, s2
	s_addc_u32 s3, s3, s26
	s_addc_u32 s10, s13, 0
	s_mul_i32 s2, s27, s2
	s_add_u32 s2, s3, s2
	s_addc_u32 s3, 0, s10
	s_mul_i32 s3, s29, s3
	s_mul_hi_u32 s10, s29, s2
	s_add_i32 s10, s10, s3
	s_mul_i32 s2, s29, s2
	s_sub_u32 s11, s12, s2
	s_cselect_b64 s[2:3], -1, 0
	s_cmp_lg_u64 s[2:3], 0
	s_subb_u32 s10, s27, s10
	s_sub_u32 s13, s11, s29
	s_cselect_b64 s[2:3], -1, 0
	s_cmp_lg_u64 s[2:3], 0
	s_subb_u32 s26, s10, 0
	;; [unrolled: 4-line block ×3, first 2 shown]
	s_cmp_ge_u32 s13, s29
	s_cselect_b32 s3, -1, 0
	s_cmp_eq_u32 s26, 0
	s_cselect_b32 s3, s3, -1
	s_cmp_lg_u32 s3, 0
	s_cselect_b32 s2, s2, s26
	s_cselect_b32 s13, s36, s13
	s_cmp_ge_u32 s11, s29
	s_cselect_b32 s3, -1, 0
	s_cmp_eq_u32 s10, 0
	s_cselect_b32 s3, s3, -1
	s_cmp_lg_u32 s3, 0
	s_cselect_b32 s3, s2, s10
	s_cselect_b32 s2, s13, s11
	s_cbranch_execnz .LBB108_181
.LBB108_180:                            ;   in Loop: Header=BB108_11 Depth=1
	v_cvt_f32_u32_e32 v6, s29
	s_sub_i32 s2, 0, s29
	v_rcp_iflag_f32_e32 v6, v6
	v_mul_f32_e32 v6, 0x4f7ffffe, v6
	v_cvt_u32_f32_e32 v6, v6
	v_readfirstlane_b32 s3, v6
	s_mul_i32 s2, s2, s3
	s_mul_hi_u32 s2, s3, s2
	s_add_i32 s3, s3, s2
	s_mul_hi_u32 s2, s12, s3
	s_mul_i32 s2, s2, s29
	s_sub_i32 s2, s12, s2
	s_sub_i32 s3, s2, s29
	s_cmp_ge_u32 s2, s29
	s_cselect_b32 s2, s3, s2
	s_sub_i32 s3, s2, s29
	s_cmp_ge_u32 s2, s29
	s_cselect_b32 s42, s3, s2
	s_mov_b64 s[2:3], s[42:43]
.LBB108_181:                            ;   in Loop: Header=BB108_11 Depth=1
	s_sub_u32 s12, s12, s2
	s_subb_u32 s13, s27, s3
	v_cmp_gt_u64_e32 vcc, s[12:13], v[0:1]
	s_mov_b64 s[36:37], 0
	s_mov_b64 s[26:27], 0
                                        ; implicit-def: $vgpr44
	s_and_saveexec_b64 s[38:39], vcc
	s_cbranch_execz .LBB108_192
; %bb.182:                              ;   in Loop: Header=BB108_11 Depth=1
	v_mov_b32_e32 v7, v1
	s_mov_b64 s[10:11], 0
	v_mov_b32_e32 v8, v39
	v_mov_b32_e32 v6, v0
                                        ; implicit-def: $sgpr26_sgpr27
	s_branch .LBB108_185
.LBB108_183:                            ;   in Loop: Header=BB108_185 Depth=2
	s_or_b64 exec, exec, s[2:3]
	s_waitcnt lgkmcnt(0)
	s_barrier
	ds_read_b32 v9, v3 offset:3072
	s_mov_b64 s[2:3], -1
	s_waitcnt lgkmcnt(0)
	s_barrier
	v_cmp_ne_u32_sdwa s[54:55], v9, v3 src0_sel:WORD_0 src1_sel:DWORD
	s_and_b64 vcc, exec, s[54:55]
	s_mov_b64 s[54:55], -1
	s_cbranch_vccz .LBB108_188
.LBB108_184:                            ;   in Loop: Header=BB108_185 Depth=2
	s_and_b64 s[2:3], exec, s[2:3]
	s_or_b64 s[10:11], s[2:3], s[10:11]
	s_andn2_b64 s[2:3], s[26:27], exec
	s_and_b64 s[26:27], s[54:55], exec
	s_or_b64 s[26:27], s[2:3], s[26:27]
	s_andn2_b64 exec, exec, s[10:11]
	s_cbranch_execz .LBB108_191
.LBB108_185:                            ;   Parent Loop BB108_11 Depth=1
                                        ; =>  This Inner Loop Header: Depth=2
	v_cmp_gt_u64_e32 vcc, s[30:31], v[6:7]
	s_and_saveexec_b64 s[2:3], vcc
	s_cbranch_execz .LBB108_183
; %bb.186:                              ;   in Loop: Header=BB108_185 Depth=2
	ds_read_u16 v9, v8
	s_waitcnt lgkmcnt(0)
	v_add_u32_sdwa v10, sext(v9), s28 dst_sel:DWORD dst_unused:UNUSED_PAD src0_sel:WORD_0 src1_sel:DWORD
	v_and_b32_e32 v10, v10, v43
	v_cmp_eq_u32_e32 vcc, v10, v38
	s_and_b64 exec, exec, vcc
	s_cbranch_execz .LBB108_183
; %bb.187:                              ;   in Loop: Header=BB108_185 Depth=2
	v_perm_b32 v9, v9, 1, v42
	ds_write_b32 v3, v9 offset:3072
	s_branch .LBB108_183
.LBB108_188:                            ;   in Loop: Header=BB108_185 Depth=2
	v_add_co_u32_e32 v6, vcc, s29, v6
	v_addc_co_u32_e32 v7, vcc, 0, v7, vcc
	v_cmp_le_u64_e32 vcc, s[12:13], v[6:7]
	v_add_u32_e32 v8, s33, v8
	s_mov_b64 s[54:55], 0
	s_orn2_b64 s[2:3], vcc, exec
	s_branch .LBB108_184
.LBB108_189:                            ;   in Loop: Header=BB108_11 Depth=1
                                        ; implicit-def: $sgpr2_sgpr3
	s_branch .LBB108_131
.LBB108_190:                            ;   in Loop: Header=BB108_11 Depth=1
                                        ; implicit-def: $sgpr2_sgpr3
	s_branch .LBB108_150
.LBB108_191:                            ;   in Loop: Header=BB108_11 Depth=1
	s_or_b64 exec, exec, s[10:11]
	v_readlane_b32 s54, v57, 25
	v_lshrrev_b32_e32 v44, 16, v9
	s_and_b64 s[26:27], s[26:27], exec
	v_readlane_b32 s55, v57, 26
.LBB108_192:                            ;   in Loop: Header=BB108_11 Depth=1
	s_or_b64 exec, exec, s[38:39]
.LBB108_193:                            ;   in Loop: Header=BB108_11 Depth=1
	s_and_b64 vcc, exec, s[36:37]
	s_cbranch_vccz .LBB108_207
; %bb.194:                              ;   in Loop: Header=BB108_11 Depth=1
	s_mov_b32 s50, s43
	s_cmp_lg_u64 s[50:51], 0
	s_cbranch_scc0 .LBB108_235
; %bb.195:                              ;   in Loop: Header=BB108_11 Depth=1
	v_cvt_f32_u32_e32 v6, s29
	s_sub_u32 s10, 0, s29
	s_subb_u32 s11, 0, 0
	v_mac_f32_e32 v6, 0, v41
	v_rcp_f32_e32 v6, v6
	v_mul_f32_e32 v6, 0x5f7ffffc, v6
	v_mul_f32_e32 v7, 0x2f800000, v6
	v_trunc_f32_e32 v7, v7
	v_mac_f32_e32 v6, 0xcf800000, v7
	v_cvt_u32_f32_e32 v7, v7
	v_cvt_u32_f32_e32 v6, v6
	v_readfirstlane_b32 s12, v7
	v_readfirstlane_b32 s2, v6
	s_mul_i32 s3, s10, s12
	s_mul_hi_u32 s30, s10, s2
	s_mul_i32 s13, s11, s2
	s_add_i32 s3, s30, s3
	s_mul_i32 s31, s10, s2
	s_add_i32 s3, s3, s13
	s_mul_hi_u32 s30, s2, s31
	s_mul_i32 s36, s2, s3
	s_mul_hi_u32 s13, s2, s3
	s_add_u32 s30, s30, s36
	s_addc_u32 s13, 0, s13
	s_mul_hi_u32 s37, s12, s31
	s_mul_i32 s31, s12, s31
	s_add_u32 s30, s30, s31
	s_mul_hi_u32 s36, s12, s3
	s_addc_u32 s13, s13, s37
	s_addc_u32 s30, s36, 0
	s_mul_i32 s3, s12, s3
	s_add_u32 s3, s13, s3
	s_addc_u32 s13, 0, s30
	s_add_u32 s30, s2, s3
	s_cselect_b64 s[2:3], -1, 0
	s_cmp_lg_u64 s[2:3], 0
	s_addc_u32 s12, s12, s13
	s_mul_i32 s2, s10, s12
	s_mul_hi_u32 s3, s10, s30
	s_add_i32 s2, s3, s2
	s_mul_i32 s11, s11, s30
	s_add_i32 s2, s2, s11
	s_mul_i32 s10, s10, s30
	s_mul_hi_u32 s11, s12, s10
	s_mul_i32 s13, s12, s10
	s_mul_i32 s36, s30, s2
	s_mul_hi_u32 s10, s30, s10
	s_mul_hi_u32 s31, s30, s2
	s_add_u32 s10, s10, s36
	s_addc_u32 s31, 0, s31
	s_add_u32 s10, s10, s13
	s_mul_hi_u32 s3, s12, s2
	s_addc_u32 s10, s31, s11
	s_addc_u32 s3, s3, 0
	s_mul_i32 s2, s12, s2
	s_add_u32 s2, s10, s2
	s_addc_u32 s10, 0, s3
	s_add_u32 s11, s30, s2
	s_cselect_b64 s[2:3], -1, 0
	s_cmp_lg_u64 s[2:3], 0
	s_addc_u32 s2, s12, s10
	s_mul_i32 s10, s8, s2
	s_mul_hi_u32 s12, s8, s11
	s_mul_hi_u32 s3, s8, s2
	s_add_u32 s10, s12, s10
	s_addc_u32 s3, 0, s3
	s_mul_hi_u32 s13, s51, s11
	s_mul_i32 s11, s51, s11
	s_add_u32 s10, s10, s11
	s_mul_hi_u32 s12, s51, s2
	s_addc_u32 s3, s3, s13
	s_addc_u32 s10, s12, 0
	s_mul_i32 s2, s51, s2
	s_add_u32 s2, s3, s2
	s_addc_u32 s3, 0, s10
	s_mul_i32 s3, s29, s3
	s_mul_hi_u32 s10, s29, s2
	s_add_i32 s10, s10, s3
	s_mul_i32 s2, s29, s2
	s_sub_u32 s11, s8, s2
	s_cselect_b64 s[2:3], -1, 0
	s_cmp_lg_u64 s[2:3], 0
	s_subb_u32 s10, s51, s10
	s_sub_u32 s12, s11, s29
	s_cselect_b64 s[2:3], -1, 0
	s_cmp_lg_u64 s[2:3], 0
	s_subb_u32 s13, s10, 0
	;; [unrolled: 4-line block ×3, first 2 shown]
	s_cmp_ge_u32 s12, s29
	s_cselect_b32 s3, -1, 0
	s_cmp_eq_u32 s13, 0
	s_cselect_b32 s3, s3, -1
	s_cmp_lg_u32 s3, 0
	s_cselect_b32 s2, s2, s13
	s_cselect_b32 s12, s30, s12
	s_cmp_ge_u32 s11, s29
	s_cselect_b32 s3, -1, 0
	s_cmp_eq_u32 s10, 0
	s_cselect_b32 s3, s3, -1
	s_cmp_lg_u32 s3, 0
	s_cselect_b32 s3, s2, s10
	s_cselect_b32 s2, s12, s11
	s_cbranch_execnz .LBB108_197
.LBB108_196:                            ;   in Loop: Header=BB108_11 Depth=1
	v_cvt_f32_u32_e32 v6, s29
	s_sub_i32 s2, 0, s29
	v_rcp_iflag_f32_e32 v6, v6
	v_mul_f32_e32 v6, 0x4f7ffffe, v6
	v_cvt_u32_f32_e32 v6, v6
	v_readfirstlane_b32 s3, v6
	s_mul_i32 s2, s2, s3
	s_mul_hi_u32 s2, s3, s2
	s_add_i32 s3, s3, s2
	s_mul_hi_u32 s2, s8, s3
	s_mul_i32 s2, s2, s29
	s_sub_i32 s2, s8, s2
	s_sub_i32 s3, s2, s29
	s_cmp_ge_u32 s2, s29
	s_cselect_b32 s2, s3, s2
	s_sub_i32 s3, s2, s29
	s_cmp_ge_u32 s2, s29
	s_cselect_b32 s42, s3, s2
	s_mov_b64 s[2:3], s[42:43]
.LBB108_197:                            ;   in Loop: Header=BB108_11 Depth=1
	s_sub_u32 s36, s8, s2
	s_subb_u32 s37, s51, s3
	v_cmp_gt_u64_e32 vcc, s[36:37], v[0:1]
                                        ; implicit-def: $vgpr44
	s_and_saveexec_b64 s[30:31], vcc
	s_cbranch_execz .LBB108_206
; %bb.198:                              ;   in Loop: Header=BB108_11 Depth=1
	v_mov_b32_e32 v6, v12
	v_mov_b32_e32 v9, v1
	s_mov_b64 s[10:11], 0
	v_mov_b32_e32 v7, v13
	v_mov_b32_e32 v8, v0
                                        ; implicit-def: $sgpr12_sgpr13
	s_branch .LBB108_201
.LBB108_199:                            ;   in Loop: Header=BB108_201 Depth=2
	s_or_b64 exec, exec, s[2:3]
	s_waitcnt lgkmcnt(0)
	s_barrier
	ds_read_b32 v10, v3 offset:3072
	s_mov_b64 s[2:3], -1
	s_waitcnt lgkmcnt(0)
	s_barrier
	v_cmp_eq_u32_sdwa s[38:39], v10, v3 src0_sel:WORD_0 src1_sel:DWORD
	s_and_b64 vcc, exec, s[38:39]
	s_mov_b64 s[38:39], -1
	s_cbranch_vccnz .LBB108_204
.LBB108_200:                            ;   in Loop: Header=BB108_201 Depth=2
	s_and_b64 s[2:3], exec, s[2:3]
	s_or_b64 s[10:11], s[2:3], s[10:11]
	s_andn2_b64 s[2:3], s[12:13], exec
	s_and_b64 s[12:13], s[38:39], exec
	s_or_b64 s[12:13], s[2:3], s[12:13]
	s_andn2_b64 exec, exec, s[10:11]
	s_cbranch_execz .LBB108_205
.LBB108_201:                            ;   Parent Loop BB108_11 Depth=1
                                        ; =>  This Inner Loop Header: Depth=2
	v_cmp_gt_u64_e32 vcc, s[24:25], v[8:9]
	s_and_saveexec_b64 s[2:3], vcc
	s_cbranch_execz .LBB108_199
; %bb.202:                              ;   in Loop: Header=BB108_201 Depth=2
	global_load_ushort v10, v[6:7], off
	s_waitcnt vmcnt(0)
	v_add_u32_sdwa v11, sext(v10), s28 dst_sel:DWORD dst_unused:UNUSED_PAD src0_sel:WORD_0 src1_sel:DWORD
	v_and_b32_e32 v11, v11, v43
	v_cmp_eq_u32_e32 vcc, v11, v38
	s_and_b64 exec, exec, vcc
	s_cbranch_execz .LBB108_199
; %bb.203:                              ;   in Loop: Header=BB108_201 Depth=2
	v_perm_b32 v10, v10, 1, v42
	ds_write_b32 v3, v10 offset:3072
	s_branch .LBB108_199
.LBB108_204:                            ;   in Loop: Header=BB108_201 Depth=2
	v_add_co_u32_e32 v8, vcc, s29, v8
	v_addc_co_u32_e32 v9, vcc, 0, v9, vcc
	v_mov_b32_e32 v11, s47
	v_add_co_u32_e32 v6, vcc, s46, v6
	v_addc_co_u32_e32 v7, vcc, v7, v11, vcc
	v_cmp_le_u64_e32 vcc, s[36:37], v[8:9]
	s_mov_b64 s[38:39], 0
	s_orn2_b64 s[2:3], vcc, exec
	s_branch .LBB108_200
.LBB108_205:                            ;   in Loop: Header=BB108_11 Depth=1
	s_or_b64 exec, exec, s[10:11]
	s_andn2_b64 s[2:3], s[26:27], exec
	s_and_b64 s[10:11], s[12:13], exec
	v_lshrrev_b32_e32 v44, 16, v10
	s_or_b64 s[26:27], s[2:3], s[10:11]
.LBB108_206:                            ;   in Loop: Header=BB108_11 Depth=1
	s_or_b64 exec, exec, s[30:31]
	s_mov_b64 s[84:85], 0
	s_mov_b64 s[86:87], -1
.LBB108_207:                            ;   in Loop: Header=BB108_11 Depth=1
	s_orn2_b64 s[2:3], s[26:27], exec
.LBB108_208:                            ;   in Loop: Header=BB108_11 Depth=1
	s_or_b64 exec, exec, s[88:89]
	s_mov_b64 s[10:11], 0
	s_and_saveexec_b64 s[88:89], s[2:3]
	s_cbranch_execz .LBB108_266
; %bb.209:                              ;   in Loop: Header=BB108_11 Depth=1
	v_mov_b32_e32 v6, 1
	s_xor_b64 s[2:3], s[90:91], -1
	v_mov_b32_e32 v2, 1
	v_mov_b32_e32 v7, 0
	s_and_saveexec_b64 s[26:27], s[2:3]
	s_cbranch_execz .LBB108_218
; %bb.210:                              ;   in Loop: Header=BB108_11 Depth=1
	v_cmp_ge_u64_e32 vcc, s[76:77], v[4:5]
	s_and_saveexec_b64 s[2:3], vcc
	s_xor_b64 s[2:3], exec, s[2:3]
	s_cbranch_execz .LBB108_215
; %bb.211:                              ;   in Loop: Header=BB108_11 Depth=1
	ds_read_b64 v[6:7], v3 offset:5120
	v_and_b32_e32 v2, s49, v38
	v_lshl_or_b32 v38, 2, s92, v2
	v_or_b32_e32 v43, s48, v43
	s_waitcnt lgkmcnt(0)
	v_cmp_ne_u64_e32 vcc, 0, v[6:7]
	s_cbranch_vccnz .LBB108_215
; %bb.212:                              ;   in Loop: Header=BB108_11 Depth=1
	s_mov_b64 s[10:11], exec
	v_readlane_b32 s12, v57, 0
	v_readlane_b32 s13, v57, 1
	s_and_b64 s[12:13], s[10:11], s[12:13]
	s_mov_b64 exec, s[12:13]
; %bb.213:                              ;   in Loop: Header=BB108_11 Depth=1
	v_mov_b32_e32 v6, s76
	v_mov_b32_e32 v7, s77
	ds_write_b64 v3, v[6:7] offset:5128
; %bb.214:                              ;   in Loop: Header=BB108_11 Depth=1
	s_or_b64 exec, exec, s[10:11]
	s_waitcnt lgkmcnt(0)
	s_barrier
.LBB108_215:                            ;   in Loop: Header=BB108_11 Depth=1
	s_or_saveexec_b64 s[2:3], s[2:3]
	s_mov_b64 s[10:11], 0
	v_mov_b32_e32 v2, 8
	s_xor_b64 exec, exec, s[2:3]
; %bb.216:                              ;   in Loop: Header=BB108_11 Depth=1
	v_subrev_co_u32_e32 v4, vcc, s76, v4
	v_mov_b32_e32 v2, s77
	v_subb_co_u32_e32 v5, vcc, v5, v2, vcc
	v_mov_b32_e32 v2, 0
	s_mov_b64 s[10:11], exec
; %bb.217:                              ;   in Loop: Header=BB108_11 Depth=1
	s_or_b64 exec, exec, s[2:3]
	v_mov_b32_e32 v7, v5
	s_and_b64 s[10:11], s[10:11], exec
	v_mov_b32_e32 v6, v4
.LBB108_218:                            ;   in Loop: Header=BB108_11 Depth=1
	s_or_b64 exec, exec, s[26:27]
	s_mov_b64 s[2:3], -1
                                        ; implicit-def: $sgpr26_sgpr27
                                        ; implicit-def: $sgpr94_sgpr95
	s_and_saveexec_b64 s[76:77], s[10:11]
	s_cbranch_execz .LBB108_265
; %bb.219:                              ;   in Loop: Header=BB108_11 Depth=1
	s_cmp_eq_u64 s[14:15], 1
	v_cmp_eq_u64_e32 vcc, 1, v[6:7]
	s_cselect_b64 s[2:3], -1, 0
	s_and_b64 s[10:11], s[2:3], vcc
	s_mov_b64 s[2:3], -1
                                        ; implicit-def: $sgpr26_sgpr27
                                        ; implicit-def: $sgpr94_sgpr95
	s_mov_b64 s[90:91], exec
	v_writelane_b32 v57, s10, 27
	v_writelane_b32 v57, s11, 28
	s_and_b64 s[10:11], s[90:91], s[10:11]
	s_mov_b64 exec, s[10:11]
	s_cbranch_execz .LBB108_253
; %bb.220:                              ;   in Loop: Header=BB108_11 Depth=1
	ds_read_b64 v[4:5], v3 offset:5120
	s_waitcnt lgkmcnt(0)
	s_barrier
	v_readfirstlane_b32 s36, v4
	v_readfirstlane_b32 s37, v5
	s_and_saveexec_b64 s[2:3], s[16:17]
; %bb.221:                              ;   in Loop: Header=BB108_11 Depth=1
	ds_write_b16 v40, v3
; %bb.222:                              ;   in Loop: Header=BB108_11 Depth=1
	s_or_b64 exec, exec, s[2:3]
	v_or_b32_e32 v38, s48, v38
	v_or_b32_e32 v43, s48, v43
	s_mov_b64 s[94:95], -1
	s_mov_b64 s[26:27], 0
	s_cmp_eq_u64 s[36:37], 0
	s_mov_b64 s[30:31], 0
	s_mov_b64 s[38:39], -1
	s_waitcnt lgkmcnt(0)
	s_barrier
                                        ; implicit-def: $vgpr44
	s_cbranch_scc1 .LBB108_238
; %bb.223:                              ;   in Loop: Header=BB108_11 Depth=1
	v_readlane_b32 s2, v57, 18
	s_add_u32 s12, s36, s2
	v_readlane_b32 s2, v57, 19
	s_addc_u32 s31, s37, s2
	s_mov_b32 s30, s43
	s_cmp_lg_u64 s[30:31], 0
	s_cbranch_scc0 .LBB108_272
; %bb.224:                              ;   in Loop: Header=BB108_11 Depth=1
	v_cvt_f32_u32_e32 v4, s29
	s_sub_u32 s10, 0, s29
	s_subb_u32 s11, 0, 0
	v_mac_f32_e32 v4, 0, v41
	v_rcp_f32_e32 v4, v4
	v_mul_f32_e32 v4, 0x5f7ffffc, v4
	v_mul_f32_e32 v5, 0x2f800000, v4
	v_trunc_f32_e32 v5, v5
	v_mac_f32_e32 v4, 0xcf800000, v5
	v_cvt_u32_f32_e32 v5, v5
	v_cvt_u32_f32_e32 v4, v4
	v_readfirstlane_b32 s13, v5
	v_readfirstlane_b32 s2, v4
	s_mul_i32 s3, s10, s13
	s_mul_hi_u32 s38, s10, s2
	s_mul_i32 s30, s11, s2
	s_add_i32 s3, s38, s3
	s_mul_i32 s39, s10, s2
	s_add_i32 s3, s3, s30
	s_mul_hi_u32 s38, s2, s39
	s_mul_i32 s42, s2, s3
	s_mul_hi_u32 s30, s2, s3
	s_add_u32 s38, s38, s42
	s_addc_u32 s30, 0, s30
	s_mul_hi_u32 s49, s13, s39
	s_mul_i32 s39, s13, s39
	s_add_u32 s38, s38, s39
	s_mul_hi_u32 s42, s13, s3
	s_addc_u32 s30, s30, s49
	s_addc_u32 s38, s42, 0
	s_mul_i32 s3, s13, s3
	s_add_u32 s3, s30, s3
	s_addc_u32 s30, 0, s38
	s_add_u32 s38, s2, s3
	s_cselect_b64 s[2:3], -1, 0
	s_cmp_lg_u64 s[2:3], 0
	s_addc_u32 s13, s13, s30
	s_mul_i32 s2, s10, s13
	s_mul_hi_u32 s3, s10, s38
	s_add_i32 s2, s3, s2
	s_mul_i32 s11, s11, s38
	s_add_i32 s2, s2, s11
	s_mul_i32 s10, s10, s38
	s_mul_hi_u32 s11, s13, s10
	s_mul_i32 s30, s13, s10
	s_mul_i32 s42, s38, s2
	s_mul_hi_u32 s10, s38, s10
	s_mul_hi_u32 s39, s38, s2
	s_add_u32 s10, s10, s42
	s_addc_u32 s39, 0, s39
	s_add_u32 s10, s10, s30
	s_mul_hi_u32 s3, s13, s2
	s_addc_u32 s10, s39, s11
	s_addc_u32 s3, s3, 0
	s_mul_i32 s2, s13, s2
	s_add_u32 s2, s10, s2
	s_addc_u32 s10, 0, s3
	s_add_u32 s11, s38, s2
	s_cselect_b64 s[2:3], -1, 0
	s_cmp_lg_u64 s[2:3], 0
	s_addc_u32 s2, s13, s10
	s_mul_i32 s10, s12, s2
	s_mul_hi_u32 s13, s12, s11
	s_mul_hi_u32 s3, s12, s2
	s_add_u32 s10, s13, s10
	s_addc_u32 s3, 0, s3
	s_mul_hi_u32 s30, s31, s11
	s_mul_i32 s11, s31, s11
	s_add_u32 s10, s10, s11
	s_mul_hi_u32 s13, s31, s2
	s_addc_u32 s3, s3, s30
	s_addc_u32 s10, s13, 0
	s_mul_i32 s2, s31, s2
	s_add_u32 s2, s3, s2
	s_addc_u32 s3, 0, s10
	s_mul_i32 s3, s29, s3
	s_mul_hi_u32 s10, s29, s2
	s_add_i32 s10, s10, s3
	s_mul_i32 s2, s29, s2
	s_sub_u32 s11, s12, s2
	s_cselect_b64 s[2:3], -1, 0
	s_cmp_lg_u64 s[2:3], 0
	s_subb_u32 s10, s31, s10
	s_sub_u32 s13, s11, s29
	s_cselect_b64 s[2:3], -1, 0
	s_cmp_lg_u64 s[2:3], 0
	s_subb_u32 s30, s10, 0
	;; [unrolled: 4-line block ×3, first 2 shown]
	s_cmp_ge_u32 s13, s29
	s_cselect_b32 s3, -1, 0
	s_cmp_eq_u32 s30, 0
	s_cselect_b32 s3, s3, -1
	s_cmp_lg_u32 s3, 0
	s_cselect_b32 s2, s2, s30
	s_cselect_b32 s13, s38, s13
	s_cmp_ge_u32 s11, s29
	s_cselect_b32 s3, -1, 0
	s_cmp_eq_u32 s10, 0
	s_cselect_b32 s3, s3, -1
	s_cmp_lg_u32 s3, 0
	s_cselect_b32 s3, s2, s10
	s_cselect_b32 s2, s13, s11
	s_cbranch_execnz .LBB108_226
.LBB108_225:                            ;   in Loop: Header=BB108_11 Depth=1
	v_cvt_f32_u32_e32 v4, s29
	s_sub_i32 s2, 0, s29
	v_rcp_iflag_f32_e32 v4, v4
	v_mul_f32_e32 v4, 0x4f7ffffe, v4
	v_cvt_u32_f32_e32 v4, v4
	v_readfirstlane_b32 s3, v4
	s_mul_i32 s2, s2, s3
	s_mul_hi_u32 s2, s3, s2
	s_add_i32 s3, s3, s2
	s_mul_hi_u32 s2, s12, s3
	s_mul_i32 s2, s2, s29
	s_sub_i32 s2, s12, s2
	s_sub_i32 s3, s2, s29
	s_cmp_ge_u32 s2, s29
	s_cselect_b32 s2, s3, s2
	s_sub_i32 s3, s2, s29
	s_cmp_ge_u32 s2, s29
	s_cselect_b32 s42, s3, s2
	s_mov_b64 s[2:3], s[42:43]
.LBB108_226:                            ;   in Loop: Header=BB108_11 Depth=1
	s_sub_u32 s10, s12, s2
	s_subb_u32 s11, s31, s3
	v_cmp_gt_u64_e32 vcc, s[10:11], v[0:1]
	s_mov_b64 s[38:39], 0
	s_mov_b64 s[30:31], 0
                                        ; implicit-def: $vgpr44
	s_and_saveexec_b64 s[12:13], vcc
	s_cbranch_execz .LBB108_237
; %bb.227:                              ;   in Loop: Header=BB108_11 Depth=1
	v_mov_b32_e32 v5, v1
	v_writelane_b32 v57, s56, 29
	v_mov_b32_e32 v8, v39
	v_mov_b32_e32 v4, v0
	v_writelane_b32 v57, s57, 30
                                        ; implicit-def: $sgpr2_sgpr3
	s_branch .LBB108_230
.LBB108_228:                            ;   in Loop: Header=BB108_230 Depth=2
	s_or_b64 exec, exec, s[54:55]
	s_waitcnt lgkmcnt(0)
	s_barrier
	ds_read_b32 v9, v3 offset:3072
	s_mov_b64 s[54:55], -1
	s_waitcnt lgkmcnt(0)
	s_barrier
	v_cmp_ne_u32_sdwa s[56:57], v9, v3 src0_sel:WORD_0 src1_sel:DWORD
	s_and_b64 vcc, exec, s[56:57]
	s_mov_b64 s[56:57], -1
	s_cbranch_vccz .LBB108_233
.LBB108_229:                            ;   in Loop: Header=BB108_230 Depth=2
	s_and_b64 s[54:55], exec, s[54:55]
	s_or_b64 s[30:31], s[54:55], s[30:31]
	s_andn2_b64 s[2:3], s[2:3], exec
	s_and_b64 s[54:55], s[56:57], exec
	s_or_b64 s[2:3], s[2:3], s[54:55]
	s_andn2_b64 exec, exec, s[30:31]
	s_cbranch_execz .LBB108_236
.LBB108_230:                            ;   Parent Loop BB108_11 Depth=1
                                        ; =>  This Inner Loop Header: Depth=2
	v_cmp_gt_u64_e32 vcc, s[36:37], v[4:5]
	s_and_saveexec_b64 s[54:55], vcc
	s_cbranch_execz .LBB108_228
; %bb.231:                              ;   in Loop: Header=BB108_230 Depth=2
	ds_read_u16 v9, v8
	s_waitcnt lgkmcnt(0)
	v_add_u32_sdwa v10, sext(v9), s28 dst_sel:DWORD dst_unused:UNUSED_PAD src0_sel:WORD_0 src1_sel:DWORD
	v_and_b32_e32 v10, v10, v43
	v_cmp_eq_u32_e32 vcc, v10, v38
	s_and_b64 exec, exec, vcc
	s_cbranch_execz .LBB108_228
; %bb.232:                              ;   in Loop: Header=BB108_230 Depth=2
	v_perm_b32 v9, v9, 1, v42
	ds_write_b32 v3, v9 offset:3072
	s_branch .LBB108_228
.LBB108_233:                            ;   in Loop: Header=BB108_230 Depth=2
	v_add_co_u32_e32 v4, vcc, s29, v4
	v_addc_co_u32_e32 v5, vcc, 0, v5, vcc
	v_cmp_le_u64_e32 vcc, s[10:11], v[4:5]
	v_add_u32_e32 v8, s33, v8
	s_mov_b64 s[56:57], 0
	s_orn2_b64 s[54:55], vcc, exec
	s_branch .LBB108_229
.LBB108_234:                            ;   in Loop: Header=BB108_11 Depth=1
                                        ; implicit-def: $sgpr2_sgpr3
	s_branch .LBB108_180
.LBB108_235:                            ;   in Loop: Header=BB108_11 Depth=1
                                        ; implicit-def: $sgpr2_sgpr3
	s_branch .LBB108_196
.LBB108_236:                            ;   in Loop: Header=BB108_11 Depth=1
	s_or_b64 exec, exec, s[30:31]
	v_readlane_b32 s56, v57, 29
	v_readlane_b32 s54, v57, 25
	v_lshrrev_b32_e32 v44, 16, v9
	s_and_b64 s[30:31], s[2:3], exec
	v_readlane_b32 s57, v57, 30
	v_readlane_b32 s55, v57, 26
.LBB108_237:                            ;   in Loop: Header=BB108_11 Depth=1
	s_or_b64 exec, exec, s[12:13]
.LBB108_238:                            ;   in Loop: Header=BB108_11 Depth=1
	s_and_b64 vcc, exec, s[38:39]
	s_cbranch_vccz .LBB108_252
; %bb.239:                              ;   in Loop: Header=BB108_11 Depth=1
	s_mov_b32 s50, s43
	s_cmp_lg_u64 s[50:51], 0
	s_cbranch_scc0 .LBB108_273
; %bb.240:                              ;   in Loop: Header=BB108_11 Depth=1
	v_cvt_f32_u32_e32 v4, s29
	s_sub_u32 s10, 0, s29
	s_subb_u32 s11, 0, 0
	v_mac_f32_e32 v4, 0, v41
	v_rcp_f32_e32 v4, v4
	v_mul_f32_e32 v4, 0x5f7ffffc, v4
	v_mul_f32_e32 v5, 0x2f800000, v4
	v_trunc_f32_e32 v5, v5
	v_mac_f32_e32 v4, 0xcf800000, v5
	v_cvt_u32_f32_e32 v5, v5
	v_cvt_u32_f32_e32 v4, v4
	v_readfirstlane_b32 s12, v5
	v_readfirstlane_b32 s2, v4
	s_mul_i32 s3, s10, s12
	s_mul_hi_u32 s26, s10, s2
	s_mul_i32 s13, s11, s2
	s_add_i32 s3, s26, s3
	s_mul_i32 s27, s10, s2
	s_add_i32 s3, s3, s13
	s_mul_hi_u32 s26, s2, s27
	s_mul_i32 s36, s2, s3
	s_mul_hi_u32 s13, s2, s3
	s_add_u32 s26, s26, s36
	s_addc_u32 s13, 0, s13
	s_mul_hi_u32 s37, s12, s27
	s_mul_i32 s27, s12, s27
	s_add_u32 s26, s26, s27
	s_mul_hi_u32 s36, s12, s3
	s_addc_u32 s13, s13, s37
	s_addc_u32 s26, s36, 0
	s_mul_i32 s3, s12, s3
	s_add_u32 s3, s13, s3
	s_addc_u32 s13, 0, s26
	s_add_u32 s26, s2, s3
	s_cselect_b64 s[2:3], -1, 0
	s_cmp_lg_u64 s[2:3], 0
	s_addc_u32 s12, s12, s13
	s_mul_i32 s2, s10, s12
	s_mul_hi_u32 s3, s10, s26
	s_add_i32 s2, s3, s2
	s_mul_i32 s11, s11, s26
	s_add_i32 s2, s2, s11
	s_mul_i32 s10, s10, s26
	s_mul_hi_u32 s11, s12, s10
	s_mul_i32 s13, s12, s10
	s_mul_i32 s36, s26, s2
	s_mul_hi_u32 s10, s26, s10
	s_mul_hi_u32 s27, s26, s2
	s_add_u32 s10, s10, s36
	s_addc_u32 s27, 0, s27
	s_add_u32 s10, s10, s13
	s_mul_hi_u32 s3, s12, s2
	s_addc_u32 s10, s27, s11
	s_addc_u32 s3, s3, 0
	s_mul_i32 s2, s12, s2
	s_add_u32 s2, s10, s2
	s_addc_u32 s10, 0, s3
	s_add_u32 s11, s26, s2
	s_cselect_b64 s[2:3], -1, 0
	s_cmp_lg_u64 s[2:3], 0
	s_addc_u32 s2, s12, s10
	s_mul_i32 s10, s8, s2
	s_mul_hi_u32 s12, s8, s11
	s_mul_hi_u32 s3, s8, s2
	s_add_u32 s10, s12, s10
	s_addc_u32 s3, 0, s3
	s_mul_hi_u32 s13, s51, s11
	s_mul_i32 s11, s51, s11
	s_add_u32 s10, s10, s11
	s_mul_hi_u32 s12, s51, s2
	s_addc_u32 s3, s3, s13
	s_addc_u32 s10, s12, 0
	s_mul_i32 s2, s51, s2
	s_add_u32 s2, s3, s2
	s_addc_u32 s3, 0, s10
	s_mul_i32 s3, s29, s3
	s_mul_hi_u32 s10, s29, s2
	s_add_i32 s10, s10, s3
	s_mul_i32 s2, s29, s2
	s_sub_u32 s11, s8, s2
	s_cselect_b64 s[2:3], -1, 0
	s_cmp_lg_u64 s[2:3], 0
	s_subb_u32 s10, s51, s10
	s_sub_u32 s12, s11, s29
	s_cselect_b64 s[2:3], -1, 0
	s_cmp_lg_u64 s[2:3], 0
	s_subb_u32 s13, s10, 0
	s_sub_u32 s26, s12, s29
	s_cselect_b64 s[2:3], -1, 0
	s_cmp_lg_u64 s[2:3], 0
	s_subb_u32 s2, s13, 0
	s_cmp_ge_u32 s12, s29
	s_cselect_b32 s3, -1, 0
	s_cmp_eq_u32 s13, 0
	s_cselect_b32 s3, s3, -1
	s_cmp_lg_u32 s3, 0
	s_cselect_b32 s2, s2, s13
	s_cselect_b32 s12, s26, s12
	s_cmp_ge_u32 s11, s29
	s_cselect_b32 s3, -1, 0
	s_cmp_eq_u32 s10, 0
	s_cselect_b32 s3, s3, -1
	s_cmp_lg_u32 s3, 0
	s_cselect_b32 s3, s2, s10
	s_cselect_b32 s2, s12, s11
	s_cbranch_execnz .LBB108_242
.LBB108_241:                            ;   in Loop: Header=BB108_11 Depth=1
	v_cvt_f32_u32_e32 v4, s29
	s_sub_i32 s2, 0, s29
	v_rcp_iflag_f32_e32 v4, v4
	v_mul_f32_e32 v4, 0x4f7ffffe, v4
	v_cvt_u32_f32_e32 v4, v4
	v_readfirstlane_b32 s3, v4
	s_mul_i32 s2, s2, s3
	s_mul_hi_u32 s2, s3, s2
	s_add_i32 s3, s3, s2
	s_mul_hi_u32 s2, s8, s3
	s_mul_i32 s2, s2, s29
	s_sub_i32 s2, s8, s2
	s_sub_i32 s3, s2, s29
	s_cmp_ge_u32 s2, s29
	s_cselect_b32 s2, s3, s2
	s_sub_i32 s3, s2, s29
	s_cmp_ge_u32 s2, s29
	s_cselect_b32 s42, s3, s2
	s_mov_b64 s[2:3], s[42:43]
.LBB108_242:                            ;   in Loop: Header=BB108_11 Depth=1
	s_sub_u32 s36, s8, s2
	s_subb_u32 s37, s51, s3
	v_cmp_gt_u64_e32 vcc, s[36:37], v[0:1]
                                        ; implicit-def: $vgpr44
	s_and_saveexec_b64 s[26:27], vcc
	s_cbranch_execz .LBB108_251
; %bb.243:                              ;   in Loop: Header=BB108_11 Depth=1
	v_mov_b32_e32 v4, v12
	v_mov_b32_e32 v9, v1
	s_mov_b64 s[10:11], 0
	v_mov_b32_e32 v5, v13
	v_mov_b32_e32 v8, v0
                                        ; implicit-def: $sgpr12_sgpr13
	s_branch .LBB108_246
.LBB108_244:                            ;   in Loop: Header=BB108_246 Depth=2
	s_or_b64 exec, exec, s[2:3]
	s_waitcnt lgkmcnt(0)
	s_barrier
	ds_read_b32 v10, v3 offset:3072
	s_mov_b64 s[2:3], -1
	s_waitcnt lgkmcnt(0)
	s_barrier
	v_cmp_eq_u32_sdwa s[38:39], v10, v3 src0_sel:WORD_0 src1_sel:DWORD
	s_and_b64 vcc, exec, s[38:39]
	s_mov_b64 s[38:39], -1
	s_cbranch_vccnz .LBB108_249
.LBB108_245:                            ;   in Loop: Header=BB108_246 Depth=2
	s_and_b64 s[2:3], exec, s[2:3]
	s_or_b64 s[10:11], s[2:3], s[10:11]
	s_andn2_b64 s[2:3], s[12:13], exec
	s_and_b64 s[12:13], s[38:39], exec
	s_or_b64 s[12:13], s[2:3], s[12:13]
	s_andn2_b64 exec, exec, s[10:11]
	s_cbranch_execz .LBB108_250
.LBB108_246:                            ;   Parent Loop BB108_11 Depth=1
                                        ; =>  This Inner Loop Header: Depth=2
	v_cmp_gt_u64_e32 vcc, s[24:25], v[8:9]
	s_and_saveexec_b64 s[2:3], vcc
	s_cbranch_execz .LBB108_244
; %bb.247:                              ;   in Loop: Header=BB108_246 Depth=2
	global_load_ushort v10, v[4:5], off
	s_waitcnt vmcnt(0)
	v_add_u32_sdwa v11, sext(v10), s28 dst_sel:DWORD dst_unused:UNUSED_PAD src0_sel:WORD_0 src1_sel:DWORD
	v_and_b32_e32 v11, v11, v43
	v_cmp_eq_u32_e32 vcc, v11, v38
	s_and_b64 exec, exec, vcc
	s_cbranch_execz .LBB108_244
; %bb.248:                              ;   in Loop: Header=BB108_246 Depth=2
	v_perm_b32 v10, v10, 1, v42
	ds_write_b32 v3, v10 offset:3072
	s_branch .LBB108_244
.LBB108_249:                            ;   in Loop: Header=BB108_246 Depth=2
	v_add_co_u32_e32 v8, vcc, s29, v8
	v_addc_co_u32_e32 v9, vcc, 0, v9, vcc
	v_mov_b32_e32 v11, s47
	v_add_co_u32_e32 v4, vcc, s46, v4
	v_addc_co_u32_e32 v5, vcc, v5, v11, vcc
	v_cmp_le_u64_e32 vcc, s[36:37], v[8:9]
	s_mov_b64 s[38:39], 0
	s_orn2_b64 s[2:3], vcc, exec
	s_branch .LBB108_245
.LBB108_250:                            ;   in Loop: Header=BB108_11 Depth=1
	s_or_b64 exec, exec, s[10:11]
	s_andn2_b64 s[2:3], s[30:31], exec
	s_and_b64 s[10:11], s[12:13], exec
	v_lshrrev_b32_e32 v44, 16, v10
	s_or_b64 s[30:31], s[2:3], s[10:11]
.LBB108_251:                            ;   in Loop: Header=BB108_11 Depth=1
	s_or_b64 exec, exec, s[26:27]
	s_mov_b64 s[94:95], 0
	s_mov_b64 s[26:27], -1
.LBB108_252:                            ;   in Loop: Header=BB108_11 Depth=1
	s_orn2_b64 s[2:3], s[30:31], exec
.LBB108_253:                            ;   in Loop: Header=BB108_11 Depth=1
	s_or_b64 exec, exec, s[90:91]
	s_mov_b64 s[10:11], 0
	s_and_saveexec_b64 s[30:31], s[2:3]
	s_cbranch_execz .LBB108_264
; %bb.254:                              ;   in Loop: Header=BB108_11 Depth=1
	v_readlane_b32 s2, v57, 27
	v_readlane_b32 s3, v57, 28
	v_mov_b32_e32 v4, 1
	s_xor_b64 s[2:3], s[2:3], -1
	v_mov_b32_e32 v5, 0
	v_mov_b32_e32 v2, 1
	s_and_saveexec_b64 s[36:37], s[2:3]
	s_cbranch_execz .LBB108_263
; %bb.255:                              ;   in Loop: Header=BB108_11 Depth=1
	v_cmp_ge_u64_e32 vcc, s[14:15], v[6:7]
	s_and_saveexec_b64 s[2:3], vcc
	s_xor_b64 s[2:3], exec, s[2:3]
	s_cbranch_execz .LBB108_260
; %bb.256:                              ;   in Loop: Header=BB108_11 Depth=1
	ds_read_b64 v[4:5], v3 offset:5120
	v_or_b32_e32 v38, s48, v38
	v_or_b32_e32 v43, s48, v43
	s_waitcnt lgkmcnt(0)
	v_cmp_ne_u64_e32 vcc, 0, v[4:5]
	s_cbranch_vccnz .LBB108_260
; %bb.257:                              ;   in Loop: Header=BB108_11 Depth=1
	s_mov_b64 s[10:11], exec
	v_readlane_b32 s12, v57, 0
	v_readlane_b32 s13, v57, 1
	s_and_b64 s[12:13], s[10:11], s[12:13]
	s_mov_b64 exec, s[12:13]
; %bb.258:                              ;   in Loop: Header=BB108_11 Depth=1
	v_mov_b32_e32 v4, s14
	v_mov_b32_e32 v5, s15
	ds_write_b64 v3, v[4:5] offset:5128
; %bb.259:                              ;   in Loop: Header=BB108_11 Depth=1
	s_or_b64 exec, exec, s[10:11]
	s_waitcnt lgkmcnt(0)
	s_barrier
.LBB108_260:                            ;   in Loop: Header=BB108_11 Depth=1
	s_andn2_saveexec_b64 s[2:3], s[2:3]
; %bb.261:                              ;   in Loop: Header=BB108_11 Depth=1
	v_mov_b32_e32 v2, s15
	v_subrev_co_u32_e32 v6, vcc, s14, v6
	v_subb_co_u32_e32 v7, vcc, v7, v2, vcc
; %bb.262:                              ;   in Loop: Header=BB108_11 Depth=1
	s_or_b64 exec, exec, s[2:3]
	v_mov_b32_e32 v4, v6
	v_mov_b32_e32 v2, 8
	;; [unrolled: 1-line block ×3, first 2 shown]
.LBB108_263:                            ;   in Loop: Header=BB108_11 Depth=1
	s_or_b64 exec, exec, s[36:37]
	v_mov_b32_e32 v7, v5
	s_mov_b64 s[10:11], exec
	v_mov_b32_e32 v6, v4
.LBB108_264:                            ;   in Loop: Header=BB108_11 Depth=1
	s_or_b64 exec, exec, s[30:31]
	s_orn2_b64 s[2:3], s[10:11], exec
.LBB108_265:                            ;   in Loop: Header=BB108_11 Depth=1
	s_or_b64 exec, exec, s[76:77]
	s_andn2_b64 s[10:11], s[86:87], exec
	s_and_b64 s[12:13], s[26:27], exec
	s_or_b64 s[86:87], s[10:11], s[12:13]
	s_andn2_b64 s[10:11], s[84:85], exec
	s_and_b64 s[12:13], s[94:95], exec
	v_mov_b32_e32 v4, v6
	s_or_b64 s[84:85], s[10:11], s[12:13]
	s_and_b64 s[10:11], s[2:3], exec
	v_mov_b32_e32 v5, v7
.LBB108_266:                            ;   in Loop: Header=BB108_11 Depth=1
	s_or_b64 exec, exec, s[88:89]
	s_orn2_b64 s[2:3], s[10:11], exec
.LBB108_267:                            ;   in Loop: Header=BB108_11 Depth=1
	s_or_b64 exec, exec, s[82:83]
	s_andn2_b64 s[10:11], s[78:79], exec
	s_and_b64 s[12:13], s[86:87], exec
	s_or_b64 s[78:79], s[10:11], s[12:13]
	s_andn2_b64 s[6:7], s[6:7], exec
	s_and_b64 s[10:11], s[84:85], exec
	v_mov_b32_e32 v9, v5
	s_or_b64 s[6:7], s[6:7], s[10:11]
	s_and_b64 s[10:11], s[2:3], exec
	v_mov_b32_e32 v8, v4
.LBB108_268:                            ;   in Loop: Header=BB108_11 Depth=1
	s_or_b64 exec, exec, s[80:81]
	s_orn2_b64 s[2:3], s[10:11], exec
.LBB108_269:                            ;   in Loop: Header=BB108_11 Depth=1
	s_or_b64 exec, exec, s[22:23]
	s_mov_b64 s[10:11], 0
	s_and_saveexec_b64 s[12:13], s[2:3]
	s_xor_b64 s[2:3], exec, s[12:13]
	s_cbranch_execz .LBB108_9
; %bb.270:                              ;   in Loop: Header=BB108_11 Depth=1
	v_and_b32_e32 v2, 7, v2
	v_cmp_eq_u32_e32 vcc, 0, v2
	s_mov_b64 s[12:13], -1
	s_mov_b64 s[10:11], -1
	s_and_saveexec_b64 s[14:15], vcc
	s_cbranch_execz .LBB108_8
; %bb.271:                              ;   in Loop: Header=BB108_11 Depth=1
	s_xor_b32 s93, s93, 1
	s_add_i32 s20, s92, -2
	s_cmp_eq_u32 s92, 0
	s_cselect_b64 s[12:13], -1, 0
	s_xor_b64 s[10:11], exec, -1
	s_orn2_b64 s[12:13], s[12:13], exec
	s_mov_b32 s92, s20
	s_branch .LBB108_8
.LBB108_272:                            ;   in Loop: Header=BB108_11 Depth=1
                                        ; implicit-def: $sgpr2_sgpr3
	s_branch .LBB108_225
.LBB108_273:                            ;   in Loop: Header=BB108_11 Depth=1
                                        ; implicit-def: $sgpr2_sgpr3
	s_branch .LBB108_241
.LBB108_274:
	s_or_b64 exec, exec, s[62:63]
	s_xor_b64 s[4:5], s[68:69], -1
	s_xor_b64 s[0:1], s[64:65], -1
	;; [unrolled: 1-line block ×3, first 2 shown]
	s_mov_b64 s[2:3], 0
	s_and_saveexec_b64 s[8:9], s[0:1]
	s_xor_b64 s[0:1], exec, s[8:9]
	s_cbranch_execnz .LBB108_279
; %bb.275:
	s_andn2_saveexec_b64 s[0:1], s[0:1]
	s_cbranch_execnz .LBB108_292
.LBB108_276:
	s_or_b64 exec, exec, s[0:1]
	s_and_saveexec_b64 s[0:1], s[2:3]
.LBB108_277:
	; divergent unreachable
.LBB108_278:
	s_endpgm
.LBB108_279:
	s_and_saveexec_b64 s[2:3], s[4:5]
	s_xor_b64 s[4:5], exec, s[2:3]
	s_cbranch_execz .LBB108_290
; %bb.280:
	s_and_saveexec_b64 s[2:3], s[6:7]
	s_xor_b64 s[2:3], exec, s[2:3]
; %bb.281:
	v_xor_b32_e32 v44, 0xffff8000, v38
; %bb.282:
	s_or_b64 exec, exec, s[2:3]
	v_readlane_b32 s6, v57, 6
	v_readlane_b32 s18, v57, 10
	;; [unrolled: 1-line block ×3, first 2 shown]
	s_mul_i32 s2, s7, s18
	s_mul_hi_u32 s3, s6, s18
	s_add_i32 s3, s3, s2
	s_mul_i32 s2, s6, s18
	s_lshl_b64 s[2:3], s[2:3], 1
	v_readlane_b32 s6, v57, 8
	v_readlane_b32 s7, v57, 9
	s_add_u32 s2, s6, s2
	s_addc_u32 s3, s7, s3
	v_mov_b32_e32 v2, 0
	v_readlane_b32 s19, v57, 11
	global_store_short v2, v44, s[2:3]
	s_mov_b64 s[6:7], exec
	v_readlane_b32 s2, v57, 12
	v_readlane_b32 s3, v57, 13
	s_and_b64 s[2:3], s[6:7], s[2:3]
	s_mov_b64 exec, s[2:3]
	s_cbranch_execz .LBB108_289
; %bb.283:
	s_mov_b64 s[2:3], 0
                                        ; implicit-def: $sgpr8_sgpr9
                                        ; implicit-def: $sgpr12_sgpr13
                                        ; implicit-def: $sgpr10_sgpr11
	s_branch .LBB108_285
.LBB108_284:                            ;   in Loop: Header=BB108_285 Depth=1
	s_or_b64 exec, exec, s[14:15]
	s_and_b64 s[14:15], exec, s[12:13]
	s_or_b64 s[2:3], s[14:15], s[2:3]
	s_andn2_b64 s[8:9], s[8:9], exec
	s_and_b64 s[14:15], s[10:11], exec
	s_or_b64 s[8:9], s[8:9], s[14:15]
	s_andn2_b64 exec, exec, s[2:3]
	s_cbranch_execz .LBB108_287
.LBB108_285:                            ; =>This Inner Loop Header: Depth=1
	global_load_ushort v4, v[12:13], off
	v_mov_b32_e32 v3, v1
	v_mov_b32_e32 v2, v0
	s_or_b64 s[10:11], s[10:11], exec
	s_or_b64 s[12:13], s[12:13], exec
                                        ; implicit-def: $vgpr0_vgpr1
	s_waitcnt vmcnt(0)
	v_cmp_ne_u16_e32 vcc, v4, v44
	s_and_saveexec_b64 s[14:15], vcc
	s_cbranch_execz .LBB108_284
; %bb.286:                              ;   in Loop: Header=BB108_285 Depth=1
	v_add_co_u32_e32 v0, vcc, s29, v2
	v_addc_co_u32_e32 v1, vcc, 0, v3, vcc
	v_mov_b32_e32 v4, s47
	v_add_co_u32_e32 v12, vcc, s46, v12
	v_addc_co_u32_e32 v13, vcc, v13, v4, vcc
	v_cmp_le_u64_e32 vcc, s[24:25], v[0:1]
	s_andn2_b64 s[12:13], s[12:13], exec
	s_and_b64 s[16:17], vcc, exec
	s_andn2_b64 s[10:11], s[10:11], exec
	s_or_b64 s[12:13], s[12:13], s[16:17]
	s_branch .LBB108_284
.LBB108_287:
	s_or_b64 exec, exec, s[2:3]
	s_and_saveexec_b64 s[2:3], s[8:9]
	s_xor_b64 s[2:3], exec, s[2:3]
	s_cbranch_execz .LBB108_289
; %bb.288:
	v_readlane_b32 s8, v57, 2
	v_readlane_b32 s9, v57, 3
	s_mul_i32 s2, s9, s18
	s_mul_hi_u32 s3, s8, s18
	s_add_i32 s3, s3, s2
	s_mul_i32 s2, s8, s18
	s_lshl_b64 s[2:3], s[2:3], 3
	v_readlane_b32 s8, v57, 4
	v_readlane_b32 s9, v57, 5
	s_add_u32 s2, s8, s2
	s_addc_u32 s3, s9, s3
	v_mov_b32_e32 v0, 0
	global_store_dwordx2 v0, v[2:3], s[2:3]
.LBB108_289:
	s_or_b64 exec, exec, s[6:7]
.LBB108_290:
	s_or_saveexec_b64 s[2:3], s[4:5]
	s_mov_b64 s[4:5], 0
	s_xor_b64 exec, exec, s[2:3]
	s_cbranch_execnz .LBB108_293
.LBB108_291:
	s_or_b64 exec, exec, s[2:3]
	s_and_b64 s[2:3], s[4:5], exec
	s_andn2_saveexec_b64 s[0:1], s[0:1]
	s_cbranch_execz .LBB108_276
.LBB108_292:
	s_or_b64 s[2:3], s[2:3], exec
	s_trap 2
	s_or_b64 exec, exec, s[0:1]
	s_and_saveexec_b64 s[0:1], s[2:3]
	s_cbranch_execnz .LBB108_277
	s_branch .LBB108_278
.LBB108_293:
	s_mov_b64 s[4:5], exec
	s_trap 2
	s_branch .LBB108_291
	.section	.rodata,"a",@progbits
	.p2align	6, 0x0
	.amdhsa_kernel _ZN2at6native12_GLOBAL__N_112gatherMedianIsmLi1EEEvNS_4cuda6detail10TensorInfoIT_T0_EENS5_IlS7_EENS5_IKS6_S7_EES7_S7_S7_b
		.amdhsa_group_segment_fixed_size 5152
		.amdhsa_private_segment_fixed_size 0
		.amdhsa_kernarg_size 1536
		.amdhsa_user_sgpr_count 6
		.amdhsa_user_sgpr_private_segment_buffer 1
		.amdhsa_user_sgpr_dispatch_ptr 0
		.amdhsa_user_sgpr_queue_ptr 0
		.amdhsa_user_sgpr_kernarg_segment_ptr 1
		.amdhsa_user_sgpr_dispatch_id 0
		.amdhsa_user_sgpr_flat_scratch_init 0
		.amdhsa_user_sgpr_private_segment_size 0
		.amdhsa_uses_dynamic_stack 0
		.amdhsa_system_sgpr_private_segment_wavefront_offset 0
		.amdhsa_system_sgpr_workgroup_id_x 1
		.amdhsa_system_sgpr_workgroup_id_y 1
		.amdhsa_system_sgpr_workgroup_id_z 1
		.amdhsa_system_sgpr_workgroup_info 0
		.amdhsa_system_vgpr_workitem_id 0
		.amdhsa_next_free_vgpr 58
		.amdhsa_next_free_sgpr 96
		.amdhsa_reserve_vcc 1
		.amdhsa_reserve_flat_scratch 0
		.amdhsa_float_round_mode_32 0
		.amdhsa_float_round_mode_16_64 0
		.amdhsa_float_denorm_mode_32 3
		.amdhsa_float_denorm_mode_16_64 3
		.amdhsa_dx10_clamp 1
		.amdhsa_ieee_mode 1
		.amdhsa_fp16_overflow 0
		.amdhsa_exception_fp_ieee_invalid_op 0
		.amdhsa_exception_fp_denorm_src 0
		.amdhsa_exception_fp_ieee_div_zero 0
		.amdhsa_exception_fp_ieee_overflow 0
		.amdhsa_exception_fp_ieee_underflow 0
		.amdhsa_exception_fp_ieee_inexact 0
		.amdhsa_exception_int_div_zero 0
	.end_amdhsa_kernel
	.section	.text._ZN2at6native12_GLOBAL__N_112gatherMedianIsmLi1EEEvNS_4cuda6detail10TensorInfoIT_T0_EENS5_IlS7_EENS5_IKS6_S7_EES7_S7_S7_b,"axG",@progbits,_ZN2at6native12_GLOBAL__N_112gatherMedianIsmLi1EEEvNS_4cuda6detail10TensorInfoIT_T0_EENS5_IlS7_EENS5_IKS6_S7_EES7_S7_S7_b,comdat
.Lfunc_end108:
	.size	_ZN2at6native12_GLOBAL__N_112gatherMedianIsmLi1EEEvNS_4cuda6detail10TensorInfoIT_T0_EENS5_IlS7_EENS5_IKS6_S7_EES7_S7_S7_b, .Lfunc_end108-_ZN2at6native12_GLOBAL__N_112gatherMedianIsmLi1EEEvNS_4cuda6detail10TensorInfoIT_T0_EENS5_IlS7_EENS5_IKS6_S7_EES7_S7_S7_b
                                        ; -- End function
	.set _ZN2at6native12_GLOBAL__N_112gatherMedianIsmLi1EEEvNS_4cuda6detail10TensorInfoIT_T0_EENS5_IlS7_EENS5_IKS6_S7_EES7_S7_S7_b.num_vgpr, 58
	.set _ZN2at6native12_GLOBAL__N_112gatherMedianIsmLi1EEEvNS_4cuda6detail10TensorInfoIT_T0_EENS5_IlS7_EENS5_IKS6_S7_EES7_S7_S7_b.num_agpr, 0
	.set _ZN2at6native12_GLOBAL__N_112gatherMedianIsmLi1EEEvNS_4cuda6detail10TensorInfoIT_T0_EENS5_IlS7_EENS5_IKS6_S7_EES7_S7_S7_b.numbered_sgpr, 96
	.set _ZN2at6native12_GLOBAL__N_112gatherMedianIsmLi1EEEvNS_4cuda6detail10TensorInfoIT_T0_EENS5_IlS7_EENS5_IKS6_S7_EES7_S7_S7_b.num_named_barrier, 0
	.set _ZN2at6native12_GLOBAL__N_112gatherMedianIsmLi1EEEvNS_4cuda6detail10TensorInfoIT_T0_EENS5_IlS7_EENS5_IKS6_S7_EES7_S7_S7_b.private_seg_size, 0
	.set _ZN2at6native12_GLOBAL__N_112gatherMedianIsmLi1EEEvNS_4cuda6detail10TensorInfoIT_T0_EENS5_IlS7_EENS5_IKS6_S7_EES7_S7_S7_b.uses_vcc, 1
	.set _ZN2at6native12_GLOBAL__N_112gatherMedianIsmLi1EEEvNS_4cuda6detail10TensorInfoIT_T0_EENS5_IlS7_EENS5_IKS6_S7_EES7_S7_S7_b.uses_flat_scratch, 0
	.set _ZN2at6native12_GLOBAL__N_112gatherMedianIsmLi1EEEvNS_4cuda6detail10TensorInfoIT_T0_EENS5_IlS7_EENS5_IKS6_S7_EES7_S7_S7_b.has_dyn_sized_stack, 0
	.set _ZN2at6native12_GLOBAL__N_112gatherMedianIsmLi1EEEvNS_4cuda6detail10TensorInfoIT_T0_EENS5_IlS7_EENS5_IKS6_S7_EES7_S7_S7_b.has_recursion, 0
	.set _ZN2at6native12_GLOBAL__N_112gatherMedianIsmLi1EEEvNS_4cuda6detail10TensorInfoIT_T0_EENS5_IlS7_EENS5_IKS6_S7_EES7_S7_S7_b.has_indirect_call, 0
	.section	.AMDGPU.csdata,"",@progbits
; Kernel info:
; codeLenInByte = 14908
; TotalNumSgprs: 100
; NumVgprs: 58
; ScratchSize: 0
; MemoryBound: 0
; FloatMode: 240
; IeeeMode: 1
; LDSByteSize: 5152 bytes/workgroup (compile time only)
; SGPRBlocks: 12
; VGPRBlocks: 14
; NumSGPRsForWavesPerEU: 100
; NumVGPRsForWavesPerEU: 58
; Occupancy: 4
; WaveLimiterHint : 1
; COMPUTE_PGM_RSRC2:SCRATCH_EN: 0
; COMPUTE_PGM_RSRC2:USER_SGPR: 6
; COMPUTE_PGM_RSRC2:TRAP_HANDLER: 0
; COMPUTE_PGM_RSRC2:TGID_X_EN: 1
; COMPUTE_PGM_RSRC2:TGID_Y_EN: 1
; COMPUTE_PGM_RSRC2:TGID_Z_EN: 1
; COMPUTE_PGM_RSRC2:TIDIG_COMP_CNT: 0
	.section	.text._ZN2at6native12_GLOBAL__N_112gatherMedianIsmLi2EEEvNS_4cuda6detail10TensorInfoIT_T0_EENS5_IlS7_EENS5_IKS6_S7_EES7_S7_S7_b,"axG",@progbits,_ZN2at6native12_GLOBAL__N_112gatherMedianIsmLi2EEEvNS_4cuda6detail10TensorInfoIT_T0_EENS5_IlS7_EENS5_IKS6_S7_EES7_S7_S7_b,comdat
	.globl	_ZN2at6native12_GLOBAL__N_112gatherMedianIsmLi2EEEvNS_4cuda6detail10TensorInfoIT_T0_EENS5_IlS7_EENS5_IKS6_S7_EES7_S7_S7_b ; -- Begin function _ZN2at6native12_GLOBAL__N_112gatherMedianIsmLi2EEEvNS_4cuda6detail10TensorInfoIT_T0_EENS5_IlS7_EENS5_IKS6_S7_EES7_S7_S7_b
	.p2align	8
	.type	_ZN2at6native12_GLOBAL__N_112gatherMedianIsmLi2EEEvNS_4cuda6detail10TensorInfoIT_T0_EENS5_IlS7_EENS5_IKS6_S7_EES7_S7_S7_b,@function
_ZN2at6native12_GLOBAL__N_112gatherMedianIsmLi2EEEvNS_4cuda6detail10TensorInfoIT_T0_EENS5_IlS7_EENS5_IKS6_S7_EES7_S7_S7_b: ; @_ZN2at6native12_GLOBAL__N_112gatherMedianIsmLi2EEEvNS_4cuda6detail10TensorInfoIT_T0_EENS5_IlS7_EENS5_IKS6_S7_EES7_S7_S7_b
; %bb.0:
	s_load_dwordx2 s[2:3], s[4:5], 0x500
	s_load_dwordx4 s[56:59], s[4:5], 0x4e0
	s_add_u32 s12, s4, 0x500
	s_addc_u32 s13, s5, 0
	s_mov_b32 s23, 0
	s_waitcnt lgkmcnt(0)
	s_mul_i32 s0, s3, s8
	s_add_i32 s0, s0, s7
	s_mul_i32 s0, s0, s2
	s_add_i32 s22, s0, s6
	v_mov_b32_e32 v1, s22
	v_mov_b32_e32 v2, s23
	v_cmp_le_u64_e32 vcc, s[58:59], v[1:2]
	s_cbranch_vccnz .LBB109_288
; %bb.1:
	s_load_dwordx2 s[10:11], s[4:5], 0x10
	s_load_dwordx2 s[14:15], s[4:5], 0x350
	;; [unrolled: 1-line block ×3, first 2 shown]
                                        ; implicit-def: $vgpr49 : SGPR spill to VGPR lane
	s_mov_b64 s[8:9], 0
	s_waitcnt lgkmcnt(0)
	v_mov_b32_e32 v1, s10
	v_mov_b32_e32 v2, s11
	v_writelane_b32 v49, s0, 0
	v_cmp_lt_u64_e32 vcc, s[22:23], v[1:2]
	v_writelane_b32 v49, s1, 1
	s_mov_b64 s[0:1], 0
	v_writelane_b32 v49, s0, 2
	v_writelane_b32 v49, s1, 3
	s_cbranch_vccnz .LBB109_3
; %bb.2:
	v_cvt_f32_u32_e32 v1, s10
	s_sub_i32 s0, 0, s10
	v_rcp_iflag_f32_e32 v1, v1
	v_mul_f32_e32 v1, 0x4f7ffffe, v1
	v_cvt_u32_f32_e32 v1, v1
	v_readfirstlane_b32 s1, v1
	s_mul_i32 s0, s0, s1
	s_mul_hi_u32 s0, s1, s0
	s_add_i32 s1, s1, s0
	s_mul_hi_u32 s0, s22, s1
	s_mul_i32 s3, s0, s10
	s_sub_i32 s3, s22, s3
	s_add_i32 s1, s0, 1
	s_sub_i32 s7, s3, s10
	s_cmp_ge_u32 s3, s10
	s_cselect_b32 s0, s1, s0
	s_cselect_b32 s3, s7, s3
	s_add_i32 s1, s0, 1
	s_cmp_ge_u32 s3, s10
	s_cselect_b32 s0, s1, s0
	v_writelane_b32 v49, s0, 2
	v_writelane_b32 v49, s1, 3
.LBB109_3:
	s_load_dwordx2 s[72:73], s[4:5], 0x4f0
	s_load_dwordx2 s[0:1], s[4:5], 0x1b0
	v_writelane_b32 v49, s10, 4
	v_writelane_b32 v49, s11, 5
	s_waitcnt lgkmcnt(0)
	v_mov_b32_e32 v2, s1
	v_mov_b32_e32 v1, s0
	v_cmp_lt_u64_e32 vcc, s[22:23], v[1:2]
	s_cbranch_vccnz .LBB109_5
; %bb.4:
	s_load_dwordx2 s[8:9], s[4:5], 0x1b0
	s_waitcnt lgkmcnt(0)
	v_cvt_f32_u32_e32 v1, s8
	s_sub_i32 s0, 0, s8
	v_rcp_iflag_f32_e32 v1, v1
	v_mul_f32_e32 v1, 0x4f7ffffe, v1
	v_cvt_u32_f32_e32 v1, v1
	v_readfirstlane_b32 s1, v1
	s_mul_i32 s0, s0, s1
	s_mul_hi_u32 s0, s1, s0
	s_add_i32 s1, s1, s0
	s_mul_hi_u32 s0, s22, s1
	s_mul_i32 s3, s0, s8
	s_sub_i32 s3, s22, s3
	s_add_i32 s1, s0, 1
	s_sub_i32 s7, s3, s8
	s_cmp_ge_u32 s3, s8
	s_cselect_b32 s0, s1, s0
	s_cselect_b32 s3, s7, s3
	s_add_i32 s1, s0, 1
	s_cmp_ge_u32 s3, s8
	s_cselect_b32 s8, s1, s0
.LBB109_5:
	v_mov_b32_e32 v1, s14
	v_mov_b32_e32 v2, s15
	v_cmp_lt_u64_e32 vcc, s[22:23], v[1:2]
	v_writelane_b32 v49, s8, 6
	s_mov_b64 s[16:17], 0
	v_writelane_b32 v49, s9, 7
	s_cbranch_vccnz .LBB109_7
; %bb.6:
	v_cvt_f32_u32_e32 v1, s14
	s_sub_i32 s0, 0, s14
	v_rcp_iflag_f32_e32 v1, v1
	v_mul_f32_e32 v1, 0x4f7ffffe, v1
	v_cvt_u32_f32_e32 v1, v1
	v_readfirstlane_b32 s1, v1
	s_mul_i32 s0, s0, s1
	s_mul_hi_u32 s0, s1, s0
	s_add_i32 s1, s1, s0
	s_mul_hi_u32 s0, s22, s1
	s_mul_i32 s3, s0, s14
	s_sub_i32 s3, s22, s3
	s_add_i32 s1, s0, 1
	s_sub_i32 s7, s3, s14
	s_cmp_ge_u32 s3, s14
	s_cselect_b32 s0, s1, s0
	s_cselect_b32 s3, s7, s3
	s_add_i32 s1, s0, 1
	s_cmp_ge_u32 s3, s14
	s_cselect_b32 s16, s1, s0
.LBB109_7:
	v_cmp_eq_u32_e64 s[0:1], 0, v0
	s_mov_b64 s[8:9], exec
	v_writelane_b32 v49, s0, 8
	v_writelane_b32 v49, s1, 9
	s_and_b64 s[0:1], s[8:9], s[0:1]
	s_mov_b64 exec, s[0:1]
; %bb.8:
	v_mov_b32_e32 v1, 0
	v_mov_b32_e32 v2, v1
	ds_write_b64 v1, v[1:2] offset:5136
; %bb.9:
	s_or_b64 exec, exec, s[8:9]
	v_mov_b32_e32 v1, 0
	s_load_dword s0, s[4:5], 0x4f8
	s_load_dwordx2 s[18:19], s[4:5], 0x340
	s_waitcnt lgkmcnt(0)
	s_barrier
	s_barrier
	ds_read_b64 v[1:2], v1 offset:5136
	s_bitcmp1_b32 s0, 0
	s_cselect_b64 s[0:1], -1, 0
	v_mov_b32_e32 v19, s56
	v_mov_b32_e32 v20, s57
	s_waitcnt lgkmcnt(0)
	v_cmp_gt_i64_e32 vcc, 1, v[1:2]
	s_or_b64 s[0:1], s[0:1], vcc
	s_andn2_b64 vcc, exec, s[0:1]
	s_cbranch_vccnz .LBB109_11
; %bb.10:
	v_not_b32_e32 v1, v1
	v_not_b32_e32 v2, v2
	v_mov_b32_e32 v3, s57
	v_add_co_u32_e32 v1, vcc, s56, v1
	v_addc_co_u32_e32 v2, vcc, v3, v2, vcc
	v_lshrrev_b64 v[1:2], 1, v[1:2]
	v_add_co_u32_e32 v19, vcc, 1, v1
	v_addc_co_u32_e32 v20, vcc, 0, v2, vcc
.LBB109_11:
	s_load_dwordx2 s[0:1], s[4:5], 0x1a0
	s_load_dwordx4 s[8:11], s[4:5], 0x410
	s_waitcnt lgkmcnt(0)
	v_writelane_b32 v49, s0, 10
	v_writelane_b32 v49, s1, 11
	s_load_dwordx2 s[0:1], s[4:5], 0x0
	s_waitcnt lgkmcnt(0)
	v_writelane_b32 v49, s0, 12
	v_writelane_b32 v49, s1, 13
	s_mov_b64 s[20:21], exec
	v_readlane_b32 s0, v49, 8
	v_readlane_b32 s1, v49, 9
	s_and_b64 s[0:1], s[20:21], s[0:1]
	s_mov_b64 exec, s[0:1]
	s_cbranch_execz .LBB109_13
; %bb.12:
	v_mov_b32_e32 v1, 0
	v_mov_b32_e32 v3, s56
	v_mov_b32_e32 v4, s57
	v_mov_b32_e32 v2, v1
	ds_write_b32 v1, v1 offset:5144
	ds_write_b128 v1, v[1:4] offset:5120
.LBB109_13:
	s_or_b64 exec, exec, s[20:21]
	s_load_dwordx4 s[24:27], s[4:5], 0x270
	s_mul_i32 s0, s16, s15
	s_mul_hi_u32 s1, s16, s14
                                        ; kill: killed $sgpr4 killed $sgpr5
	s_add_i32 s1, s1, s0
	s_mul_i32 s0, s16, s14
	s_waitcnt lgkmcnt(0)
	v_writelane_b32 v49, s24, 14
	v_writelane_b32 v49, s25, 15
	;; [unrolled: 1-line block ×4, first 2 shown]
	s_load_dwordx4 s[24:27], s[4:5], 0xd0
	s_mov_b32 s4, s22
	s_sub_u32 s0, s22, s0
	s_subb_u32 s1, 0, s1
	s_mul_i32 s3, s0, s11
	s_waitcnt lgkmcnt(0)
	v_writelane_b32 v49, s24, 18
	v_writelane_b32 v49, s25, 19
	;; [unrolled: 1-line block ×6, first 2 shown]
	s_mul_hi_u32 s4, s0, s10
	s_add_i32 s3, s4, s3
	s_mul_i32 s1, s1, s10
	s_add_i32 s1, s3, s1
	s_mul_i32 s3, s16, s9
	s_mul_hi_u32 s4, s16, s8
	s_add_i32 s5, s4, s3
	s_mul_i32 s4, s16, s8
	s_lshl_b64 s[4:5], s[4:5], 1
	s_mul_i32 s0, s0, s10
	s_add_u32 s3, s18, s4
	s_addc_u32 s4, s19, s5
	s_lshl_b64 s[0:1], s[0:1], 1
	v_mov_b32_e32 v3, 0
	s_add_u32 s33, s3, s0
	v_mov_b32_e32 v1, v3
	s_addc_u32 s68, s4, s1
	v_cmp_gt_u64_e64 s[0:1], s[56:57], v[0:1]
	v_mbcnt_lo_u32_b32 v2, -1, 0
	v_writelane_b32 v49, s0, 24
	v_writelane_b32 v49, s1, 25
	v_mad_u64_u32 v[4:5], s[0:1], s72, v0, 0
	v_cmp_gt_u32_e64 s[0:1], 2, v0
	v_mbcnt_hi_u32_b32 v23, -1, v2
	v_writelane_b32 v49, s0, 26
	v_mov_b32_e32 v2, v5
	v_writelane_b32 v49, s1, 27
	v_mad_u64_u32 v[5:6], s[0:1], s73, v0, v[2:3]
	v_mov_b32_e32 v6, 0x600
	v_mov_b32_e32 v7, 0
	v_cmp_gt_u64_e64 s[0:1], s[56:57], v[6:7]
	v_lshlrev_b64 v[4:5], 1, v[4:5]
	v_writelane_b32 v49, s0, 28
	s_barrier
	v_cmp_gt_u32_e32 vcc, 64, v0
	v_cmp_gt_i32_e64 s[8:9], 4, v23
	v_writelane_b32 v49, s1, 29
	s_load_dword s0, s[12:13], 0xc
	s_and_b64 s[90:91], vcc, s[8:9]
	v_mov_b32_e32 v2, s68
	v_add_co_u32_e32 v12, vcc, s33, v4
	v_addc_co_u32_e32 v13, vcc, v2, v5, vcc
	v_lshlrev_b32_e32 v2, 2, v23
	v_and_b32_e32 v26, 0x100, v2
	v_lshrrev_b32_e32 v2, 1, v0
	v_and_b32_e32 v2, 0x1e0, v2
	v_lshlrev_b64 v[4:5], v23, -1
	s_waitcnt lgkmcnt(0)
	s_and_b32 s69, s0, 0xffff
	s_bfe_u32 s3, s0, 0xa0006
	v_or_b32_e32 v29, 0xc00, v2
	v_add_u32_e32 v2, 2, v0
	s_cmp_gt_u32 s69, 63
	v_cmp_gt_u64_e32 vcc, s[56:57], v[2:3]
	v_not_b32_e32 v28, v4
	s_cselect_b64 s[0:1], -1, 0
	v_mov_b32_e32 v4, s57
	v_not_b32_e32 v27, v5
	v_writelane_b32 v49, s0, 30
	s_add_u32 s85, s69, -1
	v_cndmask_b32_e32 v5, 0, v4, vcc
	v_mov_b32_e32 v4, s56
	v_writelane_b32 v49, s1, 31
	s_addc_u32 s1, 0, -1
	v_cndmask_b32_e32 v2, v2, v4, vcc
	v_not_b32_e32 v4, v0
	s_add_u32 s0, s85, s56
	v_add_co_u32_e32 v4, vcc, v2, v4
	s_addc_u32 s89, s1, s57
	v_addc_co_u32_e32 v5, vcc, -1, v5, vcc
	s_cmp_lt_u32 s6, s2
	v_cmp_lt_u64_e64 s[6:7], 1, v[4:5]
	v_writelane_b32 v49, s1, 32
	v_writelane_b32 v49, s6, 33
	v_and_b32_e32 v16, -2, v4
	v_mov_b32_e32 v17, v5
	s_cselect_b32 s1, 12, 18
	v_writelane_b32 v49, s7, 34
	v_cmp_ne_u64_e64 s[6:7], v[4:5], v[16:17]
	s_add_u32 s74, s12, s1
	s_addc_u32 s75, s13, 0
	v_writelane_b32 v49, s6, 35
	s_add_i32 s2, s3, -1
	v_writelane_b32 v49, s7, 36
	s_bfe_u32 s6, s69, 0x30006
	s_and_b32 s2, s2, 0xffff
	s_cmp_gt_u32 s2, 6
	s_cselect_b64 s[8:9], -1, 0
	v_writelane_b32 v49, s8, 37
	s_and_b32 s87, s3, 0x3f8
	v_writelane_b32 v49, s9, 38
	s_cmp_lg_u32 s6, 0
	v_writelane_b32 v49, s6, 39
	s_cselect_b64 s[2:3], -1, 0
	v_writelane_b32 v49, s2, 40
	v_writelane_b32 v49, s3, 41
	v_lshlrev_b32_e32 v24, 1, v0
	v_mov_b32_e32 v2, 0xc00
	v_writelane_b32 v49, s74, 42
	s_mov_b32 s83, 0
	v_cmp_eq_u32_e64 s[4:5], 0, v23
	v_add_u32_e32 v25, 0xc00, v24
	v_lshlrev_b32_e32 v14, 2, v0
	v_mov_b32_e32 v15, v3
	v_add_co_u32_e32 v18, vcc, v16, v0
	s_mov_b32 s1, s72
	s_mov_b32 s88, s73
	v_lshlrev_b32_e32 v31, 3, v0
	v_lshl_or_b32 v32, v23, 3, v2
	s_lshl_b32 s30, s69, 1
	s_mov_b32 s86, 14
	s_mov_b64 s[78:79], 0
	s_mov_b32 s31, 0x8000
	v_mov_b32_e32 v33, 0x4f800000
	v_mov_b32_e32 v34, 0x5040100
	;; [unrolled: 1-line block ×3, first 2 shown]
	s_mov_b32 s84, 0
	v_mov_b32_e32 v30, 0
	v_mov_b32_e32 v35, 0
	v_writelane_b32 v49, s75, 43
                                        ; implicit-def: $sgpr60_sgpr61
                                        ; implicit-def: $sgpr80_sgpr81
                                        ; implicit-def: $sgpr62_sgpr63
                                        ; implicit-def: $sgpr12_sgpr13
                                        ; implicit-def: $sgpr10_sgpr11
                                        ; implicit-def: $sgpr70_sgpr71
	v_writelane_b32 v49, s88, 44
	s_branch .LBB109_17
.LBB109_14:                             ;   in Loop: Header=BB109_17 Depth=1
	s_or_b64 exec, exec, s[18:19]
	s_and_b64 s[8:9], s[8:9], exec
	s_andn2_b64 s[24:25], s[24:25], exec
	s_andn2_b64 s[6:7], s[6:7], exec
	s_orn2_b64 s[18:19], s[14:15], exec
.LBB109_15:                             ;   in Loop: Header=BB109_17 Depth=1
	s_or_b64 exec, exec, s[2:3]
	s_andn2_b64 s[2:3], s[70:71], exec
	s_and_b64 s[8:9], s[8:9], exec
	s_or_b64 s[70:71], s[2:3], s[8:9]
	s_andn2_b64 s[2:3], s[10:11], exec
	s_and_b64 s[8:9], s[24:25], exec
	s_or_b64 s[10:11], s[2:3], s[8:9]
	s_andn2_b64 s[2:3], s[12:13], exec
	s_and_b64 s[6:7], s[6:7], exec
	s_or_b64 s[12:13], s[2:3], s[6:7]
	s_orn2_b64 s[6:7], s[18:19], exec
.LBB109_16:                             ;   in Loop: Header=BB109_17 Depth=1
	s_or_b64 exec, exec, s[16:17]
	s_and_b64 s[2:3], exec, s[6:7]
	s_or_b64 s[78:79], s[2:3], s[78:79]
	s_andn2_b64 s[2:3], s[62:63], exec
	s_and_b64 s[6:7], s[70:71], exec
	s_or_b64 s[62:63], s[2:3], s[6:7]
	s_andn2_b64 s[2:3], s[80:81], exec
	s_and_b64 s[6:7], s[10:11], exec
	;; [unrolled: 3-line block ×3, first 2 shown]
	v_mov_b32_e32 v20, v9
	s_or_b64 s[60:61], s[2:3], s[6:7]
	v_mov_b32_e32 v19, v8
	s_andn2_b64 exec, exec, s[78:79]
	s_cbranch_execz .LBB109_284
.LBB109_17:                             ; =>This Loop Header: Depth=1
                                        ;     Child Loop BB109_22 Depth 2
                                        ;     Child Loop BB109_36 Depth 2
	;; [unrolled: 1-line block ×17, first 2 shown]
	ds_read_b128 v[4:7], v3 offset:5120
	s_waitcnt lgkmcnt(0)
	v_readfirstlane_b32 s65, v5
	v_readfirstlane_b32 s64, v4
	s_cmp_lg_u64 s[64:65], 0
	s_cbranch_scc1 .LBB109_49
; %bb.18:                               ;   in Loop: Header=BB109_17 Depth=1
	v_readlane_b32 s2, v49, 28
	v_readlane_b32 s3, v49, 29
	s_and_b64 vcc, exec, s[2:3]
	s_cbranch_vccz .LBB109_30
; %bb.19:                               ;   in Loop: Header=BB109_17 Depth=1
	s_mov_b64 s[2:3], 0x601
	v_cmp_gt_u64_e32 vcc, s[2:3], v[6:7]
	s_mov_b64 s[2:3], 0
	s_mov_b64 s[6:7], 0
	s_cbranch_vccz .LBB109_31
; %bb.20:                               ;   in Loop: Header=BB109_17 Depth=1
	global_load_ushort v6, v[12:13], off
	global_load_ushort v2, v3, s[74:75]
	v_mov_b32_e32 v5, v1
	s_mov_b64 s[8:9], 0
	v_mov_b32_e32 v4, v0
	s_branch .LBB109_22
.LBB109_21:                             ;   in Loop: Header=BB109_22 Depth=2
	s_or_b64 exec, exec, s[6:7]
	s_waitcnt vmcnt(0)
	v_mov_b32_e32 v6, v7
	s_andn2_b64 exec, exec, s[8:9]
	s_cbranch_execz .LBB109_109
.LBB109_22:                             ;   Parent Loop BB109_17 Depth=1
                                        ; =>  This Inner Loop Header: Depth=2
	s_waitcnt vmcnt(0)
	v_add_co_u32_sdwa v4, vcc, v4, v2 dst_sel:DWORD dst_unused:UNUSED_PAD src0_sel:DWORD src1_sel:WORD_0
	v_addc_co_u32_e32 v5, vcc, 0, v5, vcc
	v_cmp_gt_u64_e64 s[6:7], s[56:57], v[4:5]
	v_cmp_le_u64_e32 vcc, s[56:57], v[4:5]
	s_waitcnt lgkmcnt(0)
	v_mov_b32_e32 v8, 0
	v_mov_b32_e32 v7, 0
	s_and_saveexec_b64 s[14:15], s[6:7]
	s_cbranch_execz .LBB109_24
; %bb.23:                               ;   in Loop: Header=BB109_22 Depth=2
	v_mul_lo_u32 v7, v5, s72
	v_mul_lo_u32 v11, v4, s73
	v_mad_u64_u32 v[9:10], s[6:7], v4, s72, 0
	v_add3_u32 v10, v10, v11, v7
	v_lshlrev_b64 v[9:10], 1, v[9:10]
	v_mov_b32_e32 v7, s68
	v_add_co_u32_e64 v9, s[6:7], s33, v9
	v_addc_co_u32_e64 v10, s[6:7], v7, v10, s[6:7]
	global_load_ushort v7, v[9:10], off
.LBB109_24:                             ;   in Loop: Header=BB109_22 Depth=2
	s_or_b64 exec, exec, s[14:15]
	v_add_u32_sdwa v9, sext(v6), s31 dst_sel:DWORD dst_unused:UNUSED_PAD src0_sel:WORD_0 src1_sel:DWORD
	v_and_b32_e32 v9, v9, v35
	v_cmp_eq_u32_e64 s[14:15], v9, v30
	s_cmp_lg_u64 s[14:15], 0
	s_cselect_b64 s[6:7], -1, 0
	s_and_b64 s[6:7], s[4:5], s[6:7]
	s_and_saveexec_b64 s[16:17], s[6:7]
	s_cbranch_execz .LBB109_28
; %bb.25:                               ;   in Loop: Header=BB109_22 Depth=2
	s_mov_b64 s[20:21], exec
	v_mbcnt_lo_u32_b32 v8, s20, 0
	v_mbcnt_hi_u32_b32 v8, s21, v8
	s_bcnt1_i32_b64 s22, s[14:15]
	v_cmp_eq_u32_e64 s[6:7], 0, v8
                                        ; implicit-def: $vgpr9
	s_and_saveexec_b64 s[18:19], s[6:7]
; %bb.26:                               ;   in Loop: Header=BB109_22 Depth=2
	s_bcnt1_i32_b64 s6, s[20:21]
	s_mul_i32 s6, s22, s6
	v_mov_b32_e32 v9, s6
	ds_add_rtn_u32 v9, v3, v9 offset:5144
; %bb.27:                               ;   in Loop: Header=BB109_22 Depth=2
	s_or_b64 exec, exec, s[18:19]
	s_waitcnt lgkmcnt(0)
	v_readfirstlane_b32 s6, v9
	v_mov_b32_e32 v9, s6
	v_mad_u32_u24 v8, s22, v8, v9
.LBB109_28:                             ;   in Loop: Header=BB109_22 Depth=2
	s_or_b64 exec, exec, s[16:17]
	ds_bpermute_b32 v8, v26, v8
	s_and_b64 s[6:7], exec, vcc
	s_or_b64 s[8:9], s[6:7], s[8:9]
	s_and_saveexec_b64 s[6:7], s[14:15]
	s_cbranch_execz .LBB109_21
; %bb.29:                               ;   in Loop: Header=BB109_22 Depth=2
	v_and_b32_e32 v10, s14, v28
	v_and_b32_e32 v9, s15, v27
	v_bcnt_u32_b32 v10, v10, 0
	v_bcnt_u32_b32 v9, v9, v10
	v_lshlrev_b32_e32 v9, 1, v9
	s_waitcnt lgkmcnt(0)
	v_lshl_add_u32 v8, v8, 1, v9
	ds_write_b16 v8, v6
	s_branch .LBB109_21
.LBB109_30:                             ;   in Loop: Header=BB109_17 Depth=1
	s_mov_b64 s[2:3], -1
	s_mov_b64 s[6:7], 0
.LBB109_31:                             ;   in Loop: Header=BB109_17 Depth=1
	s_and_b64 vcc, exec, s[2:3]
	s_cbranch_vccz .LBB109_47
.LBB109_32:                             ;   in Loop: Header=BB109_17 Depth=1
	s_mov_b64 s[2:3], exec
	v_readlane_b32 s6, v49, 24
	v_readlane_b32 s7, v49, 25
	s_and_b64 s[6:7], s[2:3], s[6:7]
	s_mov_b64 exec, s[6:7]
	s_cbranch_execz .LBB109_44
; %bb.33:                               ;   in Loop: Header=BB109_17 Depth=1
	global_load_ushort v2, v3, s[74:75]
	global_load_ushort v10, v[12:13], off
	v_mov_b32_e32 v4, v0
	s_waitcnt vmcnt(1)
	v_readfirstlane_b32 s6, v2
	v_add_u32_sdwa v2, v2, v0 dst_sel:DWORD dst_unused:UNUSED_PAD src0_sel:WORD_0 src1_sel:DWORD
	v_cmp_gt_u64_e32 vcc, s[56:57], v[2:3]
	s_and_saveexec_b64 s[8:9], vcc
	s_cbranch_execz .LBB109_43
; %bb.34:                               ;   in Loop: Header=BB109_17 Depth=1
	s_and_b32 s18, s6, 0xffff
	s_cmp_eq_u32 s18, 1
	v_readlane_b32 s14, v49, 33
                                        ; implicit-def: $vgpr4_vgpr5
	s_cselect_b64 s[6:7], -1, 0
	v_readlane_b32 s15, v49, 34
	v_mov_b32_e32 v8, v1
	v_mov_b32_e32 v6, v3
	s_and_b64 s[14:15], s[14:15], s[6:7]
	s_mov_b64 s[16:17], -1
	v_mov_b32_e32 v7, v0
	v_mov_b32_e32 v5, v2
	s_and_saveexec_b64 s[6:7], s[14:15]
	s_cbranch_execz .LBB109_38
; %bb.35:                               ;   in Loop: Header=BB109_17 Depth=1
	v_add_co_u32_e32 v4, vcc, 1, v2
	v_addc_co_u32_e64 v5, s[14:15], 0, 0, vcc
	v_mov_b32_e32 v8, v16
	v_mov_b32_e32 v7, v5
	s_waitcnt vmcnt(0)
	v_lshlrev_b32_e32 v21, 16, v10
	s_mov_b64 s[14:15], 0
	v_mov_b32_e32 v9, v17
	v_mov_b32_e32 v11, v24
	v_mov_b32_e32 v6, v4
	v_mov_b32_e32 v5, v3
	v_mov_b32_e32 v4, v2
.LBB109_36:                             ;   Parent Loop BB109_17 Depth=1
                                        ; =>  This Inner Loop Header: Depth=2
	v_mul_lo_u32 v41, v5, s72
	v_mul_lo_u32 v42, v4, s73
	v_mad_u64_u32 v[39:40], s[16:17], v4, s72, 0
	v_mul_lo_u32 v10, v7, s1
	v_mul_lo_u32 v22, v6, s88
	v_mad_u64_u32 v[37:38], s[16:17], v6, s1, 0
	v_add3_u32 v40, v40, v42, v41
	v_lshlrev_b64 v[39:40], 1, v[39:40]
	v_add3_u32 v38, v38, v22, v10
	v_mov_b32_e32 v43, s68
	v_lshlrev_b64 v[37:38], 1, v[37:38]
	v_add_co_u32_e32 v39, vcc, s33, v39
	v_addc_co_u32_e32 v40, vcc, v43, v40, vcc
	v_add_co_u32_e32 v37, vcc, s33, v37
	v_addc_co_u32_e32 v38, vcc, v43, v38, vcc
	global_load_ushort v22, v[39:40], off
	global_load_ushort v10, v[37:38], off
	v_add_co_u32_e32 v6, vcc, 2, v6
	v_addc_co_u32_e32 v7, vcc, 0, v7, vcc
	v_add_co_u32_e32 v4, vcc, 2, v4
	v_addc_co_u32_e32 v5, vcc, 0, v5, vcc
	v_add_co_u32_e32 v8, vcc, -2, v8
	v_addc_co_u32_e32 v9, vcc, -1, v9, vcc
	s_mov_b32 s16, 0x5040100
	v_cmp_eq_u64_e32 vcc, 0, v[8:9]
	s_or_b64 s[14:15], vcc, s[14:15]
	s_waitcnt vmcnt(1)
	v_alignbit_b32 v21, v22, v21, 16
	s_waitcnt vmcnt(0)
	v_perm_b32 v37, v10, v22, s16
	ds_write_b32 v11, v21
	v_add_u32_e32 v11, 4, v11
	v_mov_b32_e32 v21, v37
	s_andn2_b64 exec, exec, s[14:15]
	s_cbranch_execnz .LBB109_36
; %bb.37:                               ;   in Loop: Header=BB109_17 Depth=1
	s_or_b64 exec, exec, s[14:15]
	v_readlane_b32 s14, v49, 35
	v_add_co_u32_e32 v5, vcc, v2, v16
	v_readlane_b32 s15, v49, 36
	v_addc_co_u32_e32 v6, vcc, 0, v17, vcc
	v_add_co_u32_e32 v4, vcc, -1, v5
	s_orn2_b64 s[16:17], s[14:15], exec
	v_mov_b32_e32 v7, v18
	v_mov_b32_e32 v8, v19
.LBB109_38:                             ;   in Loop: Header=BB109_17 Depth=1
	s_or_b64 exec, exec, s[6:7]
	s_and_saveexec_b64 s[14:15], s[16:17]
	s_cbranch_execz .LBB109_42
; %bb.39:                               ;   in Loop: Header=BB109_17 Depth=1
	s_mov_b64 s[16:17], 0
	s_sub_u32 s19, 0, s18
.LBB109_40:                             ;   Parent Loop BB109_17 Depth=1
                                        ; =>  This Inner Loop Header: Depth=2
	v_mov_b32_e32 v9, v6
	v_mov_b32_e32 v8, v5
	v_mul_lo_u32 v2, v9, s72
	v_mul_lo_u32 v6, v8, s73
	v_mad_u64_u32 v[4:5], s[6:7], v8, s72, 0
	v_mov_b32_e32 v11, s68
	v_add3_u32 v5, v5, v6, v2
	v_lshlrev_b64 v[4:5], 1, v[4:5]
	v_add_co_u32_e32 v4, vcc, s33, v4
	v_addc_co_u32_e32 v5, vcc, v11, v5, vcc
	global_load_ushort v2, v[4:5], off
	v_add_co_u32_e32 v5, vcc, s18, v8
	v_addc_co_u32_e32 v6, vcc, 0, v9, vcc
	v_cmp_le_u64_e32 vcc, s[56:57], v[5:6]
	v_lshlrev_b32_e32 v4, 1, v7
	s_waitcnt vmcnt(1)
	ds_write_b16 v4, v10
	v_mov_b32_e32 v7, v8
	v_add_co_u32_e64 v4, s[6:7], s19, v5
	s_or_b64 s[16:17], vcc, s[16:17]
	v_mov_b32_e32 v8, v9
	s_waitcnt vmcnt(0)
	v_mov_b32_e32 v10, v2
	s_andn2_b64 exec, exec, s[16:17]
	s_cbranch_execnz .LBB109_40
; %bb.41:                               ;   in Loop: Header=BB109_17 Depth=1
	s_or_b64 exec, exec, s[16:17]
	v_mov_b32_e32 v10, v2
.LBB109_42:                             ;   in Loop: Header=BB109_17 Depth=1
	s_or_b64 exec, exec, s[14:15]
.LBB109_43:                             ;   in Loop: Header=BB109_17 Depth=1
	s_or_b64 exec, exec, s[8:9]
	v_lshlrev_b32_e32 v2, 1, v4
	s_waitcnt vmcnt(0)
	ds_write_b16 v2, v10
.LBB109_44:                             ;   in Loop: Header=BB109_17 Depth=1
	s_or_b64 exec, exec, s[2:3]
	s_waitcnt lgkmcnt(0)
	s_barrier
	s_mov_b64 s[2:3], exec
	v_readlane_b32 s6, v49, 8
	v_readlane_b32 s7, v49, 9
	s_and_b64 s[6:7], s[2:3], s[6:7]
	s_mov_b64 exec, s[6:7]
; %bb.45:                               ;   in Loop: Header=BB109_17 Depth=1
	v_mov_b32_e32 v4, s56
	v_mov_b32_e32 v5, s57
	ds_write_b64 v3, v[4:5] offset:5120
; %bb.46:                               ;   in Loop: Header=BB109_17 Depth=1
	s_or_b64 exec, exec, s[2:3]
	s_mov_b64 s[6:7], -1
	s_waitcnt lgkmcnt(0)
	s_barrier
.LBB109_47:                             ;   in Loop: Header=BB109_17 Depth=1
	s_mov_b64 s[64:65], 0
	s_and_b64 vcc, exec, s[6:7]
	s_cbranch_vccz .LBB109_49
; %bb.48:                               ;   in Loop: Header=BB109_17 Depth=1
	ds_read_b64 v[4:5], v3 offset:5120
	s_waitcnt lgkmcnt(0)
	v_readfirstlane_b32 s64, v4
.LBB109_49:                             ;   in Loop: Header=BB109_17 Depth=1
	s_cmp_lt_i32 s64, 1
	s_mov_b64 s[2:3], -1
                                        ; implicit-def: $vgpr4_vgpr5
                                        ; implicit-def: $vgpr8_vgpr9
	s_cbranch_scc1 .LBB109_59
; %bb.50:                               ;   in Loop: Header=BB109_17 Depth=1
	s_and_b64 vcc, exec, s[2:3]
	s_cbranch_vccnz .LBB109_73
.LBB109_51:                             ;   in Loop: Header=BB109_17 Depth=1
	s_lshl_b32 s6, s84, 6
	s_and_saveexec_b64 s[2:3], s[4:5]
	s_cbranch_execz .LBB109_53
.LBB109_52:                             ;   in Loop: Header=BB109_17 Depth=1
	v_lshl_add_u32 v2, s6, 3, v29
	ds_write_b128 v2, v[4:7]
	ds_write_b128 v2, v[8:11] offset:16
.LBB109_53:                             ;   in Loop: Header=BB109_17 Depth=1
	s_or_b64 exec, exec, s[2:3]
	s_waitcnt lgkmcnt(0)
	s_barrier
	s_and_saveexec_b64 s[2:3], s[90:91]
	s_cbranch_execz .LBB109_88
; %bb.54:                               ;   in Loop: Header=BB109_17 Depth=1
	v_readlane_b32 s8, v49, 30
	v_mov_b32_e32 v4, 0
	v_readlane_b32 s9, v49, 31
	v_mov_b32_e32 v5, 0
	s_andn2_b64 vcc, exec, s[8:9]
	s_cbranch_vccnz .LBB109_87
; %bb.55:                               ;   in Loop: Header=BB109_17 Depth=1
	v_readlane_b32 s8, v49, 37
	v_readlane_b32 s9, v49, 38
	s_andn2_b64 vcc, exec, s[8:9]
	s_cbranch_vccnz .LBB109_83
; %bb.56:                               ;   in Loop: Header=BB109_17 Depth=1
	v_mov_b32_e32 v4, 0
	v_lshl_add_u32 v2, s84, 9, v32
	v_mov_b32_e32 v5, 0
	s_mov_b32 s7, 0
.LBB109_57:                             ;   Parent Loop BB109_17 Depth=1
                                        ; =>  This Inner Loop Header: Depth=2
	ds_read2_b64 v[6:9], v2 offset1:4
	ds_read2_b64 v[37:40], v2 offset0:8 offset1:12
	ds_read2_b64 v[41:44], v2 offset0:16 offset1:20
	;; [unrolled: 1-line block ×3, first 2 shown]
	s_add_i32 s7, s7, 8
	s_waitcnt lgkmcnt(3)
	v_add_co_u32_e32 v4, vcc, v6, v4
	v_addc_co_u32_e32 v5, vcc, v7, v5, vcc
	v_add_co_u32_e32 v4, vcc, v8, v4
	v_addc_co_u32_e32 v5, vcc, v9, v5, vcc
	s_waitcnt lgkmcnt(2)
	v_add_co_u32_e32 v4, vcc, v37, v4
	v_addc_co_u32_e32 v5, vcc, v38, v5, vcc
	v_add_co_u32_e32 v4, vcc, v39, v4
	v_addc_co_u32_e32 v5, vcc, v40, v5, vcc
	s_waitcnt lgkmcnt(1)
	v_add_co_u32_e32 v4, vcc, v41, v4
	v_addc_co_u32_e32 v5, vcc, v42, v5, vcc
	v_add_co_u32_e32 v4, vcc, v43, v4
	v_addc_co_u32_e32 v5, vcc, v44, v5, vcc
	s_waitcnt lgkmcnt(0)
	v_add_co_u32_e32 v4, vcc, v45, v4
	v_addc_co_u32_e32 v5, vcc, v46, v5, vcc
	v_add_co_u32_e32 v4, vcc, v47, v4
	v_add_u32_e32 v2, 0x100, v2
	s_cmp_eq_u32 s87, s7
	v_addc_co_u32_e32 v5, vcc, v48, v5, vcc
	s_cbranch_scc0 .LBB109_57
; %bb.58:                               ;   in Loop: Header=BB109_17 Depth=1
	s_mov_b32 s7, s87
	s_branch .LBB109_84
.LBB109_59:                             ;   in Loop: Header=BB109_17 Depth=1
	global_load_ushort v2, v3, s[74:75]
	s_mov_b32 s2, s83
	s_waitcnt vmcnt(0)
	v_readfirstlane_b32 s3, v2
	s_and_b32 s3, 0xffff, s3
	s_lshl_b32 s65, s3, 2
	s_mov_b32 s3, s57
	s_cmp_lg_u64 s[2:3], 0
	s_cbranch_scc0 .LBB109_82
; %bb.60:                               ;   in Loop: Header=BB109_17 Depth=1
	v_cvt_f32_u32_e32 v4, s65
	s_sub_u32 s6, 0, s65
	s_subb_u32 s7, 0, 0
	v_mac_f32_e32 v4, 0, v33
	v_rcp_f32_e32 v4, v4
	v_mul_f32_e32 v4, 0x5f7ffffc, v4
	v_mul_f32_e32 v5, 0x2f800000, v4
	v_trunc_f32_e32 v5, v5
	v_mac_f32_e32 v4, 0xcf800000, v5
	v_cvt_u32_f32_e32 v5, v5
	v_cvt_u32_f32_e32 v4, v4
	v_readfirstlane_b32 s8, v5
	v_readfirstlane_b32 s2, v4
	s_mul_i32 s3, s6, s8
	s_mul_hi_u32 s14, s6, s2
	s_mul_i32 s9, s7, s2
	s_add_i32 s3, s14, s3
	s_mul_i32 s15, s6, s2
	s_add_i32 s3, s3, s9
	s_mul_hi_u32 s14, s2, s15
	s_mul_i32 s16, s2, s3
	s_mul_hi_u32 s9, s2, s3
	s_add_u32 s14, s14, s16
	s_addc_u32 s9, 0, s9
	s_mul_hi_u32 s17, s8, s15
	s_mul_i32 s15, s8, s15
	s_add_u32 s14, s14, s15
	s_mul_hi_u32 s16, s8, s3
	s_addc_u32 s9, s9, s17
	s_addc_u32 s14, s16, 0
	s_mul_i32 s3, s8, s3
	s_add_u32 s3, s9, s3
	s_addc_u32 s9, 0, s14
	s_add_u32 s14, s2, s3
	s_cselect_b64 s[2:3], -1, 0
	s_cmp_lg_u64 s[2:3], 0
	s_addc_u32 s8, s8, s9
	s_mul_i32 s2, s6, s8
	s_mul_hi_u32 s3, s6, s14
	s_add_i32 s2, s3, s2
	s_mul_i32 s7, s7, s14
	s_add_i32 s2, s2, s7
	s_mul_i32 s6, s6, s14
	s_mul_hi_u32 s7, s8, s6
	s_mul_i32 s9, s8, s6
	s_mul_i32 s16, s14, s2
	s_mul_hi_u32 s6, s14, s6
	s_mul_hi_u32 s15, s14, s2
	s_add_u32 s6, s6, s16
	s_addc_u32 s15, 0, s15
	s_add_u32 s6, s6, s9
	s_mul_hi_u32 s3, s8, s2
	s_addc_u32 s6, s15, s7
	s_addc_u32 s3, s3, 0
	s_mul_i32 s2, s8, s2
	s_add_u32 s2, s6, s2
	s_addc_u32 s6, 0, s3
	s_add_u32 s7, s14, s2
	s_cselect_b64 s[2:3], -1, 0
	s_cmp_lg_u64 s[2:3], 0
	s_addc_u32 s2, s8, s6
	s_mul_i32 s6, s56, s2
	s_mul_hi_u32 s8, s56, s7
	s_mul_hi_u32 s3, s56, s2
	s_add_u32 s6, s8, s6
	s_addc_u32 s3, 0, s3
	s_mul_hi_u32 s9, s57, s7
	s_mul_i32 s7, s57, s7
	s_add_u32 s6, s6, s7
	s_mul_hi_u32 s8, s57, s2
	s_addc_u32 s3, s3, s9
	s_addc_u32 s6, s8, 0
	s_mul_i32 s2, s57, s2
	s_add_u32 s2, s3, s2
	s_addc_u32 s3, 0, s6
	s_mul_i32 s3, s65, s3
	s_mul_hi_u32 s6, s65, s2
	s_add_i32 s6, s6, s3
	s_mul_i32 s2, s65, s2
	s_sub_u32 s7, s56, s2
	s_cselect_b64 s[2:3], -1, 0
	s_cmp_lg_u64 s[2:3], 0
	s_subb_u32 s6, s57, s6
	s_sub_u32 s8, s7, s65
	s_cselect_b64 s[2:3], -1, 0
	s_cmp_lg_u64 s[2:3], 0
	s_subb_u32 s9, s6, 0
	;; [unrolled: 4-line block ×3, first 2 shown]
	s_cmp_ge_u32 s8, s65
	s_cselect_b32 s3, -1, 0
	s_cmp_eq_u32 s9, 0
	s_cselect_b32 s3, s3, -1
	s_cmp_lg_u32 s3, 0
	s_cselect_b32 s2, s2, s9
	s_cselect_b32 s8, s14, s8
	s_cmp_ge_u32 s7, s65
	s_cselect_b32 s3, -1, 0
	s_cmp_eq_u32 s6, 0
	s_cselect_b32 s3, s3, -1
	s_cmp_lg_u32 s3, 0
	s_cselect_b32 s3, s2, s6
	s_cselect_b32 s2, s8, s7
	s_cbranch_execnz .LBB109_62
.LBB109_61:                             ;   in Loop: Header=BB109_17 Depth=1
	v_cvt_f32_u32_e32 v4, s65
	s_sub_i32 s2, 0, s65
	v_rcp_iflag_f32_e32 v4, v4
	v_mul_f32_e32 v4, 0x4f7ffffe, v4
	v_cvt_u32_f32_e32 v4, v4
	v_readfirstlane_b32 s3, v4
	s_mul_i32 s2, s2, s3
	s_mul_hi_u32 s2, s3, s2
	s_add_i32 s3, s3, s2
	s_mul_hi_u32 s2, s56, s3
	s_mul_i32 s2, s2, s65
	s_sub_i32 s2, s56, s2
	s_sub_i32 s3, s2, s65
	s_cmp_ge_u32 s2, s65
	s_cselect_b32 s2, s3, s2
	s_sub_i32 s3, s2, s65
	s_cmp_ge_u32 s2, s65
	s_cselect_b32 s82, s3, s2
	s_mov_b64 s[2:3], s[82:83]
.LBB109_62:                             ;   in Loop: Header=BB109_17 Depth=1
	s_sub_u32 s54, s56, s2
	s_subb_u32 s55, s57, s3
	v_cmp_gt_u64_e32 vcc, s[54:55], v[14:15]
	v_mov_b32_e32 v4, 0
	v_mov_b32_e32 v6, 0
	;; [unrolled: 1-line block ×8, first 2 shown]
	s_and_saveexec_b64 s[66:67], vcc
	s_cbranch_execz .LBB109_66
; %bb.63:                               ;   in Loop: Header=BB109_17 Depth=1
	v_mov_b32_e32 v22, v15
	s_mov_b64 s[76:77], 0
	s_mov_b64 s[58:59], 0
	;; [unrolled: 1-line block ×5, first 2 shown]
	v_mov_b32_e32 v21, v14
.LBB109_64:                             ;   Parent Loop BB109_17 Depth=1
                                        ; =>  This Inner Loop Header: Depth=2
	v_mul_lo_u32 v6, v22, s72
	v_mul_lo_u32 v7, v21, s73
	v_mad_u64_u32 v[4:5], s[6:7], v21, s72, 0
	v_mov_b32_e32 v8, s68
	s_lshl_b64 s[8:9], s[72:73], 1
	v_add3_u32 v5, v5, v7, v6
	v_lshlrev_b64 v[4:5], 1, v[4:5]
	v_mov_b32_e32 v9, s9
	v_add_co_u32_e64 v4, s[6:7], s33, v4
	v_addc_co_u32_e64 v5, s[6:7], v8, v5, s[6:7]
	v_add_co_u32_e64 v6, s[6:7], s8, v4
	v_addc_co_u32_e64 v7, s[6:7], v5, v9, s[6:7]
	global_load_sshort v8, v[4:5], off
	global_load_sshort v10, v[6:7], off
	v_add_co_u32_e64 v4, s[6:7], s8, v6
	v_addc_co_u32_e64 v5, s[6:7], v7, v9, s[6:7]
	global_load_sshort v6, v[4:5], off
	v_add_co_u32_e64 v4, s[6:7], s8, v4
	v_addc_co_u32_e64 v5, s[6:7], v5, v9, s[6:7]
	global_load_sshort v4, v[4:5], off
	v_add_co_u32_e32 v21, vcc, s65, v21
	v_addc_co_u32_e32 v22, vcc, 0, v22, vcc
	v_cmp_le_u64_e32 vcc, s[54:55], v[21:22]
	s_waitcnt vmcnt(3)
	v_add_u32_e32 v5, 0x8000, v8
	v_and_b32_e32 v8, v5, v35
	v_bfe_u32 v5, v5, s86, 2
	s_waitcnt vmcnt(2)
	v_add_u32_e32 v7, 0x8000, v10
	v_cmp_eq_u32_e64 s[14:15], v8, v30
	v_cmp_eq_u32_e64 s[6:7], 0, v5
	s_waitcnt vmcnt(1)
	v_add_u32_e32 v6, 0x8000, v6
	v_and_b32_e32 v8, v7, v35
	v_bfe_u32 v7, v7, s86, 2
	v_cmp_eq_u32_e64 s[34:35], 1, v5
	v_cmp_eq_u32_e64 s[36:37], 2, v5
	;; [unrolled: 1-line block ×3, first 2 shown]
	s_waitcnt vmcnt(0)
	v_add_u32_e32 v4, 0x8000, v4
	v_and_b32_e32 v5, v6, v35
	v_bfe_u32 v6, v6, s86, 2
	s_and_b64 s[6:7], s[14:15], s[6:7]
	v_cmp_eq_u32_e64 s[16:17], v8, v30
	v_cmp_eq_u32_e64 s[26:27], 0, v7
	;; [unrolled: 1-line block ×5, first 2 shown]
	v_cndmask_b32_e64 v7, 0, 1, s[6:7]
	v_cmp_eq_u32_e64 s[22:23], v5, v30
	v_and_b32_e32 v5, v4, v35
	v_bfe_u32 v4, v4, s86, 2
	v_cmp_eq_u32_e64 s[6:7], 0, v6
	s_and_b64 s[8:9], s[16:17], s[26:27]
	v_cmp_eq_u32_e64 s[26:27], v5, v30
	v_cmp_eq_u32_e64 s[48:49], 0, v4
	s_and_b64 s[6:7], s[22:23], s[6:7]
	v_cmp_eq_u32_e64 s[42:43], 1, v6
	v_cmp_eq_u32_e64 s[44:45], 2, v6
	;; [unrolled: 1-line block ×3, first 2 shown]
	v_cndmask_b32_e64 v6, 0, 1, s[8:9]
	v_cmp_eq_u32_e64 s[50:51], 1, v4
	v_cmp_eq_u32_e64 s[52:53], 2, v4
	;; [unrolled: 1-line block ×3, first 2 shown]
	v_cndmask_b32_e64 v4, 0, 1, s[6:7]
	s_and_b64 s[8:9], s[26:27], s[48:49]
	v_cmp_ne_u32_e64 s[46:47], 0, v7
	v_cmp_ne_u32_e64 s[6:7], 0, v4
	v_cndmask_b32_e64 v4, 0, 1, s[8:9]
	s_bcnt1_i32_b64 s82, s[46:47]
	v_cmp_ne_u32_e64 s[46:47], 0, v6
	s_bcnt1_i32_b64 s8, s[6:7]
	v_cmp_ne_u32_e64 s[6:7], 0, v4
	s_bcnt1_i32_b64 s46, s[46:47]
	s_bcnt1_i32_b64 s6, s[6:7]
	s_add_u32 s7, s82, s92
	s_addc_u32 s9, 0, s93
	s_add_u32 s7, s7, s46
	s_addc_u32 s9, s9, 0
	s_add_u32 s7, s7, s8
	s_addc_u32 s8, s9, 0
	s_add_u32 s92, s7, s6
	s_addc_u32 s93, s8, 0
	s_and_b64 s[6:7], s[14:15], s[34:35]
	v_cndmask_b32_e64 v6, 0, 1, s[6:7]
	s_and_b64 s[6:7], s[16:17], s[38:39]
	v_cndmask_b32_e64 v7, 0, 1, s[6:7]
	s_and_b64 s[6:7], s[22:23], s[42:43]
	v_cndmask_b32_e64 v8, 0, 1, s[6:7]
	s_and_b64 s[6:7], s[26:27], s[50:51]
	v_cndmask_b32_e64 v9, 0, 1, s[6:7]
	v_cmp_ne_u32_e64 s[6:7], 0, v6
	v_cmp_ne_u32_e64 s[34:35], 0, v7
	v_cmp_ne_u32_e64 s[38:39], 0, v8
	v_cmp_ne_u32_e64 s[42:43], 0, v9
	s_bcnt1_i32_b64 s6, s[6:7]
	s_bcnt1_i32_b64 s7, s[34:35]
	s_bcnt1_i32_b64 s8, s[38:39]
	s_bcnt1_i32_b64 s9, s[42:43]
	s_add_u32 s2, s6, s2
	s_addc_u32 s3, 0, s3
	s_add_u32 s2, s2, s7
	s_addc_u32 s3, s3, 0
	s_add_u32 s2, s2, s8
	s_addc_u32 s3, s3, 0
	s_add_u32 s2, s2, s9
	s_addc_u32 s3, s3, 0
	s_and_b64 s[6:7], s[14:15], s[36:37]
	v_cndmask_b32_e64 v8, 0, 1, s[6:7]
	s_and_b64 s[6:7], s[16:17], s[40:41]
	v_cndmask_b32_e64 v9, 0, 1, s[6:7]
	s_and_b64 s[6:7], s[22:23], s[44:45]
	v_cndmask_b32_e64 v10, 0, 1, s[6:7]
	s_and_b64 s[6:7], s[26:27], s[52:53]
	v_cndmask_b32_e64 v11, 0, 1, s[6:7]
	v_cmp_ne_u32_e64 s[6:7], 0, v8
	v_cmp_ne_u32_e64 s[34:35], 0, v9
	v_cmp_ne_u32_e64 s[36:37], 0, v10
	v_cmp_ne_u32_e64 s[38:39], 0, v11
	s_bcnt1_i32_b64 s6, s[6:7]
	s_bcnt1_i32_b64 s7, s[34:35]
	;; [unrolled: 24-line block ×3, first 2 shown]
	s_bcnt1_i32_b64 s8, s[16:17]
	s_bcnt1_i32_b64 s9, s[18:19]
	s_add_u32 s6, s6, s58
	s_addc_u32 s14, 0, s59
	s_add_u32 s6, s6, s7
	s_addc_u32 s7, s14, 0
	;; [unrolled: 2-line block ×3, first 2 shown]
	s_add_u32 s58, s6, s9
	v_mov_b32_e32 v4, s92
	v_mov_b32_e32 v7, s3
	;; [unrolled: 1-line block ×3, first 2 shown]
	s_addc_u32 s59, s7, 0
	v_mov_b32_e32 v10, s58
	v_mov_b32_e32 v5, s93
	;; [unrolled: 1-line block ×4, first 2 shown]
	s_or_b64 s[76:77], vcc, s[76:77]
	v_mov_b32_e32 v11, s59
	s_andn2_b64 exec, exec, s[76:77]
	s_cbranch_execnz .LBB109_64
; %bb.65:                               ;   in Loop: Header=BB109_17 Depth=1
	s_or_b64 exec, exec, s[76:77]
	v_readlane_b32 s74, v49, 42
	v_readlane_b32 s75, v49, 43
.LBB109_66:                             ;   in Loop: Header=BB109_17 Depth=1
	s_or_b64 exec, exec, s[66:67]
	v_mov_b32_e32 v22, s55
	v_add_co_u32_e32 v21, vcc, s54, v0
	v_addc_co_u32_e32 v22, vcc, 0, v22, vcc
	v_cmp_gt_u64_e32 vcc, s[56:57], v[21:22]
	s_and_saveexec_b64 s[2:3], vcc
	s_cbranch_execz .LBB109_72
; %bb.67:                               ;   in Loop: Header=BB109_17 Depth=1
	v_mul_lo_u32 v39, v22, s72
	v_mul_lo_u32 v40, v21, s73
	v_mad_u64_u32 v[37:38], s[6:7], v21, s72, 0
	s_mov_b64 s[8:9], 0
	v_add3_u32 v38, v38, v40, v39
	v_lshlrev_b64 v[37:38], 1, v[37:38]
	v_mov_b32_e32 v39, s68
	v_add_co_u32_e32 v37, vcc, s33, v37
	v_addc_co_u32_e32 v38, vcc, v39, v38, vcc
	global_load_ushort v38, v[37:38], off
	s_branch .LBB109_69
.LBB109_68:                             ;   in Loop: Header=BB109_69 Depth=2
	s_or_b64 exec, exec, s[14:15]
	s_waitcnt vmcnt(0)
	v_add_u32_sdwa v38, sext(v38), s31 dst_sel:DWORD dst_unused:UNUSED_PAD src0_sel:WORD_0 src1_sel:DWORD
	s_and_b64 s[6:7], exec, vcc
	v_and_b32_e32 v39, v38, v35
	v_bfe_u32 v38, v38, s86, 2
	s_or_b64 s[8:9], s[6:7], s[8:9]
	v_cmp_eq_u32_e32 vcc, v39, v30
	v_cmp_eq_u32_e64 s[6:7], 0, v38
	s_and_b64 s[6:7], vcc, s[6:7]
	v_cndmask_b32_e64 v39, 0, 1, s[6:7]
	v_cmp_ne_u32_e64 s[6:7], 0, v39
	s_bcnt1_i32_b64 s6, s[6:7]
	v_add_co_u32_e64 v4, s[6:7], s6, v4
	v_addc_co_u32_e64 v5, s[6:7], 0, v5, s[6:7]
	v_cmp_eq_u32_e64 s[6:7], 1, v38
	s_and_b64 s[6:7], vcc, s[6:7]
	v_cndmask_b32_e64 v39, 0, 1, s[6:7]
	v_cmp_ne_u32_e64 s[6:7], 0, v39
	s_bcnt1_i32_b64 s6, s[6:7]
	v_add_co_u32_e64 v6, s[6:7], s6, v6
	v_addc_co_u32_e64 v7, s[6:7], 0, v7, s[6:7]
	;; [unrolled: 7-line block ×3, first 2 shown]
	v_cmp_eq_u32_e64 s[6:7], 3, v38
	s_and_b64 s[6:7], vcc, s[6:7]
	v_cndmask_b32_e64 v38, 0, 1, s[6:7]
	v_cmp_ne_u32_e32 vcc, 0, v38
	s_bcnt1_i32_b64 s6, vcc
	v_add_co_u32_e32 v10, vcc, s6, v10
	v_addc_co_u32_e32 v11, vcc, 0, v11, vcc
	v_mov_b32_e32 v38, v37
	s_andn2_b64 exec, exec, s[8:9]
	s_cbranch_execz .LBB109_71
.LBB109_69:                             ;   Parent Loop BB109_17 Depth=1
                                        ; =>  This Inner Loop Header: Depth=2
	v_add_co_u32_sdwa v21, vcc, v21, v2 dst_sel:DWORD dst_unused:UNUSED_PAD src0_sel:DWORD src1_sel:WORD_0
	v_addc_co_u32_e32 v22, vcc, 0, v22, vcc
	v_cmp_gt_u64_e64 s[6:7], s[56:57], v[21:22]
	v_cmp_le_u64_e32 vcc, s[56:57], v[21:22]
	v_mov_b32_e32 v37, 0
	s_and_saveexec_b64 s[14:15], s[6:7]
	s_cbranch_execz .LBB109_68
; %bb.70:                               ;   in Loop: Header=BB109_69 Depth=2
	v_mul_lo_u32 v37, v22, s72
	v_mul_lo_u32 v41, v21, s73
	v_mad_u64_u32 v[39:40], s[6:7], v21, s72, 0
	v_add3_u32 v40, v40, v41, v37
	v_lshlrev_b64 v[39:40], 1, v[39:40]
	v_mov_b32_e32 v37, s68
	v_add_co_u32_e64 v39, s[6:7], s33, v39
	v_addc_co_u32_e64 v40, s[6:7], v37, v40, s[6:7]
	global_load_ushort v37, v[39:40], off
	s_branch .LBB109_68
.LBB109_71:                             ;   in Loop: Header=BB109_17 Depth=1
	s_or_b64 exec, exec, s[8:9]
.LBB109_72:                             ;   in Loop: Header=BB109_17 Depth=1
	s_or_b64 exec, exec, s[2:3]
	s_branch .LBB109_51
.LBB109_73:                             ;   in Loop: Header=BB109_17 Depth=1
	global_load_ushort v2, v3, s[74:75]
	v_mov_b32_e32 v8, 0
	v_mov_b32_e32 v9, 0
	s_waitcnt vmcnt(0)
	v_readfirstlane_b32 s2, v2
	s_and_b32 s65, 0xffff, s2
	s_lshl_b32 s82, s65, 2
	v_cvt_f32_u32_e32 v4, s82
	s_sub_i32 s2, 0, s82
	v_rcp_iflag_f32_e32 v6, v4
	v_mov_b32_e32 v4, 0
	v_mov_b32_e32 v5, 0
	v_mul_f32_e32 v6, 0x4f7ffffe, v6
	v_cvt_u32_f32_e32 v10, v6
	v_mov_b32_e32 v6, 0
	v_mov_b32_e32 v7, 0
	v_readfirstlane_b32 s3, v10
	s_mul_i32 s2, s2, s3
	s_mul_hi_u32 s2, s3, s2
	s_add_i32 s3, s3, s2
	s_mul_hi_u32 s2, s64, s3
	s_mul_i32 s3, s2, s82
	s_sub_i32 s3, s64, s3
	s_add_i32 s6, s2, 1
	s_sub_i32 s7, s3, s82
	s_cmp_ge_u32 s3, s82
	s_cselect_b32 s2, s6, s2
	s_cselect_b32 s3, s7, s3
	s_add_i32 s6, s2, 1
	s_cmp_ge_u32 s3, s82
	s_cselect_b32 s2, s6, s2
	s_mul_hi_u32 s67, s65, s2
	s_mul_i32 s66, s65, s2
	s_lshl_b64 s[2:3], s[66:67], 2
	v_cmp_gt_u64_e32 vcc, s[2:3], v[14:15]
	v_mov_b32_e32 v10, 0
	v_mov_b32_e32 v11, 0
	s_and_saveexec_b64 s[58:59], vcc
	s_cbranch_execz .LBB109_77
; %bb.74:                               ;   in Loop: Header=BB109_17 Depth=1
	v_mov_b32_e32 v22, v15
	s_lshl_b32 s67, s65, 3
	s_mov_b64 s[74:75], 0
	v_mov_b32_e32 v37, v31
	s_mov_b64 s[76:77], 0
	s_mov_b64 s[92:93], 0
	;; [unrolled: 1-line block ×4, first 2 shown]
	v_mov_b32_e32 v21, v14
.LBB109_75:                             ;   Parent Loop BB109_17 Depth=1
                                        ; =>  This Inner Loop Header: Depth=2
	ds_read_b64 v[4:5], v37
	v_add_co_u32_e32 v21, vcc, s82, v21
	v_addc_co_u32_e32 v22, vcc, 0, v22, vcc
	s_waitcnt lgkmcnt(0)
	v_add_u32_sdwa v6, sext(v4), s31 dst_sel:DWORD dst_unused:UNUSED_PAD src0_sel:WORD_0 src1_sel:DWORD
	v_add_u32_sdwa v4, sext(v4), s31 dst_sel:DWORD dst_unused:UNUSED_PAD src0_sel:WORD_1 src1_sel:DWORD
	v_and_b32_e32 v8, v6, v35
	v_bfe_u32 v6, v6, s86, 2
	v_add_u32_sdwa v7, sext(v5), s31 dst_sel:DWORD dst_unused:UNUSED_PAD src0_sel:WORD_0 src1_sel:DWORD
	v_and_b32_e32 v9, v4, v35
	v_bfe_u32 v4, v4, s86, 2
	v_cmp_eq_u32_e64 s[20:21], v8, v30
	v_cmp_eq_u32_e64 s[6:7], 0, v6
	v_add_u32_sdwa v5, sext(v5), s31 dst_sel:DWORD dst_unused:UNUSED_PAD src0_sel:WORD_1 src1_sel:DWORD
	v_and_b32_e32 v10, v7, v35
	v_bfe_u32 v7, v7, s86, 2
	v_cmp_eq_u32_e64 s[18:19], v9, v30
	v_cmp_eq_u32_e64 s[34:35], 0, v4
	s_and_b64 s[6:7], s[20:21], s[6:7]
	v_and_b32_e32 v11, v5, v35
	v_bfe_u32 v5, v5, s86, 2
	v_cmp_eq_u32_e64 s[16:17], v10, v30
	v_cmp_eq_u32_e64 s[36:37], 0, v7
	;; [unrolled: 1-line block ×5, first 2 shown]
	v_cndmask_b32_e64 v4, 0, 1, s[6:7]
	s_and_b64 s[6:7], s[18:19], s[34:35]
	v_cmp_eq_u32_e64 s[14:15], v11, v30
	v_cmp_eq_u32_e64 s[38:39], 0, v5
	;; [unrolled: 1-line block ×5, first 2 shown]
	v_cndmask_b32_e64 v5, 0, 1, s[6:7]
	s_and_b64 s[6:7], s[16:17], s[36:37]
	v_cmp_eq_u32_e64 s[40:41], 1, v6
	v_cmp_eq_u32_e64 s[48:49], 2, v6
	;; [unrolled: 1-line block ×3, first 2 shown]
	v_cndmask_b32_e64 v6, 0, 1, s[6:7]
	s_and_b64 s[6:7], s[14:15], s[38:39]
	v_cmp_eq_u32_e64 s[44:45], 1, v7
	v_cmp_eq_u32_e64 s[52:53], 2, v7
	;; [unrolled: 1-line block ×3, first 2 shown]
	v_cndmask_b32_e64 v7, 0, 1, s[6:7]
	v_cmp_ne_u32_e64 s[6:7], 0, v4
	v_cmp_ne_u32_e64 s[34:35], 0, v5
	v_cmp_ne_u32_e64 s[36:37], 0, v6
	v_cmp_ne_u32_e64 s[38:39], 0, v7
	s_bcnt1_i32_b64 s6, s[6:7]
	s_bcnt1_i32_b64 s7, s[34:35]
	s_bcnt1_i32_b64 s34, s[36:37]
	s_bcnt1_i32_b64 s35, s[38:39]
	s_add_u32 s6, s6, s8
	s_addc_u32 s8, 0, s9
	s_add_u32 s6, s6, s7
	s_addc_u32 s7, s8, 0
	s_add_u32 s6, s6, s34
	s_addc_u32 s7, s7, 0
	s_add_u32 s8, s6, s35
	s_addc_u32 s9, s7, 0
	s_and_b64 s[6:7], s[20:21], s[40:41]
	v_cndmask_b32_e64 v6, 0, 1, s[6:7]
	s_and_b64 s[6:7], s[18:19], s[42:43]
	v_cndmask_b32_e64 v7, 0, 1, s[6:7]
	s_and_b64 s[6:7], s[16:17], s[44:45]
	v_cndmask_b32_e64 v8, 0, 1, s[6:7]
	s_and_b64 s[6:7], s[14:15], s[46:47]
	v_cndmask_b32_e64 v9, 0, 1, s[6:7]
	v_cmp_ne_u32_e64 s[6:7], 0, v6
	v_cmp_ne_u32_e64 s[34:35], 0, v7
	v_cmp_ne_u32_e64 s[36:37], 0, v8
	v_cmp_ne_u32_e64 s[38:39], 0, v9
	s_bcnt1_i32_b64 s6, s[6:7]
	s_bcnt1_i32_b64 s7, s[34:35]
	s_bcnt1_i32_b64 s34, s[36:37]
	s_bcnt1_i32_b64 s35, s[38:39]
	s_add_u32 s6, s6, s94
	s_addc_u32 s36, 0, s95
	s_add_u32 s6, s6, s7
	s_addc_u32 s7, s36, 0
	s_add_u32 s6, s6, s34
	s_addc_u32 s7, s7, 0
	s_add_u32 s94, s6, s35
	s_addc_u32 s95, s7, 0
	s_and_b64 s[6:7], s[20:21], s[48:49]
	v_cndmask_b32_e64 v8, 0, 1, s[6:7]
	s_and_b64 s[6:7], s[18:19], s[50:51]
	v_cndmask_b32_e64 v9, 0, 1, s[6:7]
	s_and_b64 s[6:7], s[16:17], s[52:53]
	v_cndmask_b32_e64 v10, 0, 1, s[6:7]
	s_and_b64 s[6:7], s[14:15], s[54:55]
	;; [unrolled: 24-line block ×3, first 2 shown]
	v_cndmask_b32_e64 v39, 0, 1, s[6:7]
	v_cmp_ne_u32_e64 s[6:7], 0, v10
	v_cmp_ne_u32_e64 s[14:15], 0, v11
	;; [unrolled: 1-line block ×4, first 2 shown]
	s_bcnt1_i32_b64 s6, s[6:7]
	s_bcnt1_i32_b64 s7, s[14:15]
	s_bcnt1_i32_b64 s14, s[16:17]
	s_bcnt1_i32_b64 s15, s[18:19]
	s_add_u32 s6, s6, s76
	s_addc_u32 s16, 0, s77
	s_add_u32 s6, s6, s7
	s_addc_u32 s7, s16, 0
	;; [unrolled: 2-line block ×3, first 2 shown]
	v_cmp_le_u64_e32 vcc, s[2:3], v[21:22]
	s_add_u32 s76, s6, s15
	v_mov_b32_e32 v4, s8
	v_mov_b32_e32 v6, s94
	;; [unrolled: 1-line block ×3, first 2 shown]
	s_addc_u32 s77, s7, 0
	v_mov_b32_e32 v10, s76
	v_add_u32_e32 v37, s67, v37
	v_mov_b32_e32 v5, s9
	v_mov_b32_e32 v7, s95
	;; [unrolled: 1-line block ×3, first 2 shown]
	s_or_b64 s[74:75], vcc, s[74:75]
	v_mov_b32_e32 v11, s77
	s_andn2_b64 exec, exec, s[74:75]
	s_cbranch_execnz .LBB109_75
; %bb.76:                               ;   in Loop: Header=BB109_17 Depth=1
	s_or_b64 exec, exec, s[74:75]
	v_readlane_b32 s74, v49, 42
	v_readlane_b32 s75, v49, 43
.LBB109_77:                             ;   in Loop: Header=BB109_17 Depth=1
	s_or_b64 exec, exec, s[58:59]
	v_mov_b32_e32 v22, s3
	v_add_co_u32_e32 v21, vcc, s2, v0
	s_and_b32 s82, s64, 0x7fffffff
	v_addc_co_u32_e32 v22, vcc, 0, v22, vcc
	v_cmp_gt_u64_e32 vcc, s[82:83], v[21:22]
	s_and_saveexec_b64 s[2:3], vcc
	s_cbranch_execz .LBB109_81
; %bb.78:                               ;   in Loop: Header=BB109_17 Depth=1
	v_lshl_add_u32 v37, s66, 3, v24
	s_lshl_b32 s22, s65, 1
	s_mov_b64 s[8:9], 0
.LBB109_79:                             ;   Parent Loop BB109_17 Depth=1
                                        ; =>  This Inner Loop Header: Depth=2
	ds_read_i16 v38, v37
	v_add_co_u32_sdwa v21, vcc, v21, v2 dst_sel:DWORD dst_unused:UNUSED_PAD src0_sel:DWORD src1_sel:WORD_0
	v_addc_co_u32_e32 v22, vcc, 0, v22, vcc
	s_waitcnt lgkmcnt(0)
	v_add_u32_e32 v38, 0x8000, v38
	v_and_b32_e32 v39, v38, v35
	v_bfe_u32 v38, v38, s86, 2
	v_cmp_eq_u32_e64 s[6:7], v39, v30
	v_cmp_eq_u32_e64 s[14:15], 0, v38
	;; [unrolled: 1-line block ×3, first 2 shown]
	s_and_b64 s[14:15], s[6:7], s[14:15]
	v_cmp_eq_u32_e64 s[18:19], 2, v38
	v_cmp_eq_u32_e64 s[20:21], 3, v38
	v_cndmask_b32_e64 v38, 0, 1, s[14:15]
	s_and_b64 s[14:15], s[6:7], s[16:17]
	v_cndmask_b32_e64 v39, 0, 1, s[14:15]
	s_and_b64 s[14:15], s[6:7], s[18:19]
	s_and_b64 s[6:7], s[6:7], s[20:21]
	v_cndmask_b32_e64 v41, 0, 1, s[6:7]
	v_cmp_ne_u32_e64 s[6:7], 0, v38
	s_bcnt1_i32_b64 s6, s[6:7]
	v_cndmask_b32_e64 v40, 0, 1, s[14:15]
	v_cmp_ne_u32_e64 s[14:15], 0, v39
	v_add_co_u32_e64 v4, s[6:7], s6, v4
	s_bcnt1_i32_b64 s14, s[14:15]
	v_addc_co_u32_e64 v5, s[6:7], 0, v5, s[6:7]
	v_cmp_le_u64_e32 vcc, s[82:83], v[21:22]
	v_cmp_ne_u32_e64 s[16:17], 0, v40
	v_cmp_ne_u32_e64 s[18:19], 0, v41
	v_add_co_u32_e64 v6, s[6:7], s14, v6
	s_bcnt1_i32_b64 s15, s[16:17]
	s_bcnt1_i32_b64 s16, s[18:19]
	v_addc_co_u32_e64 v7, s[6:7], 0, v7, s[6:7]
	v_add_co_u32_e64 v8, s[6:7], s15, v8
	s_or_b64 s[8:9], vcc, s[8:9]
	v_add_co_u32_e32 v10, vcc, s16, v10
	v_add_u32_e32 v37, s22, v37
	v_addc_co_u32_e64 v9, s[6:7], 0, v9, s[6:7]
	v_addc_co_u32_e32 v11, vcc, 0, v11, vcc
	s_andn2_b64 exec, exec, s[8:9]
	s_cbranch_execnz .LBB109_79
; %bb.80:                               ;   in Loop: Header=BB109_17 Depth=1
	s_or_b64 exec, exec, s[8:9]
.LBB109_81:                             ;   in Loop: Header=BB109_17 Depth=1
	s_or_b64 exec, exec, s[2:3]
	s_lshl_b32 s6, s84, 6
	s_and_saveexec_b64 s[2:3], s[4:5]
	s_cbranch_execnz .LBB109_52
	s_branch .LBB109_53
.LBB109_82:                             ;   in Loop: Header=BB109_17 Depth=1
                                        ; implicit-def: $sgpr2_sgpr3
	s_branch .LBB109_61
.LBB109_83:                             ;   in Loop: Header=BB109_17 Depth=1
	v_mov_b32_e32 v4, 0
	v_mov_b32_e32 v5, 0
	s_mov_b32 s7, 0
.LBB109_84:                             ;   in Loop: Header=BB109_17 Depth=1
	v_readlane_b32 s8, v49, 40
	v_readlane_b32 s9, v49, 41
	s_andn2_b64 vcc, exec, s[8:9]
	s_cbranch_vccnz .LBB109_87
; %bb.85:                               ;   in Loop: Header=BB109_17 Depth=1
	s_lshl_b32 s8, s84, 9
	s_lshl_b32 s7, s7, 5
	s_add_i32 s8, s8, s7
	v_add_u32_e32 v2, s8, v32
	v_readlane_b32 s7, v49, 39
.LBB109_86:                             ;   Parent Loop BB109_17 Depth=1
                                        ; =>  This Inner Loop Header: Depth=2
	ds_read_b64 v[6:7], v2
	s_add_i32 s7, s7, -1
	v_add_u32_e32 v2, 32, v2
	s_cmp_lg_u32 s7, 0
	s_waitcnt lgkmcnt(0)
	v_add_co_u32_e32 v4, vcc, v6, v4
	v_addc_co_u32_e32 v5, vcc, v7, v5, vcc
	s_cbranch_scc1 .LBB109_86
.LBB109_87:                             ;   in Loop: Header=BB109_17 Depth=1
	v_add_lshl_u32 v2, s6, v23, 3
	ds_write_b64 v2, v[4:5] offset:3072
.LBB109_88:                             ;   in Loop: Header=BB109_17 Depth=1
	s_or_b64 exec, exec, s[2:3]
	s_lshl_b32 s2, s6, 3
	v_mov_b32_e32 v2, s2
	s_waitcnt lgkmcnt(0)
	s_barrier
	ds_read_b128 v[8:11], v2 offset:3088
	ds_read_b128 v[4:7], v2 offset:3072
	v_cmp_eq_u64_e64 s[6:7], 1, v[19:20]
	s_lshl_b32 s66, 3, s86
	s_not_b32 s54, s66
	s_waitcnt lgkmcnt(1)
	v_readfirstlane_b32 s22, v8
	s_waitcnt lgkmcnt(0)
	v_cmp_eq_u64_e32 vcc, 1, v[4:5]
	v_readfirstlane_b32 s23, v9
	v_readfirstlane_b32 s14, v10
	;; [unrolled: 1-line block ×3, first 2 shown]
	s_and_b64 s[18:19], vcc, s[6:7]
	s_mov_b64 s[6:7], -1
	s_mov_b64 s[8:9], -1
                                        ; implicit-def: $sgpr20_sgpr21
                                        ; implicit-def: $sgpr2_sgpr3
	s_and_saveexec_b64 s[16:17], s[18:19]
	s_cbranch_execz .LBB109_126
; %bb.89:                               ;   in Loop: Header=BB109_17 Depth=1
	ds_read_b64 v[8:9], v3 offset:5120
	s_waitcnt lgkmcnt(0)
	s_barrier
	v_readfirstlane_b32 s24, v8
	v_readfirstlane_b32 s25, v9
	s_mov_b64 s[2:3], exec
	v_readlane_b32 s8, v49, 26
	v_readlane_b32 s9, v49, 27
	s_and_b64 s[8:9], s[2:3], s[8:9]
	s_mov_b64 exec, s[8:9]
; %bb.90:                               ;   in Loop: Header=BB109_17 Depth=1
	ds_write_b16 v25, v3
; %bb.91:                               ;   in Loop: Header=BB109_17 Depth=1
	s_or_b64 exec, exec, s[2:3]
	v_and_b32_e32 v30, s54, v30
	v_or_b32_e32 v35, s66, v35
	s_mov_b64 s[2:3], -1
	s_mov_b64 s[20:21], 0
	s_cmp_eq_u64 s[24:25], 0
	s_mov_b64 s[8:9], 0
	s_mov_b64 s[26:27], -1
	s_waitcnt lgkmcnt(0)
	s_barrier
                                        ; implicit-def: $vgpr36
	s_cbranch_scc1 .LBB109_105
; %bb.92:                               ;   in Loop: Header=BB109_17 Depth=1
	s_add_u32 s34, s24, s85
	v_readlane_b32 s8, v49, 32
	s_addc_u32 s9, s25, s8
	s_mov_b32 s8, s83
	s_cmp_lg_u64 s[8:9], 0
	s_cbranch_scc0 .LBB109_108
; %bb.93:                               ;   in Loop: Header=BB109_17 Depth=1
	v_cvt_f32_u32_e32 v2, s69
	s_sub_u32 s8, 0, s69
	s_subb_u32 s28, 0, 0
	v_mac_f32_e32 v2, 0, v33
	v_rcp_f32_e32 v2, v2
	v_mul_f32_e32 v2, 0x5f7ffffc, v2
	v_mul_f32_e32 v8, 0x2f800000, v2
	v_trunc_f32_e32 v8, v8
	v_mac_f32_e32 v2, 0xcf800000, v8
	v_cvt_u32_f32_e32 v8, v8
	v_cvt_u32_f32_e32 v2, v2
	v_readfirstlane_b32 s29, v8
	v_readfirstlane_b32 s26, v2
	s_mul_i32 s27, s8, s29
	s_mul_hi_u32 s36, s8, s26
	s_mul_i32 s35, s28, s26
	s_add_i32 s27, s36, s27
	s_mul_i32 s37, s8, s26
	s_add_i32 s27, s27, s35
	s_mul_hi_u32 s36, s26, s37
	s_mul_i32 s38, s26, s27
	s_mul_hi_u32 s35, s26, s27
	s_add_u32 s36, s36, s38
	s_addc_u32 s35, 0, s35
	s_mul_hi_u32 s39, s29, s37
	s_mul_i32 s37, s29, s37
	s_add_u32 s36, s36, s37
	s_mul_hi_u32 s38, s29, s27
	s_addc_u32 s35, s35, s39
	s_addc_u32 s36, s38, 0
	s_mul_i32 s27, s29, s27
	s_add_u32 s27, s35, s27
	s_addc_u32 s35, 0, s36
	s_add_u32 s36, s26, s27
	s_cselect_b64 s[26:27], -1, 0
	s_cmp_lg_u64 s[26:27], 0
	s_addc_u32 s29, s29, s35
	s_mul_i32 s26, s8, s29
	s_mul_hi_u32 s27, s8, s36
	s_add_i32 s26, s27, s26
	s_mul_i32 s28, s28, s36
	s_add_i32 s26, s26, s28
	s_mul_i32 s8, s8, s36
	s_mul_hi_u32 s28, s29, s8
	s_mul_i32 s35, s29, s8
	s_mul_i32 s38, s36, s26
	s_mul_hi_u32 s8, s36, s8
	s_mul_hi_u32 s37, s36, s26
	s_add_u32 s8, s8, s38
	s_addc_u32 s37, 0, s37
	s_add_u32 s8, s8, s35
	s_mul_hi_u32 s27, s29, s26
	s_addc_u32 s8, s37, s28
	s_addc_u32 s27, s27, 0
	s_mul_i32 s26, s29, s26
	s_add_u32 s8, s8, s26
	s_addc_u32 s28, 0, s27
	s_add_u32 s8, s36, s8
	s_cselect_b64 s[26:27], -1, 0
	s_cmp_lg_u64 s[26:27], 0
	s_addc_u32 s26, s29, s28
	s_mul_i32 s28, s34, s26
	s_mul_hi_u32 s29, s34, s8
	s_mul_hi_u32 s27, s34, s26
	s_add_u32 s28, s29, s28
	s_addc_u32 s27, 0, s27
	s_mul_hi_u32 s35, s9, s8
	s_mul_i32 s8, s9, s8
	s_add_u32 s8, s28, s8
	s_mul_hi_u32 s29, s9, s26
	s_addc_u32 s8, s27, s35
	s_addc_u32 s27, s29, 0
	s_mul_i32 s26, s9, s26
	s_add_u32 s8, s8, s26
	s_addc_u32 s26, 0, s27
	s_mul_i32 s26, s69, s26
	s_mul_hi_u32 s27, s69, s8
	s_add_i32 s28, s27, s26
	s_mul_i32 s8, s69, s8
	s_sub_u32 s8, s34, s8
	s_cselect_b64 s[26:27], -1, 0
	s_cmp_lg_u64 s[26:27], 0
	s_subb_u32 s28, s9, s28
	s_sub_u32 s29, s8, s69
	s_cselect_b64 s[26:27], -1, 0
	s_cmp_lg_u64 s[26:27], 0
	s_subb_u32 s35, s28, 0
	;; [unrolled: 4-line block ×3, first 2 shown]
	s_cmp_ge_u32 s29, s69
	s_cselect_b32 s27, -1, 0
	s_cmp_eq_u32 s35, 0
	s_cselect_b32 s27, s27, -1
	s_cmp_lg_u32 s27, 0
	s_cselect_b32 s26, s26, s35
	s_cselect_b32 s29, s36, s29
	s_cmp_ge_u32 s8, s69
	s_cselect_b32 s27, -1, 0
	s_cmp_eq_u32 s28, 0
	s_cselect_b32 s27, s27, -1
	s_cmp_lg_u32 s27, 0
	s_cselect_b32 s27, s26, s28
	s_cselect_b32 s26, s29, s8
	s_cbranch_execnz .LBB109_95
.LBB109_94:                             ;   in Loop: Header=BB109_17 Depth=1
	v_cvt_f32_u32_e32 v2, s69
	s_sub_i32 s8, 0, s69
	v_rcp_iflag_f32_e32 v2, v2
	v_mul_f32_e32 v2, 0x4f7ffffe, v2
	v_cvt_u32_f32_e32 v2, v2
	v_readfirstlane_b32 s26, v2
	s_mul_i32 s8, s8, s26
	s_mul_hi_u32 s8, s26, s8
	s_add_i32 s26, s26, s8
	s_mul_hi_u32 s8, s34, s26
	s_mul_i32 s8, s8, s69
	s_sub_i32 s8, s34, s8
	s_sub_i32 s26, s8, s69
	s_cmp_ge_u32 s8, s69
	s_cselect_b32 s8, s26, s8
	s_sub_i32 s26, s8, s69
	s_cmp_ge_u32 s8, s69
	s_cselect_b32 s82, s26, s8
	s_mov_b64 s[26:27], s[82:83]
.LBB109_95:                             ;   in Loop: Header=BB109_17 Depth=1
	s_sub_u32 s34, s34, s26
	s_subb_u32 s35, s9, s27
	v_cmp_gt_u64_e32 vcc, s[34:35], v[0:1]
	s_mov_b64 s[26:27], 0
	s_mov_b64 s[8:9], 0
                                        ; implicit-def: $vgpr36
	s_and_saveexec_b64 s[28:29], vcc
	s_cbranch_execz .LBB109_104
; %bb.96:                               ;   in Loop: Header=BB109_17 Depth=1
	v_mov_b32_e32 v9, v1
	v_mov_b32_e32 v2, v24
	;; [unrolled: 1-line block ×3, first 2 shown]
                                        ; implicit-def: $sgpr36_sgpr37
	s_branch .LBB109_99
.LBB109_97:                             ;   in Loop: Header=BB109_99 Depth=2
	s_or_b64 exec, exec, s[38:39]
	s_waitcnt lgkmcnt(0)
	s_barrier
	ds_read_b32 v10, v3 offset:3072
	s_mov_b64 s[38:39], -1
	s_waitcnt lgkmcnt(0)
	s_barrier
	v_cmp_ne_u32_sdwa s[40:41], v10, v3 src0_sel:WORD_0 src1_sel:DWORD
	s_and_b64 vcc, exec, s[40:41]
	s_mov_b64 s[40:41], -1
	s_cbranch_vccz .LBB109_102
.LBB109_98:                             ;   in Loop: Header=BB109_99 Depth=2
	s_and_b64 s[38:39], exec, s[38:39]
	s_or_b64 s[8:9], s[38:39], s[8:9]
	s_andn2_b64 s[36:37], s[36:37], exec
	s_and_b64 s[38:39], s[40:41], exec
	s_or_b64 s[36:37], s[36:37], s[38:39]
	s_andn2_b64 exec, exec, s[8:9]
	s_cbranch_execz .LBB109_103
.LBB109_99:                             ;   Parent Loop BB109_17 Depth=1
                                        ; =>  This Inner Loop Header: Depth=2
	v_cmp_gt_u64_e32 vcc, s[24:25], v[8:9]
	s_and_saveexec_b64 s[38:39], vcc
	s_cbranch_execz .LBB109_97
; %bb.100:                              ;   in Loop: Header=BB109_99 Depth=2
	ds_read_u16 v10, v2
	s_waitcnt lgkmcnt(0)
	v_add_u32_sdwa v11, sext(v10), s31 dst_sel:DWORD dst_unused:UNUSED_PAD src0_sel:WORD_0 src1_sel:DWORD
	v_and_b32_e32 v11, v11, v35
	v_cmp_eq_u32_e32 vcc, v11, v30
	s_and_b64 exec, exec, vcc
	s_cbranch_execz .LBB109_97
; %bb.101:                              ;   in Loop: Header=BB109_99 Depth=2
	v_perm_b32 v10, v10, 1, v34
	ds_write_b32 v3, v10 offset:3072
	s_branch .LBB109_97
.LBB109_102:                            ;   in Loop: Header=BB109_99 Depth=2
	v_add_co_u32_e32 v8, vcc, s69, v8
	v_addc_co_u32_e32 v9, vcc, 0, v9, vcc
	v_cmp_le_u64_e32 vcc, s[34:35], v[8:9]
	v_add_u32_e32 v2, s30, v2
	s_mov_b64 s[40:41], 0
	s_orn2_b64 s[38:39], vcc, exec
	s_branch .LBB109_98
.LBB109_103:                            ;   in Loop: Header=BB109_17 Depth=1
	s_or_b64 exec, exec, s[8:9]
	v_lshrrev_b32_e32 v36, 16, v10
	s_and_b64 s[8:9], s[36:37], exec
.LBB109_104:                            ;   in Loop: Header=BB109_17 Depth=1
	s_or_b64 exec, exec, s[28:29]
.LBB109_105:                            ;   in Loop: Header=BB109_17 Depth=1
	s_and_b64 vcc, exec, s[26:27]
	s_cbranch_vccz .LBB109_125
; %bb.106:                              ;   in Loop: Header=BB109_17 Depth=1
	s_mov_b32 s88, s83
	s_cmp_lg_u64 s[88:89], 0
	s_cbranch_scc0 .LBB109_112
; %bb.107:                              ;   in Loop: Header=BB109_17 Depth=1
	v_cvt_f32_u32_e32 v2, s69
	s_sub_u32 s20, 0, s69
	s_subb_u32 s21, 0, 0
	v_mac_f32_e32 v2, 0, v33
	v_rcp_f32_e32 v2, v2
	v_mul_f32_e32 v2, 0x5f7ffffc, v2
	v_mul_f32_e32 v8, 0x2f800000, v2
	v_trunc_f32_e32 v8, v8
	v_mac_f32_e32 v2, 0xcf800000, v8
	v_cvt_u32_f32_e32 v8, v8
	v_cvt_u32_f32_e32 v2, v2
	v_readfirstlane_b32 s24, v8
	v_readfirstlane_b32 s2, v2
	s_mul_i32 s3, s20, s24
	s_mul_hi_u32 s26, s20, s2
	s_mul_i32 s25, s21, s2
	s_add_i32 s3, s26, s3
	s_mul_i32 s27, s20, s2
	s_add_i32 s3, s3, s25
	s_mul_hi_u32 s26, s2, s27
	s_mul_i32 s28, s2, s3
	s_mul_hi_u32 s25, s2, s3
	s_add_u32 s26, s26, s28
	s_addc_u32 s25, 0, s25
	s_mul_hi_u32 s29, s24, s27
	s_mul_i32 s27, s24, s27
	s_add_u32 s26, s26, s27
	s_mul_hi_u32 s28, s24, s3
	s_addc_u32 s25, s25, s29
	s_addc_u32 s26, s28, 0
	s_mul_i32 s3, s24, s3
	s_add_u32 s3, s25, s3
	s_addc_u32 s25, 0, s26
	s_add_u32 s26, s2, s3
	s_cselect_b64 s[2:3], -1, 0
	s_cmp_lg_u64 s[2:3], 0
	s_addc_u32 s24, s24, s25
	s_mul_i32 s2, s20, s24
	s_mul_hi_u32 s3, s20, s26
	s_add_i32 s2, s3, s2
	s_mul_i32 s21, s21, s26
	s_add_i32 s2, s2, s21
	s_mul_i32 s20, s20, s26
	s_mul_hi_u32 s21, s24, s20
	s_mul_i32 s25, s24, s20
	s_mul_i32 s28, s26, s2
	s_mul_hi_u32 s20, s26, s20
	s_mul_hi_u32 s27, s26, s2
	s_add_u32 s20, s20, s28
	s_addc_u32 s27, 0, s27
	s_add_u32 s20, s20, s25
	s_mul_hi_u32 s3, s24, s2
	s_addc_u32 s20, s27, s21
	s_addc_u32 s3, s3, 0
	s_mul_i32 s2, s24, s2
	s_add_u32 s2, s20, s2
	s_addc_u32 s20, 0, s3
	s_add_u32 s21, s26, s2
	s_cselect_b64 s[2:3], -1, 0
	s_cmp_lg_u64 s[2:3], 0
	s_addc_u32 s2, s24, s20
	s_mul_i32 s20, s0, s2
	s_mul_hi_u32 s24, s0, s21
	s_mul_hi_u32 s3, s0, s2
	s_add_u32 s20, s24, s20
	s_addc_u32 s3, 0, s3
	s_mul_hi_u32 s25, s89, s21
	s_mul_i32 s21, s89, s21
	s_add_u32 s20, s20, s21
	s_mul_hi_u32 s24, s89, s2
	s_addc_u32 s3, s3, s25
	s_addc_u32 s20, s24, 0
	s_mul_i32 s2, s89, s2
	s_add_u32 s2, s3, s2
	s_addc_u32 s3, 0, s20
	s_mul_i32 s3, s69, s3
	s_mul_hi_u32 s20, s69, s2
	s_add_i32 s20, s20, s3
	s_mul_i32 s2, s69, s2
	s_sub_u32 s21, s0, s2
	s_cselect_b64 s[2:3], -1, 0
	s_cmp_lg_u64 s[2:3], 0
	s_subb_u32 s20, s89, s20
	s_sub_u32 s24, s21, s69
	s_cselect_b64 s[2:3], -1, 0
	s_cmp_lg_u64 s[2:3], 0
	s_subb_u32 s25, s20, 0
	s_sub_u32 s26, s24, s69
	s_cselect_b64 s[2:3], -1, 0
	s_cmp_lg_u64 s[2:3], 0
	s_subb_u32 s2, s25, 0
	s_cmp_ge_u32 s24, s69
	s_cselect_b32 s3, -1, 0
	s_cmp_eq_u32 s25, 0
	s_cselect_b32 s3, s3, -1
	s_cmp_lg_u32 s3, 0
	s_cselect_b32 s2, s2, s25
	s_cselect_b32 s24, s26, s24
	s_cmp_ge_u32 s21, s69
	s_cselect_b32 s3, -1, 0
	s_cmp_eq_u32 s20, 0
	s_cselect_b32 s3, s3, -1
	s_cmp_lg_u32 s3, 0
	s_cselect_b32 s3, s2, s20
	s_cselect_b32 s2, s24, s21
	s_mov_b64 s[20:21], 0
	s_branch .LBB109_113
.LBB109_108:                            ;   in Loop: Header=BB109_17 Depth=1
                                        ; implicit-def: $sgpr26_sgpr27
	s_branch .LBB109_94
.LBB109_109:                            ;   in Loop: Header=BB109_17 Depth=1
	s_or_b64 exec, exec, s[8:9]
	s_waitcnt lgkmcnt(0)
	s_barrier
	s_mov_b64 s[6:7], exec
	v_readlane_b32 s8, v49, 8
	v_readlane_b32 s9, v49, 9
	s_and_b64 s[8:9], s[6:7], s[8:9]
	s_mov_b64 exec, s[8:9]
	s_cbranch_execz .LBB109_111
; %bb.110:                              ;   in Loop: Header=BB109_17 Depth=1
	ds_read_b32 v4, v3 offset:5144
	s_waitcnt lgkmcnt(0)
	v_ashrrev_i32_e32 v5, 31, v4
	ds_write_b64 v3, v[4:5] offset:5120
.LBB109_111:                            ;   in Loop: Header=BB109_17 Depth=1
	s_or_b64 exec, exec, s[6:7]
	s_waitcnt lgkmcnt(0)
	s_barrier
	s_mov_b64 s[6:7], -1
	s_and_b64 vcc, exec, s[2:3]
	s_cbranch_vccnz .LBB109_32
	s_branch .LBB109_47
.LBB109_112:                            ;   in Loop: Header=BB109_17 Depth=1
	s_mov_b64 s[20:21], -1
                                        ; implicit-def: $sgpr2_sgpr3
.LBB109_113:                            ;   in Loop: Header=BB109_17 Depth=1
	s_andn2_b64 vcc, exec, s[20:21]
	v_readlane_b32 s88, v49, 44
	s_cbranch_vccnz .LBB109_115
; %bb.114:                              ;   in Loop: Header=BB109_17 Depth=1
	v_cvt_f32_u32_e32 v2, s69
	s_sub_i32 s2, 0, s69
	v_rcp_iflag_f32_e32 v2, v2
	v_mul_f32_e32 v2, 0x4f7ffffe, v2
	v_cvt_u32_f32_e32 v2, v2
	v_readfirstlane_b32 s3, v2
	s_mul_i32 s2, s2, s3
	s_mul_hi_u32 s2, s3, s2
	s_add_i32 s3, s3, s2
	s_mul_hi_u32 s2, s0, s3
	s_mul_i32 s2, s2, s69
	s_sub_i32 s2, s0, s2
	s_sub_i32 s3, s2, s69
	s_cmp_ge_u32 s2, s69
	s_cselect_b32 s2, s3, s2
	s_sub_i32 s3, s2, s69
	s_cmp_ge_u32 s2, s69
	s_cselect_b32 s82, s3, s2
	s_mov_b64 s[2:3], s[82:83]
.LBB109_115:                            ;   in Loop: Header=BB109_17 Depth=1
	s_sub_u32 s20, s0, s2
	s_subb_u32 s21, s89, s3
	v_cmp_gt_u64_e32 vcc, s[20:21], v[0:1]
                                        ; implicit-def: $vgpr36
	s_and_saveexec_b64 s[2:3], vcc
	s_cbranch_execz .LBB109_124
; %bb.116:                              ;   in Loop: Header=BB109_17 Depth=1
	v_mov_b32_e32 v9, v1
	s_mov_b64 s[24:25], 0
	v_mov_b32_e32 v8, v0
                                        ; implicit-def: $sgpr26_sgpr27
	s_branch .LBB109_119
.LBB109_117:                            ;   in Loop: Header=BB109_119 Depth=2
	s_or_b64 exec, exec, s[28:29]
	s_waitcnt lgkmcnt(0)
	s_barrier
	ds_read_b32 v2, v3 offset:3072
	s_mov_b64 s[28:29], -1
	s_waitcnt lgkmcnt(0)
	s_barrier
	v_cmp_ne_u32_sdwa s[34:35], v2, v3 src0_sel:WORD_0 src1_sel:DWORD
	s_and_b64 vcc, exec, s[34:35]
	s_mov_b64 s[34:35], -1
	s_cbranch_vccz .LBB109_122
.LBB109_118:                            ;   in Loop: Header=BB109_119 Depth=2
	s_and_b64 s[28:29], exec, s[28:29]
	s_or_b64 s[24:25], s[28:29], s[24:25]
	s_andn2_b64 s[26:27], s[26:27], exec
	s_and_b64 s[28:29], s[34:35], exec
	s_or_b64 s[26:27], s[26:27], s[28:29]
	s_andn2_b64 exec, exec, s[24:25]
	s_cbranch_execz .LBB109_123
.LBB109_119:                            ;   Parent Loop BB109_17 Depth=1
                                        ; =>  This Inner Loop Header: Depth=2
	v_cmp_gt_u64_e32 vcc, s[56:57], v[8:9]
	s_and_saveexec_b64 s[28:29], vcc
	s_cbranch_execz .LBB109_117
; %bb.120:                              ;   in Loop: Header=BB109_119 Depth=2
	v_mul_lo_u32 v2, v9, s72
	v_mul_lo_u32 v21, v8, s73
	v_mad_u64_u32 v[10:11], s[34:35], v8, s72, 0
	v_add3_u32 v11, v11, v21, v2
	v_lshlrev_b64 v[10:11], 1, v[10:11]
	v_mov_b32_e32 v2, s68
	v_add_co_u32_e32 v10, vcc, s33, v10
	v_addc_co_u32_e32 v11, vcc, v2, v11, vcc
	global_load_ushort v2, v[10:11], off
	s_waitcnt vmcnt(0)
	v_add_u32_sdwa v10, sext(v2), s31 dst_sel:DWORD dst_unused:UNUSED_PAD src0_sel:WORD_0 src1_sel:DWORD
	v_and_b32_e32 v10, v10, v35
	v_cmp_eq_u32_e32 vcc, v10, v30
	s_and_b64 exec, exec, vcc
	s_cbranch_execz .LBB109_117
; %bb.121:                              ;   in Loop: Header=BB109_119 Depth=2
	v_perm_b32 v2, v2, 1, v34
	ds_write_b32 v3, v2 offset:3072
	s_branch .LBB109_117
.LBB109_122:                            ;   in Loop: Header=BB109_119 Depth=2
	v_add_co_u32_e32 v8, vcc, s69, v8
	v_addc_co_u32_e32 v9, vcc, 0, v9, vcc
	v_cmp_le_u64_e32 vcc, s[20:21], v[8:9]
	s_mov_b64 s[34:35], 0
	s_orn2_b64 s[28:29], vcc, exec
	s_branch .LBB109_118
.LBB109_123:                            ;   in Loop: Header=BB109_17 Depth=1
	s_or_b64 exec, exec, s[24:25]
	s_andn2_b64 s[8:9], s[8:9], exec
	s_and_b64 s[20:21], s[26:27], exec
	v_lshrrev_b32_e32 v36, 16, v2
	s_or_b64 s[8:9], s[8:9], s[20:21]
.LBB109_124:                            ;   in Loop: Header=BB109_17 Depth=1
	s_or_b64 exec, exec, s[2:3]
	s_mov_b64 s[2:3], 0
	s_mov_b64 s[20:21], -1
.LBB109_125:                            ;   in Loop: Header=BB109_17 Depth=1
	s_orn2_b64 s[8:9], s[8:9], exec
.LBB109_126:                            ;   in Loop: Header=BB109_17 Depth=1
	s_or_b64 exec, exec, s[16:17]
	s_andn2_b64 s[10:11], s[10:11], exec
	s_and_b64 s[16:17], s[20:21], exec
	s_andn2_b64 s[12:13], s[12:13], exec
	s_and_b64 s[2:3], s[2:3], exec
	s_andn2_b64 s[70:71], s[70:71], exec
	s_or_b64 s[10:11], s[10:11], s[16:17]
	s_or_b64 s[12:13], s[12:13], s[2:3]
                                        ; implicit-def: $vgpr8_vgpr9
	s_and_saveexec_b64 s[16:17], s[8:9]
	s_cbranch_execz .LBB109_16
; %bb.127:                              ;   in Loop: Header=BB109_17 Depth=1
	v_mov_b32_e32 v8, 1
	s_xor_b64 s[6:7], s[18:19], -1
	v_mov_b32_e32 v2, 1
	v_mov_b32_e32 v9, 0
	s_mov_b64 s[8:9], 0
	s_and_saveexec_b64 s[2:3], s[6:7]
	s_cbranch_execz .LBB109_136
; %bb.128:                              ;   in Loop: Header=BB109_17 Depth=1
	v_cmp_le_u64_e32 vcc, v[19:20], v[4:5]
	s_and_saveexec_b64 s[6:7], vcc
	s_xor_b64 s[6:7], exec, s[6:7]
	s_cbranch_execz .LBB109_133
; %bb.129:                              ;   in Loop: Header=BB109_17 Depth=1
	ds_read_b64 v[8:9], v3 offset:5120
	v_and_b32_e32 v30, s54, v30
	v_or_b32_e32 v35, s66, v35
	s_waitcnt lgkmcnt(0)
	v_cmp_ne_u64_e32 vcc, 0, v[8:9]
	s_cbranch_vccnz .LBB109_133
; %bb.130:                              ;   in Loop: Header=BB109_17 Depth=1
	s_mov_b64 s[8:9], exec
	v_readlane_b32 s18, v49, 8
	v_readlane_b32 s19, v49, 9
	s_and_b64 s[18:19], s[8:9], s[18:19]
	s_mov_b64 exec, s[18:19]
; %bb.131:                              ;   in Loop: Header=BB109_17 Depth=1
	ds_write_b64 v3, v[4:5] offset:5128
; %bb.132:                              ;   in Loop: Header=BB109_17 Depth=1
	s_or_b64 exec, exec, s[8:9]
	s_waitcnt lgkmcnt(0)
	s_barrier
.LBB109_133:                            ;   in Loop: Header=BB109_17 Depth=1
	s_or_saveexec_b64 s[6:7], s[6:7]
	s_mov_b64 s[8:9], 0
	v_mov_b32_e32 v2, 8
	s_xor_b64 exec, exec, s[6:7]
; %bb.134:                              ;   in Loop: Header=BB109_17 Depth=1
	v_sub_co_u32_e32 v19, vcc, v19, v4
	s_mov_b64 s[8:9], exec
	v_subb_co_u32_e32 v20, vcc, v20, v5, vcc
	v_mov_b32_e32 v2, 0
; %bb.135:                              ;   in Loop: Header=BB109_17 Depth=1
	s_or_b64 exec, exec, s[6:7]
	v_mov_b32_e32 v8, v19
	s_and_b64 s[8:9], s[8:9], exec
	v_mov_b32_e32 v9, v20
.LBB109_136:                            ;   in Loop: Header=BB109_17 Depth=1
	s_or_b64 exec, exec, s[2:3]
	s_mov_b64 s[18:19], -1
	s_mov_b64 s[2:3], -1
                                        ; implicit-def: $sgpr6_sgpr7
                                        ; implicit-def: $sgpr24_sgpr25
	s_and_saveexec_b64 s[20:21], s[8:9]
	s_xor_b64 s[20:21], exec, s[20:21]
	s_cbranch_execz .LBB109_281
; %bb.137:                              ;   in Loop: Header=BB109_17 Depth=1
	v_cmp_eq_u64_e32 vcc, 1, v[6:7]
	v_cmp_eq_u64_e64 s[6:7], 1, v[8:9]
                                        ; implicit-def: $sgpr24_sgpr25
	s_and_b64 s[28:29], vcc, s[6:7]
                                        ; implicit-def: $sgpr6_sgpr7
	s_and_saveexec_b64 s[26:27], s[28:29]
	s_cbranch_execz .LBB109_172
; %bb.138:                              ;   in Loop: Header=BB109_17 Depth=1
	ds_read_b64 v[4:5], v3 offset:5120
	s_waitcnt lgkmcnt(0)
	s_barrier
	v_readfirstlane_b32 s8, v4
	v_readfirstlane_b32 s9, v5
	s_mov_b64 s[2:3], exec
	v_readlane_b32 s6, v49, 26
	v_readlane_b32 s7, v49, 27
	s_and_b64 s[6:7], s[2:3], s[6:7]
	s_mov_b64 exec, s[6:7]
; %bb.139:                              ;   in Loop: Header=BB109_17 Depth=1
	ds_write_b16 v25, v3
; %bb.140:                              ;   in Loop: Header=BB109_17 Depth=1
	s_or_b64 exec, exec, s[2:3]
	v_and_b32_e32 v4, s54, v30
	v_lshl_or_b32 v30, 1, s86, v4
	v_or_b32_e32 v35, s66, v35
	s_mov_b64 s[6:7], -1
	s_mov_b64 s[24:25], 0
	s_cmp_eq_u64 s[8:9], 0
	s_mov_b64 s[2:3], 0
	s_mov_b64 s[34:35], -1
	s_waitcnt lgkmcnt(0)
	s_barrier
                                        ; implicit-def: $vgpr36
	s_cbranch_scc1 .LBB109_154
; %bb.141:                              ;   in Loop: Header=BB109_17 Depth=1
	s_add_u32 s38, s8, s85
	v_readlane_b32 s2, v49, 32
	s_addc_u32 s3, s9, s2
	s_mov_b32 s2, s83
	s_cmp_lg_u64 s[2:3], 0
	s_cbranch_scc0 .LBB109_157
; %bb.142:                              ;   in Loop: Header=BB109_17 Depth=1
	v_cvt_f32_u32_e32 v4, s69
	s_sub_u32 s2, 0, s69
	s_subb_u32 s36, 0, 0
	v_mac_f32_e32 v4, 0, v33
	v_rcp_f32_e32 v4, v4
	v_mul_f32_e32 v4, 0x5f7ffffc, v4
	v_mul_f32_e32 v5, 0x2f800000, v4
	v_trunc_f32_e32 v5, v5
	v_mac_f32_e32 v4, 0xcf800000, v5
	v_cvt_u32_f32_e32 v5, v5
	v_cvt_u32_f32_e32 v4, v4
	v_readfirstlane_b32 s37, v5
	v_readfirstlane_b32 s34, v4
	s_mul_i32 s35, s2, s37
	s_mul_hi_u32 s40, s2, s34
	s_mul_i32 s39, s36, s34
	s_add_i32 s35, s40, s35
	s_mul_i32 s41, s2, s34
	s_add_i32 s35, s35, s39
	s_mul_hi_u32 s40, s34, s41
	s_mul_i32 s42, s34, s35
	s_mul_hi_u32 s39, s34, s35
	s_add_u32 s40, s40, s42
	s_addc_u32 s39, 0, s39
	s_mul_hi_u32 s43, s37, s41
	s_mul_i32 s41, s37, s41
	s_add_u32 s40, s40, s41
	s_mul_hi_u32 s42, s37, s35
	s_addc_u32 s39, s39, s43
	s_addc_u32 s40, s42, 0
	s_mul_i32 s35, s37, s35
	s_add_u32 s35, s39, s35
	s_addc_u32 s39, 0, s40
	s_add_u32 s40, s34, s35
	s_cselect_b64 s[34:35], -1, 0
	s_cmp_lg_u64 s[34:35], 0
	s_addc_u32 s37, s37, s39
	s_mul_i32 s34, s2, s37
	s_mul_hi_u32 s35, s2, s40
	s_add_i32 s34, s35, s34
	s_mul_i32 s36, s36, s40
	s_add_i32 s34, s34, s36
	s_mul_i32 s2, s2, s40
	s_mul_hi_u32 s36, s37, s2
	s_mul_i32 s39, s37, s2
	s_mul_i32 s42, s40, s34
	s_mul_hi_u32 s2, s40, s2
	s_mul_hi_u32 s41, s40, s34
	s_add_u32 s2, s2, s42
	s_addc_u32 s41, 0, s41
	s_add_u32 s2, s2, s39
	s_mul_hi_u32 s35, s37, s34
	s_addc_u32 s2, s41, s36
	s_addc_u32 s35, s35, 0
	s_mul_i32 s34, s37, s34
	s_add_u32 s2, s2, s34
	s_addc_u32 s36, 0, s35
	s_add_u32 s2, s40, s2
	s_cselect_b64 s[34:35], -1, 0
	s_cmp_lg_u64 s[34:35], 0
	s_addc_u32 s34, s37, s36
	s_mul_i32 s36, s38, s34
	s_mul_hi_u32 s37, s38, s2
	s_mul_hi_u32 s35, s38, s34
	s_add_u32 s36, s37, s36
	s_addc_u32 s35, 0, s35
	s_mul_hi_u32 s39, s3, s2
	s_mul_i32 s2, s3, s2
	s_add_u32 s2, s36, s2
	s_mul_hi_u32 s37, s3, s34
	s_addc_u32 s2, s35, s39
	s_addc_u32 s35, s37, 0
	s_mul_i32 s34, s3, s34
	s_add_u32 s2, s2, s34
	s_addc_u32 s34, 0, s35
	s_mul_i32 s34, s69, s34
	s_mul_hi_u32 s35, s69, s2
	s_add_i32 s36, s35, s34
	s_mul_i32 s2, s69, s2
	s_sub_u32 s2, s38, s2
	s_cselect_b64 s[34:35], -1, 0
	s_cmp_lg_u64 s[34:35], 0
	s_subb_u32 s36, s3, s36
	s_sub_u32 s37, s2, s69
	s_cselect_b64 s[34:35], -1, 0
	s_cmp_lg_u64 s[34:35], 0
	s_subb_u32 s39, s36, 0
	;; [unrolled: 4-line block ×3, first 2 shown]
	s_cmp_ge_u32 s37, s69
	s_cselect_b32 s35, -1, 0
	s_cmp_eq_u32 s39, 0
	s_cselect_b32 s35, s35, -1
	s_cmp_lg_u32 s35, 0
	s_cselect_b32 s34, s34, s39
	s_cselect_b32 s37, s40, s37
	s_cmp_ge_u32 s2, s69
	s_cselect_b32 s35, -1, 0
	s_cmp_eq_u32 s36, 0
	s_cselect_b32 s35, s35, -1
	s_cmp_lg_u32 s35, 0
	s_cselect_b32 s35, s34, s36
	s_cselect_b32 s34, s37, s2
	s_cbranch_execnz .LBB109_144
.LBB109_143:                            ;   in Loop: Header=BB109_17 Depth=1
	v_cvt_f32_u32_e32 v4, s69
	s_sub_i32 s2, 0, s69
	v_rcp_iflag_f32_e32 v4, v4
	v_mul_f32_e32 v4, 0x4f7ffffe, v4
	v_cvt_u32_f32_e32 v4, v4
	v_readfirstlane_b32 s34, v4
	s_mul_i32 s2, s2, s34
	s_mul_hi_u32 s2, s34, s2
	s_add_i32 s34, s34, s2
	s_mul_hi_u32 s2, s38, s34
	s_mul_i32 s2, s2, s69
	s_sub_i32 s2, s38, s2
	s_sub_i32 s34, s2, s69
	s_cmp_ge_u32 s2, s69
	s_cselect_b32 s2, s34, s2
	s_sub_i32 s34, s2, s69
	s_cmp_ge_u32 s2, s69
	s_cselect_b32 s82, s34, s2
	s_mov_b64 s[34:35], s[82:83]
.LBB109_144:                            ;   in Loop: Header=BB109_17 Depth=1
	s_sub_u32 s38, s38, s34
	s_subb_u32 s39, s3, s35
	v_cmp_gt_u64_e32 vcc, s[38:39], v[0:1]
	s_mov_b64 s[34:35], 0
	s_mov_b64 s[2:3], 0
                                        ; implicit-def: $vgpr36
	s_and_saveexec_b64 s[36:37], vcc
	s_cbranch_execz .LBB109_153
; %bb.145:                              ;   in Loop: Header=BB109_17 Depth=1
	v_mov_b32_e32 v5, v1
	v_mov_b32_e32 v10, v24
	;; [unrolled: 1-line block ×3, first 2 shown]
                                        ; implicit-def: $sgpr40_sgpr41
	s_branch .LBB109_148
.LBB109_146:                            ;   in Loop: Header=BB109_148 Depth=2
	s_or_b64 exec, exec, s[42:43]
	s_waitcnt lgkmcnt(0)
	s_barrier
	ds_read_b32 v11, v3 offset:3072
	s_mov_b64 s[42:43], -1
	s_waitcnt lgkmcnt(0)
	s_barrier
	v_cmp_ne_u32_sdwa s[44:45], v11, v3 src0_sel:WORD_0 src1_sel:DWORD
	s_and_b64 vcc, exec, s[44:45]
	s_mov_b64 s[44:45], -1
	s_cbranch_vccz .LBB109_151
.LBB109_147:                            ;   in Loop: Header=BB109_148 Depth=2
	s_and_b64 s[42:43], exec, s[42:43]
	s_or_b64 s[2:3], s[42:43], s[2:3]
	s_andn2_b64 s[40:41], s[40:41], exec
	s_and_b64 s[42:43], s[44:45], exec
	s_or_b64 s[40:41], s[40:41], s[42:43]
	s_andn2_b64 exec, exec, s[2:3]
	s_cbranch_execz .LBB109_152
.LBB109_148:                            ;   Parent Loop BB109_17 Depth=1
                                        ; =>  This Inner Loop Header: Depth=2
	v_cmp_gt_u64_e32 vcc, s[8:9], v[4:5]
	s_and_saveexec_b64 s[42:43], vcc
	s_cbranch_execz .LBB109_146
; %bb.149:                              ;   in Loop: Header=BB109_148 Depth=2
	ds_read_u16 v11, v10
	s_waitcnt lgkmcnt(0)
	v_add_u32_sdwa v19, sext(v11), s31 dst_sel:DWORD dst_unused:UNUSED_PAD src0_sel:WORD_0 src1_sel:DWORD
	v_and_b32_e32 v19, v19, v35
	v_cmp_eq_u32_e32 vcc, v19, v30
	s_and_b64 exec, exec, vcc
	s_cbranch_execz .LBB109_146
; %bb.150:                              ;   in Loop: Header=BB109_148 Depth=2
	v_perm_b32 v11, v11, 1, v34
	ds_write_b32 v3, v11 offset:3072
	s_branch .LBB109_146
.LBB109_151:                            ;   in Loop: Header=BB109_148 Depth=2
	v_add_co_u32_e32 v4, vcc, s69, v4
	v_addc_co_u32_e32 v5, vcc, 0, v5, vcc
	v_cmp_le_u64_e32 vcc, s[38:39], v[4:5]
	v_add_u32_e32 v10, s30, v10
	s_mov_b64 s[44:45], 0
	s_orn2_b64 s[42:43], vcc, exec
	s_branch .LBB109_147
.LBB109_152:                            ;   in Loop: Header=BB109_17 Depth=1
	s_or_b64 exec, exec, s[2:3]
	v_lshrrev_b32_e32 v36, 16, v11
	s_and_b64 s[2:3], s[40:41], exec
.LBB109_153:                            ;   in Loop: Header=BB109_17 Depth=1
	s_or_b64 exec, exec, s[36:37]
.LBB109_154:                            ;   in Loop: Header=BB109_17 Depth=1
	s_and_b64 vcc, exec, s[34:35]
	s_cbranch_vccz .LBB109_171
; %bb.155:                              ;   in Loop: Header=BB109_17 Depth=1
	s_mov_b32 s88, s83
	s_cmp_lg_u64 s[88:89], 0
	s_cbranch_scc0 .LBB109_158
; %bb.156:                              ;   in Loop: Header=BB109_17 Depth=1
	v_cvt_f32_u32_e32 v4, s69
	s_sub_u32 s8, 0, s69
	s_subb_u32 s9, 0, 0
	v_mac_f32_e32 v4, 0, v33
	v_rcp_f32_e32 v4, v4
	v_mul_f32_e32 v4, 0x5f7ffffc, v4
	v_mul_f32_e32 v5, 0x2f800000, v4
	v_trunc_f32_e32 v5, v5
	v_mac_f32_e32 v4, 0xcf800000, v5
	v_cvt_u32_f32_e32 v5, v5
	v_cvt_u32_f32_e32 v4, v4
	v_readfirstlane_b32 s24, v5
	v_readfirstlane_b32 s6, v4
	s_mul_i32 s7, s8, s24
	s_mul_hi_u32 s34, s8, s6
	s_mul_i32 s25, s9, s6
	s_add_i32 s7, s34, s7
	s_mul_i32 s35, s8, s6
	s_add_i32 s7, s7, s25
	s_mul_hi_u32 s34, s6, s35
	s_mul_i32 s36, s6, s7
	s_mul_hi_u32 s25, s6, s7
	s_add_u32 s34, s34, s36
	s_addc_u32 s25, 0, s25
	s_mul_hi_u32 s37, s24, s35
	s_mul_i32 s35, s24, s35
	s_add_u32 s34, s34, s35
	s_mul_hi_u32 s36, s24, s7
	s_addc_u32 s25, s25, s37
	s_addc_u32 s34, s36, 0
	s_mul_i32 s7, s24, s7
	s_add_u32 s7, s25, s7
	s_addc_u32 s25, 0, s34
	s_add_u32 s34, s6, s7
	s_cselect_b64 s[6:7], -1, 0
	s_cmp_lg_u64 s[6:7], 0
	s_addc_u32 s24, s24, s25
	s_mul_i32 s6, s8, s24
	s_mul_hi_u32 s7, s8, s34
	s_add_i32 s6, s7, s6
	s_mul_i32 s9, s9, s34
	s_add_i32 s6, s6, s9
	s_mul_i32 s8, s8, s34
	s_mul_hi_u32 s9, s24, s8
	s_mul_i32 s25, s24, s8
	s_mul_i32 s36, s34, s6
	s_mul_hi_u32 s8, s34, s8
	s_mul_hi_u32 s35, s34, s6
	s_add_u32 s8, s8, s36
	s_addc_u32 s35, 0, s35
	s_add_u32 s8, s8, s25
	s_mul_hi_u32 s7, s24, s6
	s_addc_u32 s8, s35, s9
	s_addc_u32 s7, s7, 0
	s_mul_i32 s6, s24, s6
	s_add_u32 s6, s8, s6
	s_addc_u32 s8, 0, s7
	s_add_u32 s9, s34, s6
	s_cselect_b64 s[6:7], -1, 0
	s_cmp_lg_u64 s[6:7], 0
	s_addc_u32 s6, s24, s8
	s_mul_i32 s8, s0, s6
	s_mul_hi_u32 s24, s0, s9
	s_mul_hi_u32 s7, s0, s6
	s_add_u32 s8, s24, s8
	s_addc_u32 s7, 0, s7
	s_mul_hi_u32 s25, s89, s9
	s_mul_i32 s9, s89, s9
	s_add_u32 s8, s8, s9
	s_mul_hi_u32 s24, s89, s6
	s_addc_u32 s7, s7, s25
	s_addc_u32 s8, s24, 0
	s_mul_i32 s6, s89, s6
	s_add_u32 s6, s7, s6
	s_addc_u32 s7, 0, s8
	s_mul_i32 s7, s69, s7
	s_mul_hi_u32 s8, s69, s6
	s_add_i32 s8, s8, s7
	s_mul_i32 s6, s69, s6
	s_sub_u32 s9, s0, s6
	s_cselect_b64 s[6:7], -1, 0
	s_cmp_lg_u64 s[6:7], 0
	s_subb_u32 s8, s89, s8
	s_sub_u32 s24, s9, s69
	s_cselect_b64 s[6:7], -1, 0
	s_cmp_lg_u64 s[6:7], 0
	s_subb_u32 s25, s8, 0
	;; [unrolled: 4-line block ×3, first 2 shown]
	s_cmp_ge_u32 s24, s69
	s_cselect_b32 s7, -1, 0
	s_cmp_eq_u32 s25, 0
	s_cselect_b32 s7, s7, -1
	s_cmp_lg_u32 s7, 0
	s_cselect_b32 s6, s6, s25
	s_cselect_b32 s24, s34, s24
	s_cmp_ge_u32 s9, s69
	s_cselect_b32 s7, -1, 0
	s_cmp_eq_u32 s8, 0
	s_cselect_b32 s7, s7, -1
	s_cmp_lg_u32 s7, 0
	s_cselect_b32 s7, s6, s8
	s_cselect_b32 s6, s24, s9
	s_mov_b64 s[8:9], 0
	s_branch .LBB109_159
.LBB109_157:                            ;   in Loop: Header=BB109_17 Depth=1
                                        ; implicit-def: $sgpr34_sgpr35
	s_branch .LBB109_143
.LBB109_158:                            ;   in Loop: Header=BB109_17 Depth=1
	s_mov_b64 s[8:9], -1
                                        ; implicit-def: $sgpr6_sgpr7
.LBB109_159:                            ;   in Loop: Header=BB109_17 Depth=1
	s_andn2_b64 vcc, exec, s[8:9]
	v_readlane_b32 s88, v49, 44
	s_cbranch_vccnz .LBB109_161
; %bb.160:                              ;   in Loop: Header=BB109_17 Depth=1
	v_cvt_f32_u32_e32 v4, s69
	s_sub_i32 s6, 0, s69
	v_rcp_iflag_f32_e32 v4, v4
	v_mul_f32_e32 v4, 0x4f7ffffe, v4
	v_cvt_u32_f32_e32 v4, v4
	v_readfirstlane_b32 s7, v4
	s_mul_i32 s6, s6, s7
	s_mul_hi_u32 s6, s7, s6
	s_add_i32 s7, s7, s6
	s_mul_hi_u32 s6, s0, s7
	s_mul_i32 s6, s6, s69
	s_sub_i32 s6, s0, s6
	s_sub_i32 s7, s6, s69
	s_cmp_ge_u32 s6, s69
	s_cselect_b32 s6, s7, s6
	s_sub_i32 s7, s6, s69
	s_cmp_ge_u32 s6, s69
	s_cselect_b32 s82, s7, s6
	s_mov_b64 s[6:7], s[82:83]
.LBB109_161:                            ;   in Loop: Header=BB109_17 Depth=1
	s_sub_u32 s8, s0, s6
	s_subb_u32 s9, s89, s7
	v_cmp_gt_u64_e32 vcc, s[8:9], v[0:1]
                                        ; implicit-def: $vgpr36
	s_and_saveexec_b64 s[6:7], vcc
	s_cbranch_execz .LBB109_170
; %bb.162:                              ;   in Loop: Header=BB109_17 Depth=1
	v_mov_b32_e32 v5, v1
	s_mov_b64 s[24:25], 0
	v_mov_b32_e32 v4, v0
                                        ; implicit-def: $sgpr34_sgpr35
	s_branch .LBB109_165
.LBB109_163:                            ;   in Loop: Header=BB109_165 Depth=2
	s_or_b64 exec, exec, s[36:37]
	s_waitcnt lgkmcnt(0)
	s_barrier
	ds_read_b32 v10, v3 offset:3072
	s_mov_b64 s[36:37], -1
	s_waitcnt lgkmcnt(0)
	s_barrier
	v_cmp_eq_u32_sdwa s[38:39], v10, v3 src0_sel:WORD_0 src1_sel:DWORD
	s_and_b64 vcc, exec, s[38:39]
	s_mov_b64 s[38:39], -1
	s_cbranch_vccnz .LBB109_168
.LBB109_164:                            ;   in Loop: Header=BB109_165 Depth=2
	s_and_b64 s[36:37], exec, s[36:37]
	s_or_b64 s[24:25], s[36:37], s[24:25]
	s_andn2_b64 s[34:35], s[34:35], exec
	s_and_b64 s[36:37], s[38:39], exec
	s_or_b64 s[34:35], s[34:35], s[36:37]
	s_andn2_b64 exec, exec, s[24:25]
	s_cbranch_execz .LBB109_169
.LBB109_165:                            ;   Parent Loop BB109_17 Depth=1
                                        ; =>  This Inner Loop Header: Depth=2
	v_cmp_gt_u64_e32 vcc, s[56:57], v[4:5]
	s_and_saveexec_b64 s[36:37], vcc
	s_cbranch_execz .LBB109_163
; %bb.166:                              ;   in Loop: Header=BB109_165 Depth=2
	v_mul_lo_u32 v19, v5, s72
	v_mul_lo_u32 v20, v4, s73
	v_mad_u64_u32 v[10:11], s[38:39], v4, s72, 0
	v_add3_u32 v11, v11, v20, v19
	v_lshlrev_b64 v[10:11], 1, v[10:11]
	v_mov_b32_e32 v19, s68
	v_add_co_u32_e32 v10, vcc, s33, v10
	v_addc_co_u32_e32 v11, vcc, v19, v11, vcc
	global_load_ushort v10, v[10:11], off
	s_waitcnt vmcnt(0)
	v_add_u32_sdwa v11, sext(v10), s31 dst_sel:DWORD dst_unused:UNUSED_PAD src0_sel:WORD_0 src1_sel:DWORD
	v_and_b32_e32 v11, v11, v35
	v_cmp_eq_u32_e32 vcc, v11, v30
	s_and_b64 exec, exec, vcc
	s_cbranch_execz .LBB109_163
; %bb.167:                              ;   in Loop: Header=BB109_165 Depth=2
	v_perm_b32 v10, v10, 1, v34
	ds_write_b32 v3, v10 offset:3072
	s_branch .LBB109_163
.LBB109_168:                            ;   in Loop: Header=BB109_165 Depth=2
	v_add_co_u32_e32 v4, vcc, s69, v4
	v_addc_co_u32_e32 v5, vcc, 0, v5, vcc
	v_cmp_le_u64_e32 vcc, s[8:9], v[4:5]
	s_mov_b64 s[38:39], 0
	s_orn2_b64 s[36:37], vcc, exec
	s_branch .LBB109_164
.LBB109_169:                            ;   in Loop: Header=BB109_17 Depth=1
	s_or_b64 exec, exec, s[24:25]
	s_andn2_b64 s[2:3], s[2:3], exec
	s_and_b64 s[8:9], s[34:35], exec
	v_lshrrev_b32_e32 v36, 16, v10
	s_or_b64 s[2:3], s[2:3], s[8:9]
.LBB109_170:                            ;   in Loop: Header=BB109_17 Depth=1
	s_or_b64 exec, exec, s[6:7]
	s_mov_b64 s[6:7], 0
	s_mov_b64 s[24:25], -1
.LBB109_171:                            ;   in Loop: Header=BB109_17 Depth=1
	s_orn2_b64 s[2:3], s[2:3], exec
.LBB109_172:                            ;   in Loop: Header=BB109_17 Depth=1
	s_or_b64 exec, exec, s[26:27]
	s_mov_b64 s[8:9], 0
	s_and_saveexec_b64 s[26:27], s[2:3]
	s_cbranch_execz .LBB109_280
; %bb.173:                              ;   in Loop: Header=BB109_17 Depth=1
	v_mov_b32_e32 v4, 1
	s_xor_b64 s[28:29], s[28:29], -1
	v_mov_b32_e32 v2, 1
	v_mov_b32_e32 v5, 0
	s_and_saveexec_b64 s[2:3], s[28:29]
	s_cbranch_execz .LBB109_183
; %bb.174:                              ;   in Loop: Header=BB109_17 Depth=1
	v_cmp_le_u64_e32 vcc, v[8:9], v[6:7]
	s_and_saveexec_b64 s[8:9], vcc
	s_xor_b64 s[8:9], exec, s[8:9]
	s_cbranch_execz .LBB109_180
; %bb.175:                              ;   in Loop: Header=BB109_17 Depth=1
	ds_read_b64 v[4:5], v3 offset:5120
	v_and_b32_e32 v2, s54, v30
	v_lshl_or_b32 v30, 1, s86, v2
	v_or_b32_e32 v35, s66, v35
	s_waitcnt lgkmcnt(0)
	v_cmp_ne_u64_e32 vcc, 0, v[4:5]
	s_cbranch_vccnz .LBB109_179
; %bb.176:                              ;   in Loop: Header=BB109_17 Depth=1
	s_mov_b64 s[28:29], exec
	v_readlane_b32 s34, v49, 8
	v_readlane_b32 s35, v49, 9
	s_and_b64 s[34:35], s[28:29], s[34:35]
	s_mov_b64 exec, s[34:35]
; %bb.177:                              ;   in Loop: Header=BB109_17 Depth=1
	ds_write_b64 v3, v[6:7] offset:5128
; %bb.178:                              ;   in Loop: Header=BB109_17 Depth=1
	s_or_b64 exec, exec, s[28:29]
	s_waitcnt lgkmcnt(0)
	s_barrier
.LBB109_179:                            ;   in Loop: Header=BB109_17 Depth=1
                                        ; implicit-def: $vgpr4_vgpr5_vgpr6_vgpr7
.LBB109_180:                            ;   in Loop: Header=BB109_17 Depth=1
	s_or_saveexec_b64 s[8:9], s[8:9]
	s_mov_b64 s[28:29], 0
	v_mov_b32_e32 v2, 8
	s_xor_b64 exec, exec, s[8:9]
; %bb.181:                              ;   in Loop: Header=BB109_17 Depth=1
	v_sub_co_u32_e32 v8, vcc, v8, v6
	s_mov_b64 s[28:29], exec
	v_subb_co_u32_e32 v9, vcc, v9, v7, vcc
	v_mov_b32_e32 v2, 0
; %bb.182:                              ;   in Loop: Header=BB109_17 Depth=1
	s_or_b64 exec, exec, s[8:9]
	v_mov_b32_e32 v4, v8
	s_and_b64 s[8:9], s[28:29], exec
	v_mov_b32_e32 v5, v9
.LBB109_183:                            ;   in Loop: Header=BB109_17 Depth=1
	s_or_b64 exec, exec, s[2:3]
	s_mov_b64 s[2:3], -1
                                        ; implicit-def: $sgpr34_sgpr35
                                        ; implicit-def: $sgpr36_sgpr37
	s_and_saveexec_b64 s[28:29], s[8:9]
	s_cbranch_execz .LBB109_279
; %bb.184:                              ;   in Loop: Header=BB109_17 Depth=1
	s_cmp_eq_u64 s[22:23], 1
	v_cmp_eq_u64_e32 vcc, 1, v[4:5]
	s_cselect_b64 s[2:3], -1, 0
	s_and_b64 s[40:41], s[2:3], vcc
	s_mov_b64 s[2:3], -1
                                        ; implicit-def: $sgpr36_sgpr37
                                        ; implicit-def: $sgpr34_sgpr35
	s_and_saveexec_b64 s[38:39], s[40:41]
	s_cbranch_execz .LBB109_219
; %bb.185:                              ;   in Loop: Header=BB109_17 Depth=1
	ds_read_b64 v[6:7], v3 offset:5120
	s_waitcnt lgkmcnt(0)
	s_barrier
	v_readfirstlane_b32 s8, v6
	v_readfirstlane_b32 s9, v7
	s_mov_b64 s[2:3], exec
	v_readlane_b32 s34, v49, 26
	v_readlane_b32 s35, v49, 27
	s_and_b64 s[34:35], s[2:3], s[34:35]
	s_mov_b64 exec, s[34:35]
; %bb.186:                              ;   in Loop: Header=BB109_17 Depth=1
	ds_write_b16 v25, v3
; %bb.187:                              ;   in Loop: Header=BB109_17 Depth=1
	s_or_b64 exec, exec, s[2:3]
	v_and_b32_e32 v6, s54, v30
	v_lshl_or_b32 v30, 2, s86, v6
	v_or_b32_e32 v35, s66, v35
	s_mov_b64 s[34:35], -1
	s_mov_b64 s[36:37], 0
	s_cmp_eq_u64 s[8:9], 0
	s_mov_b64 s[2:3], 0
	s_mov_b64 s[42:43], -1
	s_waitcnt lgkmcnt(0)
	s_barrier
                                        ; implicit-def: $vgpr36
	s_cbranch_scc1 .LBB109_201
; %bb.188:                              ;   in Loop: Header=BB109_17 Depth=1
	s_add_u32 s46, s8, s85
	v_readlane_b32 s2, v49, 32
	s_addc_u32 s3, s9, s2
	s_mov_b32 s2, s83
	s_cmp_lg_u64 s[2:3], 0
	s_cbranch_scc0 .LBB109_204
; %bb.189:                              ;   in Loop: Header=BB109_17 Depth=1
	v_cvt_f32_u32_e32 v6, s69
	s_sub_u32 s2, 0, s69
	s_subb_u32 s44, 0, 0
	v_mac_f32_e32 v6, 0, v33
	v_rcp_f32_e32 v6, v6
	v_mul_f32_e32 v6, 0x5f7ffffc, v6
	v_mul_f32_e32 v7, 0x2f800000, v6
	v_trunc_f32_e32 v7, v7
	v_mac_f32_e32 v6, 0xcf800000, v7
	v_cvt_u32_f32_e32 v7, v7
	v_cvt_u32_f32_e32 v6, v6
	v_readfirstlane_b32 s45, v7
	v_readfirstlane_b32 s42, v6
	s_mul_i32 s43, s2, s45
	s_mul_hi_u32 s48, s2, s42
	s_mul_i32 s47, s44, s42
	s_add_i32 s43, s48, s43
	s_mul_i32 s49, s2, s42
	s_add_i32 s43, s43, s47
	s_mul_hi_u32 s48, s42, s49
	s_mul_i32 s50, s42, s43
	s_mul_hi_u32 s47, s42, s43
	s_add_u32 s48, s48, s50
	s_addc_u32 s47, 0, s47
	s_mul_hi_u32 s51, s45, s49
	s_mul_i32 s49, s45, s49
	s_add_u32 s48, s48, s49
	s_mul_hi_u32 s50, s45, s43
	s_addc_u32 s47, s47, s51
	s_addc_u32 s48, s50, 0
	s_mul_i32 s43, s45, s43
	s_add_u32 s43, s47, s43
	s_addc_u32 s47, 0, s48
	s_add_u32 s48, s42, s43
	s_cselect_b64 s[42:43], -1, 0
	s_cmp_lg_u64 s[42:43], 0
	s_addc_u32 s45, s45, s47
	s_mul_i32 s42, s2, s45
	s_mul_hi_u32 s43, s2, s48
	s_add_i32 s42, s43, s42
	s_mul_i32 s44, s44, s48
	s_add_i32 s42, s42, s44
	s_mul_i32 s2, s2, s48
	s_mul_hi_u32 s44, s45, s2
	s_mul_i32 s47, s45, s2
	s_mul_i32 s50, s48, s42
	s_mul_hi_u32 s2, s48, s2
	s_mul_hi_u32 s49, s48, s42
	s_add_u32 s2, s2, s50
	s_addc_u32 s49, 0, s49
	s_add_u32 s2, s2, s47
	s_mul_hi_u32 s43, s45, s42
	s_addc_u32 s2, s49, s44
	s_addc_u32 s43, s43, 0
	s_mul_i32 s42, s45, s42
	s_add_u32 s2, s2, s42
	s_addc_u32 s44, 0, s43
	s_add_u32 s2, s48, s2
	s_cselect_b64 s[42:43], -1, 0
	s_cmp_lg_u64 s[42:43], 0
	s_addc_u32 s42, s45, s44
	s_mul_i32 s44, s46, s42
	s_mul_hi_u32 s45, s46, s2
	s_mul_hi_u32 s43, s46, s42
	s_add_u32 s44, s45, s44
	s_addc_u32 s43, 0, s43
	s_mul_hi_u32 s47, s3, s2
	s_mul_i32 s2, s3, s2
	s_add_u32 s2, s44, s2
	s_mul_hi_u32 s45, s3, s42
	s_addc_u32 s2, s43, s47
	s_addc_u32 s43, s45, 0
	s_mul_i32 s42, s3, s42
	s_add_u32 s2, s2, s42
	s_addc_u32 s42, 0, s43
	s_mul_i32 s42, s69, s42
	s_mul_hi_u32 s43, s69, s2
	s_add_i32 s44, s43, s42
	s_mul_i32 s2, s69, s2
	s_sub_u32 s2, s46, s2
	s_cselect_b64 s[42:43], -1, 0
	s_cmp_lg_u64 s[42:43], 0
	s_subb_u32 s44, s3, s44
	s_sub_u32 s45, s2, s69
	s_cselect_b64 s[42:43], -1, 0
	s_cmp_lg_u64 s[42:43], 0
	s_subb_u32 s47, s44, 0
	;; [unrolled: 4-line block ×3, first 2 shown]
	s_cmp_ge_u32 s45, s69
	s_cselect_b32 s43, -1, 0
	s_cmp_eq_u32 s47, 0
	s_cselect_b32 s43, s43, -1
	s_cmp_lg_u32 s43, 0
	s_cselect_b32 s42, s42, s47
	s_cselect_b32 s45, s48, s45
	s_cmp_ge_u32 s2, s69
	s_cselect_b32 s43, -1, 0
	s_cmp_eq_u32 s44, 0
	s_cselect_b32 s43, s43, -1
	s_cmp_lg_u32 s43, 0
	s_cselect_b32 s43, s42, s44
	s_cselect_b32 s42, s45, s2
	s_cbranch_execnz .LBB109_191
.LBB109_190:                            ;   in Loop: Header=BB109_17 Depth=1
	v_cvt_f32_u32_e32 v6, s69
	s_sub_i32 s2, 0, s69
	v_rcp_iflag_f32_e32 v6, v6
	v_mul_f32_e32 v6, 0x4f7ffffe, v6
	v_cvt_u32_f32_e32 v6, v6
	v_readfirstlane_b32 s42, v6
	s_mul_i32 s2, s2, s42
	s_mul_hi_u32 s2, s42, s2
	s_add_i32 s42, s42, s2
	s_mul_hi_u32 s2, s46, s42
	s_mul_i32 s2, s2, s69
	s_sub_i32 s2, s46, s2
	s_sub_i32 s42, s2, s69
	s_cmp_ge_u32 s2, s69
	s_cselect_b32 s2, s42, s2
	s_sub_i32 s42, s2, s69
	s_cmp_ge_u32 s2, s69
	s_cselect_b32 s82, s42, s2
	s_mov_b64 s[42:43], s[82:83]
.LBB109_191:                            ;   in Loop: Header=BB109_17 Depth=1
	s_sub_u32 s46, s46, s42
	s_subb_u32 s47, s3, s43
	v_cmp_gt_u64_e32 vcc, s[46:47], v[0:1]
	s_mov_b64 s[42:43], 0
	s_mov_b64 s[2:3], 0
                                        ; implicit-def: $vgpr36
	s_and_saveexec_b64 s[44:45], vcc
	s_cbranch_execz .LBB109_200
; %bb.192:                              ;   in Loop: Header=BB109_17 Depth=1
	v_mov_b32_e32 v7, v1
	v_mov_b32_e32 v8, v24
	;; [unrolled: 1-line block ×3, first 2 shown]
                                        ; implicit-def: $sgpr48_sgpr49
	s_branch .LBB109_195
.LBB109_193:                            ;   in Loop: Header=BB109_195 Depth=2
	s_or_b64 exec, exec, s[50:51]
	s_waitcnt lgkmcnt(0)
	s_barrier
	ds_read_b32 v9, v3 offset:3072
	s_mov_b64 s[50:51], -1
	s_waitcnt lgkmcnt(0)
	s_barrier
	v_cmp_ne_u32_sdwa s[52:53], v9, v3 src0_sel:WORD_0 src1_sel:DWORD
	s_and_b64 vcc, exec, s[52:53]
	s_mov_b64 s[52:53], -1
	s_cbranch_vccz .LBB109_198
.LBB109_194:                            ;   in Loop: Header=BB109_195 Depth=2
	s_and_b64 s[50:51], exec, s[50:51]
	s_or_b64 s[2:3], s[50:51], s[2:3]
	s_andn2_b64 s[48:49], s[48:49], exec
	s_and_b64 s[50:51], s[52:53], exec
	s_or_b64 s[48:49], s[48:49], s[50:51]
	s_andn2_b64 exec, exec, s[2:3]
	s_cbranch_execz .LBB109_199
.LBB109_195:                            ;   Parent Loop BB109_17 Depth=1
                                        ; =>  This Inner Loop Header: Depth=2
	v_cmp_gt_u64_e32 vcc, s[8:9], v[6:7]
	s_and_saveexec_b64 s[50:51], vcc
	s_cbranch_execz .LBB109_193
; %bb.196:                              ;   in Loop: Header=BB109_195 Depth=2
	ds_read_u16 v9, v8
	s_waitcnt lgkmcnt(0)
	v_add_u32_sdwa v10, sext(v9), s31 dst_sel:DWORD dst_unused:UNUSED_PAD src0_sel:WORD_0 src1_sel:DWORD
	v_and_b32_e32 v10, v10, v35
	v_cmp_eq_u32_e32 vcc, v10, v30
	s_and_b64 exec, exec, vcc
	s_cbranch_execz .LBB109_193
; %bb.197:                              ;   in Loop: Header=BB109_195 Depth=2
	v_perm_b32 v9, v9, 1, v34
	ds_write_b32 v3, v9 offset:3072
	s_branch .LBB109_193
.LBB109_198:                            ;   in Loop: Header=BB109_195 Depth=2
	v_add_co_u32_e32 v6, vcc, s69, v6
	v_addc_co_u32_e32 v7, vcc, 0, v7, vcc
	v_cmp_le_u64_e32 vcc, s[46:47], v[6:7]
	v_add_u32_e32 v8, s30, v8
	s_mov_b64 s[52:53], 0
	s_orn2_b64 s[50:51], vcc, exec
	s_branch .LBB109_194
.LBB109_199:                            ;   in Loop: Header=BB109_17 Depth=1
	s_or_b64 exec, exec, s[2:3]
	v_lshrrev_b32_e32 v36, 16, v9
	s_and_b64 s[2:3], s[48:49], exec
.LBB109_200:                            ;   in Loop: Header=BB109_17 Depth=1
	s_or_b64 exec, exec, s[44:45]
.LBB109_201:                            ;   in Loop: Header=BB109_17 Depth=1
	s_and_b64 vcc, exec, s[42:43]
	s_cbranch_vccz .LBB109_218
; %bb.202:                              ;   in Loop: Header=BB109_17 Depth=1
	s_mov_b32 s88, s83
	s_cmp_lg_u64 s[88:89], 0
	s_cbranch_scc0 .LBB109_205
; %bb.203:                              ;   in Loop: Header=BB109_17 Depth=1
	v_cvt_f32_u32_e32 v6, s69
	s_sub_u32 s34, 0, s69
	s_subb_u32 s35, 0, 0
	v_mac_f32_e32 v6, 0, v33
	v_rcp_f32_e32 v6, v6
	v_mul_f32_e32 v6, 0x5f7ffffc, v6
	v_mul_f32_e32 v7, 0x2f800000, v6
	v_trunc_f32_e32 v7, v7
	v_mac_f32_e32 v6, 0xcf800000, v7
	v_cvt_u32_f32_e32 v7, v7
	v_cvt_u32_f32_e32 v6, v6
	v_readfirstlane_b32 s36, v7
	v_readfirstlane_b32 s8, v6
	s_mul_i32 s9, s34, s36
	s_mul_hi_u32 s42, s34, s8
	s_mul_i32 s37, s35, s8
	s_add_i32 s9, s42, s9
	s_mul_i32 s43, s34, s8
	s_add_i32 s9, s9, s37
	s_mul_hi_u32 s42, s8, s43
	s_mul_i32 s44, s8, s9
	s_mul_hi_u32 s37, s8, s9
	s_add_u32 s42, s42, s44
	s_addc_u32 s37, 0, s37
	s_mul_hi_u32 s45, s36, s43
	s_mul_i32 s43, s36, s43
	s_add_u32 s42, s42, s43
	s_mul_hi_u32 s44, s36, s9
	s_addc_u32 s37, s37, s45
	s_addc_u32 s42, s44, 0
	s_mul_i32 s9, s36, s9
	s_add_u32 s9, s37, s9
	s_addc_u32 s37, 0, s42
	s_add_u32 s42, s8, s9
	s_cselect_b64 s[8:9], -1, 0
	s_cmp_lg_u64 s[8:9], 0
	s_addc_u32 s36, s36, s37
	s_mul_i32 s8, s34, s36
	s_mul_hi_u32 s9, s34, s42
	s_add_i32 s8, s9, s8
	s_mul_i32 s35, s35, s42
	s_add_i32 s8, s8, s35
	s_mul_i32 s34, s34, s42
	s_mul_hi_u32 s35, s36, s34
	s_mul_i32 s37, s36, s34
	s_mul_i32 s44, s42, s8
	s_mul_hi_u32 s34, s42, s34
	s_mul_hi_u32 s43, s42, s8
	s_add_u32 s34, s34, s44
	s_addc_u32 s43, 0, s43
	s_add_u32 s34, s34, s37
	s_mul_hi_u32 s9, s36, s8
	s_addc_u32 s34, s43, s35
	s_addc_u32 s9, s9, 0
	s_mul_i32 s8, s36, s8
	s_add_u32 s8, s34, s8
	s_addc_u32 s34, 0, s9
	s_add_u32 s35, s42, s8
	s_cselect_b64 s[8:9], -1, 0
	s_cmp_lg_u64 s[8:9], 0
	s_addc_u32 s8, s36, s34
	s_mul_i32 s34, s0, s8
	s_mul_hi_u32 s36, s0, s35
	s_mul_hi_u32 s9, s0, s8
	s_add_u32 s34, s36, s34
	s_addc_u32 s9, 0, s9
	s_mul_hi_u32 s37, s89, s35
	s_mul_i32 s35, s89, s35
	s_add_u32 s34, s34, s35
	s_mul_hi_u32 s36, s89, s8
	s_addc_u32 s9, s9, s37
	s_addc_u32 s34, s36, 0
	s_mul_i32 s8, s89, s8
	s_add_u32 s8, s9, s8
	s_addc_u32 s9, 0, s34
	s_mul_i32 s9, s69, s9
	s_mul_hi_u32 s34, s69, s8
	s_add_i32 s34, s34, s9
	s_mul_i32 s8, s69, s8
	s_sub_u32 s35, s0, s8
	s_cselect_b64 s[8:9], -1, 0
	s_cmp_lg_u64 s[8:9], 0
	s_subb_u32 s34, s89, s34
	s_sub_u32 s36, s35, s69
	s_cselect_b64 s[8:9], -1, 0
	s_cmp_lg_u64 s[8:9], 0
	s_subb_u32 s37, s34, 0
	;; [unrolled: 4-line block ×3, first 2 shown]
	s_cmp_ge_u32 s36, s69
	s_cselect_b32 s9, -1, 0
	s_cmp_eq_u32 s37, 0
	s_cselect_b32 s9, s9, -1
	s_cmp_lg_u32 s9, 0
	s_cselect_b32 s8, s8, s37
	s_cselect_b32 s36, s42, s36
	s_cmp_ge_u32 s35, s69
	s_cselect_b32 s9, -1, 0
	s_cmp_eq_u32 s34, 0
	s_cselect_b32 s9, s9, -1
	s_cmp_lg_u32 s9, 0
	s_cselect_b32 s9, s8, s34
	s_cselect_b32 s8, s36, s35
	s_mov_b64 s[34:35], 0
	s_branch .LBB109_206
.LBB109_204:                            ;   in Loop: Header=BB109_17 Depth=1
                                        ; implicit-def: $sgpr42_sgpr43
	s_branch .LBB109_190
.LBB109_205:                            ;   in Loop: Header=BB109_17 Depth=1
	s_mov_b64 s[34:35], -1
                                        ; implicit-def: $sgpr8_sgpr9
.LBB109_206:                            ;   in Loop: Header=BB109_17 Depth=1
	s_andn2_b64 vcc, exec, s[34:35]
	v_readlane_b32 s88, v49, 44
	s_cbranch_vccnz .LBB109_208
; %bb.207:                              ;   in Loop: Header=BB109_17 Depth=1
	v_cvt_f32_u32_e32 v6, s69
	s_sub_i32 s8, 0, s69
	v_rcp_iflag_f32_e32 v6, v6
	v_mul_f32_e32 v6, 0x4f7ffffe, v6
	v_cvt_u32_f32_e32 v6, v6
	v_readfirstlane_b32 s9, v6
	s_mul_i32 s8, s8, s9
	s_mul_hi_u32 s8, s9, s8
	s_add_i32 s9, s9, s8
	s_mul_hi_u32 s8, s0, s9
	s_mul_i32 s8, s8, s69
	s_sub_i32 s8, s0, s8
	s_sub_i32 s9, s8, s69
	s_cmp_ge_u32 s8, s69
	s_cselect_b32 s8, s9, s8
	s_sub_i32 s9, s8, s69
	s_cmp_ge_u32 s8, s69
	s_cselect_b32 s82, s9, s8
	s_mov_b64 s[8:9], s[82:83]
.LBB109_208:                            ;   in Loop: Header=BB109_17 Depth=1
	s_sub_u32 s34, s0, s8
	s_subb_u32 s35, s89, s9
	v_cmp_gt_u64_e32 vcc, s[34:35], v[0:1]
                                        ; implicit-def: $vgpr36
	s_and_saveexec_b64 s[8:9], vcc
	s_cbranch_execz .LBB109_217
; %bb.209:                              ;   in Loop: Header=BB109_17 Depth=1
	v_mov_b32_e32 v7, v1
	s_mov_b64 s[36:37], 0
	v_mov_b32_e32 v6, v0
                                        ; implicit-def: $sgpr42_sgpr43
	s_branch .LBB109_212
.LBB109_210:                            ;   in Loop: Header=BB109_212 Depth=2
	s_or_b64 exec, exec, s[44:45]
	s_waitcnt lgkmcnt(0)
	s_barrier
	ds_read_b32 v8, v3 offset:3072
	s_mov_b64 s[44:45], -1
	s_waitcnt lgkmcnt(0)
	s_barrier
	v_cmp_eq_u32_sdwa s[46:47], v8, v3 src0_sel:WORD_0 src1_sel:DWORD
	s_and_b64 vcc, exec, s[46:47]
	s_mov_b64 s[46:47], -1
	s_cbranch_vccnz .LBB109_215
.LBB109_211:                            ;   in Loop: Header=BB109_212 Depth=2
	s_and_b64 s[44:45], exec, s[44:45]
	s_or_b64 s[36:37], s[44:45], s[36:37]
	s_andn2_b64 s[42:43], s[42:43], exec
	s_and_b64 s[44:45], s[46:47], exec
	s_or_b64 s[42:43], s[42:43], s[44:45]
	s_andn2_b64 exec, exec, s[36:37]
	s_cbranch_execz .LBB109_216
.LBB109_212:                            ;   Parent Loop BB109_17 Depth=1
                                        ; =>  This Inner Loop Header: Depth=2
	v_cmp_gt_u64_e32 vcc, s[56:57], v[6:7]
	s_and_saveexec_b64 s[44:45], vcc
	s_cbranch_execz .LBB109_210
; %bb.213:                              ;   in Loop: Header=BB109_212 Depth=2
	v_mul_lo_u32 v10, v7, s72
	v_mul_lo_u32 v11, v6, s73
	v_mad_u64_u32 v[8:9], s[46:47], v6, s72, 0
	v_add3_u32 v9, v9, v11, v10
	v_lshlrev_b64 v[8:9], 1, v[8:9]
	v_mov_b32_e32 v10, s68
	v_add_co_u32_e32 v8, vcc, s33, v8
	v_addc_co_u32_e32 v9, vcc, v10, v9, vcc
	global_load_ushort v8, v[8:9], off
	s_waitcnt vmcnt(0)
	v_add_u32_sdwa v9, sext(v8), s31 dst_sel:DWORD dst_unused:UNUSED_PAD src0_sel:WORD_0 src1_sel:DWORD
	v_and_b32_e32 v9, v9, v35
	v_cmp_eq_u32_e32 vcc, v9, v30
	s_and_b64 exec, exec, vcc
	s_cbranch_execz .LBB109_210
; %bb.214:                              ;   in Loop: Header=BB109_212 Depth=2
	v_perm_b32 v8, v8, 1, v34
	ds_write_b32 v3, v8 offset:3072
	s_branch .LBB109_210
.LBB109_215:                            ;   in Loop: Header=BB109_212 Depth=2
	v_add_co_u32_e32 v6, vcc, s69, v6
	v_addc_co_u32_e32 v7, vcc, 0, v7, vcc
	v_cmp_le_u64_e32 vcc, s[34:35], v[6:7]
	s_mov_b64 s[46:47], 0
	s_orn2_b64 s[44:45], vcc, exec
	s_branch .LBB109_211
.LBB109_216:                            ;   in Loop: Header=BB109_17 Depth=1
	s_or_b64 exec, exec, s[36:37]
	s_andn2_b64 s[2:3], s[2:3], exec
	s_and_b64 s[34:35], s[42:43], exec
	v_lshrrev_b32_e32 v36, 16, v8
	s_or_b64 s[2:3], s[2:3], s[34:35]
.LBB109_217:                            ;   in Loop: Header=BB109_17 Depth=1
	s_or_b64 exec, exec, s[8:9]
	s_mov_b64 s[34:35], 0
	s_mov_b64 s[36:37], -1
.LBB109_218:                            ;   in Loop: Header=BB109_17 Depth=1
	s_orn2_b64 s[2:3], s[2:3], exec
.LBB109_219:                            ;   in Loop: Header=BB109_17 Depth=1
	s_or_b64 exec, exec, s[38:39]
	s_mov_b64 s[8:9], 0
	s_and_saveexec_b64 s[38:39], s[2:3]
	s_cbranch_execz .LBB109_278
; %bb.220:                              ;   in Loop: Header=BB109_17 Depth=1
	v_mov_b32_e32 v6, 1
	s_xor_b64 s[40:41], s[40:41], -1
	v_mov_b32_e32 v2, 1
	v_mov_b32_e32 v7, 0
	s_and_saveexec_b64 s[2:3], s[40:41]
	s_cbranch_execz .LBB109_229
; %bb.221:                              ;   in Loop: Header=BB109_17 Depth=1
	v_cmp_ge_u64_e32 vcc, s[22:23], v[4:5]
	s_and_saveexec_b64 s[8:9], vcc
	s_xor_b64 s[8:9], exec, s[8:9]
	s_cbranch_execz .LBB109_226
; %bb.222:                              ;   in Loop: Header=BB109_17 Depth=1
	ds_read_b64 v[6:7], v3 offset:5120
	v_and_b32_e32 v2, s54, v30
	v_lshl_or_b32 v30, 2, s86, v2
	v_or_b32_e32 v35, s66, v35
	s_waitcnt lgkmcnt(0)
	v_cmp_ne_u64_e32 vcc, 0, v[6:7]
	s_cbranch_vccnz .LBB109_226
; %bb.223:                              ;   in Loop: Header=BB109_17 Depth=1
	s_mov_b64 s[40:41], exec
	v_readlane_b32 s42, v49, 8
	v_readlane_b32 s43, v49, 9
	s_and_b64 s[42:43], s[40:41], s[42:43]
	s_mov_b64 exec, s[42:43]
; %bb.224:                              ;   in Loop: Header=BB109_17 Depth=1
	v_mov_b32_e32 v6, s22
	v_mov_b32_e32 v7, s23
	ds_write_b64 v3, v[6:7] offset:5128
; %bb.225:                              ;   in Loop: Header=BB109_17 Depth=1
	s_or_b64 exec, exec, s[40:41]
	s_waitcnt lgkmcnt(0)
	s_barrier
.LBB109_226:                            ;   in Loop: Header=BB109_17 Depth=1
	s_or_saveexec_b64 s[8:9], s[8:9]
	s_mov_b64 s[40:41], 0
	v_mov_b32_e32 v2, 8
	s_xor_b64 exec, exec, s[8:9]
; %bb.227:                              ;   in Loop: Header=BB109_17 Depth=1
	v_mov_b32_e32 v2, s23
	v_subrev_co_u32_e32 v4, vcc, s22, v4
	s_mov_b64 s[40:41], exec
	v_subb_co_u32_e32 v5, vcc, v5, v2, vcc
	v_mov_b32_e32 v2, 0
; %bb.228:                              ;   in Loop: Header=BB109_17 Depth=1
	s_or_b64 exec, exec, s[8:9]
	v_mov_b32_e32 v7, v5
	s_and_b64 s[8:9], s[40:41], exec
	v_mov_b32_e32 v6, v4
.LBB109_229:                            ;   in Loop: Header=BB109_17 Depth=1
	s_or_b64 exec, exec, s[2:3]
	s_mov_b64 s[2:3], -1
                                        ; implicit-def: $sgpr46_sgpr47
                                        ; implicit-def: $sgpr44_sgpr45
	s_and_saveexec_b64 s[22:23], s[8:9]
	s_cbranch_execz .LBB109_277
; %bb.230:                              ;   in Loop: Header=BB109_17 Depth=1
	s_cmp_eq_u64 s[14:15], 1
	v_cmp_eq_u64_e32 vcc, 1, v[6:7]
	s_cselect_b64 s[2:3], -1, 0
	s_and_b64 s[40:41], s[2:3], vcc
	s_mov_b64 s[8:9], -1
                                        ; implicit-def: $sgpr46_sgpr47
                                        ; implicit-def: $sgpr44_sgpr45
	s_and_saveexec_b64 s[42:43], s[40:41]
	s_cbranch_execz .LBB109_265
; %bb.231:                              ;   in Loop: Header=BB109_17 Depth=1
	ds_read_b64 v[4:5], v3 offset:5120
	s_waitcnt lgkmcnt(0)
	s_barrier
	v_readfirstlane_b32 s8, v4
	v_readfirstlane_b32 s9, v5
	s_mov_b64 s[2:3], exec
	v_readlane_b32 s44, v49, 26
	v_readlane_b32 s45, v49, 27
	s_and_b64 s[44:45], s[2:3], s[44:45]
	s_mov_b64 exec, s[44:45]
; %bb.232:                              ;   in Loop: Header=BB109_17 Depth=1
	ds_write_b16 v25, v3
; %bb.233:                              ;   in Loop: Header=BB109_17 Depth=1
	s_or_b64 exec, exec, s[2:3]
	v_or_b32_e32 v30, s66, v30
	v_or_b32_e32 v35, s66, v35
	s_mov_b64 s[44:45], -1
	s_mov_b64 s[46:47], 0
	s_cmp_eq_u64 s[8:9], 0
	s_mov_b64 s[2:3], 0
	s_mov_b64 s[48:49], -1
	s_waitcnt lgkmcnt(0)
	s_barrier
                                        ; implicit-def: $vgpr36
	s_cbranch_scc1 .LBB109_247
; %bb.234:                              ;   in Loop: Header=BB109_17 Depth=1
	s_add_u32 s52, s8, s85
	v_readlane_b32 s2, v49, 32
	s_addc_u32 s3, s9, s2
	s_mov_b32 s2, s83
	s_cmp_lg_u64 s[2:3], 0
	s_cbranch_scc0 .LBB109_250
; %bb.235:                              ;   in Loop: Header=BB109_17 Depth=1
	v_cvt_f32_u32_e32 v4, s69
	s_sub_u32 s2, 0, s69
	s_subb_u32 s50, 0, 0
	v_mac_f32_e32 v4, 0, v33
	v_rcp_f32_e32 v4, v4
	v_mul_f32_e32 v4, 0x5f7ffffc, v4
	v_mul_f32_e32 v5, 0x2f800000, v4
	v_trunc_f32_e32 v5, v5
	v_mac_f32_e32 v4, 0xcf800000, v5
	v_cvt_u32_f32_e32 v5, v5
	v_cvt_u32_f32_e32 v4, v4
	v_readfirstlane_b32 s51, v5
	v_readfirstlane_b32 s48, v4
	s_mul_i32 s49, s2, s51
	s_mul_hi_u32 s54, s2, s48
	s_mul_i32 s53, s50, s48
	s_add_i32 s49, s54, s49
	s_mul_i32 s55, s2, s48
	s_add_i32 s49, s49, s53
	s_mul_hi_u32 s54, s48, s55
	s_mul_i32 s58, s48, s49
	s_mul_hi_u32 s53, s48, s49
	s_add_u32 s54, s54, s58
	s_addc_u32 s53, 0, s53
	s_mul_hi_u32 s59, s51, s55
	s_mul_i32 s55, s51, s55
	s_add_u32 s54, s54, s55
	s_mul_hi_u32 s58, s51, s49
	s_addc_u32 s53, s53, s59
	s_addc_u32 s54, s58, 0
	s_mul_i32 s49, s51, s49
	s_add_u32 s49, s53, s49
	s_addc_u32 s53, 0, s54
	s_add_u32 s54, s48, s49
	s_cselect_b64 s[48:49], -1, 0
	s_cmp_lg_u64 s[48:49], 0
	s_addc_u32 s51, s51, s53
	s_mul_i32 s48, s2, s51
	s_mul_hi_u32 s49, s2, s54
	s_add_i32 s48, s49, s48
	s_mul_i32 s50, s50, s54
	s_add_i32 s48, s48, s50
	s_mul_i32 s2, s2, s54
	s_mul_hi_u32 s50, s51, s2
	s_mul_i32 s53, s51, s2
	s_mul_i32 s58, s54, s48
	s_mul_hi_u32 s2, s54, s2
	s_mul_hi_u32 s55, s54, s48
	s_add_u32 s2, s2, s58
	s_addc_u32 s55, 0, s55
	s_add_u32 s2, s2, s53
	s_mul_hi_u32 s49, s51, s48
	s_addc_u32 s2, s55, s50
	s_addc_u32 s49, s49, 0
	s_mul_i32 s48, s51, s48
	s_add_u32 s2, s2, s48
	s_addc_u32 s50, 0, s49
	s_add_u32 s2, s54, s2
	s_cselect_b64 s[48:49], -1, 0
	s_cmp_lg_u64 s[48:49], 0
	s_addc_u32 s48, s51, s50
	s_mul_i32 s50, s52, s48
	s_mul_hi_u32 s51, s52, s2
	s_mul_hi_u32 s49, s52, s48
	s_add_u32 s50, s51, s50
	s_addc_u32 s49, 0, s49
	s_mul_hi_u32 s53, s3, s2
	s_mul_i32 s2, s3, s2
	s_add_u32 s2, s50, s2
	s_mul_hi_u32 s51, s3, s48
	s_addc_u32 s2, s49, s53
	s_addc_u32 s49, s51, 0
	s_mul_i32 s48, s3, s48
	s_add_u32 s2, s2, s48
	s_addc_u32 s48, 0, s49
	s_mul_i32 s48, s69, s48
	s_mul_hi_u32 s49, s69, s2
	s_add_i32 s50, s49, s48
	s_mul_i32 s2, s69, s2
	s_sub_u32 s2, s52, s2
	s_cselect_b64 s[48:49], -1, 0
	s_cmp_lg_u64 s[48:49], 0
	s_subb_u32 s50, s3, s50
	s_sub_u32 s51, s2, s69
	s_cselect_b64 s[48:49], -1, 0
	s_cmp_lg_u64 s[48:49], 0
	s_subb_u32 s53, s50, 0
	;; [unrolled: 4-line block ×3, first 2 shown]
	s_cmp_ge_u32 s51, s69
	s_cselect_b32 s49, -1, 0
	s_cmp_eq_u32 s53, 0
	s_cselect_b32 s49, s49, -1
	s_cmp_lg_u32 s49, 0
	s_cselect_b32 s48, s48, s53
	s_cselect_b32 s51, s54, s51
	s_cmp_ge_u32 s2, s69
	s_cselect_b32 s49, -1, 0
	s_cmp_eq_u32 s50, 0
	s_cselect_b32 s49, s49, -1
	s_cmp_lg_u32 s49, 0
	s_cselect_b32 s49, s48, s50
	s_cselect_b32 s48, s51, s2
	s_cbranch_execnz .LBB109_237
.LBB109_236:                            ;   in Loop: Header=BB109_17 Depth=1
	v_cvt_f32_u32_e32 v4, s69
	s_sub_i32 s2, 0, s69
	v_rcp_iflag_f32_e32 v4, v4
	v_mul_f32_e32 v4, 0x4f7ffffe, v4
	v_cvt_u32_f32_e32 v4, v4
	v_readfirstlane_b32 s48, v4
	s_mul_i32 s2, s2, s48
	s_mul_hi_u32 s2, s48, s2
	s_add_i32 s48, s48, s2
	s_mul_hi_u32 s2, s52, s48
	s_mul_i32 s2, s2, s69
	s_sub_i32 s2, s52, s2
	s_sub_i32 s48, s2, s69
	s_cmp_ge_u32 s2, s69
	s_cselect_b32 s2, s48, s2
	s_sub_i32 s48, s2, s69
	s_cmp_ge_u32 s2, s69
	s_cselect_b32 s82, s48, s2
	s_mov_b64 s[48:49], s[82:83]
.LBB109_237:                            ;   in Loop: Header=BB109_17 Depth=1
	s_sub_u32 s52, s52, s48
	s_subb_u32 s53, s3, s49
	v_cmp_gt_u64_e32 vcc, s[52:53], v[0:1]
	s_mov_b64 s[48:49], 0
	s_mov_b64 s[2:3], 0
                                        ; implicit-def: $vgpr36
	s_and_saveexec_b64 s[50:51], vcc
	s_cbranch_execz .LBB109_246
; %bb.238:                              ;   in Loop: Header=BB109_17 Depth=1
	v_mov_b32_e32 v5, v1
	v_mov_b32_e32 v8, v24
	;; [unrolled: 1-line block ×3, first 2 shown]
                                        ; implicit-def: $sgpr54_sgpr55
	s_branch .LBB109_241
.LBB109_239:                            ;   in Loop: Header=BB109_241 Depth=2
	s_or_b64 exec, exec, s[58:59]
	s_waitcnt lgkmcnt(0)
	s_barrier
	ds_read_b32 v9, v3 offset:3072
	s_mov_b64 s[58:59], -1
	s_waitcnt lgkmcnt(0)
	s_barrier
	v_cmp_ne_u32_sdwa s[64:65], v9, v3 src0_sel:WORD_0 src1_sel:DWORD
	s_and_b64 vcc, exec, s[64:65]
	s_mov_b64 s[64:65], -1
	s_cbranch_vccz .LBB109_244
.LBB109_240:                            ;   in Loop: Header=BB109_241 Depth=2
	s_and_b64 s[58:59], exec, s[58:59]
	s_or_b64 s[2:3], s[58:59], s[2:3]
	s_andn2_b64 s[54:55], s[54:55], exec
	s_and_b64 s[58:59], s[64:65], exec
	s_or_b64 s[54:55], s[54:55], s[58:59]
	s_andn2_b64 exec, exec, s[2:3]
	s_cbranch_execz .LBB109_245
.LBB109_241:                            ;   Parent Loop BB109_17 Depth=1
                                        ; =>  This Inner Loop Header: Depth=2
	v_cmp_gt_u64_e32 vcc, s[8:9], v[4:5]
	s_and_saveexec_b64 s[58:59], vcc
	s_cbranch_execz .LBB109_239
; %bb.242:                              ;   in Loop: Header=BB109_241 Depth=2
	ds_read_u16 v9, v8
	s_waitcnt lgkmcnt(0)
	v_add_u32_sdwa v10, sext(v9), s31 dst_sel:DWORD dst_unused:UNUSED_PAD src0_sel:WORD_0 src1_sel:DWORD
	v_and_b32_e32 v10, v10, v35
	v_cmp_eq_u32_e32 vcc, v10, v30
	s_and_b64 exec, exec, vcc
	s_cbranch_execz .LBB109_239
; %bb.243:                              ;   in Loop: Header=BB109_241 Depth=2
	v_perm_b32 v9, v9, 1, v34
	ds_write_b32 v3, v9 offset:3072
	s_branch .LBB109_239
.LBB109_244:                            ;   in Loop: Header=BB109_241 Depth=2
	v_add_co_u32_e32 v4, vcc, s69, v4
	v_addc_co_u32_e32 v5, vcc, 0, v5, vcc
	v_cmp_le_u64_e32 vcc, s[52:53], v[4:5]
	v_add_u32_e32 v8, s30, v8
	s_mov_b64 s[64:65], 0
	s_orn2_b64 s[58:59], vcc, exec
	s_branch .LBB109_240
.LBB109_245:                            ;   in Loop: Header=BB109_17 Depth=1
	s_or_b64 exec, exec, s[2:3]
	v_lshrrev_b32_e32 v36, 16, v9
	s_and_b64 s[2:3], s[54:55], exec
.LBB109_246:                            ;   in Loop: Header=BB109_17 Depth=1
	s_or_b64 exec, exec, s[50:51]
.LBB109_247:                            ;   in Loop: Header=BB109_17 Depth=1
	s_and_b64 vcc, exec, s[48:49]
	s_cbranch_vccz .LBB109_264
; %bb.248:                              ;   in Loop: Header=BB109_17 Depth=1
	s_mov_b32 s88, s83
	s_cmp_lg_u64 s[88:89], 0
	s_cbranch_scc0 .LBB109_251
; %bb.249:                              ;   in Loop: Header=BB109_17 Depth=1
	v_cvt_f32_u32_e32 v4, s69
	s_sub_u32 s44, 0, s69
	s_subb_u32 s45, 0, 0
	v_mac_f32_e32 v4, 0, v33
	v_rcp_f32_e32 v4, v4
	v_mul_f32_e32 v4, 0x5f7ffffc, v4
	v_mul_f32_e32 v5, 0x2f800000, v4
	v_trunc_f32_e32 v5, v5
	v_mac_f32_e32 v4, 0xcf800000, v5
	v_cvt_u32_f32_e32 v5, v5
	v_cvt_u32_f32_e32 v4, v4
	v_readfirstlane_b32 s46, v5
	v_readfirstlane_b32 s8, v4
	s_mul_i32 s9, s44, s46
	s_mul_hi_u32 s48, s44, s8
	s_mul_i32 s47, s45, s8
	s_add_i32 s9, s48, s9
	s_mul_i32 s49, s44, s8
	s_add_i32 s9, s9, s47
	s_mul_hi_u32 s48, s8, s49
	s_mul_i32 s50, s8, s9
	s_mul_hi_u32 s47, s8, s9
	s_add_u32 s48, s48, s50
	s_addc_u32 s47, 0, s47
	s_mul_hi_u32 s51, s46, s49
	s_mul_i32 s49, s46, s49
	s_add_u32 s48, s48, s49
	s_mul_hi_u32 s50, s46, s9
	s_addc_u32 s47, s47, s51
	s_addc_u32 s48, s50, 0
	s_mul_i32 s9, s46, s9
	s_add_u32 s9, s47, s9
	s_addc_u32 s47, 0, s48
	s_add_u32 s48, s8, s9
	s_cselect_b64 s[8:9], -1, 0
	s_cmp_lg_u64 s[8:9], 0
	s_addc_u32 s46, s46, s47
	s_mul_i32 s8, s44, s46
	s_mul_hi_u32 s9, s44, s48
	s_add_i32 s8, s9, s8
	s_mul_i32 s45, s45, s48
	s_add_i32 s8, s8, s45
	s_mul_i32 s44, s44, s48
	s_mul_hi_u32 s45, s46, s44
	s_mul_i32 s47, s46, s44
	s_mul_i32 s50, s48, s8
	s_mul_hi_u32 s44, s48, s44
	s_mul_hi_u32 s49, s48, s8
	s_add_u32 s44, s44, s50
	s_addc_u32 s49, 0, s49
	s_add_u32 s44, s44, s47
	s_mul_hi_u32 s9, s46, s8
	s_addc_u32 s44, s49, s45
	s_addc_u32 s9, s9, 0
	s_mul_i32 s8, s46, s8
	s_add_u32 s8, s44, s8
	s_addc_u32 s44, 0, s9
	s_add_u32 s45, s48, s8
	s_cselect_b64 s[8:9], -1, 0
	s_cmp_lg_u64 s[8:9], 0
	s_addc_u32 s8, s46, s44
	s_mul_i32 s44, s0, s8
	s_mul_hi_u32 s46, s0, s45
	s_mul_hi_u32 s9, s0, s8
	s_add_u32 s44, s46, s44
	s_addc_u32 s9, 0, s9
	s_mul_hi_u32 s47, s89, s45
	s_mul_i32 s45, s89, s45
	s_add_u32 s44, s44, s45
	s_mul_hi_u32 s46, s89, s8
	s_addc_u32 s9, s9, s47
	s_addc_u32 s44, s46, 0
	s_mul_i32 s8, s89, s8
	s_add_u32 s8, s9, s8
	s_addc_u32 s9, 0, s44
	s_mul_i32 s9, s69, s9
	s_mul_hi_u32 s44, s69, s8
	s_add_i32 s44, s44, s9
	s_mul_i32 s8, s69, s8
	s_sub_u32 s45, s0, s8
	s_cselect_b64 s[8:9], -1, 0
	s_cmp_lg_u64 s[8:9], 0
	s_subb_u32 s44, s89, s44
	s_sub_u32 s46, s45, s69
	s_cselect_b64 s[8:9], -1, 0
	s_cmp_lg_u64 s[8:9], 0
	s_subb_u32 s47, s44, 0
	;; [unrolled: 4-line block ×3, first 2 shown]
	s_cmp_ge_u32 s46, s69
	s_cselect_b32 s9, -1, 0
	s_cmp_eq_u32 s47, 0
	s_cselect_b32 s9, s9, -1
	s_cmp_lg_u32 s9, 0
	s_cselect_b32 s8, s8, s47
	s_cselect_b32 s46, s48, s46
	s_cmp_ge_u32 s45, s69
	s_cselect_b32 s9, -1, 0
	s_cmp_eq_u32 s44, 0
	s_cselect_b32 s9, s9, -1
	s_cmp_lg_u32 s9, 0
	s_cselect_b32 s9, s8, s44
	s_cselect_b32 s8, s46, s45
	s_mov_b64 s[44:45], 0
	s_branch .LBB109_252
.LBB109_250:                            ;   in Loop: Header=BB109_17 Depth=1
                                        ; implicit-def: $sgpr48_sgpr49
	s_branch .LBB109_236
.LBB109_251:                            ;   in Loop: Header=BB109_17 Depth=1
	s_mov_b64 s[44:45], -1
                                        ; implicit-def: $sgpr8_sgpr9
.LBB109_252:                            ;   in Loop: Header=BB109_17 Depth=1
	s_andn2_b64 vcc, exec, s[44:45]
	v_readlane_b32 s88, v49, 44
	s_cbranch_vccnz .LBB109_254
; %bb.253:                              ;   in Loop: Header=BB109_17 Depth=1
	v_cvt_f32_u32_e32 v4, s69
	s_sub_i32 s8, 0, s69
	v_rcp_iflag_f32_e32 v4, v4
	v_mul_f32_e32 v4, 0x4f7ffffe, v4
	v_cvt_u32_f32_e32 v4, v4
	v_readfirstlane_b32 s9, v4
	s_mul_i32 s8, s8, s9
	s_mul_hi_u32 s8, s9, s8
	s_add_i32 s9, s9, s8
	s_mul_hi_u32 s8, s0, s9
	s_mul_i32 s8, s8, s69
	s_sub_i32 s8, s0, s8
	s_sub_i32 s9, s8, s69
	s_cmp_ge_u32 s8, s69
	s_cselect_b32 s8, s9, s8
	s_sub_i32 s9, s8, s69
	s_cmp_ge_u32 s8, s69
	s_cselect_b32 s82, s9, s8
	s_mov_b64 s[8:9], s[82:83]
.LBB109_254:                            ;   in Loop: Header=BB109_17 Depth=1
	s_sub_u32 s44, s0, s8
	s_subb_u32 s45, s89, s9
	v_cmp_gt_u64_e32 vcc, s[44:45], v[0:1]
                                        ; implicit-def: $vgpr36
	s_and_saveexec_b64 s[8:9], vcc
	s_cbranch_execz .LBB109_263
; %bb.255:                              ;   in Loop: Header=BB109_17 Depth=1
	v_mov_b32_e32 v5, v1
	s_mov_b64 s[46:47], 0
	v_mov_b32_e32 v4, v0
                                        ; implicit-def: $sgpr48_sgpr49
	s_branch .LBB109_258
.LBB109_256:                            ;   in Loop: Header=BB109_258 Depth=2
	s_or_b64 exec, exec, s[50:51]
	s_waitcnt lgkmcnt(0)
	s_barrier
	ds_read_b32 v8, v3 offset:3072
	s_mov_b64 s[50:51], -1
	s_waitcnt lgkmcnt(0)
	s_barrier
	v_cmp_eq_u32_sdwa s[52:53], v8, v3 src0_sel:WORD_0 src1_sel:DWORD
	s_and_b64 vcc, exec, s[52:53]
	s_mov_b64 s[52:53], -1
	s_cbranch_vccnz .LBB109_261
.LBB109_257:                            ;   in Loop: Header=BB109_258 Depth=2
	s_and_b64 s[50:51], exec, s[50:51]
	s_or_b64 s[46:47], s[50:51], s[46:47]
	s_andn2_b64 s[48:49], s[48:49], exec
	s_and_b64 s[50:51], s[52:53], exec
	s_or_b64 s[48:49], s[48:49], s[50:51]
	s_andn2_b64 exec, exec, s[46:47]
	s_cbranch_execz .LBB109_262
.LBB109_258:                            ;   Parent Loop BB109_17 Depth=1
                                        ; =>  This Inner Loop Header: Depth=2
	v_cmp_gt_u64_e32 vcc, s[56:57], v[4:5]
	s_and_saveexec_b64 s[50:51], vcc
	s_cbranch_execz .LBB109_256
; %bb.259:                              ;   in Loop: Header=BB109_258 Depth=2
	v_mul_lo_u32 v10, v5, s72
	v_mul_lo_u32 v11, v4, s73
	v_mad_u64_u32 v[8:9], s[52:53], v4, s72, 0
	v_add3_u32 v9, v9, v11, v10
	v_lshlrev_b64 v[8:9], 1, v[8:9]
	v_mov_b32_e32 v10, s68
	v_add_co_u32_e32 v8, vcc, s33, v8
	v_addc_co_u32_e32 v9, vcc, v10, v9, vcc
	global_load_ushort v8, v[8:9], off
	s_waitcnt vmcnt(0)
	v_add_u32_sdwa v9, sext(v8), s31 dst_sel:DWORD dst_unused:UNUSED_PAD src0_sel:WORD_0 src1_sel:DWORD
	v_and_b32_e32 v9, v9, v35
	v_cmp_eq_u32_e32 vcc, v9, v30
	s_and_b64 exec, exec, vcc
	s_cbranch_execz .LBB109_256
; %bb.260:                              ;   in Loop: Header=BB109_258 Depth=2
	v_perm_b32 v8, v8, 1, v34
	ds_write_b32 v3, v8 offset:3072
	s_branch .LBB109_256
.LBB109_261:                            ;   in Loop: Header=BB109_258 Depth=2
	v_add_co_u32_e32 v4, vcc, s69, v4
	v_addc_co_u32_e32 v5, vcc, 0, v5, vcc
	v_cmp_le_u64_e32 vcc, s[44:45], v[4:5]
	s_mov_b64 s[52:53], 0
	s_orn2_b64 s[50:51], vcc, exec
	s_branch .LBB109_257
.LBB109_262:                            ;   in Loop: Header=BB109_17 Depth=1
	s_or_b64 exec, exec, s[46:47]
	s_andn2_b64 s[2:3], s[2:3], exec
	s_and_b64 s[44:45], s[48:49], exec
	v_lshrrev_b32_e32 v36, 16, v8
	s_or_b64 s[2:3], s[2:3], s[44:45]
.LBB109_263:                            ;   in Loop: Header=BB109_17 Depth=1
	s_or_b64 exec, exec, s[8:9]
	s_mov_b64 s[44:45], 0
	s_mov_b64 s[46:47], -1
.LBB109_264:                            ;   in Loop: Header=BB109_17 Depth=1
	s_orn2_b64 s[8:9], s[2:3], exec
.LBB109_265:                            ;   in Loop: Header=BB109_17 Depth=1
	s_or_b64 exec, exec, s[42:43]
	s_mov_b64 s[42:43], 0
	s_and_saveexec_b64 s[2:3], s[8:9]
	s_cbranch_execz .LBB109_276
; %bb.266:                              ;   in Loop: Header=BB109_17 Depth=1
	v_mov_b32_e32 v4, 1
	s_xor_b64 s[40:41], s[40:41], -1
	v_mov_b32_e32 v5, 0
	v_mov_b32_e32 v2, 1
	s_and_saveexec_b64 s[8:9], s[40:41]
	s_cbranch_execz .LBB109_275
; %bb.267:                              ;   in Loop: Header=BB109_17 Depth=1
	v_cmp_ge_u64_e32 vcc, s[14:15], v[6:7]
	s_and_saveexec_b64 s[40:41], vcc
	s_xor_b64 s[40:41], exec, s[40:41]
	s_cbranch_execz .LBB109_272
; %bb.268:                              ;   in Loop: Header=BB109_17 Depth=1
	ds_read_b64 v[4:5], v3 offset:5120
	v_or_b32_e32 v30, s66, v30
	v_or_b32_e32 v35, s66, v35
	s_waitcnt lgkmcnt(0)
	v_cmp_ne_u64_e32 vcc, 0, v[4:5]
	s_cbranch_vccnz .LBB109_272
; %bb.269:                              ;   in Loop: Header=BB109_17 Depth=1
	s_mov_b64 s[42:43], exec
	v_readlane_b32 s48, v49, 8
	v_readlane_b32 s49, v49, 9
	s_and_b64 s[48:49], s[42:43], s[48:49]
	s_mov_b64 exec, s[48:49]
; %bb.270:                              ;   in Loop: Header=BB109_17 Depth=1
	v_mov_b32_e32 v4, s14
	v_mov_b32_e32 v5, s15
	ds_write_b64 v3, v[4:5] offset:5128
; %bb.271:                              ;   in Loop: Header=BB109_17 Depth=1
	s_or_b64 exec, exec, s[42:43]
	s_waitcnt lgkmcnt(0)
	s_barrier
.LBB109_272:                            ;   in Loop: Header=BB109_17 Depth=1
	s_andn2_saveexec_b64 s[40:41], s[40:41]
; %bb.273:                              ;   in Loop: Header=BB109_17 Depth=1
	v_mov_b32_e32 v2, s15
	v_subrev_co_u32_e32 v6, vcc, s14, v6
	v_subb_co_u32_e32 v7, vcc, v7, v2, vcc
; %bb.274:                              ;   in Loop: Header=BB109_17 Depth=1
	s_or_b64 exec, exec, s[40:41]
	v_mov_b32_e32 v4, v6
	v_mov_b32_e32 v2, 8
	;; [unrolled: 1-line block ×3, first 2 shown]
.LBB109_275:                            ;   in Loop: Header=BB109_17 Depth=1
	s_or_b64 exec, exec, s[8:9]
	v_mov_b32_e32 v7, v5
	s_mov_b64 s[42:43], exec
	v_mov_b32_e32 v6, v4
.LBB109_276:                            ;   in Loop: Header=BB109_17 Depth=1
	s_or_b64 exec, exec, s[2:3]
	s_orn2_b64 s[2:3], s[42:43], exec
.LBB109_277:                            ;   in Loop: Header=BB109_17 Depth=1
	s_or_b64 exec, exec, s[22:23]
	s_andn2_b64 s[8:9], s[36:37], exec
	s_and_b64 s[14:15], s[46:47], exec
	s_or_b64 s[36:37], s[8:9], s[14:15]
	s_andn2_b64 s[8:9], s[34:35], exec
	s_and_b64 s[14:15], s[44:45], exec
	v_mov_b32_e32 v4, v6
	s_or_b64 s[34:35], s[8:9], s[14:15]
	s_and_b64 s[8:9], s[2:3], exec
	v_mov_b32_e32 v5, v7
.LBB109_278:                            ;   in Loop: Header=BB109_17 Depth=1
	s_or_b64 exec, exec, s[38:39]
	s_orn2_b64 s[2:3], s[8:9], exec
.LBB109_279:                            ;   in Loop: Header=BB109_17 Depth=1
	s_or_b64 exec, exec, s[28:29]
	s_andn2_b64 s[8:9], s[24:25], exec
	s_and_b64 s[14:15], s[36:37], exec
	s_or_b64 s[24:25], s[8:9], s[14:15]
	s_andn2_b64 s[6:7], s[6:7], exec
	s_and_b64 s[8:9], s[34:35], exec
	v_mov_b32_e32 v9, v5
	s_or_b64 s[6:7], s[6:7], s[8:9]
	s_and_b64 s[8:9], s[2:3], exec
	v_mov_b32_e32 v8, v4
.LBB109_280:                            ;   in Loop: Header=BB109_17 Depth=1
	s_or_b64 exec, exec, s[26:27]
	s_orn2_b64 s[2:3], s[8:9], exec
.LBB109_281:                            ;   in Loop: Header=BB109_17 Depth=1
	s_or_b64 exec, exec, s[20:21]
	s_mov_b64 s[8:9], 0
	s_and_saveexec_b64 s[14:15], s[2:3]
	s_xor_b64 s[2:3], exec, s[14:15]
	s_cbranch_execz .LBB109_15
; %bb.282:                              ;   in Loop: Header=BB109_17 Depth=1
	v_and_b32_e32 v2, 7, v2
	v_cmp_eq_u32_e32 vcc, 0, v2
	s_mov_b64 s[14:15], -1
	s_mov_b64 s[8:9], -1
	s_and_saveexec_b64 s[18:19], vcc
	s_cbranch_execz .LBB109_14
; %bb.283:                              ;   in Loop: Header=BB109_17 Depth=1
	s_xor_b32 s84, s84, 1
	s_add_i32 s20, s86, -2
	s_cmp_eq_u32 s86, 0
	s_cselect_b64 s[14:15], -1, 0
	s_xor_b64 s[8:9], exec, -1
	s_orn2_b64 s[14:15], s[14:15], exec
	s_mov_b32 s86, s20
	s_branch .LBB109_14
.LBB109_284:
	s_or_b64 exec, exec, s[78:79]
	s_xor_b64 s[6:7], s[80:81], -1
	s_xor_b64 s[0:1], s[60:61], -1
	;; [unrolled: 1-line block ×3, first 2 shown]
	s_mov_b64 s[2:3], 0
	s_and_saveexec_b64 s[8:9], s[0:1]
	s_xor_b64 s[0:1], exec, s[8:9]
	s_cbranch_execnz .LBB109_289
; %bb.285:
	s_andn2_saveexec_b64 s[0:1], s[0:1]
	s_cbranch_execnz .LBB109_302
.LBB109_286:
	s_or_b64 exec, exec, s[0:1]
	s_and_saveexec_b64 s[0:1], s[2:3]
.LBB109_287:
	; divergent unreachable
.LBB109_288:
	s_endpgm
.LBB109_289:
	s_and_saveexec_b64 s[2:3], s[6:7]
	s_xor_b64 s[2:3], exec, s[2:3]
	s_cbranch_execz .LBB109_300
; %bb.290:
	s_and_saveexec_b64 s[6:7], s[4:5]
	s_xor_b64 s[4:5], exec, s[6:7]
; %bb.291:
	v_xor_b32_e32 v36, 0xffff8000, v30
; %bb.292:
	s_or_b64 exec, exec, s[4:5]
	v_readlane_b32 s6, v49, 4
	v_readlane_b32 s4, v49, 2
	;; [unrolled: 1-line block ×4, first 2 shown]
	s_mov_b32 s8, s4
	s_mul_i32 s4, s4, s7
	s_mul_hi_u32 s5, s8, s6
	s_add_i32 s5, s5, s4
	s_mul_i32 s4, s8, s6
	v_readlane_b32 s18, v49, 22
	v_readlane_b32 s12, v49, 18
	s_sub_u32 s4, s18, s4
	v_readlane_b32 s14, v49, 20
	v_readlane_b32 s15, v49, 21
	s_subb_u32 s5, 0, s5
	s_mul_i32 s6, s4, s15
	s_mul_hi_u32 s7, s4, s14
	v_readlane_b32 s13, v49, 19
	s_add_i32 s6, s7, s6
	s_mul_i32 s5, s5, s14
	s_add_i32 s5, s6, s5
	s_mul_i32 s6, s8, s13
	s_mul_hi_u32 s7, s8, s12
	s_add_i32 s7, s7, s6
	s_mul_i32 s6, s8, s12
	s_lshl_b64 s[6:7], s[6:7], 1
	v_readlane_b32 s8, v49, 12
	s_mul_i32 s4, s4, s14
	v_readlane_b32 s9, v49, 13
	s_add_u32 s6, s8, s6
	s_addc_u32 s7, s9, s7
	s_lshl_b64 s[4:5], s[4:5], 1
	s_add_u32 s4, s6, s4
	s_addc_u32 s5, s7, s5
	v_mov_b32_e32 v2, 0
	v_readlane_b32 s19, v49, 23
	global_store_short v2, v36, s[4:5]
	s_mov_b64 s[4:5], exec
	v_readlane_b32 s6, v49, 24
	v_readlane_b32 s7, v49, 25
	s_and_b64 s[6:7], s[4:5], s[6:7]
	s_mov_b64 exec, s[6:7]
	s_cbranch_execz .LBB109_299
; %bb.293:
	s_mov_b64 s[6:7], 0
	v_mov_b32_e32 v4, s68
                                        ; implicit-def: $sgpr8_sgpr9
                                        ; implicit-def: $sgpr12_sgpr13
                                        ; implicit-def: $sgpr10_sgpr11
	s_branch .LBB109_295
.LBB109_294:                            ;   in Loop: Header=BB109_295 Depth=1
	s_or_b64 exec, exec, s[14:15]
	s_and_b64 s[14:15], exec, s[12:13]
	s_or_b64 s[6:7], s[14:15], s[6:7]
	s_andn2_b64 s[8:9], s[8:9], exec
	s_and_b64 s[14:15], s[10:11], exec
	s_or_b64 s[8:9], s[8:9], s[14:15]
	s_andn2_b64 exec, exec, s[6:7]
	s_cbranch_execz .LBB109_297
.LBB109_295:                            ; =>This Inner Loop Header: Depth=1
	v_mov_b32_e32 v3, v1
	v_mov_b32_e32 v2, v0
	v_mul_lo_u32 v5, v3, s72
	v_mul_lo_u32 v6, v2, s73
	v_mad_u64_u32 v[0:1], s[14:15], v2, s72, 0
	s_or_b64 s[10:11], s[10:11], exec
	s_or_b64 s[12:13], s[12:13], exec
	v_add3_u32 v1, v1, v6, v5
	v_lshlrev_b64 v[0:1], 1, v[0:1]
	v_add_co_u32_e32 v0, vcc, s33, v0
	v_addc_co_u32_e32 v1, vcc, v4, v1, vcc
	global_load_ushort v0, v[0:1], off
	s_waitcnt vmcnt(0)
	v_cmp_ne_u16_e32 vcc, v0, v36
                                        ; implicit-def: $vgpr0_vgpr1
	s_and_saveexec_b64 s[14:15], vcc
	s_cbranch_execz .LBB109_294
; %bb.296:                              ;   in Loop: Header=BB109_295 Depth=1
	v_add_co_u32_e32 v0, vcc, s69, v2
	v_addc_co_u32_e32 v1, vcc, 0, v3, vcc
	v_cmp_le_u64_e32 vcc, s[56:57], v[0:1]
	s_andn2_b64 s[12:13], s[12:13], exec
	s_and_b64 s[16:17], vcc, exec
	s_andn2_b64 s[10:11], s[10:11], exec
	s_or_b64 s[12:13], s[12:13], s[16:17]
	s_branch .LBB109_294
.LBB109_297:
	s_or_b64 exec, exec, s[6:7]
	s_and_saveexec_b64 s[6:7], s[8:9]
	s_xor_b64 s[6:7], exec, s[6:7]
	s_cbranch_execz .LBB109_299
; %bb.298:
	v_readlane_b32 s8, v49, 0
	v_readlane_b32 s6, v49, 6
	;; [unrolled: 1-line block ×4, first 2 shown]
	s_mov_b32 s10, s6
	s_mul_i32 s6, s6, s9
	s_mul_hi_u32 s7, s10, s8
	s_add_i32 s7, s7, s6
	s_mul_i32 s6, s10, s8
	v_readlane_b32 s12, v49, 14
	s_sub_u32 s6, s18, s6
	v_readlane_b32 s14, v49, 16
	v_readlane_b32 s15, v49, 17
	s_subb_u32 s7, 0, s7
	s_mul_i32 s8, s6, s15
	s_mul_hi_u32 s9, s6, s14
	v_readlane_b32 s13, v49, 15
	s_add_i32 s8, s9, s8
	s_mul_i32 s7, s7, s14
	s_add_i32 s7, s8, s7
	s_mul_i32 s8, s10, s13
	s_mul_hi_u32 s9, s10, s12
	s_add_i32 s9, s9, s8
	s_mul_i32 s8, s10, s12
	s_lshl_b64 s[8:9], s[8:9], 3
	v_readlane_b32 s10, v49, 10
	s_mul_i32 s6, s6, s14
	v_readlane_b32 s11, v49, 11
	s_add_u32 s8, s10, s8
	s_addc_u32 s9, s11, s9
	s_lshl_b64 s[6:7], s[6:7], 3
	s_add_u32 s6, s8, s6
	s_addc_u32 s7, s9, s7
	v_mov_b32_e32 v0, 0
	global_store_dwordx2 v0, v[2:3], s[6:7]
.LBB109_299:
	s_or_b64 exec, exec, s[4:5]
.LBB109_300:
	s_or_saveexec_b64 s[2:3], s[2:3]
	s_mov_b64 s[4:5], 0
	s_xor_b64 exec, exec, s[2:3]
	s_cbranch_execnz .LBB109_303
.LBB109_301:
	s_or_b64 exec, exec, s[2:3]
	s_and_b64 s[2:3], s[4:5], exec
	s_andn2_saveexec_b64 s[0:1], s[0:1]
	s_cbranch_execz .LBB109_286
.LBB109_302:
	s_or_b64 s[2:3], s[2:3], exec
	s_trap 2
	s_or_b64 exec, exec, s[0:1]
	s_and_saveexec_b64 s[0:1], s[2:3]
	s_cbranch_execnz .LBB109_287
	s_branch .LBB109_288
.LBB109_303:
	s_mov_b64 s[4:5], exec
	s_trap 2
	s_branch .LBB109_301
	.section	.rodata,"a",@progbits
	.p2align	6, 0x0
	.amdhsa_kernel _ZN2at6native12_GLOBAL__N_112gatherMedianIsmLi2EEEvNS_4cuda6detail10TensorInfoIT_T0_EENS5_IlS7_EENS5_IKS6_S7_EES7_S7_S7_b
		.amdhsa_group_segment_fixed_size 5152
		.amdhsa_private_segment_fixed_size 0
		.amdhsa_kernarg_size 1536
		.amdhsa_user_sgpr_count 6
		.amdhsa_user_sgpr_private_segment_buffer 1
		.amdhsa_user_sgpr_dispatch_ptr 0
		.amdhsa_user_sgpr_queue_ptr 0
		.amdhsa_user_sgpr_kernarg_segment_ptr 1
		.amdhsa_user_sgpr_dispatch_id 0
		.amdhsa_user_sgpr_flat_scratch_init 0
		.amdhsa_user_sgpr_private_segment_size 0
		.amdhsa_uses_dynamic_stack 0
		.amdhsa_system_sgpr_private_segment_wavefront_offset 0
		.amdhsa_system_sgpr_workgroup_id_x 1
		.amdhsa_system_sgpr_workgroup_id_y 1
		.amdhsa_system_sgpr_workgroup_id_z 1
		.amdhsa_system_sgpr_workgroup_info 0
		.amdhsa_system_vgpr_workitem_id 0
		.amdhsa_next_free_vgpr 50
		.amdhsa_next_free_sgpr 96
		.amdhsa_reserve_vcc 1
		.amdhsa_reserve_flat_scratch 0
		.amdhsa_float_round_mode_32 0
		.amdhsa_float_round_mode_16_64 0
		.amdhsa_float_denorm_mode_32 3
		.amdhsa_float_denorm_mode_16_64 3
		.amdhsa_dx10_clamp 1
		.amdhsa_ieee_mode 1
		.amdhsa_fp16_overflow 0
		.amdhsa_exception_fp_ieee_invalid_op 0
		.amdhsa_exception_fp_denorm_src 0
		.amdhsa_exception_fp_ieee_div_zero 0
		.amdhsa_exception_fp_ieee_overflow 0
		.amdhsa_exception_fp_ieee_underflow 0
		.amdhsa_exception_fp_ieee_inexact 0
		.amdhsa_exception_int_div_zero 0
	.end_amdhsa_kernel
	.section	.text._ZN2at6native12_GLOBAL__N_112gatherMedianIsmLi2EEEvNS_4cuda6detail10TensorInfoIT_T0_EENS5_IlS7_EENS5_IKS6_S7_EES7_S7_S7_b,"axG",@progbits,_ZN2at6native12_GLOBAL__N_112gatherMedianIsmLi2EEEvNS_4cuda6detail10TensorInfoIT_T0_EENS5_IlS7_EENS5_IKS6_S7_EES7_S7_S7_b,comdat
.Lfunc_end109:
	.size	_ZN2at6native12_GLOBAL__N_112gatherMedianIsmLi2EEEvNS_4cuda6detail10TensorInfoIT_T0_EENS5_IlS7_EENS5_IKS6_S7_EES7_S7_S7_b, .Lfunc_end109-_ZN2at6native12_GLOBAL__N_112gatherMedianIsmLi2EEEvNS_4cuda6detail10TensorInfoIT_T0_EENS5_IlS7_EENS5_IKS6_S7_EES7_S7_S7_b
                                        ; -- End function
	.set _ZN2at6native12_GLOBAL__N_112gatherMedianIsmLi2EEEvNS_4cuda6detail10TensorInfoIT_T0_EENS5_IlS7_EENS5_IKS6_S7_EES7_S7_S7_b.num_vgpr, 50
	.set _ZN2at6native12_GLOBAL__N_112gatherMedianIsmLi2EEEvNS_4cuda6detail10TensorInfoIT_T0_EENS5_IlS7_EENS5_IKS6_S7_EES7_S7_S7_b.num_agpr, 0
	.set _ZN2at6native12_GLOBAL__N_112gatherMedianIsmLi2EEEvNS_4cuda6detail10TensorInfoIT_T0_EENS5_IlS7_EENS5_IKS6_S7_EES7_S7_S7_b.numbered_sgpr, 96
	.set _ZN2at6native12_GLOBAL__N_112gatherMedianIsmLi2EEEvNS_4cuda6detail10TensorInfoIT_T0_EENS5_IlS7_EENS5_IKS6_S7_EES7_S7_S7_b.num_named_barrier, 0
	.set _ZN2at6native12_GLOBAL__N_112gatherMedianIsmLi2EEEvNS_4cuda6detail10TensorInfoIT_T0_EENS5_IlS7_EENS5_IKS6_S7_EES7_S7_S7_b.private_seg_size, 0
	.set _ZN2at6native12_GLOBAL__N_112gatherMedianIsmLi2EEEvNS_4cuda6detail10TensorInfoIT_T0_EENS5_IlS7_EENS5_IKS6_S7_EES7_S7_S7_b.uses_vcc, 1
	.set _ZN2at6native12_GLOBAL__N_112gatherMedianIsmLi2EEEvNS_4cuda6detail10TensorInfoIT_T0_EENS5_IlS7_EENS5_IKS6_S7_EES7_S7_S7_b.uses_flat_scratch, 0
	.set _ZN2at6native12_GLOBAL__N_112gatherMedianIsmLi2EEEvNS_4cuda6detail10TensorInfoIT_T0_EENS5_IlS7_EENS5_IKS6_S7_EES7_S7_S7_b.has_dyn_sized_stack, 0
	.set _ZN2at6native12_GLOBAL__N_112gatherMedianIsmLi2EEEvNS_4cuda6detail10TensorInfoIT_T0_EENS5_IlS7_EENS5_IKS6_S7_EES7_S7_S7_b.has_recursion, 0
	.set _ZN2at6native12_GLOBAL__N_112gatherMedianIsmLi2EEEvNS_4cuda6detail10TensorInfoIT_T0_EENS5_IlS7_EENS5_IKS6_S7_EES7_S7_S7_b.has_indirect_call, 0
	.section	.AMDGPU.csdata,"",@progbits
; Kernel info:
; codeLenInByte = 15872
; TotalNumSgprs: 100
; NumVgprs: 50
; ScratchSize: 0
; MemoryBound: 0
; FloatMode: 240
; IeeeMode: 1
; LDSByteSize: 5152 bytes/workgroup (compile time only)
; SGPRBlocks: 12
; VGPRBlocks: 12
; NumSGPRsForWavesPerEU: 100
; NumVGPRsForWavesPerEU: 50
; Occupancy: 4
; WaveLimiterHint : 1
; COMPUTE_PGM_RSRC2:SCRATCH_EN: 0
; COMPUTE_PGM_RSRC2:USER_SGPR: 6
; COMPUTE_PGM_RSRC2:TRAP_HANDLER: 0
; COMPUTE_PGM_RSRC2:TGID_X_EN: 1
; COMPUTE_PGM_RSRC2:TGID_Y_EN: 1
; COMPUTE_PGM_RSRC2:TGID_Z_EN: 1
; COMPUTE_PGM_RSRC2:TIDIG_COMP_CNT: 0
	.section	.text._ZN2at6native12_GLOBAL__N_112gatherMedianIsmLi3EEEvNS_4cuda6detail10TensorInfoIT_T0_EENS5_IlS7_EENS5_IKS6_S7_EES7_S7_S7_b,"axG",@progbits,_ZN2at6native12_GLOBAL__N_112gatherMedianIsmLi3EEEvNS_4cuda6detail10TensorInfoIT_T0_EENS5_IlS7_EENS5_IKS6_S7_EES7_S7_S7_b,comdat
	.globl	_ZN2at6native12_GLOBAL__N_112gatherMedianIsmLi3EEEvNS_4cuda6detail10TensorInfoIT_T0_EENS5_IlS7_EENS5_IKS6_S7_EES7_S7_S7_b ; -- Begin function _ZN2at6native12_GLOBAL__N_112gatherMedianIsmLi3EEEvNS_4cuda6detail10TensorInfoIT_T0_EENS5_IlS7_EENS5_IKS6_S7_EES7_S7_S7_b
	.p2align	8
	.type	_ZN2at6native12_GLOBAL__N_112gatherMedianIsmLi3EEEvNS_4cuda6detail10TensorInfoIT_T0_EENS5_IlS7_EENS5_IKS6_S7_EES7_S7_S7_b,@function
_ZN2at6native12_GLOBAL__N_112gatherMedianIsmLi3EEEvNS_4cuda6detail10TensorInfoIT_T0_EENS5_IlS7_EENS5_IKS6_S7_EES7_S7_S7_b: ; @_ZN2at6native12_GLOBAL__N_112gatherMedianIsmLi3EEEvNS_4cuda6detail10TensorInfoIT_T0_EENS5_IlS7_EENS5_IKS6_S7_EES7_S7_S7_b
; %bb.0:
	s_load_dwordx2 s[16:17], s[4:5], 0x500
	s_load_dwordx4 s[56:59], s[4:5], 0x4e0
	s_add_u32 s18, s4, 0x500
	s_addc_u32 s19, s5, 0
	s_mov_b32 s27, 0
	s_waitcnt lgkmcnt(0)
	s_mul_i32 s0, s17, s8
	s_add_i32 s0, s0, s7
	s_mul_i32 s0, s0, s16
	s_add_i32 s26, s0, s6
	v_mov_b32_e32 v1, s26
	v_mov_b32_e32 v2, s27
	v_cmp_le_u64_e32 vcc, s[58:59], v[1:2]
	s_cbranch_vccnz .LBB110_290
; %bb.1:
	s_load_dwordx4 s[20:23], s[4:5], 0x10
	s_mov_b64 s[28:29], 0
	s_mov_b64 s[24:25], 0
	s_waitcnt lgkmcnt(0)
	v_mov_b32_e32 v1, s22
	v_mov_b32_e32 v2, s23
	v_cmp_lt_u64_e32 vcc, s[26:27], v[1:2]
	s_cbranch_vccnz .LBB110_3
; %bb.2:
	v_cvt_f32_u32_e32 v1, s22
	s_sub_i32 s0, 0, s22
	s_mov_b32 s25, 0
	v_rcp_iflag_f32_e32 v1, v1
	v_mul_f32_e32 v1, 0x4f7ffffe, v1
	v_cvt_u32_f32_e32 v1, v1
	v_readfirstlane_b32 s1, v1
	s_mul_i32 s0, s0, s1
	s_mul_hi_u32 s0, s1, s0
	s_add_i32 s1, s1, s0
	s_mul_hi_u32 s0, s26, s1
	s_mul_i32 s2, s0, s22
	s_sub_i32 s2, s26, s2
	s_add_i32 s1, s0, 1
	s_sub_i32 s3, s2, s22
	s_cmp_ge_u32 s2, s22
	s_cselect_b32 s0, s1, s0
	s_cselect_b32 s2, s3, s2
	s_add_i32 s1, s0, 1
	s_cmp_ge_u32 s2, s22
	s_cselect_b32 s24, s1, s0
.LBB110_3:
	s_load_dwordx4 s[0:3], s[4:5], 0x1b0
	v_mov_b32_e32 v1, s20
	v_mov_b32_e32 v2, s21
                                        ; implicit-def: $vgpr49 : SGPR spill to VGPR lane
	v_cmp_lt_u64_e32 vcc, s[24:25], v[1:2]
	s_and_b64 vcc, exec, vcc
	s_waitcnt lgkmcnt(0)
	v_writelane_b32 v49, s0, 0
	v_writelane_b32 v49, s1, 1
	;; [unrolled: 1-line block ×4, first 2 shown]
	s_cbranch_vccnz .LBB110_5
; %bb.4:
	v_cvt_f32_u32_e32 v1, s20
	s_sub_i32 s0, 0, s20
	v_rcp_iflag_f32_e32 v1, v1
	v_mul_f32_e32 v1, 0x4f7ffffe, v1
	v_cvt_u32_f32_e32 v1, v1
	v_readfirstlane_b32 s1, v1
	s_mul_i32 s0, s0, s1
	s_mul_hi_u32 s0, s1, s0
	s_add_i32 s1, s1, s0
	s_mul_hi_u32 s0, s24, s1
	s_mul_i32 s2, s0, s20
	s_sub_i32 s2, s24, s2
	s_add_i32 s1, s0, 1
	s_sub_i32 s3, s2, s20
	s_cmp_ge_u32 s2, s20
	s_cselect_b32 s0, s1, s0
	s_cselect_b32 s2, s3, s2
	s_add_i32 s1, s0, 1
	s_cmp_ge_u32 s2, s20
	s_cselect_b32 s28, s1, s0
	s_load_dwordx4 s[0:3], s[4:5], 0x1b0
.LBB110_5:
	s_waitcnt lgkmcnt(0)
	v_mov_b32_e32 v1, s2
	v_mov_b32_e32 v2, s3
	v_cmp_lt_u64_e32 vcc, s[26:27], v[1:2]
	s_mov_b64 s[14:15], 0
	s_mov_b64 s[12:13], 0
	s_cbranch_vccnz .LBB110_7
; %bb.6:
	v_cvt_f32_u32_e32 v1, s2
	s_load_dwordx4 s[0:3], s[4:5], 0x1b0
	s_load_dwordx4 s[8:11], s[4:5], 0x1b0
	s_mov_b32 s13, 0
	v_rcp_iflag_f32_e32 v1, v1
	s_waitcnt lgkmcnt(0)
	s_sub_i32 s0, 0, s2
	v_mul_f32_e32 v1, 0x4f7ffffe, v1
	v_cvt_u32_f32_e32 v1, v1
	v_readfirstlane_b32 s1, v1
	s_mul_i32 s0, s0, s1
	s_mul_hi_u32 s0, s1, s0
	s_add_i32 s1, s1, s0
	s_mul_hi_u32 s0, s26, s1
	s_mul_i32 s2, s0, s10
	s_load_dwordx4 s[8:11], s[4:5], 0x1b0
	s_sub_i32 s2, s26, s2
	s_add_i32 s1, s0, 1
	s_waitcnt lgkmcnt(0)
	s_sub_i32 s3, s2, s10
	s_load_dwordx4 s[8:11], s[4:5], 0x1b0
	s_waitcnt lgkmcnt(0)
	s_cmp_ge_u32 s2, s10
	s_load_dwordx4 s[8:11], s[4:5], 0x1b0
	s_cselect_b32 s0, s1, s0
	s_cselect_b32 s2, s3, s2
	s_add_i32 s1, s0, 1
	s_waitcnt lgkmcnt(0)
	s_cmp_ge_u32 s2, s10
	s_cselect_b32 s12, s1, s0
	s_load_dwordx4 s[0:3], s[4:5], 0x1b0
.LBB110_7:
	v_writelane_b32 v49, s28, 4
	v_writelane_b32 v49, s29, 5
	;; [unrolled: 1-line block ×7, first 2 shown]
	s_load_dwordx4 s[8:11], s[4:5], 0x350
	s_waitcnt lgkmcnt(0)
	v_mov_b32_e32 v2, s1
	v_writelane_b32 v49, s23, 11
	v_mov_b32_e32 v1, s0
	v_writelane_b32 v49, s12, 12
	v_cmp_lt_u64_e32 vcc, s[12:13], v[1:2]
	v_writelane_b32 v49, s13, 13
	s_cbranch_vccnz .LBB110_9
; %bb.8:
	s_load_dwordx4 s[0:3], s[4:5], 0x1b0
	s_waitcnt lgkmcnt(0)
	s_mov_b64 s[14:15], s[2:3]
	s_mov_b64 s[12:13], s[0:1]
	v_cvt_f32_u32_e32 v1, s12
	s_sub_i32 s0, 0, s12
	v_readlane_b32 s14, v49, 12
	v_readlane_b32 s15, v49, 13
	v_rcp_iflag_f32_e32 v1, v1
	v_mul_f32_e32 v1, 0x4f7ffffe, v1
	v_cvt_u32_f32_e32 v1, v1
	v_readfirstlane_b32 s1, v1
	s_mul_i32 s0, s0, s1
	s_mul_hi_u32 s0, s1, s0
	s_add_i32 s1, s1, s0
	s_mul_hi_u32 s0, s14, s1
	s_mul_i32 s2, s0, s12
	s_sub_i32 s2, s14, s2
	s_add_i32 s1, s0, 1
	s_sub_i32 s3, s2, s12
	s_cmp_ge_u32 s2, s12
	s_cselect_b32 s0, s1, s0
	s_cselect_b32 s2, s3, s2
	s_add_i32 s1, s0, 1
	s_cmp_ge_u32 s2, s12
	s_cselect_b32 s14, s1, s0
.LBB110_9:
	s_load_dwordx2 s[84:85], s[4:5], 0x4f0
	v_mov_b32_e32 v1, s10
	v_mov_b32_e32 v2, s11
	v_cmp_lt_u64_e32 vcc, s[26:27], v[1:2]
	s_mov_b64 s[2:3], 0
	s_mov_b64 s[20:21], 0
	s_cbranch_vccnz .LBB110_11
; %bb.10:
	v_cvt_f32_u32_e32 v1, s10
	s_sub_i32 s0, 0, s10
	s_mov_b32 s21, 0
	v_rcp_iflag_f32_e32 v1, v1
	v_mul_f32_e32 v1, 0x4f7ffffe, v1
	v_cvt_u32_f32_e32 v1, v1
	v_readfirstlane_b32 s1, v1
	s_mul_i32 s0, s0, s1
	s_mul_hi_u32 s0, s1, s0
	s_add_i32 s1, s1, s0
	s_mul_hi_u32 s0, s26, s1
	s_mul_i32 s3, s0, s10
	s_sub_i32 s3, s26, s3
	s_add_i32 s1, s0, 1
	s_sub_i32 s7, s3, s10
	s_cmp_ge_u32 s3, s10
	s_cselect_b32 s0, s1, s0
	s_cselect_b32 s3, s7, s3
	s_add_i32 s1, s0, 1
	s_cmp_ge_u32 s3, s10
	s_cselect_b32 s20, s1, s0
.LBB110_11:
	v_mov_b32_e32 v1, s8
	v_mov_b32_e32 v2, s9
	v_cmp_lt_u64_e32 vcc, s[20:21], v[1:2]
	v_writelane_b32 v49, s14, 14
	v_writelane_b32 v49, s15, 15
	s_cbranch_vccnz .LBB110_13
; %bb.12:
	v_cvt_f32_u32_e32 v1, s8
	s_sub_i32 s0, 0, s8
	v_rcp_iflag_f32_e32 v1, v1
	v_mul_f32_e32 v1, 0x4f7ffffe, v1
	v_cvt_u32_f32_e32 v1, v1
	v_readfirstlane_b32 s1, v1
	s_mul_i32 s0, s0, s1
	s_mul_hi_u32 s0, s1, s0
	s_add_i32 s1, s1, s0
	s_mul_hi_u32 s0, s20, s1
	s_mul_i32 s2, s0, s8
	s_sub_i32 s2, s20, s2
	s_add_i32 s1, s0, 1
	s_sub_i32 s3, s2, s8
	s_cmp_ge_u32 s2, s8
	s_cselect_b32 s0, s1, s0
	s_cselect_b32 s2, s3, s2
	s_add_i32 s1, s0, 1
	s_cmp_ge_u32 s2, s8
	s_cselect_b32 s2, s1, s0
.LBB110_13:
	s_load_dwordx2 s[24:25], s[4:5], 0x420
	s_load_dwordx4 s[12:15], s[4:5], 0x410
	v_cmp_eq_u32_e64 s[0:1], 0, v0
	s_mov_b64 s[22:23], exec
	v_writelane_b32 v49, s0, 16
	v_writelane_b32 v49, s1, 17
	s_and_b64 s[0:1], s[22:23], s[0:1]
	s_mov_b64 exec, s[0:1]
; %bb.14:
	v_mov_b32_e32 v1, 0
	v_mov_b32_e32 v2, v1
	ds_write_b64 v1, v[1:2] offset:5136
; %bb.15:
	s_or_b64 exec, exec, s[22:23]
	s_load_dwordx2 s[28:29], s[4:5], 0x280
	v_mov_b32_e32 v1, 0
	s_load_dwordx2 s[22:23], s[4:5], 0x340
	s_load_dword s0, s[4:5], 0x4f8
	s_waitcnt lgkmcnt(0)
	s_barrier
	v_writelane_b32 v49, s28, 18
	v_writelane_b32 v49, s29, 19
	s_load_dwordx4 s[28:31], s[4:5], 0x270
	s_waitcnt lgkmcnt(0)
	s_barrier
	v_writelane_b32 v49, s28, 20
	v_writelane_b32 v49, s29, 21
	;; [unrolled: 1-line block ×4, first 2 shown]
	s_load_dwordx2 s[28:29], s[4:5], 0xe0
	ds_read_b64 v[1:2], v1 offset:5136
	s_bitcmp1_b32 s0, 0
	s_cselect_b64 s[0:1], -1, 0
	v_mov_b32_e32 v19, s56
	s_waitcnt lgkmcnt(0)
	v_writelane_b32 v49, s28, 24
	v_writelane_b32 v49, s29, 25
	s_load_dwordx4 s[28:31], s[4:5], 0xd0
	v_cmp_gt_i64_e32 vcc, 1, v[1:2]
	v_mov_b32_e32 v20, s57
	s_or_b64 s[0:1], s[0:1], vcc
	s_andn2_b64 vcc, exec, s[0:1]
	s_waitcnt lgkmcnt(0)
	v_writelane_b32 v49, s28, 26
	v_writelane_b32 v49, s29, 27
	;; [unrolled: 1-line block ×4, first 2 shown]
	s_cbranch_vccnz .LBB110_17
; %bb.16:
	v_not_b32_e32 v1, v1
	v_not_b32_e32 v2, v2
	v_mov_b32_e32 v3, s57
	v_add_co_u32_e32 v1, vcc, s56, v1
	v_addc_co_u32_e32 v2, vcc, v3, v2, vcc
	v_lshrrev_b64 v[1:2], 1, v[1:2]
	v_add_co_u32_e32 v19, vcc, 1, v1
	v_addc_co_u32_e32 v20, vcc, 0, v2, vcc
.LBB110_17:
	s_load_dwordx2 s[0:1], s[4:5], 0x1a0
	s_waitcnt lgkmcnt(0)
	v_writelane_b32 v49, s0, 30
	v_writelane_b32 v49, s1, 31
	s_load_dwordx2 s[0:1], s[4:5], 0x0
	s_waitcnt lgkmcnt(0)
	v_writelane_b32 v49, s0, 32
	v_writelane_b32 v49, s1, 33
	s_mov_b64 s[4:5], exec
	v_readlane_b32 s0, v49, 16
	v_readlane_b32 s1, v49, 17
	s_and_b64 s[0:1], s[4:5], s[0:1]
	s_mov_b64 exec, s[0:1]
	s_cbranch_execz .LBB110_19
; %bb.18:
	v_mov_b32_e32 v1, 0
	v_mov_b32_e32 v3, s56
	;; [unrolled: 1-line block ×4, first 2 shown]
	ds_write_b32 v1, v1 offset:5144
	ds_write_b128 v1, v[1:4] offset:5120
.LBB110_19:
	s_or_b64 exec, exec, s[4:5]
	s_mul_i32 s0, s20, s11
	s_mul_hi_u32 s1, s20, s10
	s_add_i32 s1, s1, s0
	s_mul_i32 s0, s20, s10
	s_mov_b32 s4, s26
	v_writelane_b32 v49, s4, 34
	s_sub_u32 s0, s26, s0
	v_writelane_b32 v49, s5, 35
	s_subb_u32 s1, 0, s1
	s_mul_i32 s3, s0, s25
	s_mul_hi_u32 s4, s0, s24
	s_add_i32 s3, s4, s3
	s_mul_i32 s1, s1, s24
	s_add_i32 s1, s3, s1
	s_mul_i32 s3, s2, s9
	s_mul_hi_u32 s4, s2, s8
	s_add_i32 s4, s4, s3
	s_mul_i32 s3, s2, s8
	s_sub_u32 s3, s20, s3
	s_subb_u32 s4, s21, s4
	s_mul_i32 s5, s3, s15
	s_mul_hi_u32 s7, s3, s14
	s_add_i32 s5, s7, s5
	s_mul_i32 s4, s4, s14
	s_add_i32 s5, s5, s4
	s_mul_i32 s4, s3, s14
	s_mul_i32 s3, s2, s13
	s_mul_hi_u32 s7, s2, s12
	s_add_i32 s3, s7, s3
	s_mul_i32 s2, s2, s12
	s_lshl_b64 s[2:3], s[2:3], 1
	s_add_u32 s7, s22, s2
	s_addc_u32 s8, s23, s3
	s_lshl_b64 s[2:3], s[4:5], 1
	s_mul_i32 s0, s0, s24
	s_add_u32 s2, s7, s2
	s_addc_u32 s3, s8, s3
	s_lshl_b64 s[0:1], s[0:1], 1
	v_mov_b32_e32 v3, 0
	s_add_u32 s33, s2, s0
	v_mov_b32_e32 v1, v3
	s_addc_u32 s76, s3, s1
	v_cmp_gt_u64_e64 s[0:1], s[56:57], v[0:1]
	v_mbcnt_lo_u32_b32 v2, -1, 0
	v_writelane_b32 v49, s0, 36
	v_writelane_b32 v49, s1, 37
	v_mad_u64_u32 v[4:5], s[0:1], s84, v0, 0
	v_cmp_gt_u32_e64 s[0:1], 2, v0
	v_mbcnt_hi_u32_b32 v23, -1, v2
	v_writelane_b32 v49, s0, 38
	v_mov_b32_e32 v2, v5
	v_writelane_b32 v49, s1, 39
	v_mad_u64_u32 v[5:6], s[0:1], s85, v0, v[2:3]
	v_mov_b32_e32 v6, 0x600
	v_mov_b32_e32 v7, 0
	v_cmp_gt_u64_e64 s[0:1], s[56:57], v[6:7]
	s_waitcnt lgkmcnt(0)
	v_writelane_b32 v49, s0, 40
	s_barrier
	v_writelane_b32 v49, s1, 41
	v_lshlrev_b64 v[4:5], 1, v[4:5]
	s_load_dword s0, s[18:19], 0xc
	v_cmp_gt_u32_e32 vcc, 64, v0
	v_cmp_gt_i32_e64 s[8:9], 4, v23
	s_and_b64 s[78:79], vcc, s[8:9]
	v_mov_b32_e32 v2, s76
	v_add_co_u32_e32 v12, vcc, s33, v4
	v_addc_co_u32_e32 v13, vcc, v2, v5, vcc
	v_lshlrev_b32_e32 v2, 2, v23
	v_and_b32_e32 v26, 0x100, v2
	v_lshrrev_b32_e32 v2, 1, v0
	s_waitcnt lgkmcnt(0)
	s_and_b32 s77, s0, 0xffff
	s_bfe_u32 s2, s0, 0xa0006
	v_and_b32_e32 v2, 0x1e0, v2
	v_lshlrev_b64 v[4:5], v23, -1
	s_cmp_gt_u32 s77, 63
	v_or_b32_e32 v29, 0xc00, v2
	v_add_u32_e32 v2, 2, v0
	s_cselect_b64 s[0:1], -1, 0
	v_cmp_gt_u64_e32 vcc, s[56:57], v[2:3]
	v_not_b32_e32 v28, v4
	v_writelane_b32 v49, s0, 42
	v_mov_b32_e32 v4, s57
	v_not_b32_e32 v27, v5
	v_writelane_b32 v49, s1, 43
	s_add_u32 s0, s77, -1
	v_cndmask_b32_e32 v5, 0, v4, vcc
	v_mov_b32_e32 v4, s56
	s_addc_u32 s1, 0, -1
	v_cndmask_b32_e32 v2, v2, v4, vcc
	v_not_b32_e32 v4, v0
	v_writelane_b32 v49, s0, 44
	s_add_u32 s0, s0, s56
	v_add_co_u32_e32 v4, vcc, v2, v4
	s_addc_u32 s69, s1, s57
	v_addc_co_u32_e32 v5, vcc, -1, v5, vcc
	s_cmp_lt_u32 s6, s16
	v_cmp_lt_u64_e64 s[6:7], 1, v[4:5]
	v_writelane_b32 v49, s1, 45
	v_writelane_b32 v49, s6, 46
	v_and_b32_e32 v16, -2, v4
	v_mov_b32_e32 v17, v5
	s_cselect_b32 s1, 12, 18
	v_writelane_b32 v49, s7, 47
	v_cmp_ne_u64_e64 s[6:7], v[4:5], v[16:17]
	s_add_u32 s70, s18, s1
	s_addc_u32 s71, s19, 0
	v_writelane_b32 v49, s6, 48
	s_add_i32 s3, s2, -1
	v_writelane_b32 v49, s7, 49
	s_bfe_u32 s6, s77, 0x30006
	s_and_b32 s3, s3, 0xffff
	s_cmp_gt_u32 s3, 6
	s_cselect_b64 s[8:9], -1, 0
	v_writelane_b32 v49, s8, 50
	s_and_b32 s87, s2, 0x3f8
	v_writelane_b32 v49, s9, 51
	s_cmp_lg_u32 s6, 0
	v_writelane_b32 v49, s6, 52
	s_cselect_b64 s[2:3], -1, 0
	v_writelane_b32 v49, s2, 53
	v_lshlrev_b32_e32 v24, 1, v0
	v_writelane_b32 v49, s3, 54
	v_mov_b32_e32 v2, 0xc00
	s_mov_b32 s95, 0
	v_cmp_eq_u32_e64 s[4:5], 0, v23
	v_add_u32_e32 v25, 0xc00, v24
	v_lshlrev_b32_e32 v14, 2, v0
	v_mov_b32_e32 v15, v3
	v_add_co_u32_e32 v18, vcc, v16, v0
	s_mov_b32 s1, s84
	s_mov_b32 s65, s85
	v_lshlrev_b32_e32 v31, 3, v0
	v_lshl_or_b32 v32, v23, 3, v2
	s_lshl_b32 s30, s77, 1
	s_mov_b32 s86, 14
	s_mov_b64 s[12:13], 0
	s_mov_b32 s31, 0x8000
	v_mov_b32_e32 v33, 0x4f800000
	v_mov_b32_e32 v34, 0x5040100
	;; [unrolled: 1-line block ×3, first 2 shown]
	s_mov_b32 s88, 0
	v_mov_b32_e32 v30, 0
	v_mov_b32_e32 v35, 0
	v_writelane_b32 v49, s78, 55
	s_mov_b32 s89, s85
                                        ; implicit-def: $sgpr90_sgpr91
                                        ; implicit-def: $sgpr72_sgpr73
                                        ; implicit-def: $sgpr10_sgpr11
                                        ; implicit-def: $sgpr82_sgpr83
                                        ; implicit-def: $sgpr58_sgpr59
                                        ; implicit-def: $sgpr74_sgpr75
	v_writelane_b32 v49, s79, 56
	s_branch .LBB110_23
.LBB110_20:                             ;   in Loop: Header=BB110_23 Depth=1
	s_or_b64 exec, exec, s[18:19]
	s_and_b64 s[8:9], s[8:9], exec
	s_andn2_b64 s[24:25], s[24:25], exec
	s_andn2_b64 s[6:7], s[6:7], exec
	s_orn2_b64 s[18:19], s[14:15], exec
.LBB110_21:                             ;   in Loop: Header=BB110_23 Depth=1
	s_or_b64 exec, exec, s[2:3]
	s_andn2_b64 s[2:3], s[74:75], exec
	s_and_b64 s[8:9], s[8:9], exec
	s_or_b64 s[74:75], s[2:3], s[8:9]
	s_andn2_b64 s[2:3], s[58:59], exec
	s_and_b64 s[8:9], s[24:25], exec
	s_or_b64 s[58:59], s[2:3], s[8:9]
	;; [unrolled: 3-line block ×3, first 2 shown]
	s_orn2_b64 s[6:7], s[18:19], exec
.LBB110_22:                             ;   in Loop: Header=BB110_23 Depth=1
	s_or_b64 exec, exec, s[16:17]
	s_and_b64 s[2:3], exec, s[6:7]
	s_or_b64 s[12:13], s[2:3], s[12:13]
	s_andn2_b64 s[2:3], s[10:11], exec
	s_and_b64 s[6:7], s[74:75], exec
	s_or_b64 s[10:11], s[2:3], s[6:7]
	s_andn2_b64 s[2:3], s[72:73], exec
	s_and_b64 s[6:7], s[58:59], exec
	;; [unrolled: 3-line block ×3, first 2 shown]
	v_mov_b32_e32 v20, v9
	s_or_b64 s[90:91], s[2:3], s[6:7]
	v_mov_b32_e32 v19, v8
	s_andn2_b64 exec, exec, s[12:13]
	s_cbranch_execz .LBB110_286
.LBB110_23:                             ; =>This Loop Header: Depth=1
                                        ;     Child Loop BB110_28 Depth 2
                                        ;     Child Loop BB110_42 Depth 2
                                        ;     Child Loop BB110_46 Depth 2
                                        ;     Child Loop BB110_81 Depth 2
                                        ;     Child Loop BB110_85 Depth 2
                                        ;     Child Loop BB110_70 Depth 2
                                        ;     Child Loop BB110_75 Depth 2
                                        ;     Child Loop BB110_63 Depth 2
                                        ;     Child Loop BB110_92 Depth 2
                                        ;     Child Loop BB110_105 Depth 2
                                        ;     Child Loop BB110_119 Depth 2
                                        ;     Child Loop BB110_148 Depth 2
                                        ;     Child Loop BB110_167 Depth 2
                                        ;     Child Loop BB110_197 Depth 2
                                        ;     Child Loop BB110_213 Depth 2
                                        ;     Child Loop BB110_242 Depth 2
                                        ;     Child Loop BB110_258 Depth 2
	ds_read_b128 v[4:7], v3 offset:5120
	s_waitcnt lgkmcnt(0)
	v_readfirstlane_b32 s81, v5
	v_readfirstlane_b32 s80, v4
	s_cmp_lg_u64 s[80:81], 0
	s_cbranch_scc1 .LBB110_55
; %bb.24:                               ;   in Loop: Header=BB110_23 Depth=1
	v_readlane_b32 s2, v49, 40
	v_readlane_b32 s3, v49, 41
	s_and_b64 vcc, exec, s[2:3]
	s_cbranch_vccz .LBB110_36
; %bb.25:                               ;   in Loop: Header=BB110_23 Depth=1
	s_mov_b64 s[2:3], 0x601
	v_cmp_gt_u64_e32 vcc, s[2:3], v[6:7]
	s_mov_b64 s[2:3], 0
	s_mov_b64 s[6:7], 0
	s_cbranch_vccz .LBB110_37
; %bb.26:                               ;   in Loop: Header=BB110_23 Depth=1
	global_load_ushort v6, v[12:13], off
	global_load_ushort v2, v3, s[70:71]
	v_mov_b32_e32 v5, v1
	s_mov_b64 s[8:9], 0
	v_mov_b32_e32 v4, v0
	s_branch .LBB110_28
.LBB110_27:                             ;   in Loop: Header=BB110_28 Depth=2
	s_or_b64 exec, exec, s[6:7]
	s_waitcnt vmcnt(0)
	v_mov_b32_e32 v6, v7
	s_andn2_b64 exec, exec, s[8:9]
	s_cbranch_execz .LBB110_153
.LBB110_28:                             ;   Parent Loop BB110_23 Depth=1
                                        ; =>  This Inner Loop Header: Depth=2
	s_waitcnt vmcnt(0)
	v_add_co_u32_sdwa v4, vcc, v4, v2 dst_sel:DWORD dst_unused:UNUSED_PAD src0_sel:DWORD src1_sel:WORD_0
	v_addc_co_u32_e32 v5, vcc, 0, v5, vcc
	v_cmp_gt_u64_e64 s[6:7], s[56:57], v[4:5]
	v_cmp_le_u64_e32 vcc, s[56:57], v[4:5]
	s_waitcnt lgkmcnt(0)
	v_mov_b32_e32 v8, 0
	v_mov_b32_e32 v7, 0
	s_and_saveexec_b64 s[14:15], s[6:7]
	s_cbranch_execz .LBB110_30
; %bb.29:                               ;   in Loop: Header=BB110_28 Depth=2
	v_mul_lo_u32 v7, v5, s84
	v_mul_lo_u32 v11, v4, s85
	v_mad_u64_u32 v[9:10], s[6:7], v4, s84, 0
	v_add3_u32 v10, v10, v11, v7
	v_lshlrev_b64 v[9:10], 1, v[9:10]
	v_mov_b32_e32 v7, s76
	v_add_co_u32_e64 v9, s[6:7], s33, v9
	v_addc_co_u32_e64 v10, s[6:7], v7, v10, s[6:7]
	global_load_ushort v7, v[9:10], off
.LBB110_30:                             ;   in Loop: Header=BB110_28 Depth=2
	s_or_b64 exec, exec, s[14:15]
	v_add_u32_sdwa v9, sext(v6), s31 dst_sel:DWORD dst_unused:UNUSED_PAD src0_sel:WORD_0 src1_sel:DWORD
	v_and_b32_e32 v9, v9, v35
	v_cmp_eq_u32_e64 s[14:15], v9, v30
	s_cmp_lg_u64 s[14:15], 0
	s_cselect_b64 s[6:7], -1, 0
	s_and_b64 s[6:7], s[4:5], s[6:7]
	s_and_saveexec_b64 s[16:17], s[6:7]
	s_cbranch_execz .LBB110_34
; %bb.31:                               ;   in Loop: Header=BB110_28 Depth=2
	s_mov_b64 s[20:21], exec
	v_mbcnt_lo_u32_b32 v8, s20, 0
	v_mbcnt_hi_u32_b32 v8, s21, v8
	s_bcnt1_i32_b64 s22, s[14:15]
	v_cmp_eq_u32_e64 s[6:7], 0, v8
                                        ; implicit-def: $vgpr9
	s_and_saveexec_b64 s[18:19], s[6:7]
; %bb.32:                               ;   in Loop: Header=BB110_28 Depth=2
	s_bcnt1_i32_b64 s6, s[20:21]
	s_mul_i32 s6, s22, s6
	v_mov_b32_e32 v9, s6
	ds_add_rtn_u32 v9, v3, v9 offset:5144
; %bb.33:                               ;   in Loop: Header=BB110_28 Depth=2
	s_or_b64 exec, exec, s[18:19]
	s_waitcnt lgkmcnt(0)
	v_readfirstlane_b32 s6, v9
	v_mov_b32_e32 v9, s6
	v_mad_u32_u24 v8, s22, v8, v9
.LBB110_34:                             ;   in Loop: Header=BB110_28 Depth=2
	s_or_b64 exec, exec, s[16:17]
	ds_bpermute_b32 v8, v26, v8
	s_and_b64 s[6:7], exec, vcc
	s_or_b64 s[8:9], s[6:7], s[8:9]
	s_and_saveexec_b64 s[6:7], s[14:15]
	s_cbranch_execz .LBB110_27
; %bb.35:                               ;   in Loop: Header=BB110_28 Depth=2
	v_and_b32_e32 v10, s14, v28
	v_and_b32_e32 v9, s15, v27
	v_bcnt_u32_b32 v10, v10, 0
	v_bcnt_u32_b32 v9, v9, v10
	v_lshlrev_b32_e32 v9, 1, v9
	s_waitcnt lgkmcnt(0)
	v_lshl_add_u32 v8, v8, 1, v9
	ds_write_b16 v8, v6
	s_branch .LBB110_27
.LBB110_36:                             ;   in Loop: Header=BB110_23 Depth=1
	s_mov_b64 s[2:3], -1
	s_mov_b64 s[6:7], 0
.LBB110_37:                             ;   in Loop: Header=BB110_23 Depth=1
	s_and_b64 vcc, exec, s[2:3]
	s_cbranch_vccz .LBB110_53
.LBB110_38:                             ;   in Loop: Header=BB110_23 Depth=1
	s_mov_b64 s[2:3], exec
	v_readlane_b32 s6, v49, 36
	v_readlane_b32 s7, v49, 37
	s_and_b64 s[6:7], s[2:3], s[6:7]
	s_mov_b64 exec, s[6:7]
	s_cbranch_execz .LBB110_50
; %bb.39:                               ;   in Loop: Header=BB110_23 Depth=1
	global_load_ushort v2, v3, s[70:71]
	global_load_ushort v10, v[12:13], off
	v_mov_b32_e32 v4, v0
	s_waitcnt vmcnt(1)
	v_readfirstlane_b32 s6, v2
	v_add_u32_sdwa v2, v2, v0 dst_sel:DWORD dst_unused:UNUSED_PAD src0_sel:WORD_0 src1_sel:DWORD
	v_cmp_gt_u64_e32 vcc, s[56:57], v[2:3]
	s_and_saveexec_b64 s[8:9], vcc
	s_cbranch_execz .LBB110_49
; %bb.40:                               ;   in Loop: Header=BB110_23 Depth=1
	s_and_b32 s18, s6, 0xffff
	s_cmp_eq_u32 s18, 1
	v_readlane_b32 s14, v49, 46
                                        ; implicit-def: $vgpr4_vgpr5
	s_cselect_b64 s[6:7], -1, 0
	v_readlane_b32 s15, v49, 47
	v_mov_b32_e32 v6, v1
	v_mov_b32_e32 v8, v3
	s_and_b64 s[14:15], s[14:15], s[6:7]
	s_mov_b64 s[16:17], -1
	v_mov_b32_e32 v5, v0
	v_mov_b32_e32 v7, v2
	s_and_saveexec_b64 s[6:7], s[14:15]
	s_cbranch_execz .LBB110_44
; %bb.41:                               ;   in Loop: Header=BB110_23 Depth=1
	v_add_co_u32_e32 v4, vcc, 1, v2
	v_addc_co_u32_e64 v5, s[14:15], 0, 0, vcc
	v_mov_b32_e32 v8, v16
	v_mov_b32_e32 v7, v5
	s_waitcnt vmcnt(0)
	v_lshlrev_b32_e32 v21, 16, v10
	s_mov_b64 s[14:15], 0
	v_mov_b32_e32 v9, v17
	v_mov_b32_e32 v11, v24
	;; [unrolled: 1-line block ×5, first 2 shown]
.LBB110_42:                             ;   Parent Loop BB110_23 Depth=1
                                        ; =>  This Inner Loop Header: Depth=2
	v_mul_lo_u32 v41, v5, s84
	v_mul_lo_u32 v42, v4, s85
	v_mad_u64_u32 v[39:40], s[16:17], v4, s84, 0
	v_mul_lo_u32 v10, v7, s1
	v_mul_lo_u32 v22, v6, s65
	v_mad_u64_u32 v[37:38], s[16:17], v6, s1, 0
	v_add3_u32 v40, v40, v42, v41
	v_lshlrev_b64 v[39:40], 1, v[39:40]
	v_add3_u32 v38, v38, v22, v10
	v_mov_b32_e32 v43, s76
	v_lshlrev_b64 v[37:38], 1, v[37:38]
	v_add_co_u32_e32 v39, vcc, s33, v39
	v_addc_co_u32_e32 v40, vcc, v43, v40, vcc
	v_add_co_u32_e32 v37, vcc, s33, v37
	v_addc_co_u32_e32 v38, vcc, v43, v38, vcc
	global_load_ushort v22, v[39:40], off
	global_load_ushort v10, v[37:38], off
	v_add_co_u32_e32 v6, vcc, 2, v6
	v_addc_co_u32_e32 v7, vcc, 0, v7, vcc
	v_add_co_u32_e32 v4, vcc, 2, v4
	v_addc_co_u32_e32 v5, vcc, 0, v5, vcc
	v_add_co_u32_e32 v8, vcc, -2, v8
	v_addc_co_u32_e32 v9, vcc, -1, v9, vcc
	s_mov_b32 s16, 0x5040100
	v_cmp_eq_u64_e32 vcc, 0, v[8:9]
	s_or_b64 s[14:15], vcc, s[14:15]
	s_waitcnt vmcnt(1)
	v_alignbit_b32 v21, v22, v21, 16
	s_waitcnt vmcnt(0)
	v_perm_b32 v37, v10, v22, s16
	ds_write_b32 v11, v21
	v_add_u32_e32 v11, 4, v11
	v_mov_b32_e32 v21, v37
	s_andn2_b64 exec, exec, s[14:15]
	s_cbranch_execnz .LBB110_42
; %bb.43:                               ;   in Loop: Header=BB110_23 Depth=1
	s_or_b64 exec, exec, s[14:15]
	v_readlane_b32 s14, v49, 48
	v_add_co_u32_e32 v7, vcc, v2, v16
	v_readlane_b32 s15, v49, 49
	v_addc_co_u32_e32 v8, vcc, 0, v17, vcc
	v_add_co_u32_e32 v4, vcc, -1, v7
	s_orn2_b64 s[16:17], s[14:15], exec
	v_mov_b32_e32 v5, v18
	v_mov_b32_e32 v6, v19
.LBB110_44:                             ;   in Loop: Header=BB110_23 Depth=1
	s_or_b64 exec, exec, s[6:7]
	s_and_saveexec_b64 s[14:15], s[16:17]
	s_cbranch_execz .LBB110_48
; %bb.45:                               ;   in Loop: Header=BB110_23 Depth=1
	s_mov_b64 s[16:17], 0
	s_sub_u32 s19, 0, s18
.LBB110_46:                             ;   Parent Loop BB110_23 Depth=1
                                        ; =>  This Inner Loop Header: Depth=2
	v_mul_lo_u32 v2, v8, s84
	v_mul_lo_u32 v4, v7, s85
	v_mad_u64_u32 v[21:22], s[6:7], v7, s84, 0
	v_mov_b32_e32 v6, s76
	v_add3_u32 v22, v22, v4, v2
	v_lshlrev_b64 v[21:22], 1, v[21:22]
	v_lshlrev_b32_e32 v4, 1, v5
	v_add_co_u32_e32 v21, vcc, s33, v21
	v_addc_co_u32_e32 v22, vcc, v6, v22, vcc
	global_load_ushort v2, v[21:22], off
	v_mov_b32_e32 v5, v7
	v_mov_b32_e32 v6, v8
	v_add_co_u32_e32 v7, vcc, s18, v7
	v_addc_co_u32_e32 v8, vcc, 0, v8, vcc
	v_cmp_le_u64_e32 vcc, s[56:57], v[7:8]
	s_waitcnt vmcnt(1)
	ds_write_b16 v4, v10
	v_add_co_u32_e64 v4, s[6:7], s19, v7
	s_or_b64 s[16:17], vcc, s[16:17]
	s_waitcnt vmcnt(0)
	v_mov_b32_e32 v10, v2
	s_andn2_b64 exec, exec, s[16:17]
	s_cbranch_execnz .LBB110_46
; %bb.47:                               ;   in Loop: Header=BB110_23 Depth=1
	s_or_b64 exec, exec, s[16:17]
	v_mov_b32_e32 v10, v2
.LBB110_48:                             ;   in Loop: Header=BB110_23 Depth=1
	s_or_b64 exec, exec, s[14:15]
.LBB110_49:                             ;   in Loop: Header=BB110_23 Depth=1
	s_or_b64 exec, exec, s[8:9]
	v_lshlrev_b32_e32 v2, 1, v4
	s_waitcnt vmcnt(0)
	ds_write_b16 v2, v10
.LBB110_50:                             ;   in Loop: Header=BB110_23 Depth=1
	s_or_b64 exec, exec, s[2:3]
	s_waitcnt lgkmcnt(0)
	s_barrier
	s_mov_b64 s[2:3], exec
	v_readlane_b32 s6, v49, 16
	v_readlane_b32 s7, v49, 17
	s_and_b64 s[6:7], s[2:3], s[6:7]
	s_mov_b64 exec, s[6:7]
; %bb.51:                               ;   in Loop: Header=BB110_23 Depth=1
	v_mov_b32_e32 v4, s56
	v_mov_b32_e32 v5, s57
	ds_write_b64 v3, v[4:5] offset:5120
; %bb.52:                               ;   in Loop: Header=BB110_23 Depth=1
	s_or_b64 exec, exec, s[2:3]
	s_mov_b64 s[6:7], -1
	s_waitcnt lgkmcnt(0)
	s_barrier
.LBB110_53:                             ;   in Loop: Header=BB110_23 Depth=1
	s_mov_b64 s[80:81], 0
	s_and_b64 vcc, exec, s[6:7]
	s_cbranch_vccz .LBB110_55
; %bb.54:                               ;   in Loop: Header=BB110_23 Depth=1
	ds_read_b64 v[4:5], v3 offset:5120
	s_waitcnt lgkmcnt(0)
	v_readfirstlane_b32 s80, v4
.LBB110_55:                             ;   in Loop: Header=BB110_23 Depth=1
	s_cmp_lt_i32 s80, 1
	s_mov_b64 s[2:3], -1
                                        ; implicit-def: $vgpr4_vgpr5
                                        ; implicit-def: $vgpr8_vgpr9
	s_cbranch_scc1 .LBB110_65
; %bb.56:                               ;   in Loop: Header=BB110_23 Depth=1
	s_and_b64 vcc, exec, s[2:3]
	s_cbranch_vccnz .LBB110_79
.LBB110_57:                             ;   in Loop: Header=BB110_23 Depth=1
	s_lshl_b32 s6, s88, 6
	s_and_saveexec_b64 s[2:3], s[4:5]
	s_cbranch_execz .LBB110_59
.LBB110_58:                             ;   in Loop: Header=BB110_23 Depth=1
	v_lshl_add_u32 v2, s6, 3, v29
	ds_write_b128 v2, v[4:7]
	ds_write_b128 v2, v[8:11] offset:16
.LBB110_59:                             ;   in Loop: Header=BB110_23 Depth=1
	s_or_b64 exec, exec, s[2:3]
	s_waitcnt lgkmcnt(0)
	s_barrier
	s_and_saveexec_b64 s[2:3], s[78:79]
	s_cbranch_execz .LBB110_94
; %bb.60:                               ;   in Loop: Header=BB110_23 Depth=1
	v_readlane_b32 s8, v49, 42
	v_mov_b32_e32 v4, 0
	v_readlane_b32 s9, v49, 43
	v_mov_b32_e32 v5, 0
	s_andn2_b64 vcc, exec, s[8:9]
	s_cbranch_vccnz .LBB110_93
; %bb.61:                               ;   in Loop: Header=BB110_23 Depth=1
	v_readlane_b32 s8, v49, 50
	v_readlane_b32 s9, v49, 51
	s_andn2_b64 vcc, exec, s[8:9]
	s_cbranch_vccnz .LBB110_89
; %bb.62:                               ;   in Loop: Header=BB110_23 Depth=1
	v_mov_b32_e32 v4, 0
	v_lshl_add_u32 v2, s88, 9, v32
	v_mov_b32_e32 v5, 0
	s_mov_b32 s7, 0
.LBB110_63:                             ;   Parent Loop BB110_23 Depth=1
                                        ; =>  This Inner Loop Header: Depth=2
	ds_read2_b64 v[6:9], v2 offset1:4
	ds_read2_b64 v[37:40], v2 offset0:8 offset1:12
	ds_read2_b64 v[41:44], v2 offset0:16 offset1:20
	;; [unrolled: 1-line block ×3, first 2 shown]
	s_add_i32 s7, s7, 8
	s_waitcnt lgkmcnt(3)
	v_add_co_u32_e32 v4, vcc, v6, v4
	v_addc_co_u32_e32 v5, vcc, v7, v5, vcc
	v_add_co_u32_e32 v4, vcc, v8, v4
	v_addc_co_u32_e32 v5, vcc, v9, v5, vcc
	s_waitcnt lgkmcnt(2)
	v_add_co_u32_e32 v4, vcc, v37, v4
	v_addc_co_u32_e32 v5, vcc, v38, v5, vcc
	v_add_co_u32_e32 v4, vcc, v39, v4
	v_addc_co_u32_e32 v5, vcc, v40, v5, vcc
	;; [unrolled: 5-line block ×3, first 2 shown]
	s_waitcnt lgkmcnt(0)
	v_add_co_u32_e32 v4, vcc, v45, v4
	v_addc_co_u32_e32 v5, vcc, v46, v5, vcc
	v_add_co_u32_e32 v4, vcc, v47, v4
	v_add_u32_e32 v2, 0x100, v2
	s_cmp_eq_u32 s87, s7
	v_addc_co_u32_e32 v5, vcc, v48, v5, vcc
	s_cbranch_scc0 .LBB110_63
; %bb.64:                               ;   in Loop: Header=BB110_23 Depth=1
	s_mov_b32 s7, s87
	s_branch .LBB110_90
.LBB110_65:                             ;   in Loop: Header=BB110_23 Depth=1
	global_load_ushort v2, v3, s[70:71]
	s_mov_b32 s2, s95
	s_waitcnt vmcnt(0)
	v_readfirstlane_b32 s3, v2
	s_and_b32 s3, 0xffff, s3
	s_lshl_b32 s66, s3, 2
	s_mov_b32 s3, s57
	s_cmp_lg_u64 s[2:3], 0
	s_cbranch_scc0 .LBB110_88
; %bb.66:                               ;   in Loop: Header=BB110_23 Depth=1
	v_cvt_f32_u32_e32 v4, s66
	s_sub_u32 s6, 0, s66
	s_subb_u32 s7, 0, 0
	v_mac_f32_e32 v4, 0, v33
	v_rcp_f32_e32 v4, v4
	v_mul_f32_e32 v4, 0x5f7ffffc, v4
	v_mul_f32_e32 v5, 0x2f800000, v4
	v_trunc_f32_e32 v5, v5
	v_mac_f32_e32 v4, 0xcf800000, v5
	v_cvt_u32_f32_e32 v5, v5
	v_cvt_u32_f32_e32 v4, v4
	v_readfirstlane_b32 s8, v5
	v_readfirstlane_b32 s2, v4
	s_mul_i32 s3, s6, s8
	s_mul_hi_u32 s14, s6, s2
	s_mul_i32 s9, s7, s2
	s_add_i32 s3, s14, s3
	s_mul_i32 s15, s6, s2
	s_add_i32 s3, s3, s9
	s_mul_hi_u32 s14, s2, s15
	s_mul_i32 s16, s2, s3
	s_mul_hi_u32 s9, s2, s3
	s_add_u32 s14, s14, s16
	s_addc_u32 s9, 0, s9
	s_mul_hi_u32 s17, s8, s15
	s_mul_i32 s15, s8, s15
	s_add_u32 s14, s14, s15
	s_mul_hi_u32 s16, s8, s3
	s_addc_u32 s9, s9, s17
	s_addc_u32 s14, s16, 0
	s_mul_i32 s3, s8, s3
	s_add_u32 s3, s9, s3
	s_addc_u32 s9, 0, s14
	s_add_u32 s14, s2, s3
	s_cselect_b64 s[2:3], -1, 0
	s_cmp_lg_u64 s[2:3], 0
	s_addc_u32 s8, s8, s9
	s_mul_i32 s2, s6, s8
	s_mul_hi_u32 s3, s6, s14
	s_add_i32 s2, s3, s2
	s_mul_i32 s7, s7, s14
	s_add_i32 s2, s2, s7
	s_mul_i32 s6, s6, s14
	s_mul_hi_u32 s7, s8, s6
	s_mul_i32 s9, s8, s6
	s_mul_i32 s16, s14, s2
	s_mul_hi_u32 s6, s14, s6
	s_mul_hi_u32 s15, s14, s2
	s_add_u32 s6, s6, s16
	s_addc_u32 s15, 0, s15
	s_add_u32 s6, s6, s9
	s_mul_hi_u32 s3, s8, s2
	s_addc_u32 s6, s15, s7
	s_addc_u32 s3, s3, 0
	s_mul_i32 s2, s8, s2
	s_add_u32 s2, s6, s2
	s_addc_u32 s6, 0, s3
	s_add_u32 s7, s14, s2
	s_cselect_b64 s[2:3], -1, 0
	s_cmp_lg_u64 s[2:3], 0
	s_addc_u32 s2, s8, s6
	s_mul_i32 s6, s56, s2
	s_mul_hi_u32 s8, s56, s7
	s_mul_hi_u32 s3, s56, s2
	s_add_u32 s6, s8, s6
	s_addc_u32 s3, 0, s3
	s_mul_hi_u32 s9, s57, s7
	s_mul_i32 s7, s57, s7
	s_add_u32 s6, s6, s7
	s_mul_hi_u32 s8, s57, s2
	s_addc_u32 s3, s3, s9
	s_addc_u32 s6, s8, 0
	s_mul_i32 s2, s57, s2
	s_add_u32 s2, s3, s2
	s_addc_u32 s3, 0, s6
	s_mul_i32 s3, s66, s3
	s_mul_hi_u32 s6, s66, s2
	s_add_i32 s6, s6, s3
	s_mul_i32 s2, s66, s2
	s_sub_u32 s7, s56, s2
	s_cselect_b64 s[2:3], -1, 0
	s_cmp_lg_u64 s[2:3], 0
	s_subb_u32 s6, s57, s6
	s_sub_u32 s8, s7, s66
	s_cselect_b64 s[2:3], -1, 0
	s_cmp_lg_u64 s[2:3], 0
	s_subb_u32 s9, s6, 0
	;; [unrolled: 4-line block ×3, first 2 shown]
	s_cmp_ge_u32 s8, s66
	s_cselect_b32 s3, -1, 0
	s_cmp_eq_u32 s9, 0
	s_cselect_b32 s3, s3, -1
	s_cmp_lg_u32 s3, 0
	s_cselect_b32 s2, s2, s9
	s_cselect_b32 s8, s14, s8
	s_cmp_ge_u32 s7, s66
	s_cselect_b32 s3, -1, 0
	s_cmp_eq_u32 s6, 0
	s_cselect_b32 s3, s3, -1
	s_cmp_lg_u32 s3, 0
	s_cselect_b32 s3, s2, s6
	s_cselect_b32 s2, s8, s7
	s_cbranch_execnz .LBB110_68
.LBB110_67:                             ;   in Loop: Header=BB110_23 Depth=1
	v_cvt_f32_u32_e32 v4, s66
	s_sub_i32 s2, 0, s66
	v_rcp_iflag_f32_e32 v4, v4
	v_mul_f32_e32 v4, 0x4f7ffffe, v4
	v_cvt_u32_f32_e32 v4, v4
	v_readfirstlane_b32 s3, v4
	s_mul_i32 s2, s2, s3
	s_mul_hi_u32 s2, s3, s2
	s_add_i32 s3, s3, s2
	s_mul_hi_u32 s2, s56, s3
	s_mul_i32 s2, s2, s66
	s_sub_i32 s2, s56, s2
	s_sub_i32 s3, s2, s66
	s_cmp_ge_u32 s2, s66
	s_cselect_b32 s2, s3, s2
	s_sub_i32 s3, s2, s66
	s_cmp_ge_u32 s2, s66
	s_cselect_b32 s94, s3, s2
	s_mov_b64 s[2:3], s[94:95]
.LBB110_68:                             ;   in Loop: Header=BB110_23 Depth=1
	s_sub_u32 s54, s56, s2
	s_subb_u32 s55, s57, s3
	v_cmp_gt_u64_e32 vcc, s[54:55], v[14:15]
	v_mov_b32_e32 v4, 0
	v_mov_b32_e32 v6, 0
	;; [unrolled: 1-line block ×8, first 2 shown]
	s_and_saveexec_b64 s[2:3], vcc
	s_cbranch_execz .LBB110_72
; %bb.69:                               ;   in Loop: Header=BB110_23 Depth=1
	v_mov_b32_e32 v22, v15
	s_mov_b64 s[60:61], 0
	s_mov_b64 s[62:63], 0
	;; [unrolled: 1-line block ×5, first 2 shown]
	v_mov_b32_e32 v21, v14
.LBB110_70:                             ;   Parent Loop BB110_23 Depth=1
                                        ; =>  This Inner Loop Header: Depth=2
	v_mul_lo_u32 v6, v22, s84
	v_mul_lo_u32 v7, v21, s85
	v_mad_u64_u32 v[4:5], s[6:7], v21, s84, 0
	v_mov_b32_e32 v8, s76
	s_lshl_b64 s[8:9], s[84:85], 1
	v_add3_u32 v5, v5, v7, v6
	v_lshlrev_b64 v[4:5], 1, v[4:5]
	v_mov_b32_e32 v9, s9
	v_add_co_u32_e64 v4, s[6:7], s33, v4
	v_addc_co_u32_e64 v5, s[6:7], v8, v5, s[6:7]
	v_add_co_u32_e64 v6, s[6:7], s8, v4
	v_addc_co_u32_e64 v7, s[6:7], v5, v9, s[6:7]
	global_load_sshort v8, v[4:5], off
	global_load_sshort v10, v[6:7], off
	v_add_co_u32_e64 v4, s[6:7], s8, v6
	v_addc_co_u32_e64 v5, s[6:7], v7, v9, s[6:7]
	global_load_sshort v6, v[4:5], off
	v_add_co_u32_e64 v4, s[6:7], s8, v4
	v_addc_co_u32_e64 v5, s[6:7], v5, v9, s[6:7]
	global_load_sshort v4, v[4:5], off
	v_add_co_u32_e32 v21, vcc, s66, v21
	v_addc_co_u32_e32 v22, vcc, 0, v22, vcc
	v_cmp_le_u64_e32 vcc, s[54:55], v[21:22]
	s_waitcnt vmcnt(3)
	v_add_u32_e32 v5, 0x8000, v8
	v_and_b32_e32 v8, v5, v35
	v_bfe_u32 v5, v5, s86, 2
	s_waitcnt vmcnt(2)
	v_add_u32_e32 v7, 0x8000, v10
	v_cmp_eq_u32_e64 s[14:15], v8, v30
	v_cmp_eq_u32_e64 s[6:7], 0, v5
	s_waitcnt vmcnt(1)
	v_add_u32_e32 v6, 0x8000, v6
	v_and_b32_e32 v8, v7, v35
	v_bfe_u32 v7, v7, s86, 2
	v_cmp_eq_u32_e64 s[34:35], 1, v5
	v_cmp_eq_u32_e64 s[36:37], 2, v5
	;; [unrolled: 1-line block ×3, first 2 shown]
	s_waitcnt vmcnt(0)
	v_add_u32_e32 v4, 0x8000, v4
	v_and_b32_e32 v5, v6, v35
	v_bfe_u32 v6, v6, s86, 2
	s_and_b64 s[6:7], s[14:15], s[6:7]
	v_cmp_eq_u32_e64 s[16:17], v8, v30
	v_cmp_eq_u32_e64 s[26:27], 0, v7
	;; [unrolled: 1-line block ×5, first 2 shown]
	v_cndmask_b32_e64 v7, 0, 1, s[6:7]
	v_cmp_eq_u32_e64 s[22:23], v5, v30
	v_and_b32_e32 v5, v4, v35
	v_bfe_u32 v4, v4, s86, 2
	v_cmp_eq_u32_e64 s[6:7], 0, v6
	s_and_b64 s[8:9], s[16:17], s[26:27]
	v_cmp_eq_u32_e64 s[26:27], v5, v30
	v_cmp_eq_u32_e64 s[48:49], 0, v4
	s_and_b64 s[6:7], s[22:23], s[6:7]
	v_cmp_eq_u32_e64 s[42:43], 1, v6
	v_cmp_eq_u32_e64 s[44:45], 2, v6
	v_cmp_eq_u32_e64 s[24:25], 3, v6
	v_cndmask_b32_e64 v6, 0, 1, s[8:9]
	v_cmp_eq_u32_e64 s[50:51], 1, v4
	v_cmp_eq_u32_e64 s[52:53], 2, v4
	;; [unrolled: 1-line block ×3, first 2 shown]
	v_cndmask_b32_e64 v4, 0, 1, s[6:7]
	s_and_b64 s[8:9], s[26:27], s[48:49]
	v_cmp_ne_u32_e64 s[46:47], 0, v7
	v_cmp_ne_u32_e64 s[6:7], 0, v4
	v_cndmask_b32_e64 v4, 0, 1, s[8:9]
	s_bcnt1_i32_b64 s67, s[46:47]
	v_cmp_ne_u32_e64 s[46:47], 0, v6
	s_bcnt1_i32_b64 s8, s[6:7]
	v_cmp_ne_u32_e64 s[6:7], 0, v4
	s_bcnt1_i32_b64 s46, s[46:47]
	s_bcnt1_i32_b64 s6, s[6:7]
	s_add_u32 s7, s67, s64
	s_addc_u32 s9, 0, s65
	s_add_u32 s7, s7, s46
	s_addc_u32 s9, s9, 0
	s_add_u32 s7, s7, s8
	s_addc_u32 s8, s9, 0
	s_add_u32 s64, s7, s6
	s_addc_u32 s65, s8, 0
	s_and_b64 s[6:7], s[14:15], s[34:35]
	v_cndmask_b32_e64 v6, 0, 1, s[6:7]
	s_and_b64 s[6:7], s[16:17], s[38:39]
	v_cndmask_b32_e64 v7, 0, 1, s[6:7]
	s_and_b64 s[6:7], s[22:23], s[42:43]
	v_cndmask_b32_e64 v8, 0, 1, s[6:7]
	s_and_b64 s[6:7], s[26:27], s[50:51]
	v_cndmask_b32_e64 v9, 0, 1, s[6:7]
	v_cmp_ne_u32_e64 s[6:7], 0, v6
	v_cmp_ne_u32_e64 s[34:35], 0, v7
	v_cmp_ne_u32_e64 s[38:39], 0, v8
	v_cmp_ne_u32_e64 s[42:43], 0, v9
	s_bcnt1_i32_b64 s6, s[6:7]
	s_bcnt1_i32_b64 s7, s[34:35]
	s_bcnt1_i32_b64 s8, s[38:39]
	s_bcnt1_i32_b64 s9, s[42:43]
	s_add_u32 s6, s6, s78
	s_addc_u32 s34, 0, s79
	s_add_u32 s6, s6, s7
	s_addc_u32 s7, s34, 0
	s_add_u32 s6, s6, s8
	s_addc_u32 s7, s7, 0
	s_add_u32 s78, s6, s9
	s_addc_u32 s79, s7, 0
	s_and_b64 s[6:7], s[14:15], s[36:37]
	v_cndmask_b32_e64 v8, 0, 1, s[6:7]
	s_and_b64 s[6:7], s[16:17], s[40:41]
	v_cndmask_b32_e64 v9, 0, 1, s[6:7]
	s_and_b64 s[6:7], s[22:23], s[44:45]
	v_cndmask_b32_e64 v10, 0, 1, s[6:7]
	s_and_b64 s[6:7], s[26:27], s[52:53]
	v_cndmask_b32_e64 v11, 0, 1, s[6:7]
	v_cmp_ne_u32_e64 s[6:7], 0, v8
	v_cmp_ne_u32_e64 s[34:35], 0, v9
	v_cmp_ne_u32_e64 s[36:37], 0, v10
	v_cmp_ne_u32_e64 s[38:39], 0, v11
	s_bcnt1_i32_b64 s6, s[6:7]
	s_bcnt1_i32_b64 s7, s[34:35]
	;; [unrolled: 24-line block ×3, first 2 shown]
	s_bcnt1_i32_b64 s8, s[16:17]
	s_bcnt1_i32_b64 s9, s[18:19]
	s_add_u32 s6, s6, s62
	s_addc_u32 s14, 0, s63
	s_add_u32 s6, s6, s7
	s_addc_u32 s7, s14, 0
	;; [unrolled: 2-line block ×3, first 2 shown]
	s_add_u32 s62, s6, s9
	v_mov_b32_e32 v4, s64
	v_mov_b32_e32 v6, s78
	v_mov_b32_e32 v8, s92
	s_addc_u32 s63, s7, 0
	v_mov_b32_e32 v10, s62
	v_mov_b32_e32 v5, s65
	;; [unrolled: 1-line block ×4, first 2 shown]
	s_or_b64 s[60:61], vcc, s[60:61]
	v_mov_b32_e32 v11, s63
	s_andn2_b64 exec, exec, s[60:61]
	s_cbranch_execnz .LBB110_70
; %bb.71:                               ;   in Loop: Header=BB110_23 Depth=1
	s_or_b64 exec, exec, s[60:61]
	v_readlane_b32 s78, v49, 55
	v_readlane_b32 s79, v49, 56
	s_mov_b32 s65, s89
.LBB110_72:                             ;   in Loop: Header=BB110_23 Depth=1
	s_or_b64 exec, exec, s[2:3]
	v_mov_b32_e32 v22, s55
	v_add_co_u32_e32 v21, vcc, s54, v0
	v_addc_co_u32_e32 v22, vcc, 0, v22, vcc
	v_cmp_gt_u64_e32 vcc, s[56:57], v[21:22]
	s_and_saveexec_b64 s[2:3], vcc
	s_cbranch_execz .LBB110_78
; %bb.73:                               ;   in Loop: Header=BB110_23 Depth=1
	v_mul_lo_u32 v39, v22, s84
	v_mul_lo_u32 v40, v21, s85
	v_mad_u64_u32 v[37:38], s[6:7], v21, s84, 0
	s_mov_b64 s[8:9], 0
	v_add3_u32 v38, v38, v40, v39
	v_lshlrev_b64 v[37:38], 1, v[37:38]
	v_mov_b32_e32 v39, s76
	v_add_co_u32_e32 v37, vcc, s33, v37
	v_addc_co_u32_e32 v38, vcc, v39, v38, vcc
	global_load_ushort v38, v[37:38], off
	s_branch .LBB110_75
.LBB110_74:                             ;   in Loop: Header=BB110_75 Depth=2
	s_or_b64 exec, exec, s[14:15]
	s_waitcnt vmcnt(0)
	v_add_u32_sdwa v38, sext(v38), s31 dst_sel:DWORD dst_unused:UNUSED_PAD src0_sel:WORD_0 src1_sel:DWORD
	s_and_b64 s[6:7], exec, vcc
	v_and_b32_e32 v39, v38, v35
	v_bfe_u32 v38, v38, s86, 2
	s_or_b64 s[8:9], s[6:7], s[8:9]
	v_cmp_eq_u32_e32 vcc, v39, v30
	v_cmp_eq_u32_e64 s[6:7], 0, v38
	s_and_b64 s[6:7], vcc, s[6:7]
	v_cndmask_b32_e64 v39, 0, 1, s[6:7]
	v_cmp_ne_u32_e64 s[6:7], 0, v39
	s_bcnt1_i32_b64 s6, s[6:7]
	v_add_co_u32_e64 v4, s[6:7], s6, v4
	v_addc_co_u32_e64 v5, s[6:7], 0, v5, s[6:7]
	v_cmp_eq_u32_e64 s[6:7], 1, v38
	s_and_b64 s[6:7], vcc, s[6:7]
	v_cndmask_b32_e64 v39, 0, 1, s[6:7]
	v_cmp_ne_u32_e64 s[6:7], 0, v39
	s_bcnt1_i32_b64 s6, s[6:7]
	v_add_co_u32_e64 v6, s[6:7], s6, v6
	v_addc_co_u32_e64 v7, s[6:7], 0, v7, s[6:7]
	;; [unrolled: 7-line block ×3, first 2 shown]
	v_cmp_eq_u32_e64 s[6:7], 3, v38
	s_and_b64 s[6:7], vcc, s[6:7]
	v_cndmask_b32_e64 v38, 0, 1, s[6:7]
	v_cmp_ne_u32_e32 vcc, 0, v38
	s_bcnt1_i32_b64 s6, vcc
	v_add_co_u32_e32 v10, vcc, s6, v10
	v_addc_co_u32_e32 v11, vcc, 0, v11, vcc
	v_mov_b32_e32 v38, v37
	s_andn2_b64 exec, exec, s[8:9]
	s_cbranch_execz .LBB110_77
.LBB110_75:                             ;   Parent Loop BB110_23 Depth=1
                                        ; =>  This Inner Loop Header: Depth=2
	v_add_co_u32_sdwa v21, vcc, v21, v2 dst_sel:DWORD dst_unused:UNUSED_PAD src0_sel:DWORD src1_sel:WORD_0
	v_addc_co_u32_e32 v22, vcc, 0, v22, vcc
	v_cmp_gt_u64_e64 s[6:7], s[56:57], v[21:22]
	v_cmp_le_u64_e32 vcc, s[56:57], v[21:22]
	v_mov_b32_e32 v37, 0
	s_and_saveexec_b64 s[14:15], s[6:7]
	s_cbranch_execz .LBB110_74
; %bb.76:                               ;   in Loop: Header=BB110_75 Depth=2
	v_mul_lo_u32 v37, v22, s84
	v_mul_lo_u32 v41, v21, s85
	v_mad_u64_u32 v[39:40], s[6:7], v21, s84, 0
	v_add3_u32 v40, v40, v41, v37
	v_lshlrev_b64 v[39:40], 1, v[39:40]
	v_mov_b32_e32 v37, s76
	v_add_co_u32_e64 v39, s[6:7], s33, v39
	v_addc_co_u32_e64 v40, s[6:7], v37, v40, s[6:7]
	global_load_ushort v37, v[39:40], off
	s_branch .LBB110_74
.LBB110_77:                             ;   in Loop: Header=BB110_23 Depth=1
	s_or_b64 exec, exec, s[8:9]
.LBB110_78:                             ;   in Loop: Header=BB110_23 Depth=1
	s_or_b64 exec, exec, s[2:3]
	s_branch .LBB110_57
.LBB110_79:                             ;   in Loop: Header=BB110_23 Depth=1
	global_load_ushort v2, v3, s[70:71]
	v_mov_b32_e32 v8, 0
	v_mov_b32_e32 v9, 0
	s_waitcnt vmcnt(0)
	v_readfirstlane_b32 s2, v2
	s_and_b32 s68, 0xffff, s2
	s_lshl_b32 s81, s68, 2
	v_cvt_f32_u32_e32 v4, s81
	s_sub_i32 s2, 0, s81
	v_rcp_iflag_f32_e32 v6, v4
	v_mov_b32_e32 v4, 0
	v_mov_b32_e32 v5, 0
	v_mul_f32_e32 v6, 0x4f7ffffe, v6
	v_cvt_u32_f32_e32 v10, v6
	v_mov_b32_e32 v6, 0
	v_mov_b32_e32 v7, 0
	v_readfirstlane_b32 s3, v10
	s_mul_i32 s2, s2, s3
	s_mul_hi_u32 s2, s3, s2
	s_add_i32 s3, s3, s2
	s_mul_hi_u32 s2, s80, s3
	s_mul_i32 s3, s2, s81
	s_sub_i32 s3, s80, s3
	s_add_i32 s6, s2, 1
	s_sub_i32 s7, s3, s81
	s_cmp_ge_u32 s3, s81
	s_cselect_b32 s2, s6, s2
	s_cselect_b32 s3, s7, s3
	s_add_i32 s6, s2, 1
	s_cmp_ge_u32 s3, s81
	s_cselect_b32 s2, s6, s2
	s_mul_hi_u32 s3, s68, s2
	s_mul_i32 s2, s68, s2
	s_lshl_b64 s[60:61], s[2:3], 2
	v_cmp_gt_u64_e32 vcc, s[60:61], v[14:15]
	v_mov_b32_e32 v10, 0
	v_mov_b32_e32 v11, 0
	s_and_saveexec_b64 s[62:63], vcc
	s_cbranch_execz .LBB110_83
; %bb.80:                               ;   in Loop: Header=BB110_23 Depth=1
	v_mov_b32_e32 v22, v15
	s_lshl_b32 s3, s68, 3
	s_mov_b64 s[64:65], 0
	v_mov_b32_e32 v37, v31
	s_mov_b64 s[66:67], 0
	s_mov_b64 s[78:79], 0
	;; [unrolled: 1-line block ×4, first 2 shown]
	v_mov_b32_e32 v21, v14
.LBB110_81:                             ;   Parent Loop BB110_23 Depth=1
                                        ; =>  This Inner Loop Header: Depth=2
	ds_read_b64 v[4:5], v37
	v_add_co_u32_e32 v21, vcc, s81, v21
	v_addc_co_u32_e32 v22, vcc, 0, v22, vcc
	s_waitcnt lgkmcnt(0)
	v_add_u32_sdwa v6, sext(v4), s31 dst_sel:DWORD dst_unused:UNUSED_PAD src0_sel:WORD_0 src1_sel:DWORD
	v_add_u32_sdwa v4, sext(v4), s31 dst_sel:DWORD dst_unused:UNUSED_PAD src0_sel:WORD_1 src1_sel:DWORD
	v_and_b32_e32 v8, v6, v35
	v_bfe_u32 v6, v6, s86, 2
	v_add_u32_sdwa v7, sext(v5), s31 dst_sel:DWORD dst_unused:UNUSED_PAD src0_sel:WORD_0 src1_sel:DWORD
	v_and_b32_e32 v9, v4, v35
	v_bfe_u32 v4, v4, s86, 2
	v_cmp_eq_u32_e64 s[20:21], v8, v30
	v_cmp_eq_u32_e64 s[6:7], 0, v6
	v_add_u32_sdwa v5, sext(v5), s31 dst_sel:DWORD dst_unused:UNUSED_PAD src0_sel:WORD_1 src1_sel:DWORD
	v_and_b32_e32 v10, v7, v35
	v_bfe_u32 v7, v7, s86, 2
	v_cmp_eq_u32_e64 s[18:19], v9, v30
	v_cmp_eq_u32_e64 s[34:35], 0, v4
	s_and_b64 s[6:7], s[20:21], s[6:7]
	v_and_b32_e32 v11, v5, v35
	v_bfe_u32 v5, v5, s86, 2
	v_cmp_eq_u32_e64 s[16:17], v10, v30
	v_cmp_eq_u32_e64 s[36:37], 0, v7
	;; [unrolled: 1-line block ×5, first 2 shown]
	v_cndmask_b32_e64 v4, 0, 1, s[6:7]
	s_and_b64 s[6:7], s[18:19], s[34:35]
	v_cmp_eq_u32_e64 s[14:15], v11, v30
	v_cmp_eq_u32_e64 s[38:39], 0, v5
	v_cmp_eq_u32_e64 s[46:47], 1, v5
	v_cmp_eq_u32_e64 s[54:55], 2, v5
	v_cmp_eq_u32_e64 s[22:23], 3, v5
	v_cndmask_b32_e64 v5, 0, 1, s[6:7]
	s_and_b64 s[6:7], s[16:17], s[36:37]
	v_cmp_eq_u32_e64 s[40:41], 1, v6
	v_cmp_eq_u32_e64 s[48:49], 2, v6
	;; [unrolled: 1-line block ×3, first 2 shown]
	v_cndmask_b32_e64 v6, 0, 1, s[6:7]
	s_and_b64 s[6:7], s[14:15], s[38:39]
	v_cmp_eq_u32_e64 s[44:45], 1, v7
	v_cmp_eq_u32_e64 s[52:53], 2, v7
	;; [unrolled: 1-line block ×3, first 2 shown]
	v_cndmask_b32_e64 v7, 0, 1, s[6:7]
	v_cmp_ne_u32_e64 s[6:7], 0, v4
	v_cmp_ne_u32_e64 s[34:35], 0, v5
	v_cmp_ne_u32_e64 s[36:37], 0, v6
	v_cmp_ne_u32_e64 s[38:39], 0, v7
	s_bcnt1_i32_b64 s6, s[6:7]
	s_bcnt1_i32_b64 s7, s[34:35]
	s_bcnt1_i32_b64 s34, s[36:37]
	s_bcnt1_i32_b64 s35, s[38:39]
	s_add_u32 s6, s6, s8
	s_addc_u32 s8, 0, s9
	s_add_u32 s6, s6, s7
	s_addc_u32 s7, s8, 0
	s_add_u32 s6, s6, s34
	s_addc_u32 s7, s7, 0
	s_add_u32 s8, s6, s35
	s_addc_u32 s9, s7, 0
	s_and_b64 s[6:7], s[20:21], s[40:41]
	v_cndmask_b32_e64 v6, 0, 1, s[6:7]
	s_and_b64 s[6:7], s[18:19], s[42:43]
	v_cndmask_b32_e64 v7, 0, 1, s[6:7]
	s_and_b64 s[6:7], s[16:17], s[44:45]
	v_cndmask_b32_e64 v8, 0, 1, s[6:7]
	s_and_b64 s[6:7], s[14:15], s[46:47]
	v_cndmask_b32_e64 v9, 0, 1, s[6:7]
	v_cmp_ne_u32_e64 s[6:7], 0, v6
	v_cmp_ne_u32_e64 s[34:35], 0, v7
	v_cmp_ne_u32_e64 s[36:37], 0, v8
	v_cmp_ne_u32_e64 s[38:39], 0, v9
	s_bcnt1_i32_b64 s6, s[6:7]
	s_bcnt1_i32_b64 s7, s[34:35]
	s_bcnt1_i32_b64 s34, s[36:37]
	s_bcnt1_i32_b64 s35, s[38:39]
	s_add_u32 s6, s6, s92
	s_addc_u32 s36, 0, s93
	s_add_u32 s6, s6, s7
	s_addc_u32 s7, s36, 0
	s_add_u32 s6, s6, s34
	s_addc_u32 s7, s7, 0
	s_add_u32 s92, s6, s35
	s_addc_u32 s93, s7, 0
	s_and_b64 s[6:7], s[20:21], s[48:49]
	v_cndmask_b32_e64 v8, 0, 1, s[6:7]
	s_and_b64 s[6:7], s[18:19], s[50:51]
	v_cndmask_b32_e64 v9, 0, 1, s[6:7]
	s_and_b64 s[6:7], s[16:17], s[52:53]
	v_cndmask_b32_e64 v10, 0, 1, s[6:7]
	s_and_b64 s[6:7], s[14:15], s[54:55]
	;; [unrolled: 24-line block ×3, first 2 shown]
	v_cndmask_b32_e64 v39, 0, 1, s[6:7]
	v_cmp_ne_u32_e64 s[6:7], 0, v10
	v_cmp_ne_u32_e64 s[14:15], 0, v11
	;; [unrolled: 1-line block ×4, first 2 shown]
	s_bcnt1_i32_b64 s6, s[6:7]
	s_bcnt1_i32_b64 s7, s[14:15]
	;; [unrolled: 1-line block ×4, first 2 shown]
	s_add_u32 s6, s6, s66
	s_addc_u32 s16, 0, s67
	s_add_u32 s6, s6, s7
	s_addc_u32 s7, s16, 0
	;; [unrolled: 2-line block ×3, first 2 shown]
	v_cmp_le_u64_e32 vcc, s[60:61], v[21:22]
	s_add_u32 s66, s6, s15
	v_mov_b32_e32 v4, s8
	v_mov_b32_e32 v6, s92
	;; [unrolled: 1-line block ×3, first 2 shown]
	s_addc_u32 s67, s7, 0
	v_mov_b32_e32 v10, s66
	v_add_u32_e32 v37, s3, v37
	v_mov_b32_e32 v5, s9
	v_mov_b32_e32 v7, s93
	;; [unrolled: 1-line block ×3, first 2 shown]
	s_or_b64 s[64:65], vcc, s[64:65]
	v_mov_b32_e32 v11, s67
	s_andn2_b64 exec, exec, s[64:65]
	s_cbranch_execnz .LBB110_81
; %bb.82:                               ;   in Loop: Header=BB110_23 Depth=1
	s_or_b64 exec, exec, s[64:65]
	v_readlane_b32 s78, v49, 55
	v_readlane_b32 s79, v49, 56
	s_mov_b32 s65, s89
.LBB110_83:                             ;   in Loop: Header=BB110_23 Depth=1
	s_or_b64 exec, exec, s[62:63]
	v_mov_b32_e32 v22, s61
	v_add_co_u32_e32 v21, vcc, s60, v0
	s_and_b32 s94, s80, 0x7fffffff
	v_addc_co_u32_e32 v22, vcc, 0, v22, vcc
	v_cmp_gt_u64_e32 vcc, s[94:95], v[21:22]
	s_and_saveexec_b64 s[8:9], vcc
	s_cbranch_execz .LBB110_87
; %bb.84:                               ;   in Loop: Header=BB110_23 Depth=1
	v_lshl_add_u32 v37, s2, 3, v24
	s_lshl_b32 s22, s68, 1
	s_mov_b64 s[2:3], 0
.LBB110_85:                             ;   Parent Loop BB110_23 Depth=1
                                        ; =>  This Inner Loop Header: Depth=2
	ds_read_i16 v38, v37
	v_add_co_u32_sdwa v21, vcc, v21, v2 dst_sel:DWORD dst_unused:UNUSED_PAD src0_sel:DWORD src1_sel:WORD_0
	v_addc_co_u32_e32 v22, vcc, 0, v22, vcc
	s_waitcnt lgkmcnt(0)
	v_add_u32_e32 v38, 0x8000, v38
	v_and_b32_e32 v39, v38, v35
	v_bfe_u32 v38, v38, s86, 2
	v_cmp_eq_u32_e64 s[6:7], v39, v30
	v_cmp_eq_u32_e64 s[14:15], 0, v38
	;; [unrolled: 1-line block ×3, first 2 shown]
	s_and_b64 s[14:15], s[6:7], s[14:15]
	v_cmp_eq_u32_e64 s[18:19], 2, v38
	v_cmp_eq_u32_e64 s[20:21], 3, v38
	v_cndmask_b32_e64 v38, 0, 1, s[14:15]
	s_and_b64 s[14:15], s[6:7], s[16:17]
	v_cndmask_b32_e64 v39, 0, 1, s[14:15]
	s_and_b64 s[14:15], s[6:7], s[18:19]
	s_and_b64 s[6:7], s[6:7], s[20:21]
	v_cndmask_b32_e64 v40, 0, 1, s[14:15]
	v_cndmask_b32_e64 v41, 0, 1, s[6:7]
	v_cmp_le_u64_e32 vcc, s[94:95], v[21:22]
	v_cmp_ne_u32_e64 s[6:7], 0, v38
	v_cmp_ne_u32_e64 s[14:15], 0, v39
	v_cmp_ne_u32_e64 s[16:17], 0, v40
	v_cmp_ne_u32_e64 s[18:19], 0, v41
	s_bcnt1_i32_b64 s6, s[6:7]
	s_bcnt1_i32_b64 s7, s[14:15]
	;; [unrolled: 1-line block ×4, first 2 shown]
	s_or_b64 s[2:3], vcc, s[2:3]
	v_add_co_u32_e32 v4, vcc, s6, v4
	v_addc_co_u32_e32 v5, vcc, 0, v5, vcc
	v_add_co_u32_e32 v6, vcc, s7, v6
	v_addc_co_u32_e32 v7, vcc, 0, v7, vcc
	;; [unrolled: 2-line block ×3, first 2 shown]
	v_add_co_u32_e32 v10, vcc, s15, v10
	v_add_u32_e32 v37, s22, v37
	v_addc_co_u32_e32 v11, vcc, 0, v11, vcc
	s_andn2_b64 exec, exec, s[2:3]
	s_cbranch_execnz .LBB110_85
; %bb.86:                               ;   in Loop: Header=BB110_23 Depth=1
	s_or_b64 exec, exec, s[2:3]
.LBB110_87:                             ;   in Loop: Header=BB110_23 Depth=1
	s_or_b64 exec, exec, s[8:9]
	s_lshl_b32 s6, s88, 6
	s_and_saveexec_b64 s[2:3], s[4:5]
	s_cbranch_execnz .LBB110_58
	s_branch .LBB110_59
.LBB110_88:                             ;   in Loop: Header=BB110_23 Depth=1
                                        ; implicit-def: $sgpr2_sgpr3
	s_branch .LBB110_67
.LBB110_89:                             ;   in Loop: Header=BB110_23 Depth=1
	v_mov_b32_e32 v4, 0
	v_mov_b32_e32 v5, 0
	s_mov_b32 s7, 0
.LBB110_90:                             ;   in Loop: Header=BB110_23 Depth=1
	v_readlane_b32 s8, v49, 53
	v_readlane_b32 s9, v49, 54
	s_andn2_b64 vcc, exec, s[8:9]
	s_cbranch_vccnz .LBB110_93
; %bb.91:                               ;   in Loop: Header=BB110_23 Depth=1
	s_lshl_b32 s8, s88, 9
	s_lshl_b32 s7, s7, 5
	s_add_i32 s8, s8, s7
	v_add_u32_e32 v2, s8, v32
	v_readlane_b32 s7, v49, 52
.LBB110_92:                             ;   Parent Loop BB110_23 Depth=1
                                        ; =>  This Inner Loop Header: Depth=2
	ds_read_b64 v[6:7], v2
	s_add_i32 s7, s7, -1
	v_add_u32_e32 v2, 32, v2
	s_cmp_lg_u32 s7, 0
	s_waitcnt lgkmcnt(0)
	v_add_co_u32_e32 v4, vcc, v6, v4
	v_addc_co_u32_e32 v5, vcc, v7, v5, vcc
	s_cbranch_scc1 .LBB110_92
.LBB110_93:                             ;   in Loop: Header=BB110_23 Depth=1
	v_add_lshl_u32 v2, s6, v23, 3
	ds_write_b64 v2, v[4:5] offset:3072
.LBB110_94:                             ;   in Loop: Header=BB110_23 Depth=1
	s_or_b64 exec, exec, s[2:3]
	s_lshl_b32 s2, s6, 3
	v_mov_b32_e32 v2, s2
	s_waitcnt lgkmcnt(0)
	s_barrier
	ds_read_b128 v[8:11], v2 offset:3088
	ds_read_b128 v[4:7], v2 offset:3072
	v_cmp_eq_u64_e64 s[6:7], 1, v[19:20]
	s_lshl_b32 s64, 3, s86
	s_not_b32 s54, s64
	s_waitcnt lgkmcnt(1)
	v_readfirstlane_b32 s22, v8
	s_waitcnt lgkmcnt(0)
	v_cmp_eq_u64_e32 vcc, 1, v[4:5]
	v_readfirstlane_b32 s23, v9
	v_readfirstlane_b32 s14, v10
	;; [unrolled: 1-line block ×3, first 2 shown]
	s_and_b64 s[18:19], vcc, s[6:7]
	s_mov_b64 s[6:7], -1
	s_mov_b64 s[8:9], -1
                                        ; implicit-def: $sgpr20_sgpr21
                                        ; implicit-def: $sgpr2_sgpr3
	s_and_saveexec_b64 s[16:17], s[18:19]
	s_cbranch_execz .LBB110_126
; %bb.95:                               ;   in Loop: Header=BB110_23 Depth=1
	ds_read_b64 v[8:9], v3 offset:5120
	s_waitcnt lgkmcnt(0)
	s_barrier
	v_readfirstlane_b32 s24, v8
	v_readfirstlane_b32 s25, v9
	s_mov_b64 s[2:3], exec
	v_readlane_b32 s8, v49, 38
	v_readlane_b32 s9, v49, 39
	s_and_b64 s[8:9], s[2:3], s[8:9]
	s_mov_b64 exec, s[8:9]
; %bb.96:                               ;   in Loop: Header=BB110_23 Depth=1
	ds_write_b16 v25, v3
; %bb.97:                               ;   in Loop: Header=BB110_23 Depth=1
	s_or_b64 exec, exec, s[2:3]
	v_and_b32_e32 v30, s54, v30
	v_or_b32_e32 v35, s64, v35
	s_mov_b64 s[2:3], -1
	s_mov_b64 s[20:21], 0
	s_cmp_eq_u64 s[24:25], 0
	s_mov_b64 s[8:9], 0
	s_mov_b64 s[26:27], -1
	s_waitcnt lgkmcnt(0)
	s_barrier
                                        ; implicit-def: $vgpr36
	s_cbranch_scc1 .LBB110_111
; %bb.98:                               ;   in Loop: Header=BB110_23 Depth=1
	v_readlane_b32 s8, v49, 44
	s_add_u32 s34, s24, s8
	v_readlane_b32 s8, v49, 45
	s_addc_u32 s9, s25, s8
	s_mov_b32 s8, s95
	s_cmp_lg_u64 s[8:9], 0
	s_cbranch_scc0 .LBB110_152
; %bb.99:                               ;   in Loop: Header=BB110_23 Depth=1
	v_cvt_f32_u32_e32 v2, s77
	s_sub_u32 s8, 0, s77
	s_subb_u32 s28, 0, 0
	v_mac_f32_e32 v2, 0, v33
	v_rcp_f32_e32 v2, v2
	v_mul_f32_e32 v2, 0x5f7ffffc, v2
	v_mul_f32_e32 v8, 0x2f800000, v2
	v_trunc_f32_e32 v8, v8
	v_mac_f32_e32 v2, 0xcf800000, v8
	v_cvt_u32_f32_e32 v8, v8
	v_cvt_u32_f32_e32 v2, v2
	v_readfirstlane_b32 s29, v8
	v_readfirstlane_b32 s26, v2
	s_mul_i32 s27, s8, s29
	s_mul_hi_u32 s36, s8, s26
	s_mul_i32 s35, s28, s26
	s_add_i32 s27, s36, s27
	s_mul_i32 s37, s8, s26
	s_add_i32 s27, s27, s35
	s_mul_hi_u32 s36, s26, s37
	s_mul_i32 s38, s26, s27
	s_mul_hi_u32 s35, s26, s27
	s_add_u32 s36, s36, s38
	s_addc_u32 s35, 0, s35
	s_mul_hi_u32 s39, s29, s37
	s_mul_i32 s37, s29, s37
	s_add_u32 s36, s36, s37
	s_mul_hi_u32 s38, s29, s27
	s_addc_u32 s35, s35, s39
	s_addc_u32 s36, s38, 0
	s_mul_i32 s27, s29, s27
	s_add_u32 s27, s35, s27
	s_addc_u32 s35, 0, s36
	s_add_u32 s36, s26, s27
	s_cselect_b64 s[26:27], -1, 0
	s_cmp_lg_u64 s[26:27], 0
	s_addc_u32 s29, s29, s35
	s_mul_i32 s26, s8, s29
	s_mul_hi_u32 s27, s8, s36
	s_add_i32 s26, s27, s26
	s_mul_i32 s28, s28, s36
	s_add_i32 s26, s26, s28
	s_mul_i32 s8, s8, s36
	s_mul_hi_u32 s28, s29, s8
	s_mul_i32 s35, s29, s8
	s_mul_i32 s38, s36, s26
	s_mul_hi_u32 s8, s36, s8
	s_mul_hi_u32 s37, s36, s26
	s_add_u32 s8, s8, s38
	s_addc_u32 s37, 0, s37
	s_add_u32 s8, s8, s35
	s_mul_hi_u32 s27, s29, s26
	s_addc_u32 s8, s37, s28
	s_addc_u32 s27, s27, 0
	s_mul_i32 s26, s29, s26
	s_add_u32 s8, s8, s26
	s_addc_u32 s28, 0, s27
	s_add_u32 s8, s36, s8
	s_cselect_b64 s[26:27], -1, 0
	s_cmp_lg_u64 s[26:27], 0
	s_addc_u32 s26, s29, s28
	s_mul_i32 s28, s34, s26
	s_mul_hi_u32 s29, s34, s8
	s_mul_hi_u32 s27, s34, s26
	s_add_u32 s28, s29, s28
	s_addc_u32 s27, 0, s27
	s_mul_hi_u32 s35, s9, s8
	s_mul_i32 s8, s9, s8
	s_add_u32 s8, s28, s8
	s_mul_hi_u32 s29, s9, s26
	s_addc_u32 s8, s27, s35
	s_addc_u32 s27, s29, 0
	s_mul_i32 s26, s9, s26
	s_add_u32 s8, s8, s26
	s_addc_u32 s26, 0, s27
	s_mul_i32 s26, s77, s26
	s_mul_hi_u32 s27, s77, s8
	s_add_i32 s28, s27, s26
	s_mul_i32 s8, s77, s8
	s_sub_u32 s8, s34, s8
	s_cselect_b64 s[26:27], -1, 0
	s_cmp_lg_u64 s[26:27], 0
	s_subb_u32 s28, s9, s28
	s_sub_u32 s29, s8, s77
	s_cselect_b64 s[26:27], -1, 0
	s_cmp_lg_u64 s[26:27], 0
	s_subb_u32 s35, s28, 0
	;; [unrolled: 4-line block ×3, first 2 shown]
	s_cmp_ge_u32 s29, s77
	s_cselect_b32 s27, -1, 0
	s_cmp_eq_u32 s35, 0
	s_cselect_b32 s27, s27, -1
	s_cmp_lg_u32 s27, 0
	s_cselect_b32 s26, s26, s35
	s_cselect_b32 s29, s36, s29
	s_cmp_ge_u32 s8, s77
	s_cselect_b32 s27, -1, 0
	s_cmp_eq_u32 s28, 0
	s_cselect_b32 s27, s27, -1
	s_cmp_lg_u32 s27, 0
	s_cselect_b32 s27, s26, s28
	s_cselect_b32 s26, s29, s8
	s_cbranch_execnz .LBB110_101
.LBB110_100:                            ;   in Loop: Header=BB110_23 Depth=1
	v_cvt_f32_u32_e32 v2, s77
	s_sub_i32 s8, 0, s77
	v_rcp_iflag_f32_e32 v2, v2
	v_mul_f32_e32 v2, 0x4f7ffffe, v2
	v_cvt_u32_f32_e32 v2, v2
	v_readfirstlane_b32 s26, v2
	s_mul_i32 s8, s8, s26
	s_mul_hi_u32 s8, s26, s8
	s_add_i32 s26, s26, s8
	s_mul_hi_u32 s8, s34, s26
	s_mul_i32 s8, s8, s77
	s_sub_i32 s8, s34, s8
	s_sub_i32 s26, s8, s77
	s_cmp_ge_u32 s8, s77
	s_cselect_b32 s8, s26, s8
	s_sub_i32 s26, s8, s77
	s_cmp_ge_u32 s8, s77
	s_cselect_b32 s94, s26, s8
	s_mov_b64 s[26:27], s[94:95]
.LBB110_101:                            ;   in Loop: Header=BB110_23 Depth=1
	s_sub_u32 s34, s34, s26
	s_subb_u32 s35, s9, s27
	v_cmp_gt_u64_e32 vcc, s[34:35], v[0:1]
	s_mov_b64 s[26:27], 0
	s_mov_b64 s[8:9], 0
                                        ; implicit-def: $vgpr36
	s_and_saveexec_b64 s[28:29], vcc
	s_cbranch_execz .LBB110_110
; %bb.102:                              ;   in Loop: Header=BB110_23 Depth=1
	v_mov_b32_e32 v9, v1
	v_mov_b32_e32 v2, v24
	v_mov_b32_e32 v8, v0
                                        ; implicit-def: $sgpr36_sgpr37
	s_branch .LBB110_105
.LBB110_103:                            ;   in Loop: Header=BB110_105 Depth=2
	s_or_b64 exec, exec, s[38:39]
	s_waitcnt lgkmcnt(0)
	s_barrier
	ds_read_b32 v10, v3 offset:3072
	s_mov_b64 s[38:39], -1
	s_waitcnt lgkmcnt(0)
	s_barrier
	v_cmp_ne_u32_sdwa s[40:41], v10, v3 src0_sel:WORD_0 src1_sel:DWORD
	s_and_b64 vcc, exec, s[40:41]
	s_mov_b64 s[40:41], -1
	s_cbranch_vccz .LBB110_108
.LBB110_104:                            ;   in Loop: Header=BB110_105 Depth=2
	s_and_b64 s[38:39], exec, s[38:39]
	s_or_b64 s[8:9], s[38:39], s[8:9]
	s_andn2_b64 s[36:37], s[36:37], exec
	s_and_b64 s[38:39], s[40:41], exec
	s_or_b64 s[36:37], s[36:37], s[38:39]
	s_andn2_b64 exec, exec, s[8:9]
	s_cbranch_execz .LBB110_109
.LBB110_105:                            ;   Parent Loop BB110_23 Depth=1
                                        ; =>  This Inner Loop Header: Depth=2
	v_cmp_gt_u64_e32 vcc, s[24:25], v[8:9]
	s_and_saveexec_b64 s[38:39], vcc
	s_cbranch_execz .LBB110_103
; %bb.106:                              ;   in Loop: Header=BB110_105 Depth=2
	ds_read_u16 v10, v2
	s_waitcnt lgkmcnt(0)
	v_add_u32_sdwa v11, sext(v10), s31 dst_sel:DWORD dst_unused:UNUSED_PAD src0_sel:WORD_0 src1_sel:DWORD
	v_and_b32_e32 v11, v11, v35
	v_cmp_eq_u32_e32 vcc, v11, v30
	s_and_b64 exec, exec, vcc
	s_cbranch_execz .LBB110_103
; %bb.107:                              ;   in Loop: Header=BB110_105 Depth=2
	v_perm_b32 v10, v10, 1, v34
	ds_write_b32 v3, v10 offset:3072
	s_branch .LBB110_103
.LBB110_108:                            ;   in Loop: Header=BB110_105 Depth=2
	v_add_co_u32_e32 v8, vcc, s77, v8
	v_addc_co_u32_e32 v9, vcc, 0, v9, vcc
	v_cmp_le_u64_e32 vcc, s[34:35], v[8:9]
	v_add_u32_e32 v2, s30, v2
	s_mov_b64 s[40:41], 0
	s_orn2_b64 s[38:39], vcc, exec
	s_branch .LBB110_104
.LBB110_109:                            ;   in Loop: Header=BB110_23 Depth=1
	s_or_b64 exec, exec, s[8:9]
	v_lshrrev_b32_e32 v36, 16, v10
	s_and_b64 s[8:9], s[36:37], exec
.LBB110_110:                            ;   in Loop: Header=BB110_23 Depth=1
	s_or_b64 exec, exec, s[28:29]
.LBB110_111:                            ;   in Loop: Header=BB110_23 Depth=1
	s_and_b64 vcc, exec, s[26:27]
	s_cbranch_vccz .LBB110_125
; %bb.112:                              ;   in Loop: Header=BB110_23 Depth=1
	s_mov_b32 s68, s95
	s_cmp_lg_u64 s[68:69], 0
	s_cbranch_scc0 .LBB110_156
; %bb.113:                              ;   in Loop: Header=BB110_23 Depth=1
	v_cvt_f32_u32_e32 v2, s77
	s_sub_u32 s20, 0, s77
	s_subb_u32 s21, 0, 0
	v_mac_f32_e32 v2, 0, v33
	v_rcp_f32_e32 v2, v2
	v_mul_f32_e32 v2, 0x5f7ffffc, v2
	v_mul_f32_e32 v8, 0x2f800000, v2
	v_trunc_f32_e32 v8, v8
	v_mac_f32_e32 v2, 0xcf800000, v8
	v_cvt_u32_f32_e32 v8, v8
	v_cvt_u32_f32_e32 v2, v2
	v_readfirstlane_b32 s24, v8
	v_readfirstlane_b32 s2, v2
	s_mul_i32 s3, s20, s24
	s_mul_hi_u32 s26, s20, s2
	s_mul_i32 s25, s21, s2
	s_add_i32 s3, s26, s3
	s_mul_i32 s27, s20, s2
	s_add_i32 s3, s3, s25
	s_mul_hi_u32 s26, s2, s27
	s_mul_i32 s28, s2, s3
	s_mul_hi_u32 s25, s2, s3
	s_add_u32 s26, s26, s28
	s_addc_u32 s25, 0, s25
	s_mul_hi_u32 s29, s24, s27
	s_mul_i32 s27, s24, s27
	s_add_u32 s26, s26, s27
	s_mul_hi_u32 s28, s24, s3
	s_addc_u32 s25, s25, s29
	s_addc_u32 s26, s28, 0
	s_mul_i32 s3, s24, s3
	s_add_u32 s3, s25, s3
	s_addc_u32 s25, 0, s26
	s_add_u32 s26, s2, s3
	s_cselect_b64 s[2:3], -1, 0
	s_cmp_lg_u64 s[2:3], 0
	s_addc_u32 s24, s24, s25
	s_mul_i32 s2, s20, s24
	s_mul_hi_u32 s3, s20, s26
	s_add_i32 s2, s3, s2
	s_mul_i32 s21, s21, s26
	s_add_i32 s2, s2, s21
	s_mul_i32 s20, s20, s26
	s_mul_hi_u32 s21, s24, s20
	s_mul_i32 s25, s24, s20
	s_mul_i32 s28, s26, s2
	s_mul_hi_u32 s20, s26, s20
	s_mul_hi_u32 s27, s26, s2
	s_add_u32 s20, s20, s28
	s_addc_u32 s27, 0, s27
	s_add_u32 s20, s20, s25
	s_mul_hi_u32 s3, s24, s2
	s_addc_u32 s20, s27, s21
	s_addc_u32 s3, s3, 0
	s_mul_i32 s2, s24, s2
	s_add_u32 s2, s20, s2
	s_addc_u32 s20, 0, s3
	s_add_u32 s21, s26, s2
	s_cselect_b64 s[2:3], -1, 0
	s_cmp_lg_u64 s[2:3], 0
	s_addc_u32 s2, s24, s20
	s_mul_i32 s20, s0, s2
	s_mul_hi_u32 s24, s0, s21
	s_mul_hi_u32 s3, s0, s2
	s_add_u32 s20, s24, s20
	s_addc_u32 s3, 0, s3
	s_mul_hi_u32 s25, s69, s21
	s_mul_i32 s21, s69, s21
	s_add_u32 s20, s20, s21
	s_mul_hi_u32 s24, s69, s2
	s_addc_u32 s3, s3, s25
	s_addc_u32 s20, s24, 0
	s_mul_i32 s2, s69, s2
	s_add_u32 s2, s3, s2
	s_addc_u32 s3, 0, s20
	s_mul_i32 s3, s77, s3
	s_mul_hi_u32 s20, s77, s2
	s_add_i32 s20, s20, s3
	s_mul_i32 s2, s77, s2
	s_sub_u32 s21, s0, s2
	s_cselect_b64 s[2:3], -1, 0
	s_cmp_lg_u64 s[2:3], 0
	s_subb_u32 s20, s69, s20
	s_sub_u32 s24, s21, s77
	s_cselect_b64 s[2:3], -1, 0
	s_cmp_lg_u64 s[2:3], 0
	s_subb_u32 s25, s20, 0
	;; [unrolled: 4-line block ×3, first 2 shown]
	s_cmp_ge_u32 s24, s77
	s_cselect_b32 s3, -1, 0
	s_cmp_eq_u32 s25, 0
	s_cselect_b32 s3, s3, -1
	s_cmp_lg_u32 s3, 0
	s_cselect_b32 s2, s2, s25
	s_cselect_b32 s24, s26, s24
	s_cmp_ge_u32 s21, s77
	s_cselect_b32 s3, -1, 0
	s_cmp_eq_u32 s20, 0
	s_cselect_b32 s3, s3, -1
	s_cmp_lg_u32 s3, 0
	s_cselect_b32 s3, s2, s20
	s_cselect_b32 s2, s24, s21
	s_cbranch_execnz .LBB110_115
.LBB110_114:                            ;   in Loop: Header=BB110_23 Depth=1
	v_cvt_f32_u32_e32 v2, s77
	s_sub_i32 s2, 0, s77
	v_rcp_iflag_f32_e32 v2, v2
	v_mul_f32_e32 v2, 0x4f7ffffe, v2
	v_cvt_u32_f32_e32 v2, v2
	v_readfirstlane_b32 s3, v2
	s_mul_i32 s2, s2, s3
	s_mul_hi_u32 s2, s3, s2
	s_add_i32 s3, s3, s2
	s_mul_hi_u32 s2, s0, s3
	s_mul_i32 s2, s2, s77
	s_sub_i32 s2, s0, s2
	s_sub_i32 s3, s2, s77
	s_cmp_ge_u32 s2, s77
	s_cselect_b32 s2, s3, s2
	s_sub_i32 s3, s2, s77
	s_cmp_ge_u32 s2, s77
	s_cselect_b32 s94, s3, s2
	s_mov_b64 s[2:3], s[94:95]
.LBB110_115:                            ;   in Loop: Header=BB110_23 Depth=1
	s_sub_u32 s20, s0, s2
	s_subb_u32 s21, s69, s3
	v_cmp_gt_u64_e32 vcc, s[20:21], v[0:1]
                                        ; implicit-def: $vgpr36
	s_and_saveexec_b64 s[2:3], vcc
	s_cbranch_execz .LBB110_124
; %bb.116:                              ;   in Loop: Header=BB110_23 Depth=1
	v_mov_b32_e32 v9, v1
	s_mov_b64 s[24:25], 0
	v_mov_b32_e32 v8, v0
                                        ; implicit-def: $sgpr26_sgpr27
	s_branch .LBB110_119
.LBB110_117:                            ;   in Loop: Header=BB110_119 Depth=2
	s_or_b64 exec, exec, s[28:29]
	s_waitcnt lgkmcnt(0)
	s_barrier
	ds_read_b32 v2, v3 offset:3072
	s_mov_b64 s[28:29], -1
	s_waitcnt lgkmcnt(0)
	s_barrier
	v_cmp_ne_u32_sdwa s[34:35], v2, v3 src0_sel:WORD_0 src1_sel:DWORD
	s_and_b64 vcc, exec, s[34:35]
	s_mov_b64 s[34:35], -1
	s_cbranch_vccz .LBB110_122
.LBB110_118:                            ;   in Loop: Header=BB110_119 Depth=2
	s_and_b64 s[28:29], exec, s[28:29]
	s_or_b64 s[24:25], s[28:29], s[24:25]
	s_andn2_b64 s[26:27], s[26:27], exec
	s_and_b64 s[28:29], s[34:35], exec
	s_or_b64 s[26:27], s[26:27], s[28:29]
	s_andn2_b64 exec, exec, s[24:25]
	s_cbranch_execz .LBB110_123
.LBB110_119:                            ;   Parent Loop BB110_23 Depth=1
                                        ; =>  This Inner Loop Header: Depth=2
	v_cmp_gt_u64_e32 vcc, s[56:57], v[8:9]
	s_and_saveexec_b64 s[28:29], vcc
	s_cbranch_execz .LBB110_117
; %bb.120:                              ;   in Loop: Header=BB110_119 Depth=2
	v_mul_lo_u32 v2, v9, s84
	v_mul_lo_u32 v21, v8, s85
	v_mad_u64_u32 v[10:11], s[34:35], v8, s84, 0
	v_add3_u32 v11, v11, v21, v2
	v_lshlrev_b64 v[10:11], 1, v[10:11]
	v_mov_b32_e32 v2, s76
	v_add_co_u32_e32 v10, vcc, s33, v10
	v_addc_co_u32_e32 v11, vcc, v2, v11, vcc
	global_load_ushort v2, v[10:11], off
	s_waitcnt vmcnt(0)
	v_add_u32_sdwa v10, sext(v2), s31 dst_sel:DWORD dst_unused:UNUSED_PAD src0_sel:WORD_0 src1_sel:DWORD
	v_and_b32_e32 v10, v10, v35
	v_cmp_eq_u32_e32 vcc, v10, v30
	s_and_b64 exec, exec, vcc
	s_cbranch_execz .LBB110_117
; %bb.121:                              ;   in Loop: Header=BB110_119 Depth=2
	v_perm_b32 v2, v2, 1, v34
	ds_write_b32 v3, v2 offset:3072
	s_branch .LBB110_117
.LBB110_122:                            ;   in Loop: Header=BB110_119 Depth=2
	v_add_co_u32_e32 v8, vcc, s77, v8
	v_addc_co_u32_e32 v9, vcc, 0, v9, vcc
	v_cmp_le_u64_e32 vcc, s[20:21], v[8:9]
	s_mov_b64 s[34:35], 0
	s_orn2_b64 s[28:29], vcc, exec
	s_branch .LBB110_118
.LBB110_123:                            ;   in Loop: Header=BB110_23 Depth=1
	s_or_b64 exec, exec, s[24:25]
	s_andn2_b64 s[8:9], s[8:9], exec
	s_and_b64 s[20:21], s[26:27], exec
	v_lshrrev_b32_e32 v36, 16, v2
	s_or_b64 s[8:9], s[8:9], s[20:21]
.LBB110_124:                            ;   in Loop: Header=BB110_23 Depth=1
	s_or_b64 exec, exec, s[2:3]
	s_mov_b64 s[2:3], 0
	s_mov_b64 s[20:21], -1
.LBB110_125:                            ;   in Loop: Header=BB110_23 Depth=1
	s_orn2_b64 s[8:9], s[8:9], exec
.LBB110_126:                            ;   in Loop: Header=BB110_23 Depth=1
	s_or_b64 exec, exec, s[16:17]
	s_andn2_b64 s[16:17], s[58:59], exec
	s_and_b64 s[20:21], s[20:21], exec
	s_or_b64 s[58:59], s[16:17], s[20:21]
	s_andn2_b64 s[16:17], s[82:83], exec
	s_and_b64 s[2:3], s[2:3], exec
	s_andn2_b64 s[74:75], s[74:75], exec
	s_or_b64 s[82:83], s[16:17], s[2:3]
                                        ; implicit-def: $vgpr8_vgpr9
	s_and_saveexec_b64 s[16:17], s[8:9]
	s_cbranch_execz .LBB110_22
; %bb.127:                              ;   in Loop: Header=BB110_23 Depth=1
	v_mov_b32_e32 v8, 1
	s_xor_b64 s[6:7], s[18:19], -1
	v_mov_b32_e32 v2, 1
	v_mov_b32_e32 v9, 0
	s_mov_b64 s[8:9], 0
	s_and_saveexec_b64 s[2:3], s[6:7]
	s_cbranch_execz .LBB110_136
; %bb.128:                              ;   in Loop: Header=BB110_23 Depth=1
	v_cmp_le_u64_e32 vcc, v[19:20], v[4:5]
	s_and_saveexec_b64 s[6:7], vcc
	s_xor_b64 s[6:7], exec, s[6:7]
	s_cbranch_execz .LBB110_133
; %bb.129:                              ;   in Loop: Header=BB110_23 Depth=1
	ds_read_b64 v[8:9], v3 offset:5120
	v_and_b32_e32 v30, s54, v30
	v_or_b32_e32 v35, s64, v35
	s_waitcnt lgkmcnt(0)
	v_cmp_ne_u64_e32 vcc, 0, v[8:9]
	s_cbranch_vccnz .LBB110_133
; %bb.130:                              ;   in Loop: Header=BB110_23 Depth=1
	s_mov_b64 s[8:9], exec
	v_readlane_b32 s18, v49, 16
	v_readlane_b32 s19, v49, 17
	s_and_b64 s[18:19], s[8:9], s[18:19]
	s_mov_b64 exec, s[18:19]
; %bb.131:                              ;   in Loop: Header=BB110_23 Depth=1
	ds_write_b64 v3, v[4:5] offset:5128
; %bb.132:                              ;   in Loop: Header=BB110_23 Depth=1
	s_or_b64 exec, exec, s[8:9]
	s_waitcnt lgkmcnt(0)
	s_barrier
.LBB110_133:                            ;   in Loop: Header=BB110_23 Depth=1
	s_or_saveexec_b64 s[6:7], s[6:7]
	s_mov_b64 s[8:9], 0
	v_mov_b32_e32 v2, 8
	s_xor_b64 exec, exec, s[6:7]
; %bb.134:                              ;   in Loop: Header=BB110_23 Depth=1
	v_sub_co_u32_e32 v19, vcc, v19, v4
	s_mov_b64 s[8:9], exec
	v_subb_co_u32_e32 v20, vcc, v20, v5, vcc
	v_mov_b32_e32 v2, 0
; %bb.135:                              ;   in Loop: Header=BB110_23 Depth=1
	s_or_b64 exec, exec, s[6:7]
	v_mov_b32_e32 v8, v19
	s_and_b64 s[8:9], s[8:9], exec
	v_mov_b32_e32 v9, v20
.LBB110_136:                            ;   in Loop: Header=BB110_23 Depth=1
	s_or_b64 exec, exec, s[2:3]
	s_mov_b64 s[18:19], -1
	s_mov_b64 s[2:3], -1
                                        ; implicit-def: $sgpr6_sgpr7
                                        ; implicit-def: $sgpr24_sgpr25
	s_and_saveexec_b64 s[20:21], s[8:9]
	s_xor_b64 s[20:21], exec, s[20:21]
	s_cbranch_execz .LBB110_281
; %bb.137:                              ;   in Loop: Header=BB110_23 Depth=1
	v_cmp_eq_u64_e32 vcc, 1, v[6:7]
	v_cmp_eq_u64_e64 s[6:7], 1, v[8:9]
                                        ; implicit-def: $sgpr24_sgpr25
	s_and_b64 s[28:29], vcc, s[6:7]
                                        ; implicit-def: $sgpr6_sgpr7
	s_and_saveexec_b64 s[26:27], s[28:29]
	s_cbranch_execz .LBB110_174
; %bb.138:                              ;   in Loop: Header=BB110_23 Depth=1
	ds_read_b64 v[4:5], v3 offset:5120
	s_waitcnt lgkmcnt(0)
	s_barrier
	v_readfirstlane_b32 s8, v4
	v_readfirstlane_b32 s9, v5
	s_mov_b64 s[2:3], exec
	v_readlane_b32 s6, v49, 38
	v_readlane_b32 s7, v49, 39
	s_and_b64 s[6:7], s[2:3], s[6:7]
	s_mov_b64 exec, s[6:7]
; %bb.139:                              ;   in Loop: Header=BB110_23 Depth=1
	ds_write_b16 v25, v3
; %bb.140:                              ;   in Loop: Header=BB110_23 Depth=1
	s_or_b64 exec, exec, s[2:3]
	v_and_b32_e32 v4, s54, v30
	v_lshl_or_b32 v30, 1, s86, v4
	v_or_b32_e32 v35, s64, v35
	s_mov_b64 s[6:7], -1
	s_mov_b64 s[24:25], 0
	s_cmp_eq_u64 s[8:9], 0
	s_mov_b64 s[2:3], 0
	s_mov_b64 s[34:35], -1
	s_waitcnt lgkmcnt(0)
	s_barrier
                                        ; implicit-def: $vgpr36
	s_cbranch_scc1 .LBB110_159
; %bb.141:                              ;   in Loop: Header=BB110_23 Depth=1
	v_readlane_b32 s2, v49, 44
	s_add_u32 s38, s8, s2
	v_readlane_b32 s2, v49, 45
	s_addc_u32 s3, s9, s2
	s_mov_b32 s2, s95
	s_cmp_lg_u64 s[2:3], 0
	s_cbranch_scc0 .LBB110_201
; %bb.142:                              ;   in Loop: Header=BB110_23 Depth=1
	v_cvt_f32_u32_e32 v4, s77
	s_sub_u32 s2, 0, s77
	s_subb_u32 s36, 0, 0
	v_mac_f32_e32 v4, 0, v33
	v_rcp_f32_e32 v4, v4
	v_mul_f32_e32 v4, 0x5f7ffffc, v4
	v_mul_f32_e32 v5, 0x2f800000, v4
	v_trunc_f32_e32 v5, v5
	v_mac_f32_e32 v4, 0xcf800000, v5
	v_cvt_u32_f32_e32 v5, v5
	v_cvt_u32_f32_e32 v4, v4
	v_readfirstlane_b32 s37, v5
	v_readfirstlane_b32 s34, v4
	s_mul_i32 s35, s2, s37
	s_mul_hi_u32 s40, s2, s34
	s_mul_i32 s39, s36, s34
	s_add_i32 s35, s40, s35
	s_mul_i32 s41, s2, s34
	s_add_i32 s35, s35, s39
	s_mul_hi_u32 s40, s34, s41
	s_mul_i32 s42, s34, s35
	s_mul_hi_u32 s39, s34, s35
	s_add_u32 s40, s40, s42
	s_addc_u32 s39, 0, s39
	s_mul_hi_u32 s43, s37, s41
	s_mul_i32 s41, s37, s41
	s_add_u32 s40, s40, s41
	s_mul_hi_u32 s42, s37, s35
	s_addc_u32 s39, s39, s43
	s_addc_u32 s40, s42, 0
	s_mul_i32 s35, s37, s35
	s_add_u32 s35, s39, s35
	s_addc_u32 s39, 0, s40
	s_add_u32 s40, s34, s35
	s_cselect_b64 s[34:35], -1, 0
	s_cmp_lg_u64 s[34:35], 0
	s_addc_u32 s37, s37, s39
	s_mul_i32 s34, s2, s37
	s_mul_hi_u32 s35, s2, s40
	s_add_i32 s34, s35, s34
	s_mul_i32 s36, s36, s40
	s_add_i32 s34, s34, s36
	s_mul_i32 s2, s2, s40
	s_mul_hi_u32 s36, s37, s2
	s_mul_i32 s39, s37, s2
	s_mul_i32 s42, s40, s34
	s_mul_hi_u32 s2, s40, s2
	s_mul_hi_u32 s41, s40, s34
	s_add_u32 s2, s2, s42
	s_addc_u32 s41, 0, s41
	s_add_u32 s2, s2, s39
	s_mul_hi_u32 s35, s37, s34
	s_addc_u32 s2, s41, s36
	s_addc_u32 s35, s35, 0
	s_mul_i32 s34, s37, s34
	s_add_u32 s2, s2, s34
	s_addc_u32 s36, 0, s35
	s_add_u32 s2, s40, s2
	s_cselect_b64 s[34:35], -1, 0
	s_cmp_lg_u64 s[34:35], 0
	s_addc_u32 s34, s37, s36
	s_mul_i32 s36, s38, s34
	s_mul_hi_u32 s37, s38, s2
	s_mul_hi_u32 s35, s38, s34
	s_add_u32 s36, s37, s36
	s_addc_u32 s35, 0, s35
	s_mul_hi_u32 s39, s3, s2
	s_mul_i32 s2, s3, s2
	s_add_u32 s2, s36, s2
	s_mul_hi_u32 s37, s3, s34
	s_addc_u32 s2, s35, s39
	s_addc_u32 s35, s37, 0
	s_mul_i32 s34, s3, s34
	s_add_u32 s2, s2, s34
	s_addc_u32 s34, 0, s35
	s_mul_i32 s34, s77, s34
	s_mul_hi_u32 s35, s77, s2
	s_add_i32 s36, s35, s34
	s_mul_i32 s2, s77, s2
	s_sub_u32 s2, s38, s2
	s_cselect_b64 s[34:35], -1, 0
	s_cmp_lg_u64 s[34:35], 0
	s_subb_u32 s36, s3, s36
	s_sub_u32 s37, s2, s77
	s_cselect_b64 s[34:35], -1, 0
	s_cmp_lg_u64 s[34:35], 0
	s_subb_u32 s39, s36, 0
	;; [unrolled: 4-line block ×3, first 2 shown]
	s_cmp_ge_u32 s37, s77
	s_cselect_b32 s35, -1, 0
	s_cmp_eq_u32 s39, 0
	s_cselect_b32 s35, s35, -1
	s_cmp_lg_u32 s35, 0
	s_cselect_b32 s34, s34, s39
	s_cselect_b32 s37, s40, s37
	s_cmp_ge_u32 s2, s77
	s_cselect_b32 s35, -1, 0
	s_cmp_eq_u32 s36, 0
	s_cselect_b32 s35, s35, -1
	s_cmp_lg_u32 s35, 0
	s_cselect_b32 s35, s34, s36
	s_cselect_b32 s34, s37, s2
	s_cbranch_execnz .LBB110_144
.LBB110_143:                            ;   in Loop: Header=BB110_23 Depth=1
	v_cvt_f32_u32_e32 v4, s77
	s_sub_i32 s2, 0, s77
	v_rcp_iflag_f32_e32 v4, v4
	v_mul_f32_e32 v4, 0x4f7ffffe, v4
	v_cvt_u32_f32_e32 v4, v4
	v_readfirstlane_b32 s34, v4
	s_mul_i32 s2, s2, s34
	s_mul_hi_u32 s2, s34, s2
	s_add_i32 s34, s34, s2
	s_mul_hi_u32 s2, s38, s34
	s_mul_i32 s2, s2, s77
	s_sub_i32 s2, s38, s2
	s_sub_i32 s34, s2, s77
	s_cmp_ge_u32 s2, s77
	s_cselect_b32 s2, s34, s2
	s_sub_i32 s34, s2, s77
	s_cmp_ge_u32 s2, s77
	s_cselect_b32 s94, s34, s2
	s_mov_b64 s[34:35], s[94:95]
.LBB110_144:                            ;   in Loop: Header=BB110_23 Depth=1
	s_sub_u32 s38, s38, s34
	s_subb_u32 s39, s3, s35
	v_cmp_gt_u64_e32 vcc, s[38:39], v[0:1]
	s_mov_b64 s[34:35], 0
	s_mov_b64 s[2:3], 0
                                        ; implicit-def: $vgpr36
	s_and_saveexec_b64 s[36:37], vcc
	s_cbranch_execz .LBB110_158
; %bb.145:                              ;   in Loop: Header=BB110_23 Depth=1
	v_mov_b32_e32 v5, v1
	v_mov_b32_e32 v10, v24
	;; [unrolled: 1-line block ×3, first 2 shown]
                                        ; implicit-def: $sgpr40_sgpr41
	s_branch .LBB110_148
.LBB110_146:                            ;   in Loop: Header=BB110_148 Depth=2
	s_or_b64 exec, exec, s[42:43]
	s_waitcnt lgkmcnt(0)
	s_barrier
	ds_read_b32 v11, v3 offset:3072
	s_mov_b64 s[42:43], -1
	s_waitcnt lgkmcnt(0)
	s_barrier
	v_cmp_ne_u32_sdwa s[44:45], v11, v3 src0_sel:WORD_0 src1_sel:DWORD
	s_and_b64 vcc, exec, s[44:45]
	s_mov_b64 s[44:45], -1
	s_cbranch_vccz .LBB110_151
.LBB110_147:                            ;   in Loop: Header=BB110_148 Depth=2
	s_and_b64 s[42:43], exec, s[42:43]
	s_or_b64 s[2:3], s[42:43], s[2:3]
	s_andn2_b64 s[40:41], s[40:41], exec
	s_and_b64 s[42:43], s[44:45], exec
	s_or_b64 s[40:41], s[40:41], s[42:43]
	s_andn2_b64 exec, exec, s[2:3]
	s_cbranch_execz .LBB110_157
.LBB110_148:                            ;   Parent Loop BB110_23 Depth=1
                                        ; =>  This Inner Loop Header: Depth=2
	v_cmp_gt_u64_e32 vcc, s[8:9], v[4:5]
	s_and_saveexec_b64 s[42:43], vcc
	s_cbranch_execz .LBB110_146
; %bb.149:                              ;   in Loop: Header=BB110_148 Depth=2
	ds_read_u16 v11, v10
	s_waitcnt lgkmcnt(0)
	v_add_u32_sdwa v19, sext(v11), s31 dst_sel:DWORD dst_unused:UNUSED_PAD src0_sel:WORD_0 src1_sel:DWORD
	v_and_b32_e32 v19, v19, v35
	v_cmp_eq_u32_e32 vcc, v19, v30
	s_and_b64 exec, exec, vcc
	s_cbranch_execz .LBB110_146
; %bb.150:                              ;   in Loop: Header=BB110_148 Depth=2
	v_perm_b32 v11, v11, 1, v34
	ds_write_b32 v3, v11 offset:3072
	s_branch .LBB110_146
.LBB110_151:                            ;   in Loop: Header=BB110_148 Depth=2
	v_add_co_u32_e32 v4, vcc, s77, v4
	v_addc_co_u32_e32 v5, vcc, 0, v5, vcc
	v_cmp_le_u64_e32 vcc, s[38:39], v[4:5]
	v_add_u32_e32 v10, s30, v10
	s_mov_b64 s[44:45], 0
	s_orn2_b64 s[42:43], vcc, exec
	s_branch .LBB110_147
.LBB110_152:                            ;   in Loop: Header=BB110_23 Depth=1
                                        ; implicit-def: $sgpr26_sgpr27
	s_branch .LBB110_100
.LBB110_153:                            ;   in Loop: Header=BB110_23 Depth=1
	s_or_b64 exec, exec, s[8:9]
	s_waitcnt lgkmcnt(0)
	s_barrier
	s_mov_b64 s[6:7], exec
	v_readlane_b32 s8, v49, 16
	v_readlane_b32 s9, v49, 17
	s_and_b64 s[8:9], s[6:7], s[8:9]
	s_mov_b64 exec, s[8:9]
	s_cbranch_execz .LBB110_155
; %bb.154:                              ;   in Loop: Header=BB110_23 Depth=1
	ds_read_b32 v4, v3 offset:5144
	s_waitcnt lgkmcnt(0)
	v_ashrrev_i32_e32 v5, 31, v4
	ds_write_b64 v3, v[4:5] offset:5120
.LBB110_155:                            ;   in Loop: Header=BB110_23 Depth=1
	s_or_b64 exec, exec, s[6:7]
	s_waitcnt lgkmcnt(0)
	s_barrier
	s_mov_b64 s[6:7], -1
	s_and_b64 vcc, exec, s[2:3]
	s_cbranch_vccnz .LBB110_38
	s_branch .LBB110_53
.LBB110_156:                            ;   in Loop: Header=BB110_23 Depth=1
                                        ; implicit-def: $sgpr2_sgpr3
	s_branch .LBB110_114
.LBB110_157:                            ;   in Loop: Header=BB110_23 Depth=1
	s_or_b64 exec, exec, s[2:3]
	v_lshrrev_b32_e32 v36, 16, v11
	s_and_b64 s[2:3], s[40:41], exec
.LBB110_158:                            ;   in Loop: Header=BB110_23 Depth=1
	s_or_b64 exec, exec, s[36:37]
.LBB110_159:                            ;   in Loop: Header=BB110_23 Depth=1
	s_and_b64 vcc, exec, s[34:35]
	s_cbranch_vccz .LBB110_173
; %bb.160:                              ;   in Loop: Header=BB110_23 Depth=1
	s_mov_b32 s68, s95
	s_cmp_lg_u64 s[68:69], 0
	s_cbranch_scc0 .LBB110_202
; %bb.161:                              ;   in Loop: Header=BB110_23 Depth=1
	v_cvt_f32_u32_e32 v4, s77
	s_sub_u32 s8, 0, s77
	s_subb_u32 s9, 0, 0
	v_mac_f32_e32 v4, 0, v33
	v_rcp_f32_e32 v4, v4
	v_mul_f32_e32 v4, 0x5f7ffffc, v4
	v_mul_f32_e32 v5, 0x2f800000, v4
	v_trunc_f32_e32 v5, v5
	v_mac_f32_e32 v4, 0xcf800000, v5
	v_cvt_u32_f32_e32 v5, v5
	v_cvt_u32_f32_e32 v4, v4
	v_readfirstlane_b32 s24, v5
	v_readfirstlane_b32 s6, v4
	s_mul_i32 s7, s8, s24
	s_mul_hi_u32 s34, s8, s6
	s_mul_i32 s25, s9, s6
	s_add_i32 s7, s34, s7
	s_mul_i32 s35, s8, s6
	s_add_i32 s7, s7, s25
	s_mul_hi_u32 s34, s6, s35
	s_mul_i32 s36, s6, s7
	s_mul_hi_u32 s25, s6, s7
	s_add_u32 s34, s34, s36
	s_addc_u32 s25, 0, s25
	s_mul_hi_u32 s37, s24, s35
	s_mul_i32 s35, s24, s35
	s_add_u32 s34, s34, s35
	s_mul_hi_u32 s36, s24, s7
	s_addc_u32 s25, s25, s37
	s_addc_u32 s34, s36, 0
	s_mul_i32 s7, s24, s7
	s_add_u32 s7, s25, s7
	s_addc_u32 s25, 0, s34
	s_add_u32 s34, s6, s7
	s_cselect_b64 s[6:7], -1, 0
	s_cmp_lg_u64 s[6:7], 0
	s_addc_u32 s24, s24, s25
	s_mul_i32 s6, s8, s24
	s_mul_hi_u32 s7, s8, s34
	s_add_i32 s6, s7, s6
	s_mul_i32 s9, s9, s34
	s_add_i32 s6, s6, s9
	s_mul_i32 s8, s8, s34
	s_mul_hi_u32 s9, s24, s8
	s_mul_i32 s25, s24, s8
	s_mul_i32 s36, s34, s6
	s_mul_hi_u32 s8, s34, s8
	s_mul_hi_u32 s35, s34, s6
	s_add_u32 s8, s8, s36
	s_addc_u32 s35, 0, s35
	s_add_u32 s8, s8, s25
	s_mul_hi_u32 s7, s24, s6
	s_addc_u32 s8, s35, s9
	s_addc_u32 s7, s7, 0
	s_mul_i32 s6, s24, s6
	s_add_u32 s6, s8, s6
	s_addc_u32 s8, 0, s7
	s_add_u32 s9, s34, s6
	s_cselect_b64 s[6:7], -1, 0
	s_cmp_lg_u64 s[6:7], 0
	s_addc_u32 s6, s24, s8
	s_mul_i32 s8, s0, s6
	s_mul_hi_u32 s24, s0, s9
	s_mul_hi_u32 s7, s0, s6
	s_add_u32 s8, s24, s8
	s_addc_u32 s7, 0, s7
	s_mul_hi_u32 s25, s69, s9
	s_mul_i32 s9, s69, s9
	s_add_u32 s8, s8, s9
	s_mul_hi_u32 s24, s69, s6
	s_addc_u32 s7, s7, s25
	s_addc_u32 s8, s24, 0
	s_mul_i32 s6, s69, s6
	s_add_u32 s6, s7, s6
	s_addc_u32 s7, 0, s8
	s_mul_i32 s7, s77, s7
	s_mul_hi_u32 s8, s77, s6
	s_add_i32 s8, s8, s7
	s_mul_i32 s6, s77, s6
	s_sub_u32 s9, s0, s6
	s_cselect_b64 s[6:7], -1, 0
	s_cmp_lg_u64 s[6:7], 0
	s_subb_u32 s8, s69, s8
	s_sub_u32 s24, s9, s77
	s_cselect_b64 s[6:7], -1, 0
	s_cmp_lg_u64 s[6:7], 0
	s_subb_u32 s25, s8, 0
	;; [unrolled: 4-line block ×3, first 2 shown]
	s_cmp_ge_u32 s24, s77
	s_cselect_b32 s7, -1, 0
	s_cmp_eq_u32 s25, 0
	s_cselect_b32 s7, s7, -1
	s_cmp_lg_u32 s7, 0
	s_cselect_b32 s6, s6, s25
	s_cselect_b32 s24, s34, s24
	s_cmp_ge_u32 s9, s77
	s_cselect_b32 s7, -1, 0
	s_cmp_eq_u32 s8, 0
	s_cselect_b32 s7, s7, -1
	s_cmp_lg_u32 s7, 0
	s_cselect_b32 s7, s6, s8
	s_cselect_b32 s6, s24, s9
	s_cbranch_execnz .LBB110_163
.LBB110_162:                            ;   in Loop: Header=BB110_23 Depth=1
	v_cvt_f32_u32_e32 v4, s77
	s_sub_i32 s6, 0, s77
	v_rcp_iflag_f32_e32 v4, v4
	v_mul_f32_e32 v4, 0x4f7ffffe, v4
	v_cvt_u32_f32_e32 v4, v4
	v_readfirstlane_b32 s7, v4
	s_mul_i32 s6, s6, s7
	s_mul_hi_u32 s6, s7, s6
	s_add_i32 s7, s7, s6
	s_mul_hi_u32 s6, s0, s7
	s_mul_i32 s6, s6, s77
	s_sub_i32 s6, s0, s6
	s_sub_i32 s7, s6, s77
	s_cmp_ge_u32 s6, s77
	s_cselect_b32 s6, s7, s6
	s_sub_i32 s7, s6, s77
	s_cmp_ge_u32 s6, s77
	s_cselect_b32 s94, s7, s6
	s_mov_b64 s[6:7], s[94:95]
.LBB110_163:                            ;   in Loop: Header=BB110_23 Depth=1
	s_sub_u32 s8, s0, s6
	s_subb_u32 s9, s69, s7
	v_cmp_gt_u64_e32 vcc, s[8:9], v[0:1]
                                        ; implicit-def: $vgpr36
	s_and_saveexec_b64 s[6:7], vcc
	s_cbranch_execz .LBB110_172
; %bb.164:                              ;   in Loop: Header=BB110_23 Depth=1
	v_mov_b32_e32 v5, v1
	s_mov_b64 s[24:25], 0
	v_mov_b32_e32 v4, v0
                                        ; implicit-def: $sgpr34_sgpr35
	s_branch .LBB110_167
.LBB110_165:                            ;   in Loop: Header=BB110_167 Depth=2
	s_or_b64 exec, exec, s[36:37]
	s_waitcnt lgkmcnt(0)
	s_barrier
	ds_read_b32 v10, v3 offset:3072
	s_mov_b64 s[36:37], -1
	s_waitcnt lgkmcnt(0)
	s_barrier
	v_cmp_eq_u32_sdwa s[38:39], v10, v3 src0_sel:WORD_0 src1_sel:DWORD
	s_and_b64 vcc, exec, s[38:39]
	s_mov_b64 s[38:39], -1
	s_cbranch_vccnz .LBB110_170
.LBB110_166:                            ;   in Loop: Header=BB110_167 Depth=2
	s_and_b64 s[36:37], exec, s[36:37]
	s_or_b64 s[24:25], s[36:37], s[24:25]
	s_andn2_b64 s[34:35], s[34:35], exec
	s_and_b64 s[36:37], s[38:39], exec
	s_or_b64 s[34:35], s[34:35], s[36:37]
	s_andn2_b64 exec, exec, s[24:25]
	s_cbranch_execz .LBB110_171
.LBB110_167:                            ;   Parent Loop BB110_23 Depth=1
                                        ; =>  This Inner Loop Header: Depth=2
	v_cmp_gt_u64_e32 vcc, s[56:57], v[4:5]
	s_and_saveexec_b64 s[36:37], vcc
	s_cbranch_execz .LBB110_165
; %bb.168:                              ;   in Loop: Header=BB110_167 Depth=2
	v_mul_lo_u32 v19, v5, s84
	v_mul_lo_u32 v20, v4, s85
	v_mad_u64_u32 v[10:11], s[38:39], v4, s84, 0
	v_add3_u32 v11, v11, v20, v19
	v_lshlrev_b64 v[10:11], 1, v[10:11]
	v_mov_b32_e32 v19, s76
	v_add_co_u32_e32 v10, vcc, s33, v10
	v_addc_co_u32_e32 v11, vcc, v19, v11, vcc
	global_load_ushort v10, v[10:11], off
	s_waitcnt vmcnt(0)
	v_add_u32_sdwa v11, sext(v10), s31 dst_sel:DWORD dst_unused:UNUSED_PAD src0_sel:WORD_0 src1_sel:DWORD
	v_and_b32_e32 v11, v11, v35
	v_cmp_eq_u32_e32 vcc, v11, v30
	s_and_b64 exec, exec, vcc
	s_cbranch_execz .LBB110_165
; %bb.169:                              ;   in Loop: Header=BB110_167 Depth=2
	v_perm_b32 v10, v10, 1, v34
	ds_write_b32 v3, v10 offset:3072
	s_branch .LBB110_165
.LBB110_170:                            ;   in Loop: Header=BB110_167 Depth=2
	v_add_co_u32_e32 v4, vcc, s77, v4
	v_addc_co_u32_e32 v5, vcc, 0, v5, vcc
	v_cmp_le_u64_e32 vcc, s[8:9], v[4:5]
	s_mov_b64 s[38:39], 0
	s_orn2_b64 s[36:37], vcc, exec
	s_branch .LBB110_166
.LBB110_171:                            ;   in Loop: Header=BB110_23 Depth=1
	s_or_b64 exec, exec, s[24:25]
	s_andn2_b64 s[2:3], s[2:3], exec
	s_and_b64 s[8:9], s[34:35], exec
	v_lshrrev_b32_e32 v36, 16, v10
	s_or_b64 s[2:3], s[2:3], s[8:9]
.LBB110_172:                            ;   in Loop: Header=BB110_23 Depth=1
	s_or_b64 exec, exec, s[6:7]
	s_mov_b64 s[6:7], 0
	s_mov_b64 s[24:25], -1
.LBB110_173:                            ;   in Loop: Header=BB110_23 Depth=1
	s_orn2_b64 s[2:3], s[2:3], exec
.LBB110_174:                            ;   in Loop: Header=BB110_23 Depth=1
	s_or_b64 exec, exec, s[26:27]
	s_mov_b64 s[8:9], 0
	s_and_saveexec_b64 s[26:27], s[2:3]
	s_cbranch_execz .LBB110_280
; %bb.175:                              ;   in Loop: Header=BB110_23 Depth=1
	v_mov_b32_e32 v4, 1
	s_xor_b64 s[28:29], s[28:29], -1
	v_mov_b32_e32 v2, 1
	v_mov_b32_e32 v5, 0
	s_and_saveexec_b64 s[2:3], s[28:29]
	s_cbranch_execz .LBB110_185
; %bb.176:                              ;   in Loop: Header=BB110_23 Depth=1
	v_cmp_le_u64_e32 vcc, v[8:9], v[6:7]
	s_and_saveexec_b64 s[8:9], vcc
	s_xor_b64 s[8:9], exec, s[8:9]
	s_cbranch_execz .LBB110_182
; %bb.177:                              ;   in Loop: Header=BB110_23 Depth=1
	ds_read_b64 v[4:5], v3 offset:5120
	v_and_b32_e32 v2, s54, v30
	v_lshl_or_b32 v30, 1, s86, v2
	v_or_b32_e32 v35, s64, v35
	s_waitcnt lgkmcnt(0)
	v_cmp_ne_u64_e32 vcc, 0, v[4:5]
	s_cbranch_vccnz .LBB110_181
; %bb.178:                              ;   in Loop: Header=BB110_23 Depth=1
	s_mov_b64 s[28:29], exec
	v_readlane_b32 s34, v49, 16
	v_readlane_b32 s35, v49, 17
	s_and_b64 s[34:35], s[28:29], s[34:35]
	s_mov_b64 exec, s[34:35]
; %bb.179:                              ;   in Loop: Header=BB110_23 Depth=1
	ds_write_b64 v3, v[6:7] offset:5128
; %bb.180:                              ;   in Loop: Header=BB110_23 Depth=1
	s_or_b64 exec, exec, s[28:29]
	s_waitcnt lgkmcnt(0)
	s_barrier
.LBB110_181:                            ;   in Loop: Header=BB110_23 Depth=1
                                        ; implicit-def: $vgpr4_vgpr5_vgpr6_vgpr7
.LBB110_182:                            ;   in Loop: Header=BB110_23 Depth=1
	s_or_saveexec_b64 s[8:9], s[8:9]
	s_mov_b64 s[28:29], 0
	v_mov_b32_e32 v2, 8
	s_xor_b64 exec, exec, s[8:9]
; %bb.183:                              ;   in Loop: Header=BB110_23 Depth=1
	v_sub_co_u32_e32 v8, vcc, v8, v6
	s_mov_b64 s[28:29], exec
	v_subb_co_u32_e32 v9, vcc, v9, v7, vcc
	v_mov_b32_e32 v2, 0
; %bb.184:                              ;   in Loop: Header=BB110_23 Depth=1
	s_or_b64 exec, exec, s[8:9]
	v_mov_b32_e32 v4, v8
	s_and_b64 s[8:9], s[28:29], exec
	v_mov_b32_e32 v5, v9
.LBB110_185:                            ;   in Loop: Header=BB110_23 Depth=1
	s_or_b64 exec, exec, s[2:3]
	s_mov_b64 s[2:3], -1
                                        ; implicit-def: $sgpr34_sgpr35
                                        ; implicit-def: $sgpr36_sgpr37
	s_and_saveexec_b64 s[28:29], s[8:9]
	s_cbranch_execz .LBB110_279
; %bb.186:                              ;   in Loop: Header=BB110_23 Depth=1
	s_cmp_eq_u64 s[22:23], 1
	v_cmp_eq_u64_e32 vcc, 1, v[4:5]
	s_cselect_b64 s[2:3], -1, 0
	s_and_b64 s[40:41], s[2:3], vcc
	s_mov_b64 s[2:3], -1
                                        ; implicit-def: $sgpr36_sgpr37
                                        ; implicit-def: $sgpr34_sgpr35
	s_and_saveexec_b64 s[38:39], s[40:41]
	s_cbranch_execz .LBB110_220
; %bb.187:                              ;   in Loop: Header=BB110_23 Depth=1
	ds_read_b64 v[6:7], v3 offset:5120
	s_waitcnt lgkmcnt(0)
	s_barrier
	v_readfirstlane_b32 s8, v6
	v_readfirstlane_b32 s9, v7
	s_mov_b64 s[2:3], exec
	v_readlane_b32 s34, v49, 38
	v_readlane_b32 s35, v49, 39
	s_and_b64 s[34:35], s[2:3], s[34:35]
	s_mov_b64 exec, s[34:35]
; %bb.188:                              ;   in Loop: Header=BB110_23 Depth=1
	ds_write_b16 v25, v3
; %bb.189:                              ;   in Loop: Header=BB110_23 Depth=1
	s_or_b64 exec, exec, s[2:3]
	v_and_b32_e32 v6, s54, v30
	v_lshl_or_b32 v30, 2, s86, v6
	v_or_b32_e32 v35, s64, v35
	s_mov_b64 s[34:35], -1
	s_mov_b64 s[36:37], 0
	s_cmp_eq_u64 s[8:9], 0
	s_mov_b64 s[2:3], 0
	s_mov_b64 s[42:43], -1
	s_waitcnt lgkmcnt(0)
	s_barrier
                                        ; implicit-def: $vgpr36
	s_cbranch_scc1 .LBB110_205
; %bb.190:                              ;   in Loop: Header=BB110_23 Depth=1
	v_readlane_b32 s2, v49, 44
	s_add_u32 s46, s8, s2
	v_readlane_b32 s2, v49, 45
	s_addc_u32 s3, s9, s2
	s_mov_b32 s2, s95
	s_cmp_lg_u64 s[2:3], 0
	s_cbranch_scc0 .LBB110_246
; %bb.191:                              ;   in Loop: Header=BB110_23 Depth=1
	v_cvt_f32_u32_e32 v6, s77
	s_sub_u32 s2, 0, s77
	s_subb_u32 s44, 0, 0
	v_mac_f32_e32 v6, 0, v33
	v_rcp_f32_e32 v6, v6
	v_mul_f32_e32 v6, 0x5f7ffffc, v6
	v_mul_f32_e32 v7, 0x2f800000, v6
	v_trunc_f32_e32 v7, v7
	v_mac_f32_e32 v6, 0xcf800000, v7
	v_cvt_u32_f32_e32 v7, v7
	v_cvt_u32_f32_e32 v6, v6
	v_readfirstlane_b32 s45, v7
	v_readfirstlane_b32 s42, v6
	s_mul_i32 s43, s2, s45
	s_mul_hi_u32 s48, s2, s42
	s_mul_i32 s47, s44, s42
	s_add_i32 s43, s48, s43
	s_mul_i32 s49, s2, s42
	s_add_i32 s43, s43, s47
	s_mul_hi_u32 s48, s42, s49
	s_mul_i32 s50, s42, s43
	s_mul_hi_u32 s47, s42, s43
	s_add_u32 s48, s48, s50
	s_addc_u32 s47, 0, s47
	s_mul_hi_u32 s51, s45, s49
	s_mul_i32 s49, s45, s49
	s_add_u32 s48, s48, s49
	s_mul_hi_u32 s50, s45, s43
	s_addc_u32 s47, s47, s51
	s_addc_u32 s48, s50, 0
	s_mul_i32 s43, s45, s43
	s_add_u32 s43, s47, s43
	s_addc_u32 s47, 0, s48
	s_add_u32 s48, s42, s43
	s_cselect_b64 s[42:43], -1, 0
	s_cmp_lg_u64 s[42:43], 0
	s_addc_u32 s45, s45, s47
	s_mul_i32 s42, s2, s45
	s_mul_hi_u32 s43, s2, s48
	s_add_i32 s42, s43, s42
	s_mul_i32 s44, s44, s48
	s_add_i32 s42, s42, s44
	s_mul_i32 s2, s2, s48
	s_mul_hi_u32 s44, s45, s2
	s_mul_i32 s47, s45, s2
	s_mul_i32 s50, s48, s42
	s_mul_hi_u32 s2, s48, s2
	s_mul_hi_u32 s49, s48, s42
	s_add_u32 s2, s2, s50
	s_addc_u32 s49, 0, s49
	s_add_u32 s2, s2, s47
	s_mul_hi_u32 s43, s45, s42
	s_addc_u32 s2, s49, s44
	s_addc_u32 s43, s43, 0
	s_mul_i32 s42, s45, s42
	s_add_u32 s2, s2, s42
	s_addc_u32 s44, 0, s43
	s_add_u32 s2, s48, s2
	s_cselect_b64 s[42:43], -1, 0
	s_cmp_lg_u64 s[42:43], 0
	s_addc_u32 s42, s45, s44
	s_mul_i32 s44, s46, s42
	s_mul_hi_u32 s45, s46, s2
	s_mul_hi_u32 s43, s46, s42
	s_add_u32 s44, s45, s44
	s_addc_u32 s43, 0, s43
	s_mul_hi_u32 s47, s3, s2
	s_mul_i32 s2, s3, s2
	s_add_u32 s2, s44, s2
	s_mul_hi_u32 s45, s3, s42
	s_addc_u32 s2, s43, s47
	s_addc_u32 s43, s45, 0
	s_mul_i32 s42, s3, s42
	s_add_u32 s2, s2, s42
	s_addc_u32 s42, 0, s43
	s_mul_i32 s42, s77, s42
	s_mul_hi_u32 s43, s77, s2
	s_add_i32 s44, s43, s42
	s_mul_i32 s2, s77, s2
	s_sub_u32 s2, s46, s2
	s_cselect_b64 s[42:43], -1, 0
	s_cmp_lg_u64 s[42:43], 0
	s_subb_u32 s44, s3, s44
	s_sub_u32 s45, s2, s77
	s_cselect_b64 s[42:43], -1, 0
	s_cmp_lg_u64 s[42:43], 0
	s_subb_u32 s47, s44, 0
	;; [unrolled: 4-line block ×3, first 2 shown]
	s_cmp_ge_u32 s45, s77
	s_cselect_b32 s43, -1, 0
	s_cmp_eq_u32 s47, 0
	s_cselect_b32 s43, s43, -1
	s_cmp_lg_u32 s43, 0
	s_cselect_b32 s42, s42, s47
	s_cselect_b32 s45, s48, s45
	s_cmp_ge_u32 s2, s77
	s_cselect_b32 s43, -1, 0
	s_cmp_eq_u32 s44, 0
	s_cselect_b32 s43, s43, -1
	s_cmp_lg_u32 s43, 0
	s_cselect_b32 s43, s42, s44
	s_cselect_b32 s42, s45, s2
	s_cbranch_execnz .LBB110_193
.LBB110_192:                            ;   in Loop: Header=BB110_23 Depth=1
	v_cvt_f32_u32_e32 v6, s77
	s_sub_i32 s2, 0, s77
	v_rcp_iflag_f32_e32 v6, v6
	v_mul_f32_e32 v6, 0x4f7ffffe, v6
	v_cvt_u32_f32_e32 v6, v6
	v_readfirstlane_b32 s42, v6
	s_mul_i32 s2, s2, s42
	s_mul_hi_u32 s2, s42, s2
	s_add_i32 s42, s42, s2
	s_mul_hi_u32 s2, s46, s42
	s_mul_i32 s2, s2, s77
	s_sub_i32 s2, s46, s2
	s_sub_i32 s42, s2, s77
	s_cmp_ge_u32 s2, s77
	s_cselect_b32 s2, s42, s2
	s_sub_i32 s42, s2, s77
	s_cmp_ge_u32 s2, s77
	s_cselect_b32 s94, s42, s2
	s_mov_b64 s[42:43], s[94:95]
.LBB110_193:                            ;   in Loop: Header=BB110_23 Depth=1
	s_sub_u32 s46, s46, s42
	s_subb_u32 s47, s3, s43
	v_cmp_gt_u64_e32 vcc, s[46:47], v[0:1]
	s_mov_b64 s[42:43], 0
	s_mov_b64 s[2:3], 0
                                        ; implicit-def: $vgpr36
	s_and_saveexec_b64 s[44:45], vcc
	s_cbranch_execz .LBB110_204
; %bb.194:                              ;   in Loop: Header=BB110_23 Depth=1
	v_mov_b32_e32 v7, v1
	v_mov_b32_e32 v8, v24
	;; [unrolled: 1-line block ×3, first 2 shown]
                                        ; implicit-def: $sgpr48_sgpr49
	s_branch .LBB110_197
.LBB110_195:                            ;   in Loop: Header=BB110_197 Depth=2
	s_or_b64 exec, exec, s[50:51]
	s_waitcnt lgkmcnt(0)
	s_barrier
	ds_read_b32 v9, v3 offset:3072
	s_mov_b64 s[50:51], -1
	s_waitcnt lgkmcnt(0)
	s_barrier
	v_cmp_ne_u32_sdwa s[52:53], v9, v3 src0_sel:WORD_0 src1_sel:DWORD
	s_and_b64 vcc, exec, s[52:53]
	s_mov_b64 s[52:53], -1
	s_cbranch_vccz .LBB110_200
.LBB110_196:                            ;   in Loop: Header=BB110_197 Depth=2
	s_and_b64 s[50:51], exec, s[50:51]
	s_or_b64 s[2:3], s[50:51], s[2:3]
	s_andn2_b64 s[48:49], s[48:49], exec
	s_and_b64 s[50:51], s[52:53], exec
	s_or_b64 s[48:49], s[48:49], s[50:51]
	s_andn2_b64 exec, exec, s[2:3]
	s_cbranch_execz .LBB110_203
.LBB110_197:                            ;   Parent Loop BB110_23 Depth=1
                                        ; =>  This Inner Loop Header: Depth=2
	v_cmp_gt_u64_e32 vcc, s[8:9], v[6:7]
	s_and_saveexec_b64 s[50:51], vcc
	s_cbranch_execz .LBB110_195
; %bb.198:                              ;   in Loop: Header=BB110_197 Depth=2
	ds_read_u16 v9, v8
	s_waitcnt lgkmcnt(0)
	v_add_u32_sdwa v10, sext(v9), s31 dst_sel:DWORD dst_unused:UNUSED_PAD src0_sel:WORD_0 src1_sel:DWORD
	v_and_b32_e32 v10, v10, v35
	v_cmp_eq_u32_e32 vcc, v10, v30
	s_and_b64 exec, exec, vcc
	s_cbranch_execz .LBB110_195
; %bb.199:                              ;   in Loop: Header=BB110_197 Depth=2
	v_perm_b32 v9, v9, 1, v34
	ds_write_b32 v3, v9 offset:3072
	s_branch .LBB110_195
.LBB110_200:                            ;   in Loop: Header=BB110_197 Depth=2
	v_add_co_u32_e32 v6, vcc, s77, v6
	v_addc_co_u32_e32 v7, vcc, 0, v7, vcc
	v_cmp_le_u64_e32 vcc, s[46:47], v[6:7]
	v_add_u32_e32 v8, s30, v8
	s_mov_b64 s[52:53], 0
	s_orn2_b64 s[50:51], vcc, exec
	s_branch .LBB110_196
.LBB110_201:                            ;   in Loop: Header=BB110_23 Depth=1
                                        ; implicit-def: $sgpr34_sgpr35
	s_branch .LBB110_143
.LBB110_202:                            ;   in Loop: Header=BB110_23 Depth=1
                                        ; implicit-def: $sgpr6_sgpr7
	s_branch .LBB110_162
.LBB110_203:                            ;   in Loop: Header=BB110_23 Depth=1
	s_or_b64 exec, exec, s[2:3]
	v_lshrrev_b32_e32 v36, 16, v9
	s_and_b64 s[2:3], s[48:49], exec
.LBB110_204:                            ;   in Loop: Header=BB110_23 Depth=1
	s_or_b64 exec, exec, s[44:45]
.LBB110_205:                            ;   in Loop: Header=BB110_23 Depth=1
	s_and_b64 vcc, exec, s[42:43]
	s_cbranch_vccz .LBB110_219
; %bb.206:                              ;   in Loop: Header=BB110_23 Depth=1
	s_mov_b32 s68, s95
	s_cmp_lg_u64 s[68:69], 0
	s_cbranch_scc0 .LBB110_247
; %bb.207:                              ;   in Loop: Header=BB110_23 Depth=1
	v_cvt_f32_u32_e32 v6, s77
	s_sub_u32 s34, 0, s77
	s_subb_u32 s35, 0, 0
	v_mac_f32_e32 v6, 0, v33
	v_rcp_f32_e32 v6, v6
	v_mul_f32_e32 v6, 0x5f7ffffc, v6
	v_mul_f32_e32 v7, 0x2f800000, v6
	v_trunc_f32_e32 v7, v7
	v_mac_f32_e32 v6, 0xcf800000, v7
	v_cvt_u32_f32_e32 v7, v7
	v_cvt_u32_f32_e32 v6, v6
	v_readfirstlane_b32 s36, v7
	v_readfirstlane_b32 s8, v6
	s_mul_i32 s9, s34, s36
	s_mul_hi_u32 s42, s34, s8
	s_mul_i32 s37, s35, s8
	s_add_i32 s9, s42, s9
	s_mul_i32 s43, s34, s8
	s_add_i32 s9, s9, s37
	s_mul_hi_u32 s42, s8, s43
	s_mul_i32 s44, s8, s9
	s_mul_hi_u32 s37, s8, s9
	s_add_u32 s42, s42, s44
	s_addc_u32 s37, 0, s37
	s_mul_hi_u32 s45, s36, s43
	s_mul_i32 s43, s36, s43
	s_add_u32 s42, s42, s43
	s_mul_hi_u32 s44, s36, s9
	s_addc_u32 s37, s37, s45
	s_addc_u32 s42, s44, 0
	s_mul_i32 s9, s36, s9
	s_add_u32 s9, s37, s9
	s_addc_u32 s37, 0, s42
	s_add_u32 s42, s8, s9
	s_cselect_b64 s[8:9], -1, 0
	s_cmp_lg_u64 s[8:9], 0
	s_addc_u32 s36, s36, s37
	s_mul_i32 s8, s34, s36
	s_mul_hi_u32 s9, s34, s42
	s_add_i32 s8, s9, s8
	s_mul_i32 s35, s35, s42
	s_add_i32 s8, s8, s35
	s_mul_i32 s34, s34, s42
	s_mul_hi_u32 s35, s36, s34
	s_mul_i32 s37, s36, s34
	s_mul_i32 s44, s42, s8
	s_mul_hi_u32 s34, s42, s34
	s_mul_hi_u32 s43, s42, s8
	s_add_u32 s34, s34, s44
	s_addc_u32 s43, 0, s43
	s_add_u32 s34, s34, s37
	s_mul_hi_u32 s9, s36, s8
	s_addc_u32 s34, s43, s35
	s_addc_u32 s9, s9, 0
	s_mul_i32 s8, s36, s8
	s_add_u32 s8, s34, s8
	s_addc_u32 s34, 0, s9
	s_add_u32 s35, s42, s8
	s_cselect_b64 s[8:9], -1, 0
	s_cmp_lg_u64 s[8:9], 0
	s_addc_u32 s8, s36, s34
	s_mul_i32 s34, s0, s8
	s_mul_hi_u32 s36, s0, s35
	s_mul_hi_u32 s9, s0, s8
	s_add_u32 s34, s36, s34
	s_addc_u32 s9, 0, s9
	s_mul_hi_u32 s37, s69, s35
	s_mul_i32 s35, s69, s35
	s_add_u32 s34, s34, s35
	s_mul_hi_u32 s36, s69, s8
	s_addc_u32 s9, s9, s37
	s_addc_u32 s34, s36, 0
	s_mul_i32 s8, s69, s8
	s_add_u32 s8, s9, s8
	s_addc_u32 s9, 0, s34
	s_mul_i32 s9, s77, s9
	s_mul_hi_u32 s34, s77, s8
	s_add_i32 s34, s34, s9
	s_mul_i32 s8, s77, s8
	s_sub_u32 s35, s0, s8
	s_cselect_b64 s[8:9], -1, 0
	s_cmp_lg_u64 s[8:9], 0
	s_subb_u32 s34, s69, s34
	s_sub_u32 s36, s35, s77
	s_cselect_b64 s[8:9], -1, 0
	s_cmp_lg_u64 s[8:9], 0
	s_subb_u32 s37, s34, 0
	;; [unrolled: 4-line block ×3, first 2 shown]
	s_cmp_ge_u32 s36, s77
	s_cselect_b32 s9, -1, 0
	s_cmp_eq_u32 s37, 0
	s_cselect_b32 s9, s9, -1
	s_cmp_lg_u32 s9, 0
	s_cselect_b32 s8, s8, s37
	s_cselect_b32 s36, s42, s36
	s_cmp_ge_u32 s35, s77
	s_cselect_b32 s9, -1, 0
	s_cmp_eq_u32 s34, 0
	s_cselect_b32 s9, s9, -1
	s_cmp_lg_u32 s9, 0
	s_cselect_b32 s9, s8, s34
	s_cselect_b32 s8, s36, s35
	s_cbranch_execnz .LBB110_209
.LBB110_208:                            ;   in Loop: Header=BB110_23 Depth=1
	v_cvt_f32_u32_e32 v6, s77
	s_sub_i32 s8, 0, s77
	v_rcp_iflag_f32_e32 v6, v6
	v_mul_f32_e32 v6, 0x4f7ffffe, v6
	v_cvt_u32_f32_e32 v6, v6
	v_readfirstlane_b32 s9, v6
	s_mul_i32 s8, s8, s9
	s_mul_hi_u32 s8, s9, s8
	s_add_i32 s9, s9, s8
	s_mul_hi_u32 s8, s0, s9
	s_mul_i32 s8, s8, s77
	s_sub_i32 s8, s0, s8
	s_sub_i32 s9, s8, s77
	s_cmp_ge_u32 s8, s77
	s_cselect_b32 s8, s9, s8
	s_sub_i32 s9, s8, s77
	s_cmp_ge_u32 s8, s77
	s_cselect_b32 s94, s9, s8
	s_mov_b64 s[8:9], s[94:95]
.LBB110_209:                            ;   in Loop: Header=BB110_23 Depth=1
	s_sub_u32 s34, s0, s8
	s_subb_u32 s35, s69, s9
	v_cmp_gt_u64_e32 vcc, s[34:35], v[0:1]
                                        ; implicit-def: $vgpr36
	s_and_saveexec_b64 s[8:9], vcc
	s_cbranch_execz .LBB110_218
; %bb.210:                              ;   in Loop: Header=BB110_23 Depth=1
	v_mov_b32_e32 v7, v1
	s_mov_b64 s[36:37], 0
	v_mov_b32_e32 v6, v0
                                        ; implicit-def: $sgpr42_sgpr43
	s_branch .LBB110_213
.LBB110_211:                            ;   in Loop: Header=BB110_213 Depth=2
	s_or_b64 exec, exec, s[44:45]
	s_waitcnt lgkmcnt(0)
	s_barrier
	ds_read_b32 v8, v3 offset:3072
	s_mov_b64 s[44:45], -1
	s_waitcnt lgkmcnt(0)
	s_barrier
	v_cmp_eq_u32_sdwa s[46:47], v8, v3 src0_sel:WORD_0 src1_sel:DWORD
	s_and_b64 vcc, exec, s[46:47]
	s_mov_b64 s[46:47], -1
	s_cbranch_vccnz .LBB110_216
.LBB110_212:                            ;   in Loop: Header=BB110_213 Depth=2
	s_and_b64 s[44:45], exec, s[44:45]
	s_or_b64 s[36:37], s[44:45], s[36:37]
	s_andn2_b64 s[42:43], s[42:43], exec
	s_and_b64 s[44:45], s[46:47], exec
	s_or_b64 s[42:43], s[42:43], s[44:45]
	s_andn2_b64 exec, exec, s[36:37]
	s_cbranch_execz .LBB110_217
.LBB110_213:                            ;   Parent Loop BB110_23 Depth=1
                                        ; =>  This Inner Loop Header: Depth=2
	v_cmp_gt_u64_e32 vcc, s[56:57], v[6:7]
	s_and_saveexec_b64 s[44:45], vcc
	s_cbranch_execz .LBB110_211
; %bb.214:                              ;   in Loop: Header=BB110_213 Depth=2
	v_mul_lo_u32 v10, v7, s84
	v_mul_lo_u32 v11, v6, s85
	v_mad_u64_u32 v[8:9], s[46:47], v6, s84, 0
	v_add3_u32 v9, v9, v11, v10
	v_lshlrev_b64 v[8:9], 1, v[8:9]
	v_mov_b32_e32 v10, s76
	v_add_co_u32_e32 v8, vcc, s33, v8
	v_addc_co_u32_e32 v9, vcc, v10, v9, vcc
	global_load_ushort v8, v[8:9], off
	s_waitcnt vmcnt(0)
	v_add_u32_sdwa v9, sext(v8), s31 dst_sel:DWORD dst_unused:UNUSED_PAD src0_sel:WORD_0 src1_sel:DWORD
	v_and_b32_e32 v9, v9, v35
	v_cmp_eq_u32_e32 vcc, v9, v30
	s_and_b64 exec, exec, vcc
	s_cbranch_execz .LBB110_211
; %bb.215:                              ;   in Loop: Header=BB110_213 Depth=2
	v_perm_b32 v8, v8, 1, v34
	ds_write_b32 v3, v8 offset:3072
	s_branch .LBB110_211
.LBB110_216:                            ;   in Loop: Header=BB110_213 Depth=2
	v_add_co_u32_e32 v6, vcc, s77, v6
	v_addc_co_u32_e32 v7, vcc, 0, v7, vcc
	v_cmp_le_u64_e32 vcc, s[34:35], v[6:7]
	s_mov_b64 s[46:47], 0
	s_orn2_b64 s[44:45], vcc, exec
	s_branch .LBB110_212
.LBB110_217:                            ;   in Loop: Header=BB110_23 Depth=1
	s_or_b64 exec, exec, s[36:37]
	s_andn2_b64 s[2:3], s[2:3], exec
	s_and_b64 s[34:35], s[42:43], exec
	v_lshrrev_b32_e32 v36, 16, v8
	s_or_b64 s[2:3], s[2:3], s[34:35]
.LBB110_218:                            ;   in Loop: Header=BB110_23 Depth=1
	s_or_b64 exec, exec, s[8:9]
	s_mov_b64 s[34:35], 0
	s_mov_b64 s[36:37], -1
.LBB110_219:                            ;   in Loop: Header=BB110_23 Depth=1
	s_orn2_b64 s[2:3], s[2:3], exec
.LBB110_220:                            ;   in Loop: Header=BB110_23 Depth=1
	s_or_b64 exec, exec, s[38:39]
	s_mov_b64 s[8:9], 0
	s_and_saveexec_b64 s[38:39], s[2:3]
	s_cbranch_execz .LBB110_278
; %bb.221:                              ;   in Loop: Header=BB110_23 Depth=1
	v_mov_b32_e32 v6, 1
	s_xor_b64 s[40:41], s[40:41], -1
	v_mov_b32_e32 v2, 1
	v_mov_b32_e32 v7, 0
	s_and_saveexec_b64 s[2:3], s[40:41]
	s_cbranch_execz .LBB110_230
; %bb.222:                              ;   in Loop: Header=BB110_23 Depth=1
	v_cmp_ge_u64_e32 vcc, s[22:23], v[4:5]
	s_and_saveexec_b64 s[8:9], vcc
	s_xor_b64 s[8:9], exec, s[8:9]
	s_cbranch_execz .LBB110_227
; %bb.223:                              ;   in Loop: Header=BB110_23 Depth=1
	ds_read_b64 v[6:7], v3 offset:5120
	v_and_b32_e32 v2, s54, v30
	v_lshl_or_b32 v30, 2, s86, v2
	v_or_b32_e32 v35, s64, v35
	s_waitcnt lgkmcnt(0)
	v_cmp_ne_u64_e32 vcc, 0, v[6:7]
	s_cbranch_vccnz .LBB110_227
; %bb.224:                              ;   in Loop: Header=BB110_23 Depth=1
	s_mov_b64 s[40:41], exec
	v_readlane_b32 s42, v49, 16
	v_readlane_b32 s43, v49, 17
	s_and_b64 s[42:43], s[40:41], s[42:43]
	s_mov_b64 exec, s[42:43]
; %bb.225:                              ;   in Loop: Header=BB110_23 Depth=1
	v_mov_b32_e32 v6, s22
	v_mov_b32_e32 v7, s23
	ds_write_b64 v3, v[6:7] offset:5128
; %bb.226:                              ;   in Loop: Header=BB110_23 Depth=1
	s_or_b64 exec, exec, s[40:41]
	s_waitcnt lgkmcnt(0)
	s_barrier
.LBB110_227:                            ;   in Loop: Header=BB110_23 Depth=1
	s_or_saveexec_b64 s[8:9], s[8:9]
	s_mov_b64 s[40:41], 0
	v_mov_b32_e32 v2, 8
	s_xor_b64 exec, exec, s[8:9]
; %bb.228:                              ;   in Loop: Header=BB110_23 Depth=1
	v_mov_b32_e32 v2, s23
	v_subrev_co_u32_e32 v4, vcc, s22, v4
	s_mov_b64 s[40:41], exec
	v_subb_co_u32_e32 v5, vcc, v5, v2, vcc
	v_mov_b32_e32 v2, 0
; %bb.229:                              ;   in Loop: Header=BB110_23 Depth=1
	s_or_b64 exec, exec, s[8:9]
	v_mov_b32_e32 v7, v5
	s_and_b64 s[8:9], s[40:41], exec
	v_mov_b32_e32 v6, v4
.LBB110_230:                            ;   in Loop: Header=BB110_23 Depth=1
	s_or_b64 exec, exec, s[2:3]
	s_mov_b64 s[2:3], -1
                                        ; implicit-def: $sgpr46_sgpr47
                                        ; implicit-def: $sgpr44_sgpr45
	s_and_saveexec_b64 s[22:23], s[8:9]
	s_cbranch_execz .LBB110_277
; %bb.231:                              ;   in Loop: Header=BB110_23 Depth=1
	s_cmp_eq_u64 s[14:15], 1
	v_cmp_eq_u64_e32 vcc, 1, v[6:7]
	s_cselect_b64 s[2:3], -1, 0
	s_and_b64 s[40:41], s[2:3], vcc
	s_mov_b64 s[8:9], -1
                                        ; implicit-def: $sgpr46_sgpr47
                                        ; implicit-def: $sgpr44_sgpr45
	s_and_saveexec_b64 s[42:43], s[40:41]
	s_cbranch_execz .LBB110_265
; %bb.232:                              ;   in Loop: Header=BB110_23 Depth=1
	ds_read_b64 v[4:5], v3 offset:5120
	s_waitcnt lgkmcnt(0)
	s_barrier
	v_readfirstlane_b32 s8, v4
	v_readfirstlane_b32 s9, v5
	s_mov_b64 s[2:3], exec
	v_readlane_b32 s44, v49, 38
	v_readlane_b32 s45, v49, 39
	s_and_b64 s[44:45], s[2:3], s[44:45]
	s_mov_b64 exec, s[44:45]
; %bb.233:                              ;   in Loop: Header=BB110_23 Depth=1
	ds_write_b16 v25, v3
; %bb.234:                              ;   in Loop: Header=BB110_23 Depth=1
	s_or_b64 exec, exec, s[2:3]
	v_or_b32_e32 v30, s64, v30
	v_or_b32_e32 v35, s64, v35
	s_mov_b64 s[44:45], -1
	s_mov_b64 s[46:47], 0
	s_cmp_eq_u64 s[8:9], 0
	s_mov_b64 s[2:3], 0
	s_mov_b64 s[48:49], -1
	s_waitcnt lgkmcnt(0)
	s_barrier
                                        ; implicit-def: $vgpr36
	s_cbranch_scc1 .LBB110_250
; %bb.235:                              ;   in Loop: Header=BB110_23 Depth=1
	v_readlane_b32 s2, v49, 44
	s_add_u32 s52, s8, s2
	v_readlane_b32 s2, v49, 45
	s_addc_u32 s3, s9, s2
	s_mov_b32 s2, s95
	s_cmp_lg_u64 s[2:3], 0
	s_cbranch_scc0 .LBB110_284
; %bb.236:                              ;   in Loop: Header=BB110_23 Depth=1
	v_cvt_f32_u32_e32 v4, s77
	s_sub_u32 s2, 0, s77
	s_subb_u32 s50, 0, 0
	v_mac_f32_e32 v4, 0, v33
	v_rcp_f32_e32 v4, v4
	v_mul_f32_e32 v4, 0x5f7ffffc, v4
	v_mul_f32_e32 v5, 0x2f800000, v4
	v_trunc_f32_e32 v5, v5
	v_mac_f32_e32 v4, 0xcf800000, v5
	v_cvt_u32_f32_e32 v5, v5
	v_cvt_u32_f32_e32 v4, v4
	v_readfirstlane_b32 s51, v5
	v_readfirstlane_b32 s48, v4
	s_mul_i32 s49, s2, s51
	s_mul_hi_u32 s54, s2, s48
	s_mul_i32 s53, s50, s48
	s_add_i32 s49, s54, s49
	s_mul_i32 s55, s2, s48
	s_add_i32 s49, s49, s53
	s_mul_hi_u32 s54, s48, s55
	s_mul_i32 s60, s48, s49
	s_mul_hi_u32 s53, s48, s49
	s_add_u32 s54, s54, s60
	s_addc_u32 s53, 0, s53
	s_mul_hi_u32 s61, s51, s55
	s_mul_i32 s55, s51, s55
	s_add_u32 s54, s54, s55
	s_mul_hi_u32 s60, s51, s49
	s_addc_u32 s53, s53, s61
	s_addc_u32 s54, s60, 0
	s_mul_i32 s49, s51, s49
	s_add_u32 s49, s53, s49
	s_addc_u32 s53, 0, s54
	s_add_u32 s54, s48, s49
	s_cselect_b64 s[48:49], -1, 0
	s_cmp_lg_u64 s[48:49], 0
	s_addc_u32 s51, s51, s53
	s_mul_i32 s48, s2, s51
	s_mul_hi_u32 s49, s2, s54
	s_add_i32 s48, s49, s48
	s_mul_i32 s50, s50, s54
	s_add_i32 s48, s48, s50
	s_mul_i32 s2, s2, s54
	s_mul_hi_u32 s50, s51, s2
	s_mul_i32 s53, s51, s2
	s_mul_i32 s60, s54, s48
	s_mul_hi_u32 s2, s54, s2
	s_mul_hi_u32 s55, s54, s48
	s_add_u32 s2, s2, s60
	s_addc_u32 s55, 0, s55
	s_add_u32 s2, s2, s53
	s_mul_hi_u32 s49, s51, s48
	s_addc_u32 s2, s55, s50
	s_addc_u32 s49, s49, 0
	s_mul_i32 s48, s51, s48
	s_add_u32 s2, s2, s48
	s_addc_u32 s50, 0, s49
	s_add_u32 s2, s54, s2
	s_cselect_b64 s[48:49], -1, 0
	s_cmp_lg_u64 s[48:49], 0
	s_addc_u32 s48, s51, s50
	s_mul_i32 s50, s52, s48
	s_mul_hi_u32 s51, s52, s2
	s_mul_hi_u32 s49, s52, s48
	s_add_u32 s50, s51, s50
	s_addc_u32 s49, 0, s49
	s_mul_hi_u32 s53, s3, s2
	s_mul_i32 s2, s3, s2
	s_add_u32 s2, s50, s2
	s_mul_hi_u32 s51, s3, s48
	s_addc_u32 s2, s49, s53
	s_addc_u32 s49, s51, 0
	s_mul_i32 s48, s3, s48
	s_add_u32 s2, s2, s48
	s_addc_u32 s48, 0, s49
	s_mul_i32 s48, s77, s48
	s_mul_hi_u32 s49, s77, s2
	s_add_i32 s50, s49, s48
	s_mul_i32 s2, s77, s2
	s_sub_u32 s2, s52, s2
	s_cselect_b64 s[48:49], -1, 0
	s_cmp_lg_u64 s[48:49], 0
	s_subb_u32 s50, s3, s50
	s_sub_u32 s51, s2, s77
	s_cselect_b64 s[48:49], -1, 0
	s_cmp_lg_u64 s[48:49], 0
	s_subb_u32 s53, s50, 0
	;; [unrolled: 4-line block ×3, first 2 shown]
	s_cmp_ge_u32 s51, s77
	s_cselect_b32 s49, -1, 0
	s_cmp_eq_u32 s53, 0
	s_cselect_b32 s49, s49, -1
	s_cmp_lg_u32 s49, 0
	s_cselect_b32 s48, s48, s53
	s_cselect_b32 s51, s54, s51
	s_cmp_ge_u32 s2, s77
	s_cselect_b32 s49, -1, 0
	s_cmp_eq_u32 s50, 0
	s_cselect_b32 s49, s49, -1
	s_cmp_lg_u32 s49, 0
	s_cselect_b32 s49, s48, s50
	s_cselect_b32 s48, s51, s2
	s_cbranch_execnz .LBB110_238
.LBB110_237:                            ;   in Loop: Header=BB110_23 Depth=1
	v_cvt_f32_u32_e32 v4, s77
	s_sub_i32 s2, 0, s77
	v_rcp_iflag_f32_e32 v4, v4
	v_mul_f32_e32 v4, 0x4f7ffffe, v4
	v_cvt_u32_f32_e32 v4, v4
	v_readfirstlane_b32 s48, v4
	s_mul_i32 s2, s2, s48
	s_mul_hi_u32 s2, s48, s2
	s_add_i32 s48, s48, s2
	s_mul_hi_u32 s2, s52, s48
	s_mul_i32 s2, s2, s77
	s_sub_i32 s2, s52, s2
	s_sub_i32 s48, s2, s77
	s_cmp_ge_u32 s2, s77
	s_cselect_b32 s2, s48, s2
	s_sub_i32 s48, s2, s77
	s_cmp_ge_u32 s2, s77
	s_cselect_b32 s94, s48, s2
	s_mov_b64 s[48:49], s[94:95]
.LBB110_238:                            ;   in Loop: Header=BB110_23 Depth=1
	s_sub_u32 s52, s52, s48
	s_subb_u32 s53, s3, s49
	v_cmp_gt_u64_e32 vcc, s[52:53], v[0:1]
	s_mov_b64 s[48:49], 0
	s_mov_b64 s[2:3], 0
                                        ; implicit-def: $vgpr36
	s_and_saveexec_b64 s[50:51], vcc
	s_cbranch_execz .LBB110_249
; %bb.239:                              ;   in Loop: Header=BB110_23 Depth=1
	v_mov_b32_e32 v5, v1
	v_mov_b32_e32 v8, v24
	;; [unrolled: 1-line block ×3, first 2 shown]
                                        ; implicit-def: $sgpr54_sgpr55
	s_branch .LBB110_242
.LBB110_240:                            ;   in Loop: Header=BB110_242 Depth=2
	s_or_b64 exec, exec, s[60:61]
	s_waitcnt lgkmcnt(0)
	s_barrier
	ds_read_b32 v9, v3 offset:3072
	s_mov_b64 s[60:61], -1
	s_waitcnt lgkmcnt(0)
	s_barrier
	v_cmp_ne_u32_sdwa s[62:63], v9, v3 src0_sel:WORD_0 src1_sel:DWORD
	s_and_b64 vcc, exec, s[62:63]
	s_mov_b64 s[62:63], -1
	s_cbranch_vccz .LBB110_245
.LBB110_241:                            ;   in Loop: Header=BB110_242 Depth=2
	s_and_b64 s[60:61], exec, s[60:61]
	s_or_b64 s[2:3], s[60:61], s[2:3]
	s_andn2_b64 s[54:55], s[54:55], exec
	s_and_b64 s[60:61], s[62:63], exec
	s_or_b64 s[54:55], s[54:55], s[60:61]
	s_andn2_b64 exec, exec, s[2:3]
	s_cbranch_execz .LBB110_248
.LBB110_242:                            ;   Parent Loop BB110_23 Depth=1
                                        ; =>  This Inner Loop Header: Depth=2
	v_cmp_gt_u64_e32 vcc, s[8:9], v[4:5]
	s_and_saveexec_b64 s[60:61], vcc
	s_cbranch_execz .LBB110_240
; %bb.243:                              ;   in Loop: Header=BB110_242 Depth=2
	ds_read_u16 v9, v8
	s_waitcnt lgkmcnt(0)
	v_add_u32_sdwa v10, sext(v9), s31 dst_sel:DWORD dst_unused:UNUSED_PAD src0_sel:WORD_0 src1_sel:DWORD
	v_and_b32_e32 v10, v10, v35
	v_cmp_eq_u32_e32 vcc, v10, v30
	s_and_b64 exec, exec, vcc
	s_cbranch_execz .LBB110_240
; %bb.244:                              ;   in Loop: Header=BB110_242 Depth=2
	v_perm_b32 v9, v9, 1, v34
	ds_write_b32 v3, v9 offset:3072
	s_branch .LBB110_240
.LBB110_245:                            ;   in Loop: Header=BB110_242 Depth=2
	v_add_co_u32_e32 v4, vcc, s77, v4
	v_addc_co_u32_e32 v5, vcc, 0, v5, vcc
	v_cmp_le_u64_e32 vcc, s[52:53], v[4:5]
	v_add_u32_e32 v8, s30, v8
	s_mov_b64 s[62:63], 0
	s_orn2_b64 s[60:61], vcc, exec
	s_branch .LBB110_241
.LBB110_246:                            ;   in Loop: Header=BB110_23 Depth=1
                                        ; implicit-def: $sgpr42_sgpr43
	s_branch .LBB110_192
.LBB110_247:                            ;   in Loop: Header=BB110_23 Depth=1
                                        ; implicit-def: $sgpr8_sgpr9
	s_branch .LBB110_208
.LBB110_248:                            ;   in Loop: Header=BB110_23 Depth=1
	s_or_b64 exec, exec, s[2:3]
	v_lshrrev_b32_e32 v36, 16, v9
	s_and_b64 s[2:3], s[54:55], exec
.LBB110_249:                            ;   in Loop: Header=BB110_23 Depth=1
	s_or_b64 exec, exec, s[50:51]
.LBB110_250:                            ;   in Loop: Header=BB110_23 Depth=1
	s_and_b64 vcc, exec, s[48:49]
	s_cbranch_vccz .LBB110_264
; %bb.251:                              ;   in Loop: Header=BB110_23 Depth=1
	s_mov_b32 s68, s95
	s_cmp_lg_u64 s[68:69], 0
	s_cbranch_scc0 .LBB110_285
; %bb.252:                              ;   in Loop: Header=BB110_23 Depth=1
	v_cvt_f32_u32_e32 v4, s77
	s_sub_u32 s44, 0, s77
	s_subb_u32 s45, 0, 0
	v_mac_f32_e32 v4, 0, v33
	v_rcp_f32_e32 v4, v4
	v_mul_f32_e32 v4, 0x5f7ffffc, v4
	v_mul_f32_e32 v5, 0x2f800000, v4
	v_trunc_f32_e32 v5, v5
	v_mac_f32_e32 v4, 0xcf800000, v5
	v_cvt_u32_f32_e32 v5, v5
	v_cvt_u32_f32_e32 v4, v4
	v_readfirstlane_b32 s46, v5
	v_readfirstlane_b32 s8, v4
	s_mul_i32 s9, s44, s46
	s_mul_hi_u32 s48, s44, s8
	s_mul_i32 s47, s45, s8
	s_add_i32 s9, s48, s9
	s_mul_i32 s49, s44, s8
	s_add_i32 s9, s9, s47
	s_mul_hi_u32 s48, s8, s49
	s_mul_i32 s50, s8, s9
	s_mul_hi_u32 s47, s8, s9
	s_add_u32 s48, s48, s50
	s_addc_u32 s47, 0, s47
	s_mul_hi_u32 s51, s46, s49
	s_mul_i32 s49, s46, s49
	s_add_u32 s48, s48, s49
	s_mul_hi_u32 s50, s46, s9
	s_addc_u32 s47, s47, s51
	s_addc_u32 s48, s50, 0
	s_mul_i32 s9, s46, s9
	s_add_u32 s9, s47, s9
	s_addc_u32 s47, 0, s48
	s_add_u32 s48, s8, s9
	s_cselect_b64 s[8:9], -1, 0
	s_cmp_lg_u64 s[8:9], 0
	s_addc_u32 s46, s46, s47
	s_mul_i32 s8, s44, s46
	s_mul_hi_u32 s9, s44, s48
	s_add_i32 s8, s9, s8
	s_mul_i32 s45, s45, s48
	s_add_i32 s8, s8, s45
	s_mul_i32 s44, s44, s48
	s_mul_hi_u32 s45, s46, s44
	s_mul_i32 s47, s46, s44
	s_mul_i32 s50, s48, s8
	s_mul_hi_u32 s44, s48, s44
	s_mul_hi_u32 s49, s48, s8
	s_add_u32 s44, s44, s50
	s_addc_u32 s49, 0, s49
	s_add_u32 s44, s44, s47
	s_mul_hi_u32 s9, s46, s8
	s_addc_u32 s44, s49, s45
	s_addc_u32 s9, s9, 0
	s_mul_i32 s8, s46, s8
	s_add_u32 s8, s44, s8
	s_addc_u32 s44, 0, s9
	s_add_u32 s45, s48, s8
	s_cselect_b64 s[8:9], -1, 0
	s_cmp_lg_u64 s[8:9], 0
	s_addc_u32 s8, s46, s44
	s_mul_i32 s44, s0, s8
	s_mul_hi_u32 s46, s0, s45
	s_mul_hi_u32 s9, s0, s8
	s_add_u32 s44, s46, s44
	s_addc_u32 s9, 0, s9
	s_mul_hi_u32 s47, s69, s45
	s_mul_i32 s45, s69, s45
	s_add_u32 s44, s44, s45
	s_mul_hi_u32 s46, s69, s8
	s_addc_u32 s9, s9, s47
	s_addc_u32 s44, s46, 0
	s_mul_i32 s8, s69, s8
	s_add_u32 s8, s9, s8
	s_addc_u32 s9, 0, s44
	s_mul_i32 s9, s77, s9
	s_mul_hi_u32 s44, s77, s8
	s_add_i32 s44, s44, s9
	s_mul_i32 s8, s77, s8
	s_sub_u32 s45, s0, s8
	s_cselect_b64 s[8:9], -1, 0
	s_cmp_lg_u64 s[8:9], 0
	s_subb_u32 s44, s69, s44
	s_sub_u32 s46, s45, s77
	s_cselect_b64 s[8:9], -1, 0
	s_cmp_lg_u64 s[8:9], 0
	s_subb_u32 s47, s44, 0
	;; [unrolled: 4-line block ×3, first 2 shown]
	s_cmp_ge_u32 s46, s77
	s_cselect_b32 s9, -1, 0
	s_cmp_eq_u32 s47, 0
	s_cselect_b32 s9, s9, -1
	s_cmp_lg_u32 s9, 0
	s_cselect_b32 s8, s8, s47
	s_cselect_b32 s46, s48, s46
	s_cmp_ge_u32 s45, s77
	s_cselect_b32 s9, -1, 0
	s_cmp_eq_u32 s44, 0
	s_cselect_b32 s9, s9, -1
	s_cmp_lg_u32 s9, 0
	s_cselect_b32 s9, s8, s44
	s_cselect_b32 s8, s46, s45
	s_cbranch_execnz .LBB110_254
.LBB110_253:                            ;   in Loop: Header=BB110_23 Depth=1
	v_cvt_f32_u32_e32 v4, s77
	s_sub_i32 s8, 0, s77
	v_rcp_iflag_f32_e32 v4, v4
	v_mul_f32_e32 v4, 0x4f7ffffe, v4
	v_cvt_u32_f32_e32 v4, v4
	v_readfirstlane_b32 s9, v4
	s_mul_i32 s8, s8, s9
	s_mul_hi_u32 s8, s9, s8
	s_add_i32 s9, s9, s8
	s_mul_hi_u32 s8, s0, s9
	s_mul_i32 s8, s8, s77
	s_sub_i32 s8, s0, s8
	s_sub_i32 s9, s8, s77
	s_cmp_ge_u32 s8, s77
	s_cselect_b32 s8, s9, s8
	s_sub_i32 s9, s8, s77
	s_cmp_ge_u32 s8, s77
	s_cselect_b32 s94, s9, s8
	s_mov_b64 s[8:9], s[94:95]
.LBB110_254:                            ;   in Loop: Header=BB110_23 Depth=1
	s_sub_u32 s44, s0, s8
	s_subb_u32 s45, s69, s9
	v_cmp_gt_u64_e32 vcc, s[44:45], v[0:1]
                                        ; implicit-def: $vgpr36
	s_and_saveexec_b64 s[8:9], vcc
	s_cbranch_execz .LBB110_263
; %bb.255:                              ;   in Loop: Header=BB110_23 Depth=1
	v_mov_b32_e32 v5, v1
	s_mov_b64 s[46:47], 0
	v_mov_b32_e32 v4, v0
                                        ; implicit-def: $sgpr48_sgpr49
	s_branch .LBB110_258
.LBB110_256:                            ;   in Loop: Header=BB110_258 Depth=2
	s_or_b64 exec, exec, s[50:51]
	s_waitcnt lgkmcnt(0)
	s_barrier
	ds_read_b32 v8, v3 offset:3072
	s_mov_b64 s[50:51], -1
	s_waitcnt lgkmcnt(0)
	s_barrier
	v_cmp_eq_u32_sdwa s[52:53], v8, v3 src0_sel:WORD_0 src1_sel:DWORD
	s_and_b64 vcc, exec, s[52:53]
	s_mov_b64 s[52:53], -1
	s_cbranch_vccnz .LBB110_261
.LBB110_257:                            ;   in Loop: Header=BB110_258 Depth=2
	s_and_b64 s[50:51], exec, s[50:51]
	s_or_b64 s[46:47], s[50:51], s[46:47]
	s_andn2_b64 s[48:49], s[48:49], exec
	s_and_b64 s[50:51], s[52:53], exec
	s_or_b64 s[48:49], s[48:49], s[50:51]
	s_andn2_b64 exec, exec, s[46:47]
	s_cbranch_execz .LBB110_262
.LBB110_258:                            ;   Parent Loop BB110_23 Depth=1
                                        ; =>  This Inner Loop Header: Depth=2
	v_cmp_gt_u64_e32 vcc, s[56:57], v[4:5]
	s_and_saveexec_b64 s[50:51], vcc
	s_cbranch_execz .LBB110_256
; %bb.259:                              ;   in Loop: Header=BB110_258 Depth=2
	v_mul_lo_u32 v10, v5, s84
	v_mul_lo_u32 v11, v4, s85
	v_mad_u64_u32 v[8:9], s[52:53], v4, s84, 0
	v_add3_u32 v9, v9, v11, v10
	v_lshlrev_b64 v[8:9], 1, v[8:9]
	v_mov_b32_e32 v10, s76
	v_add_co_u32_e32 v8, vcc, s33, v8
	v_addc_co_u32_e32 v9, vcc, v10, v9, vcc
	global_load_ushort v8, v[8:9], off
	s_waitcnt vmcnt(0)
	v_add_u32_sdwa v9, sext(v8), s31 dst_sel:DWORD dst_unused:UNUSED_PAD src0_sel:WORD_0 src1_sel:DWORD
	v_and_b32_e32 v9, v9, v35
	v_cmp_eq_u32_e32 vcc, v9, v30
	s_and_b64 exec, exec, vcc
	s_cbranch_execz .LBB110_256
; %bb.260:                              ;   in Loop: Header=BB110_258 Depth=2
	v_perm_b32 v8, v8, 1, v34
	ds_write_b32 v3, v8 offset:3072
	s_branch .LBB110_256
.LBB110_261:                            ;   in Loop: Header=BB110_258 Depth=2
	v_add_co_u32_e32 v4, vcc, s77, v4
	v_addc_co_u32_e32 v5, vcc, 0, v5, vcc
	v_cmp_le_u64_e32 vcc, s[44:45], v[4:5]
	s_mov_b64 s[52:53], 0
	s_orn2_b64 s[50:51], vcc, exec
	s_branch .LBB110_257
.LBB110_262:                            ;   in Loop: Header=BB110_23 Depth=1
	s_or_b64 exec, exec, s[46:47]
	s_andn2_b64 s[2:3], s[2:3], exec
	s_and_b64 s[44:45], s[48:49], exec
	v_lshrrev_b32_e32 v36, 16, v8
	s_or_b64 s[2:3], s[2:3], s[44:45]
.LBB110_263:                            ;   in Loop: Header=BB110_23 Depth=1
	s_or_b64 exec, exec, s[8:9]
	s_mov_b64 s[44:45], 0
	s_mov_b64 s[46:47], -1
.LBB110_264:                            ;   in Loop: Header=BB110_23 Depth=1
	s_orn2_b64 s[8:9], s[2:3], exec
.LBB110_265:                            ;   in Loop: Header=BB110_23 Depth=1
	s_or_b64 exec, exec, s[42:43]
	s_mov_b64 s[42:43], 0
	s_and_saveexec_b64 s[2:3], s[8:9]
	s_cbranch_execz .LBB110_276
; %bb.266:                              ;   in Loop: Header=BB110_23 Depth=1
	v_mov_b32_e32 v4, 1
	s_xor_b64 s[40:41], s[40:41], -1
	v_mov_b32_e32 v5, 0
	v_mov_b32_e32 v2, 1
	s_and_saveexec_b64 s[8:9], s[40:41]
	s_cbranch_execz .LBB110_275
; %bb.267:                              ;   in Loop: Header=BB110_23 Depth=1
	v_cmp_ge_u64_e32 vcc, s[14:15], v[6:7]
	s_and_saveexec_b64 s[40:41], vcc
	s_xor_b64 s[40:41], exec, s[40:41]
	s_cbranch_execz .LBB110_272
; %bb.268:                              ;   in Loop: Header=BB110_23 Depth=1
	ds_read_b64 v[4:5], v3 offset:5120
	v_or_b32_e32 v30, s64, v30
	v_or_b32_e32 v35, s64, v35
	s_waitcnt lgkmcnt(0)
	v_cmp_ne_u64_e32 vcc, 0, v[4:5]
	s_cbranch_vccnz .LBB110_272
; %bb.269:                              ;   in Loop: Header=BB110_23 Depth=1
	s_mov_b64 s[42:43], exec
	v_readlane_b32 s48, v49, 16
	v_readlane_b32 s49, v49, 17
	s_and_b64 s[48:49], s[42:43], s[48:49]
	s_mov_b64 exec, s[48:49]
; %bb.270:                              ;   in Loop: Header=BB110_23 Depth=1
	v_mov_b32_e32 v4, s14
	v_mov_b32_e32 v5, s15
	ds_write_b64 v3, v[4:5] offset:5128
; %bb.271:                              ;   in Loop: Header=BB110_23 Depth=1
	s_or_b64 exec, exec, s[42:43]
	s_waitcnt lgkmcnt(0)
	s_barrier
.LBB110_272:                            ;   in Loop: Header=BB110_23 Depth=1
	s_andn2_saveexec_b64 s[40:41], s[40:41]
; %bb.273:                              ;   in Loop: Header=BB110_23 Depth=1
	v_mov_b32_e32 v2, s15
	v_subrev_co_u32_e32 v6, vcc, s14, v6
	v_subb_co_u32_e32 v7, vcc, v7, v2, vcc
; %bb.274:                              ;   in Loop: Header=BB110_23 Depth=1
	s_or_b64 exec, exec, s[40:41]
	v_mov_b32_e32 v4, v6
	v_mov_b32_e32 v2, 8
	;; [unrolled: 1-line block ×3, first 2 shown]
.LBB110_275:                            ;   in Loop: Header=BB110_23 Depth=1
	s_or_b64 exec, exec, s[8:9]
	v_mov_b32_e32 v7, v5
	s_mov_b64 s[42:43], exec
	v_mov_b32_e32 v6, v4
.LBB110_276:                            ;   in Loop: Header=BB110_23 Depth=1
	s_or_b64 exec, exec, s[2:3]
	s_orn2_b64 s[2:3], s[42:43], exec
.LBB110_277:                            ;   in Loop: Header=BB110_23 Depth=1
	s_or_b64 exec, exec, s[22:23]
	s_andn2_b64 s[8:9], s[36:37], exec
	s_and_b64 s[14:15], s[46:47], exec
	s_or_b64 s[36:37], s[8:9], s[14:15]
	s_andn2_b64 s[8:9], s[34:35], exec
	s_and_b64 s[14:15], s[44:45], exec
	v_mov_b32_e32 v4, v6
	s_or_b64 s[34:35], s[8:9], s[14:15]
	s_and_b64 s[8:9], s[2:3], exec
	v_mov_b32_e32 v5, v7
.LBB110_278:                            ;   in Loop: Header=BB110_23 Depth=1
	s_or_b64 exec, exec, s[38:39]
	s_orn2_b64 s[2:3], s[8:9], exec
.LBB110_279:                            ;   in Loop: Header=BB110_23 Depth=1
	s_or_b64 exec, exec, s[28:29]
	s_andn2_b64 s[8:9], s[24:25], exec
	s_and_b64 s[14:15], s[36:37], exec
	s_or_b64 s[24:25], s[8:9], s[14:15]
	s_andn2_b64 s[6:7], s[6:7], exec
	s_and_b64 s[8:9], s[34:35], exec
	v_mov_b32_e32 v9, v5
	s_or_b64 s[6:7], s[6:7], s[8:9]
	s_and_b64 s[8:9], s[2:3], exec
	v_mov_b32_e32 v8, v4
.LBB110_280:                            ;   in Loop: Header=BB110_23 Depth=1
	s_or_b64 exec, exec, s[26:27]
	s_orn2_b64 s[2:3], s[8:9], exec
.LBB110_281:                            ;   in Loop: Header=BB110_23 Depth=1
	s_or_b64 exec, exec, s[20:21]
	s_mov_b64 s[8:9], 0
	s_and_saveexec_b64 s[14:15], s[2:3]
	s_xor_b64 s[2:3], exec, s[14:15]
	s_cbranch_execz .LBB110_21
; %bb.282:                              ;   in Loop: Header=BB110_23 Depth=1
	v_and_b32_e32 v2, 7, v2
	v_cmp_eq_u32_e32 vcc, 0, v2
	s_mov_b64 s[14:15], -1
	s_mov_b64 s[8:9], -1
	s_and_saveexec_b64 s[18:19], vcc
	s_cbranch_execz .LBB110_20
; %bb.283:                              ;   in Loop: Header=BB110_23 Depth=1
	s_xor_b32 s88, s88, 1
	s_add_i32 s20, s86, -2
	s_cmp_eq_u32 s86, 0
	s_cselect_b64 s[14:15], -1, 0
	s_xor_b64 s[8:9], exec, -1
	s_orn2_b64 s[14:15], s[14:15], exec
	s_mov_b32 s86, s20
	s_branch .LBB110_20
.LBB110_284:                            ;   in Loop: Header=BB110_23 Depth=1
                                        ; implicit-def: $sgpr48_sgpr49
	s_branch .LBB110_237
.LBB110_285:                            ;   in Loop: Header=BB110_23 Depth=1
                                        ; implicit-def: $sgpr8_sgpr9
	s_branch .LBB110_253
.LBB110_286:
	s_or_b64 exec, exec, s[12:13]
	s_xor_b64 s[6:7], s[72:73], -1
	s_xor_b64 s[0:1], s[90:91], -1
	;; [unrolled: 1-line block ×3, first 2 shown]
	s_mov_b64 s[2:3], 0
	s_and_saveexec_b64 s[8:9], s[0:1]
	s_xor_b64 s[0:1], exec, s[8:9]
	s_cbranch_execnz .LBB110_291
; %bb.287:
	s_andn2_saveexec_b64 s[0:1], s[0:1]
	s_cbranch_execnz .LBB110_304
.LBB110_288:
	s_or_b64 exec, exec, s[0:1]
	s_and_saveexec_b64 s[0:1], s[2:3]
.LBB110_289:
	; divergent unreachable
.LBB110_290:
	s_endpgm
.LBB110_291:
	s_and_saveexec_b64 s[2:3], s[6:7]
	s_xor_b64 s[2:3], exec, s[2:3]
	s_cbranch_execz .LBB110_302
; %bb.292:
	s_and_saveexec_b64 s[6:7], s[4:5]
	s_xor_b64 s[4:5], exec, s[6:7]
; %bb.293:
	v_xor_b32_e32 v36, 0xffff8000, v30
; %bb.294:
	s_or_b64 exec, exec, s[4:5]
	v_readlane_b32 s8, v49, 8
	v_readlane_b32 s4, v49, 4
	v_readlane_b32 s9, v49, 9
	v_readlane_b32 s5, v49, 5
	s_mov_b32 s14, s4
	s_mul_i32 s4, s4, s9
	s_mul_hi_u32 s5, s14, s8
	s_add_i32 s5, s5, s4
	s_mul_i32 s4, s14, s8
	v_readlane_b32 s12, v49, 6
	v_readlane_b32 s16, v49, 26
	v_readlane_b32 s13, v49, 7
	s_sub_u32 s4, s12, s4
	v_readlane_b32 s18, v49, 28
	v_readlane_b32 s19, v49, 29
	s_subb_u32 s5, s13, s5
	s_mul_i32 s6, s4, s19
	s_mul_hi_u32 s7, s4, s18
	v_readlane_b32 s10, v49, 10
	v_readlane_b32 s11, v49, 11
	;; [unrolled: 1-line block ×3, first 2 shown]
	s_add_i32 s6, s7, s6
	s_mul_i32 s5, s5, s18
	s_add_i32 s5, s6, s5
	s_mul_i32 s6, s14, s17
	s_mul_hi_u32 s7, s14, s16
	s_mul_i32 s8, s12, s11
	s_mul_hi_u32 s9, s12, s10
	s_mul_i32 s4, s4, s18
	s_add_i32 s7, s7, s6
	s_add_i32 s9, s9, s8
	s_mul_i32 s8, s12, s10
	v_readlane_b32 s18, v49, 34
	v_readlane_b32 s12, v49, 24
	s_sub_u32 s8, s18, s8
	v_readlane_b32 s13, v49, 25
	s_subb_u32 s9, 0, s9
	s_mul_i32 s10, s8, s13
	s_mul_hi_u32 s11, s8, s12
	s_mul_i32 s6, s14, s16
	s_add_i32 s10, s11, s10
	s_mul_i32 s9, s9, s12
	s_add_i32 s9, s10, s9
	s_lshl_b64 s[6:7], s[6:7], 1
	v_readlane_b32 s10, v49, 32
	v_readlane_b32 s11, v49, 33
	s_add_u32 s6, s10, s6
	s_addc_u32 s7, s11, s7
	s_lshl_b64 s[4:5], s[4:5], 1
	s_mul_i32 s8, s8, s12
	s_add_u32 s6, s6, s4
	s_addc_u32 s7, s7, s5
	s_lshl_b64 s[4:5], s[8:9], 1
	s_add_u32 s4, s6, s4
	s_addc_u32 s5, s7, s5
	v_mov_b32_e32 v2, 0
	v_readlane_b32 s19, v49, 35
	global_store_short v2, v36, s[4:5]
	s_mov_b64 s[4:5], exec
	v_readlane_b32 s6, v49, 36
	v_readlane_b32 s7, v49, 37
	s_and_b64 s[6:7], s[4:5], s[6:7]
	s_mov_b64 exec, s[6:7]
	s_cbranch_execz .LBB110_301
; %bb.295:
	s_mov_b64 s[6:7], 0
	v_mov_b32_e32 v4, s76
                                        ; implicit-def: $sgpr8_sgpr9
                                        ; implicit-def: $sgpr12_sgpr13
                                        ; implicit-def: $sgpr10_sgpr11
	s_branch .LBB110_297
.LBB110_296:                            ;   in Loop: Header=BB110_297 Depth=1
	s_or_b64 exec, exec, s[14:15]
	s_and_b64 s[14:15], exec, s[12:13]
	s_or_b64 s[6:7], s[14:15], s[6:7]
	s_andn2_b64 s[8:9], s[8:9], exec
	s_and_b64 s[14:15], s[10:11], exec
	s_or_b64 s[8:9], s[8:9], s[14:15]
	s_andn2_b64 exec, exec, s[6:7]
	s_cbranch_execz .LBB110_299
.LBB110_297:                            ; =>This Inner Loop Header: Depth=1
	v_mov_b32_e32 v3, v1
	v_mov_b32_e32 v2, v0
	v_mul_lo_u32 v5, v3, s84
	v_mul_lo_u32 v6, v2, s85
	v_mad_u64_u32 v[0:1], s[14:15], v2, s84, 0
	s_or_b64 s[10:11], s[10:11], exec
	s_or_b64 s[12:13], s[12:13], exec
	v_add3_u32 v1, v1, v6, v5
	v_lshlrev_b64 v[0:1], 1, v[0:1]
	v_add_co_u32_e32 v0, vcc, s33, v0
	v_addc_co_u32_e32 v1, vcc, v4, v1, vcc
	global_load_ushort v0, v[0:1], off
	s_waitcnt vmcnt(0)
	v_cmp_ne_u16_e32 vcc, v0, v36
                                        ; implicit-def: $vgpr0_vgpr1
	s_and_saveexec_b64 s[14:15], vcc
	s_cbranch_execz .LBB110_296
; %bb.298:                              ;   in Loop: Header=BB110_297 Depth=1
	v_add_co_u32_e32 v0, vcc, s77, v2
	v_addc_co_u32_e32 v1, vcc, 0, v3, vcc
	v_cmp_le_u64_e32 vcc, s[56:57], v[0:1]
	s_andn2_b64 s[12:13], s[12:13], exec
	s_and_b64 s[16:17], vcc, exec
	s_andn2_b64 s[10:11], s[10:11], exec
	s_or_b64 s[12:13], s[12:13], s[16:17]
	s_branch .LBB110_296
.LBB110_299:
	s_or_b64 exec, exec, s[6:7]
	s_and_saveexec_b64 s[6:7], s[8:9]
	s_xor_b64 s[6:7], exec, s[6:7]
	s_cbranch_execz .LBB110_301
; %bb.300:
	v_readlane_b32 s12, v49, 0
	v_readlane_b32 s6, v49, 14
	;; [unrolled: 1-line block ×4, first 2 shown]
	s_mov_b32 s10, s6
	s_mul_i32 s6, s6, s13
	s_mul_hi_u32 s7, s10, s12
	s_add_i32 s7, s7, s6
	s_mul_i32 s6, s10, s12
	v_readlane_b32 s12, v49, 12
	v_readlane_b32 s20, v49, 20
	;; [unrolled: 1-line block ×3, first 2 shown]
	s_sub_u32 s6, s12, s6
	v_readlane_b32 s22, v49, 22
	v_readlane_b32 s23, v49, 23
	s_subb_u32 s7, s13, s7
	s_mul_i32 s8, s6, s23
	s_mul_hi_u32 s9, s6, s22
	v_readlane_b32 s21, v49, 21
	s_add_i32 s8, s9, s8
	s_mul_i32 s7, s7, s22
	v_readlane_b32 s14, v49, 2
	v_readlane_b32 s15, v49, 3
	s_add_i32 s7, s8, s7
	s_mul_i32 s8, s10, s21
	s_mul_hi_u32 s9, s10, s20
	s_add_i32 s9, s9, s8
	s_mul_i32 s8, s10, s20
	s_mul_i32 s10, s12, s15
	s_mul_hi_u32 s11, s12, s14
	s_add_i32 s11, s11, s10
	s_mul_i32 s10, s12, s14
	v_readlane_b32 s14, v49, 18
	s_sub_u32 s10, s18, s10
	v_readlane_b32 s15, v49, 19
	s_subb_u32 s11, 0, s11
	s_mul_i32 s12, s10, s15
	s_mul_hi_u32 s13, s10, s14
	s_add_i32 s12, s13, s12
	s_mul_i32 s11, s11, s14
	s_add_i32 s11, s12, s11
	s_lshl_b64 s[8:9], s[8:9], 3
	v_readlane_b32 s12, v49, 30
	s_mul_i32 s6, s6, s22
	v_readlane_b32 s13, v49, 31
	s_add_u32 s8, s12, s8
	s_addc_u32 s9, s13, s9
	s_lshl_b64 s[6:7], s[6:7], 3
	s_mul_i32 s10, s10, s14
	s_add_u32 s8, s8, s6
	s_addc_u32 s9, s9, s7
	s_lshl_b64 s[6:7], s[10:11], 3
	s_add_u32 s6, s8, s6
	s_addc_u32 s7, s9, s7
	v_mov_b32_e32 v0, 0
	global_store_dwordx2 v0, v[2:3], s[6:7]
.LBB110_301:
	s_or_b64 exec, exec, s[4:5]
.LBB110_302:
	s_or_saveexec_b64 s[2:3], s[2:3]
	s_mov_b64 s[4:5], 0
	s_xor_b64 exec, exec, s[2:3]
	s_cbranch_execnz .LBB110_305
.LBB110_303:
	s_or_b64 exec, exec, s[2:3]
	s_and_b64 s[2:3], s[4:5], exec
	s_andn2_saveexec_b64 s[0:1], s[0:1]
	s_cbranch_execz .LBB110_288
.LBB110_304:
	s_or_b64 s[2:3], s[2:3], exec
	s_trap 2
	s_or_b64 exec, exec, s[0:1]
	s_and_saveexec_b64 s[0:1], s[2:3]
	s_cbranch_execnz .LBB110_289
	s_branch .LBB110_290
.LBB110_305:
	s_mov_b64 s[4:5], exec
	s_trap 2
	s_branch .LBB110_303
	.section	.rodata,"a",@progbits
	.p2align	6, 0x0
	.amdhsa_kernel _ZN2at6native12_GLOBAL__N_112gatherMedianIsmLi3EEEvNS_4cuda6detail10TensorInfoIT_T0_EENS5_IlS7_EENS5_IKS6_S7_EES7_S7_S7_b
		.amdhsa_group_segment_fixed_size 5152
		.amdhsa_private_segment_fixed_size 0
		.amdhsa_kernarg_size 1536
		.amdhsa_user_sgpr_count 6
		.amdhsa_user_sgpr_private_segment_buffer 1
		.amdhsa_user_sgpr_dispatch_ptr 0
		.amdhsa_user_sgpr_queue_ptr 0
		.amdhsa_user_sgpr_kernarg_segment_ptr 1
		.amdhsa_user_sgpr_dispatch_id 0
		.amdhsa_user_sgpr_flat_scratch_init 0
		.amdhsa_user_sgpr_private_segment_size 0
		.amdhsa_uses_dynamic_stack 0
		.amdhsa_system_sgpr_private_segment_wavefront_offset 0
		.amdhsa_system_sgpr_workgroup_id_x 1
		.amdhsa_system_sgpr_workgroup_id_y 1
		.amdhsa_system_sgpr_workgroup_id_z 1
		.amdhsa_system_sgpr_workgroup_info 0
		.amdhsa_system_vgpr_workitem_id 0
		.amdhsa_next_free_vgpr 50
		.amdhsa_next_free_sgpr 96
		.amdhsa_reserve_vcc 1
		.amdhsa_reserve_flat_scratch 0
		.amdhsa_float_round_mode_32 0
		.amdhsa_float_round_mode_16_64 0
		.amdhsa_float_denorm_mode_32 3
		.amdhsa_float_denorm_mode_16_64 3
		.amdhsa_dx10_clamp 1
		.amdhsa_ieee_mode 1
		.amdhsa_fp16_overflow 0
		.amdhsa_exception_fp_ieee_invalid_op 0
		.amdhsa_exception_fp_denorm_src 0
		.amdhsa_exception_fp_ieee_div_zero 0
		.amdhsa_exception_fp_ieee_overflow 0
		.amdhsa_exception_fp_ieee_underflow 0
		.amdhsa_exception_fp_ieee_inexact 0
		.amdhsa_exception_int_div_zero 0
	.end_amdhsa_kernel
	.section	.text._ZN2at6native12_GLOBAL__N_112gatherMedianIsmLi3EEEvNS_4cuda6detail10TensorInfoIT_T0_EENS5_IlS7_EENS5_IKS6_S7_EES7_S7_S7_b,"axG",@progbits,_ZN2at6native12_GLOBAL__N_112gatherMedianIsmLi3EEEvNS_4cuda6detail10TensorInfoIT_T0_EENS5_IlS7_EENS5_IKS6_S7_EES7_S7_S7_b,comdat
.Lfunc_end110:
	.size	_ZN2at6native12_GLOBAL__N_112gatherMedianIsmLi3EEEvNS_4cuda6detail10TensorInfoIT_T0_EENS5_IlS7_EENS5_IKS6_S7_EES7_S7_S7_b, .Lfunc_end110-_ZN2at6native12_GLOBAL__N_112gatherMedianIsmLi3EEEvNS_4cuda6detail10TensorInfoIT_T0_EENS5_IlS7_EENS5_IKS6_S7_EES7_S7_S7_b
                                        ; -- End function
	.set _ZN2at6native12_GLOBAL__N_112gatherMedianIsmLi3EEEvNS_4cuda6detail10TensorInfoIT_T0_EENS5_IlS7_EENS5_IKS6_S7_EES7_S7_S7_b.num_vgpr, 50
	.set _ZN2at6native12_GLOBAL__N_112gatherMedianIsmLi3EEEvNS_4cuda6detail10TensorInfoIT_T0_EENS5_IlS7_EENS5_IKS6_S7_EES7_S7_S7_b.num_agpr, 0
	.set _ZN2at6native12_GLOBAL__N_112gatherMedianIsmLi3EEEvNS_4cuda6detail10TensorInfoIT_T0_EENS5_IlS7_EENS5_IKS6_S7_EES7_S7_S7_b.numbered_sgpr, 96
	.set _ZN2at6native12_GLOBAL__N_112gatherMedianIsmLi3EEEvNS_4cuda6detail10TensorInfoIT_T0_EENS5_IlS7_EENS5_IKS6_S7_EES7_S7_S7_b.num_named_barrier, 0
	.set _ZN2at6native12_GLOBAL__N_112gatherMedianIsmLi3EEEvNS_4cuda6detail10TensorInfoIT_T0_EENS5_IlS7_EENS5_IKS6_S7_EES7_S7_S7_b.private_seg_size, 0
	.set _ZN2at6native12_GLOBAL__N_112gatherMedianIsmLi3EEEvNS_4cuda6detail10TensorInfoIT_T0_EENS5_IlS7_EENS5_IKS6_S7_EES7_S7_S7_b.uses_vcc, 1
	.set _ZN2at6native12_GLOBAL__N_112gatherMedianIsmLi3EEEvNS_4cuda6detail10TensorInfoIT_T0_EENS5_IlS7_EENS5_IKS6_S7_EES7_S7_S7_b.uses_flat_scratch, 0
	.set _ZN2at6native12_GLOBAL__N_112gatherMedianIsmLi3EEEvNS_4cuda6detail10TensorInfoIT_T0_EENS5_IlS7_EENS5_IKS6_S7_EES7_S7_S7_b.has_dyn_sized_stack, 0
	.set _ZN2at6native12_GLOBAL__N_112gatherMedianIsmLi3EEEvNS_4cuda6detail10TensorInfoIT_T0_EENS5_IlS7_EENS5_IKS6_S7_EES7_S7_S7_b.has_recursion, 0
	.set _ZN2at6native12_GLOBAL__N_112gatherMedianIsmLi3EEEvNS_4cuda6detail10TensorInfoIT_T0_EENS5_IlS7_EENS5_IKS6_S7_EES7_S7_S7_b.has_indirect_call, 0
	.section	.AMDGPU.csdata,"",@progbits
; Kernel info:
; codeLenInByte = 16612
; TotalNumSgprs: 100
; NumVgprs: 50
; ScratchSize: 0
; MemoryBound: 0
; FloatMode: 240
; IeeeMode: 1
; LDSByteSize: 5152 bytes/workgroup (compile time only)
; SGPRBlocks: 12
; VGPRBlocks: 12
; NumSGPRsForWavesPerEU: 100
; NumVGPRsForWavesPerEU: 50
; Occupancy: 4
; WaveLimiterHint : 1
; COMPUTE_PGM_RSRC2:SCRATCH_EN: 0
; COMPUTE_PGM_RSRC2:USER_SGPR: 6
; COMPUTE_PGM_RSRC2:TRAP_HANDLER: 0
; COMPUTE_PGM_RSRC2:TGID_X_EN: 1
; COMPUTE_PGM_RSRC2:TGID_Y_EN: 1
; COMPUTE_PGM_RSRC2:TGID_Z_EN: 1
; COMPUTE_PGM_RSRC2:TIDIG_COMP_CNT: 0
	.section	.text._ZN2at6native12_GLOBAL__N_112gatherMedianIsmLin1EEEvNS_4cuda6detail10TensorInfoIT_T0_EENS5_IlS7_EENS5_IKS6_S7_EES7_S7_S7_b,"axG",@progbits,_ZN2at6native12_GLOBAL__N_112gatherMedianIsmLin1EEEvNS_4cuda6detail10TensorInfoIT_T0_EENS5_IlS7_EENS5_IKS6_S7_EES7_S7_S7_b,comdat
	.globl	_ZN2at6native12_GLOBAL__N_112gatherMedianIsmLin1EEEvNS_4cuda6detail10TensorInfoIT_T0_EENS5_IlS7_EENS5_IKS6_S7_EES7_S7_S7_b ; -- Begin function _ZN2at6native12_GLOBAL__N_112gatherMedianIsmLin1EEEvNS_4cuda6detail10TensorInfoIT_T0_EENS5_IlS7_EENS5_IKS6_S7_EES7_S7_S7_b
	.p2align	8
	.type	_ZN2at6native12_GLOBAL__N_112gatherMedianIsmLin1EEEvNS_4cuda6detail10TensorInfoIT_T0_EENS5_IlS7_EENS5_IKS6_S7_EES7_S7_S7_b,@function
_ZN2at6native12_GLOBAL__N_112gatherMedianIsmLin1EEEvNS_4cuda6detail10TensorInfoIT_T0_EENS5_IlS7_EENS5_IKS6_S7_EES7_S7_S7_b: ; @_ZN2at6native12_GLOBAL__N_112gatherMedianIsmLin1EEEvNS_4cuda6detail10TensorInfoIT_T0_EENS5_IlS7_EENS5_IKS6_S7_EES7_S7_S7_b
; %bb.0:
	s_load_dwordx2 s[10:11], s[4:5], 0x500
	s_load_dwordx4 s[24:27], s[4:5], 0x4e0
	s_add_u32 s12, s4, 0x500
	s_addc_u32 s13, s5, 0
	s_mov_b32 s1, 0
	s_waitcnt lgkmcnt(0)
	s_mul_i32 s0, s11, s8
	s_add_i32 s0, s0, s7
	s_mul_i32 s0, s0, s10
	s_add_i32 s0, s0, s6
	v_mov_b32_e32 v2, s1
	v_mov_b32_e32 v1, s0
	v_cmp_le_u64_e32 vcc, s[26:27], v[1:2]
	s_cbranch_vccnz .LBB111_304
; %bb.1:
	s_load_dword s2, s[4:5], 0x198
	s_load_dwordx2 s[26:27], s[4:5], 0x4f0
	s_mov_b64 s[22:23], 0
	s_mov_b64 s[30:31], s[0:1]
	s_waitcnt lgkmcnt(0)
	s_cmp_lt_i32 s2, 2
	s_cbranch_scc1 .LBB111_9
; %bb.2:
	s_add_i32 s7, s2, 1
	s_add_i32 s8, s2, -1
	s_mov_b32 s2, 0
	s_mov_b32 s9, s2
	s_lshl_b64 s[8:9], s[8:9], 3
	s_add_u32 s3, s4, s8
	s_addc_u32 s9, s5, s9
	s_add_u32 s8, s3, 8
	s_addc_u32 s9, s9, 0
	s_mov_b64 s[14:15], s[0:1]
.LBB111_3:                              ; =>This Inner Loop Header: Depth=1
	s_load_dwordx2 s[16:17], s[8:9], 0x0
	s_waitcnt lgkmcnt(0)
	s_or_b64 s[18:19], s[14:15], s[16:17]
	s_mov_b32 s3, s19
	s_cmp_lg_u64 s[2:3], 0
	s_cbranch_scc0 .LBB111_8
; %bb.4:                                ;   in Loop: Header=BB111_3 Depth=1
	v_cvt_f32_u32_e32 v1, s16
	v_cvt_f32_u32_e32 v2, s17
	s_sub_u32 s3, 0, s16
	s_subb_u32 s11, 0, s17
	v_mac_f32_e32 v1, 0x4f800000, v2
	v_rcp_f32_e32 v1, v1
	v_mul_f32_e32 v1, 0x5f7ffffc, v1
	v_mul_f32_e32 v2, 0x2f800000, v1
	v_trunc_f32_e32 v2, v2
	v_mac_f32_e32 v1, 0xcf800000, v2
	v_cvt_u32_f32_e32 v2, v2
	v_cvt_u32_f32_e32 v1, v1
	v_readfirstlane_b32 s20, v2
	v_readfirstlane_b32 s18, v1
	s_mul_i32 s19, s3, s20
	s_mul_hi_u32 s28, s3, s18
	s_mul_i32 s21, s11, s18
	s_add_i32 s19, s28, s19
	s_mul_i32 s29, s3, s18
	s_add_i32 s19, s19, s21
	s_mul_i32 s28, s18, s19
	s_mul_hi_u32 s30, s18, s29
	s_mul_hi_u32 s21, s18, s19
	s_add_u32 s28, s30, s28
	s_addc_u32 s21, 0, s21
	s_mul_hi_u32 s31, s20, s29
	s_mul_i32 s29, s20, s29
	s_add_u32 s28, s28, s29
	s_mul_hi_u32 s30, s20, s19
	s_addc_u32 s21, s21, s31
	s_addc_u32 s28, s30, 0
	s_mul_i32 s19, s20, s19
	s_add_u32 s19, s21, s19
	s_addc_u32 s21, 0, s28
	s_add_u32 s28, s18, s19
	s_cselect_b64 s[18:19], -1, 0
	s_cmp_lg_u64 s[18:19], 0
	s_addc_u32 s20, s20, s21
	s_mul_i32 s18, s3, s20
	s_mul_hi_u32 s19, s3, s28
	s_add_i32 s18, s19, s18
	s_mul_i32 s11, s11, s28
	s_add_i32 s18, s18, s11
	s_mul_i32 s3, s3, s28
	s_mul_hi_u32 s19, s20, s3
	s_mul_i32 s21, s20, s3
	s_mul_i32 s30, s28, s18
	s_mul_hi_u32 s3, s28, s3
	s_mul_hi_u32 s29, s28, s18
	s_add_u32 s3, s3, s30
	s_addc_u32 s29, 0, s29
	s_add_u32 s3, s3, s21
	s_mul_hi_u32 s11, s20, s18
	s_addc_u32 s3, s29, s19
	s_addc_u32 s11, s11, 0
	s_mul_i32 s18, s20, s18
	s_add_u32 s3, s3, s18
	s_addc_u32 s11, 0, s11
	s_add_u32 s3, s28, s3
	s_cselect_b64 s[18:19], -1, 0
	s_cmp_lg_u64 s[18:19], 0
	s_addc_u32 s11, s20, s11
	s_mul_i32 s19, s14, s11
	s_mul_hi_u32 s20, s14, s3
	s_mul_hi_u32 s18, s14, s11
	s_add_u32 s19, s20, s19
	s_addc_u32 s18, 0, s18
	s_mul_hi_u32 s21, s15, s3
	s_mul_i32 s3, s15, s3
	s_add_u32 s3, s19, s3
	s_mul_hi_u32 s20, s15, s11
	s_addc_u32 s3, s18, s21
	s_addc_u32 s18, s20, 0
	s_mul_i32 s11, s15, s11
	s_add_u32 s3, s3, s11
	s_addc_u32 s11, 0, s18
	s_mul_i32 s18, s16, s11
	s_mul_hi_u32 s19, s16, s3
	s_add_i32 s18, s19, s18
	s_mul_i32 s19, s17, s3
	s_add_i32 s28, s18, s19
	s_sub_i32 s20, s15, s28
	s_mul_i32 s18, s16, s3
	s_sub_u32 s29, s14, s18
	s_cselect_b64 s[18:19], -1, 0
	s_cmp_lg_u64 s[18:19], 0
	s_subb_u32 s30, s20, s17
	s_sub_u32 s31, s29, s16
	s_cselect_b64 s[20:21], -1, 0
	s_cmp_lg_u64 s[20:21], 0
	s_subb_u32 s20, s30, 0
	s_cmp_ge_u32 s20, s17
	s_cselect_b32 s21, -1, 0
	s_cmp_ge_u32 s31, s16
	s_cselect_b32 s30, -1, 0
	s_cmp_eq_u32 s20, s17
	s_cselect_b32 s20, s30, s21
	s_add_u32 s21, s3, 1
	s_addc_u32 s30, s11, 0
	s_add_u32 s31, s3, 2
	s_addc_u32 s33, s11, 0
	s_cmp_lg_u32 s20, 0
	s_cselect_b32 s20, s31, s21
	s_cselect_b32 s21, s33, s30
	s_cmp_lg_u64 s[18:19], 0
	s_subb_u32 s18, s15, s28
	s_cmp_ge_u32 s18, s17
	s_cselect_b32 s19, -1, 0
	s_cmp_ge_u32 s29, s16
	s_cselect_b32 s28, -1, 0
	s_cmp_eq_u32 s18, s17
	s_cselect_b32 s18, s28, s19
	s_cmp_lg_u32 s18, 0
	s_cselect_b32 s31, s21, s11
	s_cselect_b32 s30, s20, s3
	s_cbranch_execnz .LBB111_6
.LBB111_5:                              ;   in Loop: Header=BB111_3 Depth=1
	v_cvt_f32_u32_e32 v1, s16
	s_sub_i32 s3, 0, s16
	s_mov_b32 s31, s2
	v_rcp_iflag_f32_e32 v1, v1
	v_mul_f32_e32 v1, 0x4f7ffffe, v1
	v_cvt_u32_f32_e32 v1, v1
	v_readfirstlane_b32 s11, v1
	s_mul_i32 s3, s3, s11
	s_mul_hi_u32 s3, s11, s3
	s_add_i32 s11, s11, s3
	s_mul_hi_u32 s3, s14, s11
	s_mul_i32 s18, s3, s16
	s_sub_i32 s18, s14, s18
	s_add_i32 s11, s3, 1
	s_sub_i32 s19, s18, s16
	s_cmp_ge_u32 s18, s16
	s_cselect_b32 s3, s11, s3
	s_cselect_b32 s18, s19, s18
	s_add_i32 s11, s3, 1
	s_cmp_ge_u32 s18, s16
	s_cselect_b32 s30, s11, s3
.LBB111_6:                              ;   in Loop: Header=BB111_3 Depth=1
	s_mul_i32 s3, s30, s17
	s_mul_hi_u32 s11, s30, s16
	s_load_dwordx2 s[18:19], s[8:9], 0xc8
	s_add_i32 s3, s11, s3
	s_mul_i32 s11, s31, s16
	s_add_i32 s3, s3, s11
	s_mul_i32 s11, s30, s16
	s_sub_u32 s11, s14, s11
	s_subb_u32 s3, s15, s3
	s_waitcnt lgkmcnt(0)
	s_mul_i32 s3, s18, s3
	s_mul_hi_u32 s14, s18, s11
	s_add_i32 s3, s14, s3
	s_mul_i32 s14, s19, s11
	s_add_i32 s3, s3, s14
	s_mul_i32 s11, s18, s11
	s_add_u32 s22, s11, s22
	s_addc_u32 s23, s3, s23
	s_add_i32 s7, s7, -1
	s_add_u32 s8, s8, -8
	s_addc_u32 s9, s9, -1
	s_cmp_gt_u32 s7, 2
	s_cbranch_scc0 .LBB111_9
; %bb.7:                                ;   in Loop: Header=BB111_3 Depth=1
	s_mov_b64 s[14:15], s[30:31]
	s_branch .LBB111_3
.LBB111_8:                              ;   in Loop: Header=BB111_3 Depth=1
                                        ; implicit-def: $sgpr30_sgpr31
	s_branch .LBB111_5
.LBB111_9:
	s_load_dword s8, s[4:5], 0x338
	s_load_dwordx2 s[2:3], s[4:5], 0xd0
                                        ; implicit-def: $vgpr59 : SGPR spill to VGPR lane
	s_mov_b64 s[28:29], 0
	s_mov_b64 s[36:37], s[0:1]
	s_waitcnt lgkmcnt(0)
	v_writelane_b32 v59, s2, 0
	v_writelane_b32 v59, s3, 1
	s_add_u32 s2, s4, 0x1a0
	s_addc_u32 s3, s5, 0
	s_cmp_lt_i32 s8, 2
	s_cbranch_scc1 .LBB111_17
; %bb.10:
	s_add_i32 s7, s8, 1
	s_add_i32 s14, s8, -1
	s_mov_b32 s8, 0
	s_mov_b32 s15, s8
	s_lshl_b64 s[14:15], s[14:15], 3
	s_add_u32 s9, s2, s14
	s_addc_u32 s11, s3, s15
	s_add_u32 s14, s9, 8
	s_addc_u32 s15, s11, 0
	s_mov_b64 s[16:17], s[0:1]
.LBB111_11:                             ; =>This Inner Loop Header: Depth=1
	s_load_dwordx2 s[18:19], s[14:15], 0x0
	s_waitcnt lgkmcnt(0)
	s_or_b64 s[20:21], s[16:17], s[18:19]
	s_mov_b32 s9, s21
	s_cmp_lg_u64 s[8:9], 0
	s_cbranch_scc0 .LBB111_16
; %bb.12:                               ;   in Loop: Header=BB111_11 Depth=1
	v_cvt_f32_u32_e32 v1, s18
	v_cvt_f32_u32_e32 v2, s19
	s_sub_u32 s9, 0, s18
	s_subb_u32 s11, 0, s19
	v_mac_f32_e32 v1, 0x4f800000, v2
	v_rcp_f32_e32 v1, v1
	v_mul_f32_e32 v1, 0x5f7ffffc, v1
	v_mul_f32_e32 v2, 0x2f800000, v1
	v_trunc_f32_e32 v2, v2
	v_mac_f32_e32 v1, 0xcf800000, v2
	v_cvt_u32_f32_e32 v2, v2
	v_cvt_u32_f32_e32 v1, v1
	v_readfirstlane_b32 s33, v2
	v_readfirstlane_b32 s20, v1
	s_mul_i32 s21, s9, s33
	s_mul_hi_u32 s35, s9, s20
	s_mul_i32 s34, s11, s20
	s_add_i32 s21, s35, s21
	s_mul_i32 s36, s9, s20
	s_add_i32 s21, s21, s34
	s_mul_i32 s35, s20, s21
	s_mul_hi_u32 s37, s20, s36
	s_mul_hi_u32 s34, s20, s21
	s_add_u32 s35, s37, s35
	s_addc_u32 s34, 0, s34
	s_mul_hi_u32 s38, s33, s36
	s_mul_i32 s36, s33, s36
	s_add_u32 s35, s35, s36
	s_mul_hi_u32 s37, s33, s21
	s_addc_u32 s34, s34, s38
	s_addc_u32 s35, s37, 0
	s_mul_i32 s21, s33, s21
	s_add_u32 s21, s34, s21
	s_addc_u32 s34, 0, s35
	s_add_u32 s35, s20, s21
	s_cselect_b64 s[20:21], -1, 0
	s_cmp_lg_u64 s[20:21], 0
	s_addc_u32 s33, s33, s34
	s_mul_i32 s20, s9, s33
	s_mul_hi_u32 s21, s9, s35
	s_add_i32 s20, s21, s20
	s_mul_i32 s11, s11, s35
	s_add_i32 s20, s20, s11
	s_mul_i32 s9, s9, s35
	s_mul_hi_u32 s21, s33, s9
	s_mul_i32 s34, s33, s9
	s_mul_i32 s37, s35, s20
	s_mul_hi_u32 s9, s35, s9
	s_mul_hi_u32 s36, s35, s20
	s_add_u32 s9, s9, s37
	s_addc_u32 s36, 0, s36
	s_add_u32 s9, s9, s34
	s_mul_hi_u32 s11, s33, s20
	s_addc_u32 s9, s36, s21
	s_addc_u32 s11, s11, 0
	s_mul_i32 s20, s33, s20
	s_add_u32 s9, s9, s20
	s_addc_u32 s11, 0, s11
	s_add_u32 s9, s35, s9
	s_cselect_b64 s[20:21], -1, 0
	s_cmp_lg_u64 s[20:21], 0
	s_addc_u32 s11, s33, s11
	s_mul_i32 s21, s16, s11
	s_mul_hi_u32 s33, s16, s9
	s_mul_hi_u32 s20, s16, s11
	s_add_u32 s21, s33, s21
	s_addc_u32 s20, 0, s20
	s_mul_hi_u32 s34, s17, s9
	s_mul_i32 s9, s17, s9
	s_add_u32 s9, s21, s9
	s_mul_hi_u32 s33, s17, s11
	s_addc_u32 s9, s20, s34
	s_addc_u32 s20, s33, 0
	s_mul_i32 s11, s17, s11
	s_add_u32 s9, s9, s11
	s_addc_u32 s11, 0, s20
	s_mul_i32 s20, s18, s11
	s_mul_hi_u32 s21, s18, s9
	s_add_i32 s20, s21, s20
	s_mul_i32 s21, s19, s9
	s_add_i32 s33, s20, s21
	s_sub_i32 s34, s17, s33
	s_mul_i32 s20, s18, s9
	s_sub_u32 s36, s16, s20
	s_cselect_b64 s[20:21], -1, 0
	s_cmp_lg_u64 s[20:21], 0
	s_subb_u32 s37, s34, s19
	s_sub_u32 s38, s36, s18
	s_cselect_b64 s[34:35], -1, 0
	s_cmp_lg_u64 s[34:35], 0
	s_subb_u32 s34, s37, 0
	s_cmp_ge_u32 s34, s19
	s_cselect_b32 s35, -1, 0
	s_cmp_ge_u32 s38, s18
	s_cselect_b32 s37, -1, 0
	s_cmp_eq_u32 s34, s19
	s_cselect_b32 s34, s37, s35
	s_add_u32 s35, s9, 1
	s_addc_u32 s37, s11, 0
	s_add_u32 s38, s9, 2
	s_addc_u32 s39, s11, 0
	s_cmp_lg_u32 s34, 0
	s_cselect_b32 s34, s38, s35
	s_cselect_b32 s35, s39, s37
	s_cmp_lg_u64 s[20:21], 0
	s_subb_u32 s20, s17, s33
	s_cmp_ge_u32 s20, s19
	s_cselect_b32 s21, -1, 0
	s_cmp_ge_u32 s36, s18
	s_cselect_b32 s33, -1, 0
	s_cmp_eq_u32 s20, s19
	s_cselect_b32 s20, s33, s21
	s_cmp_lg_u32 s20, 0
	s_cselect_b32 s37, s35, s11
	s_cselect_b32 s36, s34, s9
	s_cbranch_execnz .LBB111_14
.LBB111_13:                             ;   in Loop: Header=BB111_11 Depth=1
	v_cvt_f32_u32_e32 v1, s18
	s_sub_i32 s9, 0, s18
	s_mov_b32 s37, s8
	v_rcp_iflag_f32_e32 v1, v1
	v_mul_f32_e32 v1, 0x4f7ffffe, v1
	v_cvt_u32_f32_e32 v1, v1
	v_readfirstlane_b32 s11, v1
	s_mul_i32 s9, s9, s11
	s_mul_hi_u32 s9, s11, s9
	s_add_i32 s11, s11, s9
	s_mul_hi_u32 s9, s16, s11
	s_mul_i32 s20, s9, s18
	s_sub_i32 s20, s16, s20
	s_add_i32 s11, s9, 1
	s_sub_i32 s21, s20, s18
	s_cmp_ge_u32 s20, s18
	s_cselect_b32 s9, s11, s9
	s_cselect_b32 s20, s21, s20
	s_add_i32 s11, s9, 1
	s_cmp_ge_u32 s20, s18
	s_cselect_b32 s36, s11, s9
.LBB111_14:                             ;   in Loop: Header=BB111_11 Depth=1
	s_mul_i32 s9, s36, s19
	s_mul_hi_u32 s11, s36, s18
	s_load_dwordx2 s[20:21], s[14:15], 0xc8
	s_add_i32 s9, s11, s9
	s_mul_i32 s11, s37, s18
	s_add_i32 s9, s9, s11
	s_mul_i32 s11, s36, s18
	s_sub_u32 s11, s16, s11
	s_subb_u32 s9, s17, s9
	s_waitcnt lgkmcnt(0)
	s_mul_i32 s9, s20, s9
	s_mul_hi_u32 s16, s20, s11
	s_add_i32 s9, s16, s9
	s_mul_i32 s16, s21, s11
	s_add_i32 s9, s9, s16
	s_mul_i32 s11, s20, s11
	s_add_u32 s28, s11, s28
	s_addc_u32 s29, s9, s29
	s_add_i32 s7, s7, -1
	s_add_u32 s14, s14, -8
	s_addc_u32 s15, s15, -1
	s_cmp_gt_u32 s7, 2
	s_cbranch_scc0 .LBB111_17
; %bb.15:                               ;   in Loop: Header=BB111_11 Depth=1
	s_mov_b64 s[16:17], s[36:37]
	s_branch .LBB111_11
.LBB111_16:                             ;   in Loop: Header=BB111_11 Depth=1
                                        ; implicit-def: $sgpr36_sgpr37
	s_branch .LBB111_13
.LBB111_17:
	s_load_dword s8, s[4:5], 0x4d8
	s_load_dwordx2 s[14:15], s[2:3], 0xd0
	s_add_u32 s9, s4, 0x340
	s_addc_u32 s11, s5, 0
                                        ; kill: killed $sgpr2 killed $sgpr3
	s_mov_b64 s[2:3], 0
	s_waitcnt lgkmcnt(0)
	s_cmp_lt_i32 s8, 2
	v_writelane_b32 v59, s14, 2
	v_writelane_b32 v59, s15, 3
	s_cbranch_scc1 .LBB111_25
; %bb.18:
	s_add_i32 s7, s8, 1
	s_add_i32 s2, s8, -1
	s_mov_b32 s8, 0
	s_mov_b32 s3, s8
	s_lshl_b64 s[2:3], s[2:3], 3
	s_add_u32 s2, s9, s2
	s_addc_u32 s3, s11, s3
	s_add_u32 s14, s2, 8
	s_addc_u32 s15, s3, 0
	s_mov_b64 s[2:3], 0
.LBB111_19:                             ; =>This Inner Loop Header: Depth=1
	s_load_dwordx2 s[16:17], s[14:15], 0x0
	s_waitcnt lgkmcnt(0)
	s_or_b64 s[18:19], s[0:1], s[16:17]
	s_mov_b32 s9, s19
	s_cmp_lg_u64 s[8:9], 0
	s_cbranch_scc0 .LBB111_24
; %bb.20:                               ;   in Loop: Header=BB111_19 Depth=1
	v_cvt_f32_u32_e32 v1, s16
	v_cvt_f32_u32_e32 v2, s17
	s_sub_u32 s9, 0, s16
	s_subb_u32 s11, 0, s17
	v_mac_f32_e32 v1, 0x4f800000, v2
	v_rcp_f32_e32 v1, v1
	v_mul_f32_e32 v1, 0x5f7ffffc, v1
	v_mul_f32_e32 v2, 0x2f800000, v1
	v_trunc_f32_e32 v2, v2
	v_mac_f32_e32 v1, 0xcf800000, v2
	v_cvt_u32_f32_e32 v2, v2
	v_cvt_u32_f32_e32 v1, v1
	v_readfirstlane_b32 s20, v2
	v_readfirstlane_b32 s18, v1
	s_mul_i32 s19, s9, s20
	s_mul_hi_u32 s33, s9, s18
	s_mul_i32 s21, s11, s18
	s_add_i32 s19, s33, s19
	s_mul_i32 s34, s9, s18
	s_add_i32 s19, s19, s21
	s_mul_i32 s33, s18, s19
	s_mul_hi_u32 s35, s18, s34
	s_mul_hi_u32 s21, s18, s19
	s_add_u32 s33, s35, s33
	s_addc_u32 s21, 0, s21
	s_mul_hi_u32 s38, s20, s34
	s_mul_i32 s34, s20, s34
	s_add_u32 s33, s33, s34
	s_mul_hi_u32 s35, s20, s19
	s_addc_u32 s21, s21, s38
	s_addc_u32 s33, s35, 0
	s_mul_i32 s19, s20, s19
	s_add_u32 s19, s21, s19
	s_addc_u32 s21, 0, s33
	s_add_u32 s33, s18, s19
	s_cselect_b64 s[18:19], -1, 0
	s_cmp_lg_u64 s[18:19], 0
	s_addc_u32 s20, s20, s21
	s_mul_i32 s18, s9, s20
	s_mul_hi_u32 s19, s9, s33
	s_add_i32 s18, s19, s18
	s_mul_i32 s11, s11, s33
	s_add_i32 s18, s18, s11
	s_mul_i32 s9, s9, s33
	s_mul_hi_u32 s19, s20, s9
	s_mul_i32 s21, s20, s9
	s_mul_i32 s35, s33, s18
	s_mul_hi_u32 s9, s33, s9
	s_mul_hi_u32 s34, s33, s18
	s_add_u32 s9, s9, s35
	s_addc_u32 s34, 0, s34
	s_add_u32 s9, s9, s21
	s_mul_hi_u32 s11, s20, s18
	s_addc_u32 s9, s34, s19
	s_addc_u32 s11, s11, 0
	s_mul_i32 s18, s20, s18
	s_add_u32 s9, s9, s18
	s_addc_u32 s11, 0, s11
	s_add_u32 s9, s33, s9
	s_cselect_b64 s[18:19], -1, 0
	s_cmp_lg_u64 s[18:19], 0
	s_addc_u32 s11, s20, s11
	s_mul_i32 s19, s0, s11
	s_mul_hi_u32 s20, s0, s9
	s_mul_hi_u32 s18, s0, s11
	s_add_u32 s19, s20, s19
	s_addc_u32 s18, 0, s18
	s_mul_hi_u32 s21, s1, s9
	s_mul_i32 s9, s1, s9
	s_add_u32 s9, s19, s9
	s_mul_hi_u32 s20, s1, s11
	s_addc_u32 s9, s18, s21
	s_addc_u32 s18, s20, 0
	s_mul_i32 s11, s1, s11
	s_add_u32 s9, s9, s11
	s_addc_u32 s11, 0, s18
	s_mul_i32 s18, s16, s11
	s_mul_hi_u32 s19, s16, s9
	s_add_i32 s18, s19, s18
	s_mul_i32 s19, s17, s9
	s_add_i32 s33, s18, s19
	s_sub_i32 s20, s1, s33
	s_mul_i32 s18, s16, s9
	s_sub_u32 s34, s0, s18
	s_cselect_b64 s[18:19], -1, 0
	s_cmp_lg_u64 s[18:19], 0
	s_subb_u32 s35, s20, s17
	s_sub_u32 s38, s34, s16
	s_cselect_b64 s[20:21], -1, 0
	s_cmp_lg_u64 s[20:21], 0
	s_subb_u32 s20, s35, 0
	s_cmp_ge_u32 s20, s17
	s_cselect_b32 s21, -1, 0
	s_cmp_ge_u32 s38, s16
	s_cselect_b32 s35, -1, 0
	s_cmp_eq_u32 s20, s17
	s_cselect_b32 s20, s35, s21
	s_add_u32 s21, s9, 1
	s_addc_u32 s35, s11, 0
	s_add_u32 s38, s9, 2
	s_addc_u32 s39, s11, 0
	s_cmp_lg_u32 s20, 0
	s_cselect_b32 s20, s38, s21
	s_cselect_b32 s21, s39, s35
	s_cmp_lg_u64 s[18:19], 0
	s_subb_u32 s18, s1, s33
	s_cmp_ge_u32 s18, s17
	s_cselect_b32 s19, -1, 0
	s_cmp_ge_u32 s34, s16
	s_cselect_b32 s33, -1, 0
	s_cmp_eq_u32 s18, s17
	s_cselect_b32 s18, s33, s19
	s_cmp_lg_u32 s18, 0
	s_cselect_b32 s19, s21, s11
	s_cselect_b32 s18, s20, s9
	s_cbranch_execnz .LBB111_22
.LBB111_21:                             ;   in Loop: Header=BB111_19 Depth=1
	v_cvt_f32_u32_e32 v1, s16
	s_sub_i32 s9, 0, s16
	v_rcp_iflag_f32_e32 v1, v1
	v_mul_f32_e32 v1, 0x4f7ffffe, v1
	v_cvt_u32_f32_e32 v1, v1
	v_readfirstlane_b32 s11, v1
	s_mul_i32 s9, s9, s11
	s_mul_hi_u32 s9, s11, s9
	s_add_i32 s11, s11, s9
	s_mul_hi_u32 s9, s0, s11
	s_mul_i32 s18, s9, s16
	s_sub_i32 s18, s0, s18
	s_add_i32 s11, s9, 1
	s_sub_i32 s19, s18, s16
	s_cmp_ge_u32 s18, s16
	s_cselect_b32 s9, s11, s9
	s_cselect_b32 s18, s19, s18
	s_add_i32 s11, s9, 1
	s_cmp_ge_u32 s18, s16
	s_cselect_b32 s18, s11, s9
	s_mov_b32 s19, s8
.LBB111_22:                             ;   in Loop: Header=BB111_19 Depth=1
	s_mul_i32 s9, s18, s17
	s_mul_hi_u32 s11, s18, s16
	s_load_dwordx2 s[20:21], s[14:15], 0xc8
	s_add_i32 s9, s11, s9
	s_mul_i32 s11, s19, s16
	s_add_i32 s9, s9, s11
	s_mul_i32 s11, s18, s16
	s_sub_u32 s0, s0, s11
	s_subb_u32 s1, s1, s9
	s_waitcnt lgkmcnt(0)
	s_mul_i32 s1, s20, s1
	s_mul_hi_u32 s9, s20, s0
	s_add_i32 s1, s9, s1
	s_mul_i32 s9, s21, s0
	s_add_i32 s1, s1, s9
	s_mul_i32 s0, s20, s0
	s_add_u32 s2, s0, s2
	s_addc_u32 s3, s1, s3
	s_add_i32 s7, s7, -1
	s_add_u32 s14, s14, -8
	s_addc_u32 s15, s15, -1
	s_cmp_gt_u32 s7, 2
	s_cbranch_scc0 .LBB111_26
; %bb.23:                               ;   in Loop: Header=BB111_19 Depth=1
	s_mov_b64 s[0:1], s[18:19]
	s_branch .LBB111_19
.LBB111_24:                             ;   in Loop: Header=BB111_19 Depth=1
                                        ; implicit-def: $sgpr18_sgpr19
	s_branch .LBB111_21
.LBB111_25:
	s_mov_b64 s[18:19], s[0:1]
.LBB111_26:
	v_cmp_eq_u32_e64 s[8:9], 0, v0
	s_mov_b64 s[0:1], exec
	v_writelane_b32 v59, s8, 4
	v_writelane_b32 v59, s9, 5
	s_and_b64 s[8:9], s[0:1], s[8:9]
	s_mov_b64 exec, s[8:9]
; %bb.27:
	v_mov_b32_e32 v1, 0
	v_mov_b32_e32 v2, v1
	ds_write_b64 v1, v[1:2] offset:5136
; %bb.28:
	s_or_b64 exec, exec, s[0:1]
	v_mov_b32_e32 v1, 0
	s_load_dword s0, s[4:5], 0x4f8
	s_waitcnt lgkmcnt(0)
	s_barrier
	s_barrier
	ds_read_b64 v[1:2], v1 offset:5136
	s_load_dwordx2 s[8:9], s[4:5], 0x410
	s_load_dwordx2 s[14:15], s[4:5], 0x340
	s_bitcmp1_b32 s0, 0
	s_cselect_b64 s[0:1], -1, 0
	v_mov_b32_e32 v30, s25
	s_waitcnt lgkmcnt(0)
	v_cmp_gt_i64_e32 vcc, 1, v[1:2]
	v_mov_b32_e32 v29, s24
	s_or_b64 s[0:1], s[0:1], vcc
	s_andn2_b64 vcc, exec, s[0:1]
	s_cbranch_vccnz .LBB111_30
; %bb.29:
	v_not_b32_e32 v1, v1
	v_not_b32_e32 v2, v2
	v_mov_b32_e32 v3, s25
	v_add_co_u32_e32 v1, vcc, s24, v1
	v_addc_co_u32_e32 v2, vcc, v3, v2, vcc
	v_lshrrev_b64 v[1:2], 1, v[1:2]
	v_add_co_u32_e32 v29, vcc, 1, v1
	v_addc_co_u32_e32 v30, vcc, 0, v2, vcc
.LBB111_30:
	s_load_dwordx2 s[0:1], s[4:5], 0x0
                                        ; kill: killed $sgpr4 killed $sgpr5
	s_waitcnt lgkmcnt(0)
	v_writelane_b32 v59, s0, 6
	v_writelane_b32 v59, s1, 7
	s_load_dwordx2 s[0:1], s[4:5], 0x1a0
	s_waitcnt lgkmcnt(0)
	v_writelane_b32 v59, s0, 8
	v_writelane_b32 v59, s1, 9
	s_mov_b64 s[0:1], exec
	v_readlane_b32 s4, v59, 4
	v_readlane_b32 s5, v59, 5
	s_and_b64 s[4:5], s[0:1], s[4:5]
	s_mov_b64 exec, s[4:5]
	s_cbranch_execz .LBB111_32
; %bb.31:
	v_mov_b32_e32 v1, 0
	v_mov_b32_e32 v3, s24
	;; [unrolled: 1-line block ×4, first 2 shown]
	ds_write_b32 v1, v1 offset:5144
	ds_write_b128 v1, v[1:4] offset:5120
.LBB111_32:
	s_or_b64 exec, exec, s[0:1]
	s_mul_i32 s0, s8, s19
	s_mul_hi_u32 s1, s8, s18
	s_add_i32 s0, s1, s0
	s_mul_i32 s1, s9, s18
	v_mov_b32_e32 v3, 0
	s_add_i32 s1, s0, s1
	s_mul_i32 s0, s8, s18
	v_mov_b32_e32 v1, v3
	s_lshl_b64 s[18:19], s[0:1], 1
	v_cmp_gt_u64_e64 s[0:1], s[24:25], v[0:1]
	s_add_u32 s20, s14, s18
	v_writelane_b32 v59, s0, 10
	v_writelane_b32 v59, s1, 11
	v_mbcnt_lo_u32_b32 v2, -1, 0
	v_mad_u64_u32 v[6:7], s[0:1], s26, v0, 0
	s_addc_u32 s21, s15, s19
	s_lshl_b64 s[44:45], s[2:3], 1
	v_mbcnt_hi_u32_b32 v41, -1, v2
	s_add_u32 s52, s20, s44
	v_cmp_gt_u32_e32 vcc, 64, v0
	v_cmp_gt_i32_e64 s[8:9], 4, v41
	s_addc_u32 s53, s21, s45
	s_and_b64 s[0:1], vcc, s[8:9]
	v_writelane_b32 v59, s0, 12
	v_mov_b32_e32 v2, v7
	v_writelane_b32 v59, s1, 13
	v_mad_u64_u32 v[4:5], s[0:1], s27, v0, v[2:3]
	v_mov_b32_e32 v7, 0x600
	v_cmp_gt_u32_e64 s[0:1], 2, v0
	v_mov_b32_e32 v8, 0
	v_writelane_b32 v59, s0, 14
	v_writelane_b32 v59, s1, 15
	v_cmp_gt_u64_e64 s[0:1], s[24:25], v[7:8]
	s_waitcnt lgkmcnt(0)
	v_writelane_b32 v59, s0, 16
	s_barrier
	v_writelane_b32 v59, s1, 17
	s_load_dword s0, s[12:13], 0xc
	v_mov_b32_e32 v7, v4
	v_lshlrev_b64 v[4:5], 1, v[6:7]
	v_mov_b32_e32 v2, s53
	v_add_co_u32_e32 v14, vcc, s52, v4
	s_waitcnt lgkmcnt(0)
	s_and_b32 s33, s0, 0xffff
	s_bfe_u32 s2, s0, 0xa0006
	v_addc_co_u32_e32 v15, vcc, v2, v5, vcc
	s_cmp_gt_u32 s33, 63
	v_add_u32_e32 v2, 2, v0
	s_cselect_b64 s[0:1], -1, 0
	s_add_u32 s61, s33, -1
	v_cmp_gt_u64_e32 vcc, s[24:25], v[2:3]
	s_addc_u32 s62, 0, -1
	v_mov_b32_e32 v9, s25
	s_add_u32 s16, s61, s24
	v_cndmask_b32_e32 v10, 0, v9, vcc
	v_mov_b32_e32 v9, s24
	s_addc_u32 s55, s62, s25
	v_cndmask_b32_e32 v2, v2, v9, vcc
	v_not_b32_e32 v9, v0
	v_writelane_b32 v59, s0, 18
	s_cmp_lt_u32 s6, s10
	v_add_co_u32_e32 v9, vcc, v2, v9
	v_writelane_b32 v59, s1, 19
	s_cselect_b32 s0, 12, 18
	v_addc_co_u32_e32 v10, vcc, -1, v10, vcc
	s_add_u32 s56, s12, s0
	v_cmp_lt_u64_e64 s[0:1], 1, v[9:10]
	v_and_b32_e32 v18, -2, v9
	v_writelane_b32 v59, s0, 20
	v_mov_b32_e32 v19, v10
	v_writelane_b32 v59, s1, 21
	v_cmp_ne_u64_e64 s[0:1], v[9:10], v[18:19]
	s_addc_u32 s57, s13, 0
	v_writelane_b32 v59, s0, 22
	v_writelane_b32 v59, s1, 23
	s_add_i32 s0, s2, -1
	v_lshlrev_b32_e32 v42, 3, v0
	v_mov_b32_e32 v9, s20
	s_bfe_u32 s3, s33, 0x30006
	s_and_b32 s0, s0, 0xffff
	v_or_b32_e32 v11, 6, v42
	v_mov_b32_e32 v10, s21
	s_cmp_gt_u32 s0, 6
	v_mad_u64_u32 v[20:21], s[0:1], s26, v11, v[9:10]
	s_cselect_b64 s[0:1], -1, 0
	v_writelane_b32 v59, s0, 24
	v_mov_b32_e32 v2, v21
	v_writelane_b32 v59, s1, 25
	v_mad_u64_u32 v[11:12], s[0:1], s27, v11, v[2:3]
	v_or_b32_e32 v12, 4, v42
	v_mad_u64_u32 v[22:23], s[0:1], s26, v12, v[9:10]
	s_and_b32 s17, s2, 0x3f8
	s_cmp_lg_u32 s3, 0
	v_writelane_b32 v59, s3, 26
	s_cselect_b64 s[0:1], -1, 0
	v_writelane_b32 v59, s0, 27
	v_mov_b32_e32 v2, v23
	v_writelane_b32 v59, s1, 28
	v_mov_b32_e32 v21, v11
	v_mad_u64_u32 v[11:12], s[0:1], s27, v12, v[2:3]
	v_or_b32_e32 v12, 2, v42
	v_mad_u64_u32 v[24:25], s[0:1], s26, v12, v[9:10]
	s_add_u32 s2, s18, s44
	s_addc_u32 s3, s19, s45
	s_add_u32 s2, s14, s2
	v_mov_b32_e32 v2, v25
	s_addc_u32 s3, s15, s3
	v_mad_u64_u32 v[9:10], s[0:1], s27, v12, v[2:3]
	v_writelane_b32 v59, s2, 29
	v_writelane_b32 v59, s3, 30
	s_lshl_b64 s[0:1], s[26:27], 1
	v_writelane_b32 v59, s0, 31
	v_writelane_b32 v59, s1, 32
	s_lshl_b64 s[0:1], s[26:27], 3
	v_writelane_b32 v59, s0, 33
	s_lshl_b32 s64, s33, 1
	v_writelane_b32 v59, s1, 34
	v_lshlrev_b64 v[6:7], 3, v[6:7]
	s_add_u32 s0, s14, s44
	s_addc_u32 s1, s15, s45
	v_mov_b32_e32 v2, s21
	v_add_co_u32_e32 v26, vcc, s20, v6
	s_add_u32 s0, s0, s18
	v_addc_co_u32_e32 v27, vcc, v2, v7, vcc
	s_addc_u32 s1, s1, s19
	v_mov_b32_e32 v2, s1
	v_add_co_u32_e32 v12, vcc, s0, v4
	v_addc_co_u32_e32 v13, vcc, v2, v5, vcc
	v_lshrrev_b32_e32 v2, 1, v0
	v_lshlrev_b64 v[4:5], v41, -1
	v_and_b32_e32 v2, 0x1e0, v2
	s_mul_i32 s0, s27, s33
	s_mul_hi_u32 s1, s26, s33
	v_lshlrev_b32_e32 v8, 2, v41
	v_or_b32_e32 v46, 0xc00, v2
	v_mov_b32_e32 v2, 0xc00
	s_add_i32 s1, s1, s0
	s_mul_i32 s0, s26, s33
	v_lshlrev_b32_e32 v49, 1, v0
	s_mov_b32 s47, 0
	v_cmp_eq_u32_e64 s[4:5], 0, v41
	v_lshlrev_b32_e32 v16, 2, v0
	v_mov_b32_e32 v17, v3
	v_mov_b32_e32 v23, v11
	;; [unrolled: 1-line block ×3, first 2 shown]
	v_and_b32_e32 v43, 0x100, v8
	v_not_b32_e32 v44, v5
	v_not_b32_e32 v45, v4
	s_mov_b32 s65, s26
	s_mov_b32 s46, s27
	v_lshl_or_b32 v47, v41, 3, v2
	s_lshl_b64 s[50:51], s[0:1], 1
	s_mov_b32 s66, 14
	s_mov_b64 s[68:69], 0
	s_mov_b32 s67, 0x8000
	s_mov_b32 s48, 0
	v_add_u32_e32 v50, 0xc00, v49
	v_mov_b32_e32 v51, 0x4f800000
	v_mov_b32_e32 v52, 0x5040100
	;; [unrolled: 1-line block ×5, first 2 shown]
	v_add_co_u32_e32 v28, vcc, v18, v0
                                        ; implicit-def: $sgpr70_sgpr71
                                        ; implicit-def: $sgpr74_sgpr75
                                        ; implicit-def: $sgpr72_sgpr73
                                        ; implicit-def: $sgpr78_sgpr79
                                        ; implicit-def: $sgpr80_sgpr81
                                        ; implicit-def: $sgpr76_sgpr77
	v_writelane_b32 v59, s46, 35
	s_branch .LBB111_36
.LBB111_33:                             ;   in Loop: Header=BB111_36 Depth=1
	s_or_b64 exec, exec, s[0:1]
	s_and_b64 s[8:9], s[8:9], exec
	s_andn2_b64 s[86:87], s[86:87], exec
	s_andn2_b64 s[6:7], s[6:7], exec
	s_orn2_b64 s[20:21], s[10:11], exec
.LBB111_34:                             ;   in Loop: Header=BB111_36 Depth=1
	s_or_b64 exec, exec, s[2:3]
	s_andn2_b64 s[0:1], s[76:77], exec
	s_and_b64 s[2:3], s[8:9], exec
	s_or_b64 s[76:77], s[0:1], s[2:3]
	s_andn2_b64 s[0:1], s[80:81], exec
	s_and_b64 s[2:3], s[86:87], exec
	s_or_b64 s[80:81], s[0:1], s[2:3]
	;; [unrolled: 3-line block ×3, first 2 shown]
	s_orn2_b64 s[6:7], s[20:21], exec
.LBB111_35:                             ;   in Loop: Header=BB111_36 Depth=1
	s_or_b64 exec, exec, s[18:19]
	s_and_b64 s[0:1], exec, s[6:7]
	s_or_b64 s[68:69], s[0:1], s[68:69]
	s_andn2_b64 s[0:1], s[72:73], exec
	s_and_b64 s[2:3], s[76:77], exec
	s_or_b64 s[72:73], s[0:1], s[2:3]
	s_andn2_b64 s[0:1], s[74:75], exec
	s_and_b64 s[2:3], s[80:81], exec
	;; [unrolled: 3-line block ×3, first 2 shown]
	v_mov_b32_e32 v30, v9
	s_or_b64 s[70:71], s[0:1], s[2:3]
	v_mov_b32_e32 v29, v8
	s_andn2_b64 exec, exec, s[68:69]
	s_cbranch_execz .LBB111_300
.LBB111_36:                             ; =>This Loop Header: Depth=1
                                        ;     Child Loop BB111_41 Depth 2
                                        ;     Child Loop BB111_55 Depth 2
                                        ;     Child Loop BB111_59 Depth 2
                                        ;     Child Loop BB111_94 Depth 2
                                        ;     Child Loop BB111_98 Depth 2
                                        ;     Child Loop BB111_83 Depth 2
                                        ;     Child Loop BB111_88 Depth 2
                                        ;     Child Loop BB111_76 Depth 2
                                        ;     Child Loop BB111_105 Depth 2
                                        ;     Child Loop BB111_118 Depth 2
                                        ;     Child Loop BB111_132 Depth 2
                                        ;     Child Loop BB111_161 Depth 2
                                        ;     Child Loop BB111_180 Depth 2
                                        ;     Child Loop BB111_210 Depth 2
                                        ;     Child Loop BB111_226 Depth 2
                                        ;     Child Loop BB111_255 Depth 2
                                        ;     Child Loop BB111_271 Depth 2
	ds_read_b128 v[4:7], v3 offset:5120
	s_waitcnt lgkmcnt(0)
	v_readfirstlane_b32 s83, v5
	v_readfirstlane_b32 s82, v4
	s_cmp_lg_u64 s[82:83], 0
	s_cbranch_scc1 .LBB111_68
; %bb.37:                               ;   in Loop: Header=BB111_36 Depth=1
	v_readlane_b32 s0, v59, 16
	v_readlane_b32 s1, v59, 17
	s_and_b64 vcc, exec, s[0:1]
	s_cbranch_vccz .LBB111_49
; %bb.38:                               ;   in Loop: Header=BB111_36 Depth=1
	s_mov_b64 s[0:1], 0x601
	v_cmp_gt_u64_e32 vcc, s[0:1], v[6:7]
	s_mov_b64 s[10:11], 0
	s_mov_b64 s[2:3], 0
	s_cbranch_vccz .LBB111_50
; %bb.39:                               ;   in Loop: Header=BB111_36 Depth=1
	global_load_ushort v6, v3, s[56:57]
	global_load_ushort v2, v[14:15], off
	v_readlane_b32 s0, v59, 29
	v_readlane_b32 s1, v59, 30
	v_mov_b32_e32 v5, s1
	v_readlane_b32 s6, v59, 31
	v_mov_b32_e32 v4, s0
	v_readlane_b32 s7, v59, 32
	s_mov_b64 s[12:13], 0
	s_waitcnt vmcnt(1)
	v_and_b32_e32 v8, 0xffff, v6
	v_readfirstlane_b32 s2, v6
	v_add_co_u32_e32 v6, vcc, v0, v8
	v_addc_co_u32_e64 v7, s[0:1], 0, 0, vcc
	v_mul_lo_u32 v7, s6, v7
	v_mul_lo_u32 v9, s7, v6
	v_mad_u64_u32 v[4:5], s[0:1], s6, v6, v[4:5]
	s_and_b32 s2, 0xffff, s2
	s_mul_i32 s0, s7, s2
	s_mul_hi_u32 s1, s6, s2
	v_add3_u32 v5, v9, v5, v7
	v_mov_b32_e32 v7, v1
	s_mul_i32 s18, s6, s2
	s_add_i32 s19, s1, s0
	v_mov_b32_e32 v6, v0
	s_branch .LBB111_41
.LBB111_40:                             ;   in Loop: Header=BB111_41 Depth=2
	s_or_b64 exec, exec, s[0:1]
	v_mov_b32_e32 v2, s19
	v_add_co_u32_e32 v4, vcc, s18, v4
	v_addc_co_u32_e32 v5, vcc, v5, v2, vcc
	v_mov_b32_e32 v2, v9
	s_andn2_b64 exec, exec, s[12:13]
	s_cbranch_execz .LBB111_166
.LBB111_41:                             ;   Parent Loop BB111_36 Depth=1
                                        ; =>  This Inner Loop Header: Depth=2
	v_add_co_u32_e32 v6, vcc, v6, v8
	v_addc_co_u32_e32 v7, vcc, 0, v7, vcc
	v_cmp_gt_u64_e64 s[6:7], s[24:25], v[6:7]
	v_cmp_le_u64_e32 vcc, s[24:25], v[6:7]
	s_waitcnt lgkmcnt(0)
	v_mov_b32_e32 v10, 0
	v_mov_b32_e32 v9, 0
	s_and_saveexec_b64 s[0:1], s[6:7]
	s_cbranch_execz .LBB111_43
; %bb.42:                               ;   in Loop: Header=BB111_41 Depth=2
	global_load_ushort v9, v[4:5], off
.LBB111_43:                             ;   in Loop: Header=BB111_41 Depth=2
	s_or_b64 exec, exec, s[0:1]
	s_waitcnt vmcnt(0)
	v_add_u32_sdwa v11, sext(v2), s67 dst_sel:DWORD dst_unused:UNUSED_PAD src0_sel:WORD_0 src1_sel:DWORD
	v_and_b32_e32 v11, v11, v53
	v_cmp_eq_u32_e64 s[14:15], v11, v48
	s_cmp_lg_u64 s[14:15], 0
	s_cselect_b64 s[0:1], -1, 0
	s_and_b64 s[0:1], s[4:5], s[0:1]
	s_and_saveexec_b64 s[2:3], s[0:1]
	s_cbranch_execz .LBB111_47
; %bb.44:                               ;   in Loop: Header=BB111_41 Depth=2
	s_mov_b64 s[8:9], exec
	v_mbcnt_lo_u32_b32 v10, s8, 0
	v_mbcnt_hi_u32_b32 v10, s9, v10
	s_bcnt1_i32_b64 s20, s[14:15]
	v_cmp_eq_u32_e64 s[6:7], 0, v10
                                        ; implicit-def: $vgpr11
	s_and_saveexec_b64 s[0:1], s[6:7]
; %bb.45:                               ;   in Loop: Header=BB111_41 Depth=2
	s_bcnt1_i32_b64 s6, s[8:9]
	s_mul_i32 s6, s20, s6
	v_mov_b32_e32 v11, s6
	ds_add_rtn_u32 v11, v3, v11 offset:5144
; %bb.46:                               ;   in Loop: Header=BB111_41 Depth=2
	s_or_b64 exec, exec, s[0:1]
	s_waitcnt lgkmcnt(0)
	v_readfirstlane_b32 s0, v11
	v_mov_b32_e32 v11, s0
	v_mad_u32_u24 v10, s20, v10, v11
.LBB111_47:                             ;   in Loop: Header=BB111_41 Depth=2
	s_or_b64 exec, exec, s[2:3]
	ds_bpermute_b32 v10, v43, v10
	s_and_b64 s[0:1], exec, vcc
	s_or_b64 s[12:13], s[0:1], s[12:13]
	s_and_saveexec_b64 s[0:1], s[14:15]
	s_cbranch_execz .LBB111_40
; %bb.48:                               ;   in Loop: Header=BB111_41 Depth=2
	v_and_b32_e32 v31, s14, v45
	v_and_b32_e32 v11, s15, v44
	v_bcnt_u32_b32 v31, v31, 0
	v_bcnt_u32_b32 v11, v11, v31
	v_lshlrev_b32_e32 v11, 1, v11
	s_waitcnt lgkmcnt(0)
	v_lshl_add_u32 v10, v10, 1, v11
	ds_write_b16 v10, v2
	s_branch .LBB111_40
.LBB111_49:                             ;   in Loop: Header=BB111_36 Depth=1
	s_mov_b64 s[10:11], -1
	s_mov_b64 s[2:3], 0
.LBB111_50:                             ;   in Loop: Header=BB111_36 Depth=1
	s_and_b64 vcc, exec, s[10:11]
	s_cbranch_vccz .LBB111_66
.LBB111_51:                             ;   in Loop: Header=BB111_36 Depth=1
	s_mov_b64 s[10:11], exec
	v_readlane_b32 s0, v59, 10
	v_readlane_b32 s1, v59, 11
	s_and_b64 s[0:1], s[10:11], s[0:1]
	s_mov_b64 exec, s[0:1]
	s_cbranch_execz .LBB111_63
; %bb.52:                               ;   in Loop: Header=BB111_36 Depth=1
	global_load_ushort v2, v3, s[56:57]
	global_load_ushort v31, v[14:15], off
	v_mov_b32_e32 v10, v0
	s_waitcnt vmcnt(1)
	v_readfirstlane_b32 s0, v2
	v_add_u32_sdwa v2, v2, v0 dst_sel:DWORD dst_unused:UNUSED_PAD src0_sel:WORD_0 src1_sel:DWORD
	v_cmp_gt_u64_e32 vcc, s[24:25], v[2:3]
	s_and_saveexec_b64 s[12:13], vcc
	s_cbranch_execz .LBB111_62
; %bb.53:                               ;   in Loop: Header=BB111_36 Depth=1
	s_and_b32 s0, s0, 0xffff
	s_cmp_eq_u32 s0, 1
	v_readlane_b32 s6, v59, 20
	s_cselect_b64 s[2:3], -1, 0
	v_readlane_b32 s7, v59, 21
	v_mov_b32_e32 v9, v1
	v_mov_b32_e32 v5, v3
	s_and_b64 s[8:9], s[6:7], s[2:3]
	s_mov_b64 s[2:3], -1
	v_mov_b32_e32 v8, v0
	v_mov_b32_e32 v4, v2
                                        ; implicit-def: $vgpr10_vgpr11
	s_and_saveexec_b64 s[6:7], s[8:9]
	s_cbranch_execz .LBB111_57
; %bb.54:                               ;   in Loop: Header=BB111_36 Depth=1
	v_add_co_u32_e32 v4, vcc, 1, v2
	v_addc_co_u32_e64 v5, s[2:3], 0, 0, vcc
	v_mov_b32_e32 v8, v18
	v_mov_b32_e32 v7, v5
	s_waitcnt vmcnt(0)
	v_lshlrev_b32_e32 v11, 16, v31
	s_mov_b64 s[2:3], 0
	v_mov_b32_e32 v9, v19
	v_mov_b32_e32 v10, v49
	v_mov_b32_e32 v6, v4
	v_mov_b32_e32 v5, v3
	v_mov_b32_e32 v4, v2
.LBB111_55:                             ;   Parent Loop BB111_36 Depth=1
                                        ; =>  This Inner Loop Header: Depth=2
	v_mul_lo_u32 v37, v5, s26
	v_mul_lo_u32 v38, v4, s27
	v_mad_u64_u32 v[33:34], s[8:9], v4, s26, 0
	v_mul_lo_u32 v35, v7, s65
	v_mul_lo_u32 v36, v6, s46
	v_mad_u64_u32 v[31:32], s[8:9], v6, s65, 0
	v_add3_u32 v34, v34, v38, v37
	v_lshlrev_b64 v[33:34], 1, v[33:34]
	v_add3_u32 v32, v32, v36, v35
	v_mov_b32_e32 v39, s53
	v_lshlrev_b64 v[31:32], 1, v[31:32]
	v_add_co_u32_e32 v33, vcc, s52, v33
	v_addc_co_u32_e32 v34, vcc, v39, v34, vcc
	v_add_co_u32_e32 v31, vcc, s52, v31
	v_addc_co_u32_e32 v32, vcc, v39, v32, vcc
	global_load_ushort v33, v[33:34], off
	s_nop 0
	global_load_ushort v31, v[31:32], off
	v_add_co_u32_e32 v6, vcc, 2, v6
	v_addc_co_u32_e32 v7, vcc, 0, v7, vcc
	v_add_co_u32_e32 v4, vcc, 2, v4
	v_addc_co_u32_e32 v5, vcc, 0, v5, vcc
	v_add_co_u32_e32 v8, vcc, -2, v8
	v_addc_co_u32_e32 v9, vcc, -1, v9, vcc
	v_cmp_eq_u64_e32 vcc, 0, v[8:9]
	s_mov_b32 s1, 0x5040100
	s_or_b64 s[2:3], vcc, s[2:3]
	s_waitcnt vmcnt(1)
	v_alignbit_b32 v11, v33, v11, 16
	s_waitcnt vmcnt(0)
	v_perm_b32 v32, v31, v33, s1
	ds_write_b32 v10, v11
	v_add_u32_e32 v10, 4, v10
	v_mov_b32_e32 v11, v32
	s_andn2_b64 exec, exec, s[2:3]
	s_cbranch_execnz .LBB111_55
; %bb.56:                               ;   in Loop: Header=BB111_36 Depth=1
	s_or_b64 exec, exec, s[2:3]
	v_readlane_b32 s2, v59, 22
	v_add_co_u32_e32 v4, vcc, v2, v18
	v_readlane_b32 s3, v59, 23
	v_addc_co_u32_e32 v5, vcc, 0, v19, vcc
	v_add_co_u32_e32 v10, vcc, -1, v4
	s_orn2_b64 s[2:3], s[2:3], exec
	v_mov_b32_e32 v8, v28
	v_mov_b32_e32 v9, v29
.LBB111_57:                             ;   in Loop: Header=BB111_36 Depth=1
	s_or_b64 exec, exec, s[6:7]
	s_and_saveexec_b64 s[14:15], s[2:3]
	s_cbranch_execz .LBB111_61
; %bb.58:                               ;   in Loop: Header=BB111_36 Depth=1
	v_readlane_b32 s2, v59, 29
	v_readlane_b32 s3, v59, 30
	v_mov_b32_e32 v7, s3
	v_readlane_b32 s18, v59, 31
	v_mov_b32_e32 v6, s2
	v_readlane_b32 s19, v59, 32
	v_mad_u64_u32 v[6:7], s[2:3], s18, v4, v[6:7]
	v_mul_lo_u32 v2, s18, v5
	v_mul_lo_u32 v9, s19, v4
	s_mul_i32 s6, s19, s0
	s_mul_hi_u32 s7, s18, s0
	s_mov_b64 s[2:3], 0
	s_sub_u32 s1, 0, s0
	v_add3_u32 v7, v9, v7, v2
	s_add_i32 s8, s7, s6
	s_mul_i32 s9, s18, s0
.LBB111_59:                             ;   Parent Loop BB111_36 Depth=1
                                        ; =>  This Inner Loop Header: Depth=2
	global_load_ushort v2, v[6:7], off
	v_mov_b32_e32 v10, v5
	v_mov_b32_e32 v9, v4
	v_lshlrev_b32_e32 v4, 1, v8
	v_mov_b32_e32 v8, s8
	v_add_co_u32_e32 v6, vcc, s9, v6
	s_waitcnt vmcnt(1)
	ds_write_b16 v4, v31
	v_add_co_u32_e64 v4, s[6:7], s0, v9
	v_addc_co_u32_e64 v5, s[6:7], 0, v10, s[6:7]
	v_addc_co_u32_e32 v7, vcc, v7, v8, vcc
	v_cmp_le_u64_e32 vcc, s[24:25], v[4:5]
	v_mov_b32_e32 v8, v9
	v_mov_b32_e32 v9, v10
	v_add_co_u32_e64 v10, s[6:7], s1, v4
	s_or_b64 s[2:3], vcc, s[2:3]
	s_waitcnt vmcnt(0)
	v_mov_b32_e32 v31, v2
	s_andn2_b64 exec, exec, s[2:3]
	s_cbranch_execnz .LBB111_59
; %bb.60:                               ;   in Loop: Header=BB111_36 Depth=1
	s_or_b64 exec, exec, s[2:3]
	v_mov_b32_e32 v31, v2
.LBB111_61:                             ;   in Loop: Header=BB111_36 Depth=1
	s_or_b64 exec, exec, s[14:15]
.LBB111_62:                             ;   in Loop: Header=BB111_36 Depth=1
	s_or_b64 exec, exec, s[12:13]
	v_lshlrev_b32_e32 v2, 1, v10
	s_waitcnt vmcnt(0)
	ds_write_b16 v2, v31
.LBB111_63:                             ;   in Loop: Header=BB111_36 Depth=1
	s_or_b64 exec, exec, s[10:11]
	s_waitcnt lgkmcnt(0)
	s_barrier
	s_mov_b64 s[0:1], exec
	v_readlane_b32 s2, v59, 4
	v_readlane_b32 s3, v59, 5
	s_and_b64 s[2:3], s[0:1], s[2:3]
	s_mov_b64 exec, s[2:3]
; %bb.64:                               ;   in Loop: Header=BB111_36 Depth=1
	v_mov_b32_e32 v4, s24
	v_mov_b32_e32 v5, s25
	ds_write_b64 v3, v[4:5] offset:5120
; %bb.65:                               ;   in Loop: Header=BB111_36 Depth=1
	s_or_b64 exec, exec, s[0:1]
	s_waitcnt lgkmcnt(0)
	s_barrier
	s_mov_b64 s[2:3], -1
.LBB111_66:                             ;   in Loop: Header=BB111_36 Depth=1
	s_mov_b64 s[82:83], 0
	s_and_b64 vcc, exec, s[2:3]
	s_cbranch_vccz .LBB111_68
; %bb.67:                               ;   in Loop: Header=BB111_36 Depth=1
	ds_read_b64 v[4:5], v3 offset:5120
	s_waitcnt lgkmcnt(0)
	v_readfirstlane_b32 s82, v4
.LBB111_68:                             ;   in Loop: Header=BB111_36 Depth=1
	s_cmp_lt_i32 s82, 1
	s_mov_b64 s[2:3], -1
                                        ; implicit-def: $vgpr4_vgpr5
                                        ; implicit-def: $vgpr8_vgpr9
	s_cbranch_scc1 .LBB111_78
; %bb.69:                               ;   in Loop: Header=BB111_36 Depth=1
	s_and_b64 vcc, exec, s[2:3]
	s_cbranch_vccnz .LBB111_92
.LBB111_70:                             ;   in Loop: Header=BB111_36 Depth=1
	s_lshl_b32 s2, s48, 6
	s_and_saveexec_b64 s[0:1], s[4:5]
	s_cbranch_execz .LBB111_72
.LBB111_71:                             ;   in Loop: Header=BB111_36 Depth=1
	v_lshl_add_u32 v2, s2, 3, v46
	ds_write_b128 v2, v[4:7]
	ds_write_b128 v2, v[8:11] offset:16
.LBB111_72:                             ;   in Loop: Header=BB111_36 Depth=1
	s_or_b64 exec, exec, s[0:1]
	s_waitcnt lgkmcnt(0)
	s_barrier
	s_mov_b64 s[6:7], exec
	v_readlane_b32 s0, v59, 12
	v_readlane_b32 s1, v59, 13
	s_and_b64 s[0:1], s[6:7], s[0:1]
	s_mov_b64 exec, s[0:1]
	s_cbranch_execz .LBB111_107
; %bb.73:                               ;   in Loop: Header=BB111_36 Depth=1
	v_readlane_b32 s0, v59, 18
	v_mov_b32_e32 v4, 0
	v_readlane_b32 s1, v59, 19
	v_mov_b32_e32 v5, 0
	s_andn2_b64 vcc, exec, s[0:1]
	s_cbranch_vccnz .LBB111_106
; %bb.74:                               ;   in Loop: Header=BB111_36 Depth=1
	v_readlane_b32 s0, v59, 24
	v_readlane_b32 s1, v59, 25
	s_andn2_b64 vcc, exec, s[0:1]
	s_cbranch_vccnz .LBB111_102
; %bb.75:                               ;   in Loop: Header=BB111_36 Depth=1
	v_mov_b32_e32 v4, 0
	v_lshl_add_u32 v2, s48, 9, v47
	v_mov_b32_e32 v5, 0
	s_mov_b32 s0, 0
.LBB111_76:                             ;   Parent Loop BB111_36 Depth=1
                                        ; =>  This Inner Loop Header: Depth=2
	ds_read2_b64 v[6:9], v2 offset1:4
	ds_read2_b64 v[31:34], v2 offset0:8 offset1:12
	ds_read2_b64 v[35:38], v2 offset0:16 offset1:20
	;; [unrolled: 1-line block ×3, first 2 shown]
	s_add_i32 s0, s0, 8
	s_waitcnt lgkmcnt(3)
	v_add_co_u32_e32 v4, vcc, v6, v4
	v_addc_co_u32_e32 v5, vcc, v7, v5, vcc
	v_add_co_u32_e32 v4, vcc, v8, v4
	v_addc_co_u32_e32 v5, vcc, v9, v5, vcc
	s_waitcnt lgkmcnt(2)
	v_add_co_u32_e32 v4, vcc, v31, v4
	v_addc_co_u32_e32 v5, vcc, v32, v5, vcc
	v_add_co_u32_e32 v4, vcc, v33, v4
	v_addc_co_u32_e32 v5, vcc, v34, v5, vcc
	;; [unrolled: 5-line block ×3, first 2 shown]
	s_waitcnt lgkmcnt(0)
	v_add_co_u32_e32 v4, vcc, v55, v4
	v_addc_co_u32_e32 v5, vcc, v56, v5, vcc
	v_add_co_u32_e32 v4, vcc, v57, v4
	v_add_u32_e32 v2, 0x100, v2
	s_cmp_eq_u32 s17, s0
	v_addc_co_u32_e32 v5, vcc, v58, v5, vcc
	s_cbranch_scc0 .LBB111_76
; %bb.77:                               ;   in Loop: Header=BB111_36 Depth=1
	s_mov_b32 s0, s17
	s_branch .LBB111_103
.LBB111_78:                             ;   in Loop: Header=BB111_36 Depth=1
	global_load_ushort v2, v3, s[56:57]
	s_mov_b32 s0, s47
	s_waitcnt vmcnt(0)
	v_readfirstlane_b32 s1, v2
	s_and_b32 s12, s1, 0xffff
	s_lshl_b32 s8, s12, 2
	s_mov_b32 s1, s25
	s_cmp_lg_u64 s[0:1], 0
	s_cbranch_scc0 .LBB111_101
; %bb.79:                               ;   in Loop: Header=BB111_36 Depth=1
	v_cvt_f32_u32_e32 v2, s8
	s_sub_u32 s2, 0, s8
	s_subb_u32 s3, 0, 0
	v_mac_f32_e32 v2, 0, v51
	v_rcp_f32_e32 v2, v2
	v_mul_f32_e32 v2, 0x5f7ffffc, v2
	v_mul_f32_e32 v4, 0x2f800000, v2
	v_trunc_f32_e32 v4, v4
	v_mac_f32_e32 v2, 0xcf800000, v4
	v_cvt_u32_f32_e32 v4, v4
	v_cvt_u32_f32_e32 v2, v2
	v_readfirstlane_b32 s6, v4
	v_readfirstlane_b32 s0, v2
	s_mul_i32 s1, s2, s6
	s_mul_hi_u32 s9, s2, s0
	s_mul_i32 s7, s3, s0
	s_add_i32 s1, s9, s1
	s_mul_i32 s10, s2, s0
	s_add_i32 s1, s1, s7
	s_mul_hi_u32 s9, s0, s10
	s_mul_i32 s11, s0, s1
	s_mul_hi_u32 s7, s0, s1
	s_add_u32 s9, s9, s11
	s_addc_u32 s7, 0, s7
	s_mul_hi_u32 s13, s6, s10
	s_mul_i32 s10, s6, s10
	s_add_u32 s9, s9, s10
	s_mul_hi_u32 s11, s6, s1
	s_addc_u32 s7, s7, s13
	s_addc_u32 s9, s11, 0
	s_mul_i32 s1, s6, s1
	s_add_u32 s1, s7, s1
	s_addc_u32 s7, 0, s9
	s_add_u32 s9, s0, s1
	s_cselect_b64 s[0:1], -1, 0
	s_cmp_lg_u64 s[0:1], 0
	s_addc_u32 s6, s6, s7
	s_mul_i32 s0, s2, s6
	s_mul_hi_u32 s1, s2, s9
	s_add_i32 s0, s1, s0
	s_mul_i32 s3, s3, s9
	s_add_i32 s0, s0, s3
	s_mul_i32 s2, s2, s9
	s_mul_hi_u32 s3, s6, s2
	s_mul_i32 s7, s6, s2
	s_mul_i32 s11, s9, s0
	s_mul_hi_u32 s2, s9, s2
	s_mul_hi_u32 s10, s9, s0
	s_add_u32 s2, s2, s11
	s_addc_u32 s10, 0, s10
	s_add_u32 s2, s2, s7
	s_mul_hi_u32 s1, s6, s0
	s_addc_u32 s2, s10, s3
	s_addc_u32 s1, s1, 0
	s_mul_i32 s0, s6, s0
	s_add_u32 s0, s2, s0
	s_addc_u32 s2, 0, s1
	s_add_u32 s3, s9, s0
	s_cselect_b64 s[0:1], -1, 0
	s_cmp_lg_u64 s[0:1], 0
	s_addc_u32 s0, s6, s2
	s_mul_i32 s2, s24, s0
	s_mul_hi_u32 s6, s24, s3
	s_mul_hi_u32 s1, s24, s0
	s_add_u32 s2, s6, s2
	s_addc_u32 s1, 0, s1
	s_mul_hi_u32 s7, s25, s3
	s_mul_i32 s3, s25, s3
	s_add_u32 s2, s2, s3
	s_mul_hi_u32 s6, s25, s0
	s_addc_u32 s1, s1, s7
	s_addc_u32 s2, s6, 0
	s_mul_i32 s0, s25, s0
	s_add_u32 s0, s1, s0
	s_addc_u32 s1, 0, s2
	s_mul_i32 s1, s8, s1
	s_mul_hi_u32 s2, s8, s0
	s_add_i32 s2, s2, s1
	s_mul_i32 s0, s8, s0
	s_sub_u32 s6, s24, s0
	s_cselect_b64 s[0:1], -1, 0
	s_cmp_lg_u64 s[0:1], 0
	s_subb_u32 s2, s25, s2
	s_sub_u32 s3, s6, s8
	s_cselect_b64 s[0:1], -1, 0
	s_cmp_lg_u64 s[0:1], 0
	s_subb_u32 s7, s2, 0
	;; [unrolled: 4-line block ×3, first 2 shown]
	s_cmp_ge_u32 s3, s8
	s_cselect_b32 s1, -1, 0
	s_cmp_eq_u32 s7, 0
	s_cselect_b32 s1, s1, -1
	s_cmp_lg_u32 s1, 0
	s_cselect_b32 s0, s0, s7
	s_cselect_b32 s1, s9, s3
	s_cmp_ge_u32 s6, s8
	s_cselect_b32 s3, -1, 0
	s_cmp_eq_u32 s2, 0
	s_cselect_b32 s3, s3, -1
	s_cmp_lg_u32 s3, 0
	s_cselect_b32 s3, s0, s2
	s_cselect_b32 s2, s1, s6
	s_cbranch_execnz .LBB111_81
.LBB111_80:                             ;   in Loop: Header=BB111_36 Depth=1
	v_cvt_f32_u32_e32 v2, s8
	s_sub_i32 s0, 0, s8
	v_rcp_iflag_f32_e32 v2, v2
	v_mul_f32_e32 v2, 0x4f7ffffe, v2
	v_cvt_u32_f32_e32 v2, v2
	v_readfirstlane_b32 s1, v2
	s_mul_i32 s0, s0, s1
	s_mul_hi_u32 s0, s1, s0
	s_add_i32 s1, s1, s0
	s_mul_hi_u32 s0, s24, s1
	s_mul_i32 s0, s0, s8
	s_sub_i32 s0, s24, s0
	s_sub_i32 s1, s0, s8
	s_cmp_ge_u32 s0, s8
	s_cselect_b32 s0, s1, s0
	s_sub_i32 s1, s0, s8
	s_cmp_ge_u32 s0, s8
	s_cselect_b32 s46, s1, s0
	s_mov_b64 s[2:3], s[46:47]
	v_readlane_b32 s46, v59, 35
.LBB111_81:                             ;   in Loop: Header=BB111_36 Depth=1
	s_sub_u32 s84, s24, s2
	s_subb_u32 s85, s25, s3
	v_cmp_gt_u64_e32 vcc, s[84:85], v[16:17]
	v_mov_b32_e32 v4, 0
	v_mov_b32_e32 v6, 0
	;; [unrolled: 1-line block ×8, first 2 shown]
	s_and_saveexec_b64 s[86:87], vcc
	s_cbranch_execz .LBB111_85
; %bb.82:                               ;   in Loop: Header=BB111_36 Depth=1
	v_readlane_b32 s2, v59, 33
	v_readlane_b32 s3, v59, 34
	s_mul_i32 s0, s3, s12
	s_mul_hi_u32 s1, s2, s12
	v_mov_b32_e32 v32, v27
	v_mov_b32_e32 v34, v25
	;; [unrolled: 1-line block ×5, first 2 shown]
	s_add_i32 s0, s1, s0
	s_mul_i32 s1, s2, s12
	s_mov_b64 s[88:89], 0
	v_mov_b32_e32 v31, v26
	v_mov_b32_e32 v33, v24
	;; [unrolled: 1-line block ×4, first 2 shown]
	s_mov_b64 s[90:91], 0
	s_mov_b64 s[92:93], 0
	;; [unrolled: 1-line block ×4, first 2 shown]
	v_mov_b32_e32 v39, v16
.LBB111_83:                             ;   Parent Loop BB111_36 Depth=1
                                        ; =>  This Inner Loop Header: Depth=2
	v_add_co_u32_e32 v4, vcc, s44, v31
	v_mov_b32_e32 v2, s45
	v_addc_co_u32_e32 v5, vcc, v32, v2, vcc
	global_load_sshort v6, v[4:5], off
	v_add_co_u32_e32 v4, vcc, s44, v33
	v_addc_co_u32_e32 v5, vcc, v34, v2, vcc
	global_load_sshort v7, v[4:5], off
	v_add_co_u32_e32 v4, vcc, s44, v35
	;; [unrolled: 3-line block ×3, first 2 shown]
	v_addc_co_u32_e32 v5, vcc, v38, v2, vcc
	global_load_sshort v2, v[4:5], off
	s_waitcnt vmcnt(3)
	v_add_u32_e32 v4, 0x8000, v6
	s_waitcnt vmcnt(2)
	v_add_u32_e32 v5, 0x8000, v7
	v_and_b32_e32 v7, v4, v53
	v_bfe_u32 v4, v4, s66, 2
	v_cmp_eq_u32_e32 vcc, v7, v48
	v_and_b32_e32 v7, v5, v53
	s_waitcnt vmcnt(1)
	v_add_u32_e32 v6, 0x8000, v8
	v_bfe_u32 v5, v5, s66, 2
	v_cmp_eq_u32_e64 s[20:21], 0, v4
	v_cmp_eq_u32_e64 s[6:7], v7, v48
	v_and_b32_e32 v7, v6, v53
	s_waitcnt vmcnt(0)
	v_add_u32_e32 v2, 0x8000, v2
	v_bfe_u32 v6, v6, s66, 2
	s_and_b64 s[2:3], vcc, s[20:21]
	v_cmp_eq_u32_e64 s[20:21], 0, v5
	v_cmp_eq_u32_e64 s[14:15], v7, v48
	v_and_b32_e32 v7, v2, v53
	v_bfe_u32 v2, v2, s66, 2
	s_and_b64 s[10:11], s[6:7], s[20:21]
	v_cmp_eq_u32_e64 s[20:21], 0, v6
	v_cmp_eq_u32_e64 s[18:19], v7, v48
	s_and_b64 s[34:35], s[14:15], s[20:21]
	v_cmp_eq_u32_e64 s[20:21], 0, v2
	v_cndmask_b32_e64 v7, 0, 1, s[2:3]
	s_and_b64 s[38:39], s[18:19], s[20:21]
	v_cmp_ne_u32_e64 s[20:21], 0, v7
	v_cndmask_b32_e64 v7, 0, 1, s[10:11]
	s_bcnt1_i32_b64 s2, s[20:21]
	v_cmp_ne_u32_e64 s[20:21], 0, v7
	v_cndmask_b32_e64 v7, 0, 1, s[34:35]
	s_bcnt1_i32_b64 s3, s[20:21]
	;; [unrolled: 3-line block ×3, first 2 shown]
	v_cmp_ne_u32_e64 s[20:21], 0, v7
	s_bcnt1_i32_b64 s10, s[20:21]
	s_add_u32 s2, s2, s40
	s_addc_u32 s11, 0, s41
	s_add_u32 s2, s2, s3
	s_addc_u32 s3, s11, 0
	;; [unrolled: 2-line block ×3, first 2 shown]
	s_add_u32 s40, s2, s10
	v_cmp_eq_u32_e64 s[20:21], 1, v4
	s_addc_u32 s41, s3, 0
	s_and_b64 s[2:3], vcc, s[20:21]
	v_cmp_eq_u32_e64 s[20:21], 1, v5
	s_and_b64 s[10:11], s[6:7], s[20:21]
	v_cmp_eq_u32_e64 s[20:21], 1, v6
	s_and_b64 s[34:35], s[14:15], s[20:21]
	v_cmp_eq_u32_e64 s[20:21], 1, v2
	v_cndmask_b32_e64 v7, 0, 1, s[2:3]
	s_and_b64 s[38:39], s[18:19], s[20:21]
	v_cmp_ne_u32_e64 s[20:21], 0, v7
	v_cndmask_b32_e64 v7, 0, 1, s[10:11]
	s_bcnt1_i32_b64 s2, s[20:21]
	v_cmp_ne_u32_e64 s[20:21], 0, v7
	v_cndmask_b32_e64 v7, 0, 1, s[34:35]
	s_bcnt1_i32_b64 s3, s[20:21]
	;; [unrolled: 3-line block ×3, first 2 shown]
	v_cmp_ne_u32_e64 s[20:21], 0, v7
	s_bcnt1_i32_b64 s10, s[20:21]
	s_add_u32 s2, s2, s94
	s_addc_u32 s11, 0, s95
	s_add_u32 s2, s2, s3
	s_addc_u32 s3, s11, 0
	;; [unrolled: 2-line block ×3, first 2 shown]
	s_add_u32 s94, s2, s10
	v_cmp_eq_u32_e64 s[20:21], 2, v4
	s_addc_u32 s95, s3, 0
	s_and_b64 s[2:3], vcc, s[20:21]
	v_cmp_eq_u32_e64 s[20:21], 2, v5
	s_and_b64 s[10:11], s[6:7], s[20:21]
	v_cmp_eq_u32_e64 s[20:21], 2, v6
	s_and_b64 s[34:35], s[14:15], s[20:21]
	v_cmp_eq_u32_e64 s[20:21], 2, v2
	v_cndmask_b32_e64 v7, 0, 1, s[2:3]
	s_and_b64 s[38:39], s[18:19], s[20:21]
	v_cmp_ne_u32_e64 s[20:21], 0, v7
	v_cndmask_b32_e64 v7, 0, 1, s[10:11]
	s_bcnt1_i32_b64 s2, s[20:21]
	v_cmp_ne_u32_e64 s[20:21], 0, v7
	v_cndmask_b32_e64 v7, 0, 1, s[34:35]
	s_bcnt1_i32_b64 s3, s[20:21]
	;; [unrolled: 3-line block ×3, first 2 shown]
	v_cmp_ne_u32_e64 s[20:21], 0, v7
	s_bcnt1_i32_b64 s10, s[20:21]
	s_add_u32 s2, s2, s92
	s_addc_u32 s11, 0, s93
	s_add_u32 s2, s2, s3
	s_addc_u32 s3, s11, 0
	;; [unrolled: 2-line block ×3, first 2 shown]
	s_add_u32 s92, s2, s10
	v_cmp_eq_u32_e64 s[20:21], 3, v4
	s_addc_u32 s93, s3, 0
	s_and_b64 s[2:3], vcc, s[20:21]
	v_cmp_eq_u32_e32 vcc, 3, v5
	s_and_b64 s[6:7], s[6:7], vcc
	v_cmp_eq_u32_e32 vcc, 3, v6
	s_and_b64 s[10:11], s[14:15], vcc
	v_cmp_eq_u32_e32 vcc, 3, v2
	v_cndmask_b32_e64 v2, 0, 1, s[2:3]
	s_and_b64 s[14:15], s[18:19], vcc
	v_cmp_ne_u32_e32 vcc, 0, v2
	v_cndmask_b32_e64 v2, 0, 1, s[6:7]
	s_bcnt1_i32_b64 s2, vcc
	v_cmp_ne_u32_e32 vcc, 0, v2
	v_cndmask_b32_e64 v2, 0, 1, s[10:11]
	s_bcnt1_i32_b64 s3, vcc
	;; [unrolled: 3-line block ×3, first 2 shown]
	v_cmp_ne_u32_e32 vcc, 0, v2
	s_bcnt1_i32_b64 s7, vcc
	v_add_co_u32_e32 v39, vcc, s8, v39
	v_addc_co_u32_e32 v40, vcc, 0, v40, vcc
	v_add_co_u32_e32 v37, vcc, s1, v37
	v_mov_b32_e32 v2, s0
	v_addc_co_u32_e32 v38, vcc, v38, v2, vcc
	s_add_u32 s2, s2, s90
	v_add_co_u32_e32 v35, vcc, s1, v35
	s_addc_u32 s9, 0, s91
	v_addc_co_u32_e32 v36, vcc, v36, v2, vcc
	s_add_u32 s2, s2, s3
	v_add_co_u32_e32 v33, vcc, s1, v33
	s_addc_u32 s3, s9, 0
	;; [unrolled: 4-line block ×3, first 2 shown]
	v_addc_co_u32_e32 v32, vcc, v32, v2, vcc
	s_add_u32 s90, s2, s7
	v_cmp_le_u64_e32 vcc, s[84:85], v[39:40]
	s_addc_u32 s91, s3, 0
	v_mov_b32_e32 v4, s40
	v_mov_b32_e32 v6, s94
	v_mov_b32_e32 v8, s92
	v_mov_b32_e32 v10, s90
	s_or_b64 s[88:89], vcc, s[88:89]
	v_mov_b32_e32 v5, s41
	v_mov_b32_e32 v7, s95
	;; [unrolled: 1-line block ×4, first 2 shown]
	s_andn2_b64 exec, exec, s[88:89]
	s_cbranch_execnz .LBB111_83
; %bb.84:                               ;   in Loop: Header=BB111_36 Depth=1
	s_or_b64 exec, exec, s[88:89]
.LBB111_85:                             ;   in Loop: Header=BB111_36 Depth=1
	s_or_b64 exec, exec, s[86:87]
	v_mov_b32_e32 v2, s85
	v_add_co_u32_e32 v31, vcc, s84, v0
	v_addc_co_u32_e32 v32, vcc, 0, v2, vcc
	v_cmp_gt_u64_e32 vcc, s[24:25], v[31:32]
	s_and_saveexec_b64 s[10:11], vcc
	s_cbranch_execz .LBB111_91
; %bb.86:                               ;   in Loop: Header=BB111_36 Depth=1
	v_mul_lo_u32 v2, v32, s26
	v_mul_lo_u32 v35, v31, s27
	v_mad_u64_u32 v[33:34], s[0:1], v31, s26, 0
	s_mov_b64 s[2:3], 0
	v_add3_u32 v34, v34, v35, v2
	v_lshlrev_b64 v[33:34], 1, v[33:34]
	v_mov_b32_e32 v2, s53
	v_add_co_u32_e32 v33, vcc, s52, v33
	v_addc_co_u32_e32 v34, vcc, v2, v34, vcc
	global_load_ushort v33, v[33:34], off
	s_branch .LBB111_88
.LBB111_87:                             ;   in Loop: Header=BB111_88 Depth=2
	s_or_b64 exec, exec, s[8:9]
	s_waitcnt vmcnt(0)
	v_add_u32_sdwa v33, sext(v33), s67 dst_sel:DWORD dst_unused:UNUSED_PAD src0_sel:WORD_0 src1_sel:DWORD
	s_and_b64 s[0:1], exec, vcc
	v_and_b32_e32 v34, v33, v53
	v_bfe_u32 v33, v33, s66, 2
	s_or_b64 s[2:3], s[0:1], s[2:3]
	v_cmp_eq_u32_e32 vcc, v34, v48
	v_cmp_eq_u32_e64 s[6:7], 0, v33
	s_and_b64 s[0:1], vcc, s[6:7]
	v_cndmask_b32_e64 v34, 0, 1, s[0:1]
	v_cmp_ne_u32_e64 s[6:7], 0, v34
	s_bcnt1_i32_b64 s0, s[6:7]
	v_add_co_u32_e64 v4, s[6:7], s0, v4
	v_addc_co_u32_e64 v5, s[6:7], 0, v5, s[6:7]
	v_cmp_eq_u32_e64 s[6:7], 1, v33
	s_and_b64 s[0:1], vcc, s[6:7]
	v_cndmask_b32_e64 v34, 0, 1, s[0:1]
	v_cmp_ne_u32_e64 s[6:7], 0, v34
	s_bcnt1_i32_b64 s0, s[6:7]
	v_add_co_u32_e64 v6, s[6:7], s0, v6
	v_addc_co_u32_e64 v7, s[6:7], 0, v7, s[6:7]
	;; [unrolled: 7-line block ×3, first 2 shown]
	v_cmp_eq_u32_e64 s[6:7], 3, v33
	s_and_b64 s[0:1], vcc, s[6:7]
	v_cndmask_b32_e64 v33, 0, 1, s[0:1]
	v_cmp_ne_u32_e32 vcc, 0, v33
	s_bcnt1_i32_b64 s0, vcc
	v_add_co_u32_e32 v10, vcc, s0, v10
	v_addc_co_u32_e32 v11, vcc, 0, v11, vcc
	v_mov_b32_e32 v33, v2
	s_andn2_b64 exec, exec, s[2:3]
	s_cbranch_execz .LBB111_90
.LBB111_88:                             ;   Parent Loop BB111_36 Depth=1
                                        ; =>  This Inner Loop Header: Depth=2
	v_add_co_u32_e32 v31, vcc, s12, v31
	v_addc_co_u32_e32 v32, vcc, 0, v32, vcc
	v_cmp_gt_u64_e64 s[6:7], s[24:25], v[31:32]
	v_cmp_le_u64_e32 vcc, s[24:25], v[31:32]
	v_mov_b32_e32 v2, 0
	s_and_saveexec_b64 s[8:9], s[6:7]
	s_cbranch_execz .LBB111_87
; %bb.89:                               ;   in Loop: Header=BB111_88 Depth=2
	v_mul_lo_u32 v2, v32, s26
	v_mul_lo_u32 v36, v31, s27
	v_mad_u64_u32 v[34:35], s[0:1], v31, s26, 0
	v_add3_u32 v35, v35, v36, v2
	v_lshlrev_b64 v[34:35], 1, v[34:35]
	v_mov_b32_e32 v2, s53
	v_add_co_u32_e64 v34, s[6:7], s52, v34
	v_addc_co_u32_e64 v35, s[6:7], v2, v35, s[6:7]
	global_load_ushort v2, v[34:35], off
	s_branch .LBB111_87
.LBB111_90:                             ;   in Loop: Header=BB111_36 Depth=1
	s_or_b64 exec, exec, s[2:3]
.LBB111_91:                             ;   in Loop: Header=BB111_36 Depth=1
	s_or_b64 exec, exec, s[10:11]
	s_branch .LBB111_70
.LBB111_92:                             ;   in Loop: Header=BB111_36 Depth=1
	global_load_ushort v2, v3, s[56:57]
	v_mov_b32_e32 v8, 0
	v_mov_b32_e32 v9, 0
	s_waitcnt vmcnt(0)
	v_readfirstlane_b32 s0, v2
	s_and_b32 s0, 0xffff, s0
	s_lshl_b32 s1, s0, 2
	v_cvt_f32_u32_e32 v4, s1
	s_sub_i32 s2, 0, s1
	v_rcp_iflag_f32_e32 v6, v4
	v_mov_b32_e32 v4, 0
	v_mov_b32_e32 v5, 0
	v_mul_f32_e32 v6, 0x4f7ffffe, v6
	v_cvt_u32_f32_e32 v10, v6
	v_mov_b32_e32 v6, 0
	v_mov_b32_e32 v7, 0
	v_readfirstlane_b32 s3, v10
	s_mul_i32 s2, s2, s3
	s_mul_hi_u32 s2, s3, s2
	s_add_i32 s3, s3, s2
	s_mul_hi_u32 s2, s82, s3
	s_mul_i32 s3, s2, s1
	s_sub_i32 s3, s82, s3
	s_add_i32 s6, s2, 1
	s_sub_i32 s7, s3, s1
	s_cmp_ge_u32 s3, s1
	s_cselect_b32 s2, s6, s2
	s_cselect_b32 s3, s7, s3
	s_add_i32 s6, s2, 1
	s_cmp_ge_u32 s3, s1
	s_cselect_b32 s2, s6, s2
	s_mul_hi_u32 s41, s0, s2
	s_mul_i32 s40, s0, s2
	s_lshl_b64 s[84:85], s[40:41], 2
	v_cmp_gt_u64_e32 vcc, s[84:85], v[16:17]
	v_mov_b32_e32 v10, 0
	v_mov_b32_e32 v11, 0
	s_and_saveexec_b64 s[86:87], vcc
	s_cbranch_execz .LBB111_96
; %bb.93:                               ;   in Loop: Header=BB111_36 Depth=1
	v_mov_b32_e32 v32, v17
	s_lshl_b32 s2, s0, 3
	s_mov_b64 s[88:89], 0
	v_mov_b32_e32 v33, v42
	s_mov_b64 s[90:91], 0
	s_mov_b64 s[92:93], 0
	;; [unrolled: 1-line block ×4, first 2 shown]
	v_mov_b32_e32 v31, v16
.LBB111_94:                             ;   Parent Loop BB111_36 Depth=1
                                        ; =>  This Inner Loop Header: Depth=2
	ds_read_b64 v[4:5], v33
	v_add_u32_e32 v33, s2, v33
	s_waitcnt lgkmcnt(0)
	v_add_u32_sdwa v6, sext(v4), s67 dst_sel:DWORD dst_unused:UNUSED_PAD src0_sel:WORD_0 src1_sel:DWORD
	v_add_u32_sdwa v4, sext(v4), s67 dst_sel:DWORD dst_unused:UNUSED_PAD src0_sel:WORD_1 src1_sel:DWORD
	v_and_b32_e32 v8, v6, v53
	v_bfe_u32 v6, v6, s66, 2
	v_add_u32_sdwa v7, sext(v5), s67 dst_sel:DWORD dst_unused:UNUSED_PAD src0_sel:WORD_0 src1_sel:DWORD
	v_cmp_eq_u32_e32 vcc, v8, v48
	v_and_b32_e32 v8, v4, v53
	v_bfe_u32 v4, v4, s66, 2
	v_cmp_eq_u32_e64 s[20:21], 0, v6
	v_add_u32_sdwa v5, sext(v5), s67 dst_sel:DWORD dst_unused:UNUSED_PAD src0_sel:WORD_1 src1_sel:DWORD
	v_cmp_eq_u32_e64 s[6:7], v8, v48
	v_and_b32_e32 v8, v7, v53
	v_bfe_u32 v7, v7, s66, 2
	s_and_b64 s[8:9], vcc, s[20:21]
	v_cmp_eq_u32_e64 s[20:21], 0, v4
	v_cmp_eq_u32_e64 s[14:15], v8, v48
	v_and_b32_e32 v8, v5, v53
	v_bfe_u32 v5, v5, s66, 2
	s_and_b64 s[10:11], s[6:7], s[20:21]
	v_cmp_eq_u32_e64 s[20:21], 0, v7
	v_cmp_eq_u32_e64 s[18:19], v8, v48
	s_and_b64 s[12:13], s[14:15], s[20:21]
	v_cmp_eq_u32_e64 s[20:21], 0, v5
	v_cndmask_b32_e64 v8, 0, 1, s[8:9]
	s_and_b64 s[34:35], s[18:19], s[20:21]
	v_cmp_ne_u32_e64 s[20:21], 0, v8
	v_cndmask_b32_e64 v8, 0, 1, s[10:11]
	s_bcnt1_i32_b64 s3, s[20:21]
	v_cmp_ne_u32_e64 s[20:21], 0, v8
	v_cndmask_b32_e64 v8, 0, 1, s[12:13]
	s_bcnt1_i32_b64 s8, s[20:21]
	;; [unrolled: 3-line block ×3, first 2 shown]
	v_cmp_ne_u32_e64 s[20:21], 0, v8
	s_bcnt1_i32_b64 s10, s[20:21]
	s_add_u32 s3, s3, s38
	s_addc_u32 s11, 0, s39
	s_add_u32 s3, s3, s8
	s_addc_u32 s8, s11, 0
	;; [unrolled: 2-line block ×3, first 2 shown]
	s_add_u32 s38, s3, s10
	v_cmp_eq_u32_e64 s[20:21], 1, v6
	s_addc_u32 s39, s8, 0
	s_and_b64 s[8:9], vcc, s[20:21]
	v_cmp_eq_u32_e64 s[20:21], 1, v4
	s_and_b64 s[10:11], s[6:7], s[20:21]
	v_cmp_eq_u32_e64 s[20:21], 1, v7
	s_and_b64 s[12:13], s[14:15], s[20:21]
	v_cmp_eq_u32_e64 s[20:21], 1, v5
	v_cndmask_b32_e64 v8, 0, 1, s[8:9]
	s_and_b64 s[34:35], s[18:19], s[20:21]
	v_cmp_ne_u32_e64 s[20:21], 0, v8
	v_cndmask_b32_e64 v8, 0, 1, s[10:11]
	s_bcnt1_i32_b64 s3, s[20:21]
	v_cmp_ne_u32_e64 s[20:21], 0, v8
	v_cndmask_b32_e64 v8, 0, 1, s[12:13]
	s_bcnt1_i32_b64 s8, s[20:21]
	;; [unrolled: 3-line block ×3, first 2 shown]
	v_cmp_ne_u32_e64 s[20:21], 0, v8
	s_bcnt1_i32_b64 s10, s[20:21]
	s_add_u32 s3, s3, s94
	s_addc_u32 s11, 0, s95
	s_add_u32 s3, s3, s8
	s_addc_u32 s8, s11, 0
	;; [unrolled: 2-line block ×3, first 2 shown]
	s_add_u32 s94, s3, s10
	v_cmp_eq_u32_e64 s[20:21], 2, v6
	s_addc_u32 s95, s8, 0
	s_and_b64 s[8:9], vcc, s[20:21]
	v_cmp_eq_u32_e64 s[20:21], 2, v4
	s_and_b64 s[10:11], s[6:7], s[20:21]
	v_cmp_eq_u32_e64 s[20:21], 2, v7
	s_and_b64 s[12:13], s[14:15], s[20:21]
	v_cmp_eq_u32_e64 s[20:21], 2, v5
	v_cndmask_b32_e64 v8, 0, 1, s[8:9]
	s_and_b64 s[34:35], s[18:19], s[20:21]
	v_cmp_ne_u32_e64 s[20:21], 0, v8
	v_cndmask_b32_e64 v8, 0, 1, s[10:11]
	s_bcnt1_i32_b64 s3, s[20:21]
	v_cmp_ne_u32_e64 s[20:21], 0, v8
	v_cndmask_b32_e64 v8, 0, 1, s[12:13]
	s_bcnt1_i32_b64 s8, s[20:21]
	;; [unrolled: 3-line block ×3, first 2 shown]
	v_cmp_ne_u32_e64 s[20:21], 0, v8
	s_bcnt1_i32_b64 s10, s[20:21]
	s_add_u32 s3, s3, s92
	s_addc_u32 s11, 0, s93
	s_add_u32 s3, s3, s8
	s_addc_u32 s8, s11, 0
	;; [unrolled: 2-line block ×3, first 2 shown]
	s_add_u32 s92, s3, s10
	v_cmp_eq_u32_e64 s[20:21], 3, v6
	s_addc_u32 s93, s8, 0
	s_and_b64 s[8:9], vcc, s[20:21]
	v_cmp_eq_u32_e32 vcc, 3, v4
	s_and_b64 s[6:7], s[6:7], vcc
	v_cmp_eq_u32_e32 vcc, 3, v7
	s_and_b64 s[10:11], s[14:15], vcc
	v_cmp_eq_u32_e32 vcc, 3, v5
	v_cndmask_b32_e64 v4, 0, 1, s[8:9]
	s_and_b64 s[12:13], s[18:19], vcc
	v_cmp_ne_u32_e32 vcc, 0, v4
	v_cndmask_b32_e64 v4, 0, 1, s[6:7]
	s_bcnt1_i32_b64 s3, vcc
	v_cmp_ne_u32_e32 vcc, 0, v4
	v_cndmask_b32_e64 v4, 0, 1, s[10:11]
	s_bcnt1_i32_b64 s6, vcc
	;; [unrolled: 3-line block ×3, first 2 shown]
	v_cmp_ne_u32_e32 vcc, 0, v4
	s_bcnt1_i32_b64 s8, vcc
	s_add_u32 s3, s3, s90
	s_addc_u32 s9, 0, s91
	s_add_u32 s3, s3, s6
	s_addc_u32 s6, s9, 0
	s_add_u32 s3, s3, s7
	v_add_co_u32_e32 v31, vcc, s1, v31
	s_addc_u32 s6, s6, 0
	v_addc_co_u32_e32 v32, vcc, 0, v32, vcc
	s_add_u32 s90, s3, s8
	v_cmp_le_u64_e32 vcc, s[84:85], v[31:32]
	s_addc_u32 s91, s6, 0
	v_mov_b32_e32 v4, s38
	v_mov_b32_e32 v6, s94
	;; [unrolled: 1-line block ×4, first 2 shown]
	s_or_b64 s[88:89], vcc, s[88:89]
	v_mov_b32_e32 v5, s39
	v_mov_b32_e32 v7, s95
	;; [unrolled: 1-line block ×4, first 2 shown]
	s_andn2_b64 exec, exec, s[88:89]
	s_cbranch_execnz .LBB111_94
; %bb.95:                               ;   in Loop: Header=BB111_36 Depth=1
	s_or_b64 exec, exec, s[88:89]
.LBB111_96:                             ;   in Loop: Header=BB111_36 Depth=1
	s_or_b64 exec, exec, s[86:87]
	v_mov_b32_e32 v32, s85
	v_add_co_u32_e32 v31, vcc, s84, v0
	s_and_b32 s46, s82, 0x7fffffff
	v_addc_co_u32_e32 v32, vcc, 0, v32, vcc
	v_cmp_gt_u64_e32 vcc, s[46:47], v[31:32]
	s_and_saveexec_b64 s[12:13], vcc
	s_cbranch_execz .LBB111_100
; %bb.97:                               ;   in Loop: Header=BB111_36 Depth=1
	v_lshl_add_u32 v33, s40, 3, v49
	s_lshl_b32 s0, s0, 1
	s_mov_b64 s[14:15], 0
.LBB111_98:                             ;   Parent Loop BB111_36 Depth=1
                                        ; =>  This Inner Loop Header: Depth=2
	ds_read_i16 v34, v33
	v_add_u32_e32 v33, s0, v33
	s_waitcnt lgkmcnt(0)
	v_add_u32_e32 v34, 0x8000, v34
	v_and_b32_e32 v35, v34, v53
	v_bfe_u32 v34, v34, s66, 2
	v_cmp_eq_u32_e32 vcc, v35, v48
	v_cmp_eq_u32_e64 s[6:7], 0, v34
	s_and_b64 s[2:3], vcc, s[6:7]
	v_cndmask_b32_e64 v35, 0, 1, s[2:3]
	v_cmp_ne_u32_e64 s[6:7], 0, v35
	s_bcnt1_i32_b64 s1, s[6:7]
	v_add_co_u32_e64 v4, s[6:7], s1, v4
	v_addc_co_u32_e64 v5, s[6:7], 0, v5, s[6:7]
	v_cmp_eq_u32_e64 s[6:7], 1, v34
	s_and_b64 s[2:3], vcc, s[6:7]
	v_cndmask_b32_e64 v35, 0, 1, s[2:3]
	v_cmp_ne_u32_e64 s[6:7], 0, v35
	s_bcnt1_i32_b64 s1, s[6:7]
	v_add_co_u32_e64 v6, s[6:7], s1, v6
	v_addc_co_u32_e64 v7, s[6:7], 0, v7, s[6:7]
	;; [unrolled: 7-line block ×3, first 2 shown]
	v_cmp_eq_u32_e64 s[6:7], 3, v34
	s_and_b64 s[2:3], vcc, s[6:7]
	v_cndmask_b32_e64 v34, 0, 1, s[2:3]
	v_cmp_ne_u32_e32 vcc, 0, v34
	s_bcnt1_i32_b64 s1, vcc
	v_add_co_u32_e32 v10, vcc, s1, v10
	v_addc_co_u32_e32 v11, vcc, 0, v11, vcc
	v_add_co_u32_sdwa v31, vcc, v31, v2 dst_sel:DWORD dst_unused:UNUSED_PAD src0_sel:DWORD src1_sel:WORD_0
	v_addc_co_u32_e32 v32, vcc, 0, v32, vcc
	v_cmp_le_u64_e32 vcc, s[46:47], v[31:32]
	s_or_b64 s[14:15], vcc, s[14:15]
	s_andn2_b64 exec, exec, s[14:15]
	s_cbranch_execnz .LBB111_98
; %bb.99:                               ;   in Loop: Header=BB111_36 Depth=1
	s_or_b64 exec, exec, s[14:15]
.LBB111_100:                            ;   in Loop: Header=BB111_36 Depth=1
	s_or_b64 exec, exec, s[12:13]
	v_readlane_b32 s46, v59, 35
	s_lshl_b32 s2, s48, 6
	s_and_saveexec_b64 s[0:1], s[4:5]
	s_cbranch_execnz .LBB111_71
	s_branch .LBB111_72
.LBB111_101:                            ;   in Loop: Header=BB111_36 Depth=1
                                        ; implicit-def: $sgpr2_sgpr3
	s_branch .LBB111_80
.LBB111_102:                            ;   in Loop: Header=BB111_36 Depth=1
	v_mov_b32_e32 v4, 0
	v_mov_b32_e32 v5, 0
	s_mov_b32 s0, 0
.LBB111_103:                            ;   in Loop: Header=BB111_36 Depth=1
	v_readlane_b32 s8, v59, 27
	v_readlane_b32 s9, v59, 28
	s_andn2_b64 vcc, exec, s[8:9]
	s_cbranch_vccnz .LBB111_106
; %bb.104:                              ;   in Loop: Header=BB111_36 Depth=1
	s_lshl_b32 s1, s48, 9
	s_lshl_b32 s0, s0, 5
	s_add_i32 s1, s1, s0
	v_add_u32_e32 v2, s1, v47
	v_readlane_b32 s0, v59, 26
.LBB111_105:                            ;   Parent Loop BB111_36 Depth=1
                                        ; =>  This Inner Loop Header: Depth=2
	ds_read_b64 v[6:7], v2
	s_add_i32 s0, s0, -1
	v_add_u32_e32 v2, 32, v2
	s_cmp_lg_u32 s0, 0
	s_waitcnt lgkmcnt(0)
	v_add_co_u32_e32 v4, vcc, v6, v4
	v_addc_co_u32_e32 v5, vcc, v7, v5, vcc
	s_cbranch_scc1 .LBB111_105
.LBB111_106:                            ;   in Loop: Header=BB111_36 Depth=1
	v_add_lshl_u32 v2, s2, v41, 3
	ds_write_b64 v2, v[4:5] offset:3072
.LBB111_107:                            ;   in Loop: Header=BB111_36 Depth=1
	s_or_b64 exec, exec, s[6:7]
	s_lshl_b32 s0, s2, 3
	v_mov_b32_e32 v2, s0
	s_waitcnt lgkmcnt(0)
	s_barrier
	ds_read_b128 v[8:11], v2 offset:3088
	ds_read_b128 v[4:7], v2 offset:3072
	v_cmp_eq_u64_e64 s[6:7], 1, v[29:30]
	s_lshl_b32 s49, 3, s66
	s_not_b32 s60, s49
	s_waitcnt lgkmcnt(1)
	v_readfirstlane_b32 s84, v8
	s_waitcnt lgkmcnt(0)
	v_cmp_eq_u64_e32 vcc, 1, v[4:5]
	v_readfirstlane_b32 s85, v9
	v_readfirstlane_b32 s14, v10
	;; [unrolled: 1-line block ×3, first 2 shown]
	s_and_b64 s[20:21], vcc, s[6:7]
	s_mov_b64 s[6:7], -1
	s_mov_b64 s[2:3], -1
                                        ; implicit-def: $sgpr34_sgpr35
                                        ; implicit-def: $sgpr12_sgpr13
	s_and_saveexec_b64 s[18:19], s[20:21]
	s_cbranch_execz .LBB111_139
; %bb.108:                              ;   in Loop: Header=BB111_36 Depth=1
	ds_read_b64 v[8:9], v3 offset:5120
	s_waitcnt lgkmcnt(0)
	s_barrier
	v_readfirstlane_b32 s38, v8
	v_readfirstlane_b32 s39, v9
	s_mov_b64 s[0:1], exec
	v_readlane_b32 s2, v59, 14
	v_readlane_b32 s3, v59, 15
	s_and_b64 s[2:3], s[0:1], s[2:3]
	s_mov_b64 exec, s[2:3]
; %bb.109:                              ;   in Loop: Header=BB111_36 Depth=1
	ds_write_b16 v50, v3
; %bb.110:                              ;   in Loop: Header=BB111_36 Depth=1
	s_or_b64 exec, exec, s[0:1]
	v_and_b32_e32 v48, s60, v48
	v_or_b32_e32 v53, s49, v53
	s_mov_b64 s[12:13], -1
	s_mov_b64 s[34:35], 0
	s_cmp_eq_u64 s[38:39], 0
	s_mov_b64 s[10:11], 0
	s_mov_b64 s[2:3], -1
	s_waitcnt lgkmcnt(0)
	s_barrier
                                        ; implicit-def: $vgpr54
	s_cbranch_scc1 .LBB111_124
; %bb.111:                              ;   in Loop: Header=BB111_36 Depth=1
	s_add_u32 s8, s38, s61
	s_addc_u32 s11, s39, s62
	s_mov_b32 s10, s47
	s_cmp_lg_u64 s[10:11], 0
	s_cbranch_scc0 .LBB111_165
; %bb.112:                              ;   in Loop: Header=BB111_36 Depth=1
	v_cvt_f32_u32_e32 v2, s33
	s_sub_u32 s2, 0, s33
	s_subb_u32 s3, 0, 0
	v_mac_f32_e32 v2, 0, v51
	v_rcp_f32_e32 v2, v2
	v_mul_f32_e32 v2, 0x5f7ffffc, v2
	v_mul_f32_e32 v8, 0x2f800000, v2
	v_trunc_f32_e32 v8, v8
	v_mac_f32_e32 v2, 0xcf800000, v8
	v_cvt_u32_f32_e32 v8, v8
	v_cvt_u32_f32_e32 v2, v2
	v_readfirstlane_b32 s9, v8
	v_readfirstlane_b32 s0, v2
	s_mul_i32 s1, s2, s9
	s_mul_hi_u32 s40, s2, s0
	s_mul_i32 s10, s3, s0
	s_add_i32 s1, s40, s1
	s_mul_i32 s41, s2, s0
	s_add_i32 s1, s1, s10
	s_mul_hi_u32 s40, s0, s41
	s_mul_i32 s42, s0, s1
	s_mul_hi_u32 s10, s0, s1
	s_add_u32 s40, s40, s42
	s_addc_u32 s10, 0, s10
	s_mul_hi_u32 s43, s9, s41
	s_mul_i32 s41, s9, s41
	s_add_u32 s40, s40, s41
	s_mul_hi_u32 s42, s9, s1
	s_addc_u32 s10, s10, s43
	s_addc_u32 s40, s42, 0
	s_mul_i32 s1, s9, s1
	s_add_u32 s1, s10, s1
	s_addc_u32 s10, 0, s40
	s_add_u32 s40, s0, s1
	s_cselect_b64 s[0:1], -1, 0
	s_cmp_lg_u64 s[0:1], 0
	s_addc_u32 s9, s9, s10
	s_mul_i32 s0, s2, s9
	s_mul_hi_u32 s1, s2, s40
	s_add_i32 s0, s1, s0
	s_mul_i32 s3, s3, s40
	s_add_i32 s0, s0, s3
	s_mul_i32 s2, s2, s40
	s_mul_hi_u32 s3, s9, s2
	s_mul_i32 s10, s9, s2
	s_mul_i32 s42, s40, s0
	s_mul_hi_u32 s2, s40, s2
	s_mul_hi_u32 s41, s40, s0
	s_add_u32 s2, s2, s42
	s_addc_u32 s41, 0, s41
	s_add_u32 s2, s2, s10
	s_mul_hi_u32 s1, s9, s0
	s_addc_u32 s2, s41, s3
	s_addc_u32 s1, s1, 0
	s_mul_i32 s0, s9, s0
	s_add_u32 s0, s2, s0
	s_addc_u32 s2, 0, s1
	s_add_u32 s3, s40, s0
	s_cselect_b64 s[0:1], -1, 0
	s_cmp_lg_u64 s[0:1], 0
	s_addc_u32 s0, s9, s2
	s_mul_i32 s2, s8, s0
	s_mul_hi_u32 s9, s8, s3
	s_mul_hi_u32 s1, s8, s0
	s_add_u32 s2, s9, s2
	s_addc_u32 s1, 0, s1
	s_mul_hi_u32 s10, s11, s3
	s_mul_i32 s3, s11, s3
	s_add_u32 s2, s2, s3
	s_mul_hi_u32 s9, s11, s0
	s_addc_u32 s1, s1, s10
	s_addc_u32 s2, s9, 0
	s_mul_i32 s0, s11, s0
	s_add_u32 s0, s1, s0
	s_addc_u32 s1, 0, s2
	s_mul_i32 s1, s33, s1
	s_mul_hi_u32 s2, s33, s0
	s_add_i32 s2, s2, s1
	s_mul_i32 s0, s33, s0
	s_sub_u32 s9, s8, s0
	s_cselect_b64 s[0:1], -1, 0
	s_cmp_lg_u64 s[0:1], 0
	s_subb_u32 s2, s11, s2
	s_sub_u32 s3, s9, s33
	s_cselect_b64 s[0:1], -1, 0
	s_cmp_lg_u64 s[0:1], 0
	s_subb_u32 s10, s2, 0
	;; [unrolled: 4-line block ×3, first 2 shown]
	s_cmp_ge_u32 s3, s33
	s_cselect_b32 s1, -1, 0
	s_cmp_eq_u32 s10, 0
	s_cselect_b32 s1, s1, -1
	s_cmp_lg_u32 s1, 0
	s_cselect_b32 s0, s0, s10
	s_cselect_b32 s1, s40, s3
	s_cmp_ge_u32 s9, s33
	s_cselect_b32 s3, -1, 0
	s_cmp_eq_u32 s2, 0
	s_cselect_b32 s3, s3, -1
	s_cmp_lg_u32 s3, 0
	s_cselect_b32 s3, s0, s2
	s_cselect_b32 s2, s1, s9
	s_cbranch_execnz .LBB111_114
.LBB111_113:                            ;   in Loop: Header=BB111_36 Depth=1
	v_cvt_f32_u32_e32 v2, s33
	s_sub_i32 s0, 0, s33
	v_rcp_iflag_f32_e32 v2, v2
	v_mul_f32_e32 v2, 0x4f7ffffe, v2
	v_cvt_u32_f32_e32 v2, v2
	v_readfirstlane_b32 s1, v2
	s_mul_i32 s0, s0, s1
	s_mul_hi_u32 s0, s1, s0
	s_add_i32 s1, s1, s0
	s_mul_hi_u32 s0, s8, s1
	s_mul_i32 s0, s0, s33
	s_sub_i32 s0, s8, s0
	s_sub_i32 s1, s0, s33
	s_cmp_ge_u32 s0, s33
	s_cselect_b32 s0, s1, s0
	s_sub_i32 s1, s0, s33
	s_cmp_ge_u32 s0, s33
	s_cselect_b32 s46, s1, s0
	s_mov_b64 s[2:3], s[46:47]
	v_readlane_b32 s46, v59, 35
.LBB111_114:                            ;   in Loop: Header=BB111_36 Depth=1
	s_sub_u32 s42, s8, s2
	s_subb_u32 s43, s11, s3
	v_cmp_gt_u64_e32 vcc, s[42:43], v[0:1]
	s_mov_b64 s[2:3], 0
	s_mov_b64 s[10:11], 0
                                        ; implicit-def: $vgpr54
	s_and_saveexec_b64 s[40:41], vcc
	s_cbranch_execz .LBB111_123
; %bb.115:                              ;   in Loop: Header=BB111_36 Depth=1
	v_mov_b32_e32 v9, v1
	v_mov_b32_e32 v2, v49
	;; [unrolled: 1-line block ×3, first 2 shown]
                                        ; implicit-def: $sgpr8_sgpr9
	s_branch .LBB111_118
.LBB111_116:                            ;   in Loop: Header=BB111_118 Depth=2
	s_or_b64 exec, exec, s[0:1]
	s_waitcnt lgkmcnt(0)
	s_barrier
	ds_read_b32 v10, v3 offset:3072
	s_mov_b64 s[0:1], -1
	s_waitcnt lgkmcnt(0)
	s_barrier
	v_cmp_ne_u32_sdwa s[58:59], v10, v3 src0_sel:WORD_0 src1_sel:DWORD
	s_and_b64 vcc, exec, s[58:59]
	s_mov_b64 s[58:59], -1
	s_cbranch_vccz .LBB111_121
.LBB111_117:                            ;   in Loop: Header=BB111_118 Depth=2
	s_and_b64 s[0:1], exec, s[0:1]
	s_or_b64 s[10:11], s[0:1], s[10:11]
	s_andn2_b64 s[0:1], s[8:9], exec
	s_and_b64 s[8:9], s[58:59], exec
	s_or_b64 s[8:9], s[0:1], s[8:9]
	s_andn2_b64 exec, exec, s[10:11]
	s_cbranch_execz .LBB111_122
.LBB111_118:                            ;   Parent Loop BB111_36 Depth=1
                                        ; =>  This Inner Loop Header: Depth=2
	v_cmp_gt_u64_e32 vcc, s[38:39], v[8:9]
	s_and_saveexec_b64 s[0:1], vcc
	s_cbranch_execz .LBB111_116
; %bb.119:                              ;   in Loop: Header=BB111_118 Depth=2
	ds_read_u16 v10, v2
	s_waitcnt lgkmcnt(0)
	v_add_u32_sdwa v11, sext(v10), s67 dst_sel:DWORD dst_unused:UNUSED_PAD src0_sel:WORD_0 src1_sel:DWORD
	v_and_b32_e32 v11, v11, v53
	v_cmp_eq_u32_e32 vcc, v11, v48
	s_and_b64 exec, exec, vcc
	s_cbranch_execz .LBB111_116
; %bb.120:                              ;   in Loop: Header=BB111_118 Depth=2
	v_perm_b32 v10, v10, 1, v52
	ds_write_b32 v3, v10 offset:3072
	s_branch .LBB111_116
.LBB111_121:                            ;   in Loop: Header=BB111_118 Depth=2
	v_add_co_u32_e32 v8, vcc, s33, v8
	v_addc_co_u32_e32 v9, vcc, 0, v9, vcc
	v_cmp_le_u64_e32 vcc, s[42:43], v[8:9]
	v_add_u32_e32 v2, s64, v2
	s_mov_b64 s[58:59], 0
	s_orn2_b64 s[0:1], vcc, exec
	s_branch .LBB111_117
.LBB111_122:                            ;   in Loop: Header=BB111_36 Depth=1
	s_or_b64 exec, exec, s[10:11]
	v_lshrrev_b32_e32 v54, 16, v10
	s_and_b64 s[10:11], s[8:9], exec
.LBB111_123:                            ;   in Loop: Header=BB111_36 Depth=1
	s_or_b64 exec, exec, s[40:41]
.LBB111_124:                            ;   in Loop: Header=BB111_36 Depth=1
	s_and_b64 vcc, exec, s[2:3]
	s_cbranch_vccz .LBB111_138
; %bb.125:                              ;   in Loop: Header=BB111_36 Depth=1
	s_mov_b32 s54, s47
	s_cmp_lg_u64 s[54:55], 0
	s_cbranch_scc0 .LBB111_169
; %bb.126:                              ;   in Loop: Header=BB111_36 Depth=1
	v_cvt_f32_u32_e32 v2, s33
	s_sub_u32 s2, 0, s33
	s_subb_u32 s3, 0, 0
	v_mac_f32_e32 v2, 0, v51
	v_rcp_f32_e32 v2, v2
	v_mul_f32_e32 v2, 0x5f7ffffc, v2
	v_mul_f32_e32 v8, 0x2f800000, v2
	v_trunc_f32_e32 v8, v8
	v_mac_f32_e32 v2, 0xcf800000, v8
	v_cvt_u32_f32_e32 v8, v8
	v_cvt_u32_f32_e32 v2, v2
	v_readfirstlane_b32 s8, v8
	v_readfirstlane_b32 s0, v2
	s_mul_i32 s1, s2, s8
	s_mul_hi_u32 s12, s2, s0
	s_mul_i32 s9, s3, s0
	s_add_i32 s1, s12, s1
	s_mul_i32 s13, s2, s0
	s_add_i32 s1, s1, s9
	s_mul_hi_u32 s12, s0, s13
	s_mul_i32 s34, s0, s1
	s_mul_hi_u32 s9, s0, s1
	s_add_u32 s12, s12, s34
	s_addc_u32 s9, 0, s9
	s_mul_hi_u32 s35, s8, s13
	s_mul_i32 s13, s8, s13
	s_add_u32 s12, s12, s13
	s_mul_hi_u32 s34, s8, s1
	s_addc_u32 s9, s9, s35
	s_addc_u32 s12, s34, 0
	s_mul_i32 s1, s8, s1
	s_add_u32 s1, s9, s1
	s_addc_u32 s9, 0, s12
	s_add_u32 s12, s0, s1
	s_cselect_b64 s[0:1], -1, 0
	s_cmp_lg_u64 s[0:1], 0
	s_addc_u32 s8, s8, s9
	s_mul_i32 s0, s2, s8
	s_mul_hi_u32 s1, s2, s12
	s_add_i32 s0, s1, s0
	s_mul_i32 s3, s3, s12
	s_add_i32 s0, s0, s3
	s_mul_i32 s2, s2, s12
	s_mul_hi_u32 s3, s8, s2
	s_mul_i32 s9, s8, s2
	s_mul_i32 s34, s12, s0
	s_mul_hi_u32 s2, s12, s2
	s_mul_hi_u32 s13, s12, s0
	s_add_u32 s2, s2, s34
	s_addc_u32 s13, 0, s13
	s_add_u32 s2, s2, s9
	s_mul_hi_u32 s1, s8, s0
	s_addc_u32 s2, s13, s3
	s_addc_u32 s1, s1, 0
	s_mul_i32 s0, s8, s0
	s_add_u32 s0, s2, s0
	s_addc_u32 s2, 0, s1
	s_add_u32 s3, s12, s0
	s_cselect_b64 s[0:1], -1, 0
	s_cmp_lg_u64 s[0:1], 0
	s_addc_u32 s0, s8, s2
	s_mul_i32 s2, s16, s0
	s_mul_hi_u32 s8, s16, s3
	s_mul_hi_u32 s1, s16, s0
	s_add_u32 s2, s8, s2
	s_addc_u32 s1, 0, s1
	s_mul_hi_u32 s9, s55, s3
	s_mul_i32 s3, s55, s3
	s_add_u32 s2, s2, s3
	s_mul_hi_u32 s8, s55, s0
	s_addc_u32 s1, s1, s9
	s_addc_u32 s2, s8, 0
	s_mul_i32 s0, s55, s0
	s_add_u32 s0, s1, s0
	s_addc_u32 s1, 0, s2
	s_mul_i32 s1, s33, s1
	s_mul_hi_u32 s2, s33, s0
	s_add_i32 s2, s2, s1
	s_mul_i32 s0, s33, s0
	s_sub_u32 s8, s16, s0
	s_cselect_b64 s[0:1], -1, 0
	s_cmp_lg_u64 s[0:1], 0
	s_subb_u32 s2, s55, s2
	s_sub_u32 s3, s8, s33
	s_cselect_b64 s[0:1], -1, 0
	s_cmp_lg_u64 s[0:1], 0
	s_subb_u32 s9, s2, 0
	;; [unrolled: 4-line block ×3, first 2 shown]
	s_cmp_ge_u32 s3, s33
	s_cselect_b32 s1, -1, 0
	s_cmp_eq_u32 s9, 0
	s_cselect_b32 s1, s1, -1
	s_cmp_lg_u32 s1, 0
	s_cselect_b32 s0, s0, s9
	s_cselect_b32 s1, s12, s3
	s_cmp_ge_u32 s8, s33
	s_cselect_b32 s3, -1, 0
	s_cmp_eq_u32 s2, 0
	s_cselect_b32 s3, s3, -1
	s_cmp_lg_u32 s3, 0
	s_cselect_b32 s3, s0, s2
	s_cselect_b32 s2, s1, s8
	s_cbranch_execnz .LBB111_128
.LBB111_127:                            ;   in Loop: Header=BB111_36 Depth=1
	v_cvt_f32_u32_e32 v2, s33
	s_sub_i32 s0, 0, s33
	v_rcp_iflag_f32_e32 v2, v2
	v_mul_f32_e32 v2, 0x4f7ffffe, v2
	v_cvt_u32_f32_e32 v2, v2
	v_readfirstlane_b32 s1, v2
	s_mul_i32 s0, s0, s1
	s_mul_hi_u32 s0, s1, s0
	s_add_i32 s1, s1, s0
	s_mul_hi_u32 s0, s16, s1
	s_mul_i32 s0, s0, s33
	s_sub_i32 s0, s16, s0
	s_sub_i32 s1, s0, s33
	s_cmp_ge_u32 s0, s33
	s_cselect_b32 s0, s1, s0
	s_sub_i32 s1, s0, s33
	s_cmp_ge_u32 s0, s33
	s_cselect_b32 s46, s1, s0
	s_mov_b64 s[2:3], s[46:47]
	v_readlane_b32 s46, v59, 35
.LBB111_128:                            ;   in Loop: Header=BB111_36 Depth=1
	s_sub_u32 s12, s16, s2
	s_subb_u32 s13, s55, s3
	v_cmp_gt_u64_e32 vcc, s[12:13], v[0:1]
                                        ; implicit-def: $vgpr54
	s_and_saveexec_b64 s[2:3], vcc
	s_cbranch_execz .LBB111_137
; %bb.129:                              ;   in Loop: Header=BB111_36 Depth=1
	v_mov_b32_e32 v8, v12
	v_mov_b32_e32 v11, v1
	s_mov_b64 s[34:35], 0
	v_mov_b32_e32 v9, v13
	v_mov_b32_e32 v10, v0
                                        ; implicit-def: $sgpr38_sgpr39
	s_branch .LBB111_132
.LBB111_130:                            ;   in Loop: Header=BB111_132 Depth=2
	s_or_b64 exec, exec, s[0:1]
	s_waitcnt lgkmcnt(0)
	s_barrier
	ds_read_b32 v2, v3 offset:3072
	s_mov_b64 s[0:1], -1
	s_waitcnt lgkmcnt(0)
	s_barrier
	v_cmp_ne_u32_sdwa s[8:9], v2, v3 src0_sel:WORD_0 src1_sel:DWORD
	s_and_b64 vcc, exec, s[8:9]
	s_mov_b64 s[8:9], -1
	s_cbranch_vccz .LBB111_135
.LBB111_131:                            ;   in Loop: Header=BB111_132 Depth=2
	s_and_b64 s[0:1], exec, s[0:1]
	s_or_b64 s[34:35], s[0:1], s[34:35]
	s_andn2_b64 s[0:1], s[38:39], exec
	s_and_b64 s[8:9], s[8:9], exec
	s_or_b64 s[38:39], s[0:1], s[8:9]
	s_andn2_b64 exec, exec, s[34:35]
	s_cbranch_execz .LBB111_136
.LBB111_132:                            ;   Parent Loop BB111_36 Depth=1
                                        ; =>  This Inner Loop Header: Depth=2
	v_cmp_gt_u64_e32 vcc, s[24:25], v[10:11]
	s_and_saveexec_b64 s[0:1], vcc
	s_cbranch_execz .LBB111_130
; %bb.133:                              ;   in Loop: Header=BB111_132 Depth=2
	global_load_ushort v2, v[8:9], off
	s_waitcnt vmcnt(0)
	v_add_u32_sdwa v31, sext(v2), s67 dst_sel:DWORD dst_unused:UNUSED_PAD src0_sel:WORD_0 src1_sel:DWORD
	v_and_b32_e32 v31, v31, v53
	v_cmp_eq_u32_e32 vcc, v31, v48
	s_and_b64 exec, exec, vcc
	s_cbranch_execz .LBB111_130
; %bb.134:                              ;   in Loop: Header=BB111_132 Depth=2
	v_perm_b32 v2, v2, 1, v52
	ds_write_b32 v3, v2 offset:3072
	s_branch .LBB111_130
.LBB111_135:                            ;   in Loop: Header=BB111_132 Depth=2
	v_add_co_u32_e32 v10, vcc, s33, v10
	v_addc_co_u32_e32 v11, vcc, 0, v11, vcc
	v_mov_b32_e32 v31, s51
	v_add_co_u32_e32 v8, vcc, s50, v8
	v_addc_co_u32_e32 v9, vcc, v9, v31, vcc
	v_cmp_le_u64_e32 vcc, s[12:13], v[10:11]
	s_mov_b64 s[8:9], 0
	s_orn2_b64 s[0:1], vcc, exec
	s_branch .LBB111_131
.LBB111_136:                            ;   in Loop: Header=BB111_36 Depth=1
	s_or_b64 exec, exec, s[34:35]
	s_andn2_b64 s[0:1], s[10:11], exec
	s_and_b64 s[8:9], s[38:39], exec
	v_lshrrev_b32_e32 v54, 16, v2
	s_or_b64 s[10:11], s[0:1], s[8:9]
.LBB111_137:                            ;   in Loop: Header=BB111_36 Depth=1
	s_or_b64 exec, exec, s[2:3]
	s_mov_b64 s[12:13], 0
	s_mov_b64 s[34:35], -1
.LBB111_138:                            ;   in Loop: Header=BB111_36 Depth=1
	s_orn2_b64 s[2:3], s[10:11], exec
.LBB111_139:                            ;   in Loop: Header=BB111_36 Depth=1
	s_or_b64 exec, exec, s[18:19]
	s_andn2_b64 s[0:1], s[80:81], exec
	s_and_b64 s[8:9], s[34:35], exec
	s_or_b64 s[80:81], s[0:1], s[8:9]
	s_andn2_b64 s[0:1], s[78:79], exec
	s_and_b64 s[8:9], s[12:13], exec
	s_andn2_b64 s[76:77], s[76:77], exec
	s_or_b64 s[78:79], s[0:1], s[8:9]
                                        ; implicit-def: $vgpr8_vgpr9
	s_and_saveexec_b64 s[18:19], s[2:3]
	s_cbranch_execz .LBB111_35
; %bb.140:                              ;   in Loop: Header=BB111_36 Depth=1
	v_mov_b32_e32 v8, 1
	s_xor_b64 s[0:1], s[20:21], -1
	v_mov_b32_e32 v2, 1
	v_mov_b32_e32 v9, 0
	s_mov_b64 s[8:9], 0
	s_and_saveexec_b64 s[6:7], s[0:1]
	s_cbranch_execz .LBB111_149
; %bb.141:                              ;   in Loop: Header=BB111_36 Depth=1
	v_cmp_le_u64_e32 vcc, v[29:30], v[4:5]
	s_and_saveexec_b64 s[0:1], vcc
	s_xor_b64 s[2:3], exec, s[0:1]
	s_cbranch_execz .LBB111_146
; %bb.142:                              ;   in Loop: Header=BB111_36 Depth=1
	ds_read_b64 v[8:9], v3 offset:5120
	v_and_b32_e32 v48, s60, v48
	v_or_b32_e32 v53, s49, v53
	s_waitcnt lgkmcnt(0)
	v_cmp_ne_u64_e32 vcc, 0, v[8:9]
	s_cbranch_vccnz .LBB111_146
; %bb.143:                              ;   in Loop: Header=BB111_36 Depth=1
	s_mov_b64 s[0:1], exec
	v_readlane_b32 s8, v59, 4
	v_readlane_b32 s9, v59, 5
	s_and_b64 s[8:9], s[0:1], s[8:9]
	s_mov_b64 exec, s[8:9]
; %bb.144:                              ;   in Loop: Header=BB111_36 Depth=1
	ds_write_b64 v3, v[4:5] offset:5128
; %bb.145:                              ;   in Loop: Header=BB111_36 Depth=1
	s_or_b64 exec, exec, s[0:1]
	s_waitcnt lgkmcnt(0)
	s_barrier
.LBB111_146:                            ;   in Loop: Header=BB111_36 Depth=1
	s_or_saveexec_b64 s[2:3], s[2:3]
	s_mov_b64 s[8:9], 0
	v_mov_b32_e32 v2, 8
	s_xor_b64 exec, exec, s[2:3]
; %bb.147:                              ;   in Loop: Header=BB111_36 Depth=1
	v_sub_co_u32_e32 v29, vcc, v29, v4
	v_subb_co_u32_e32 v30, vcc, v30, v5, vcc
	v_mov_b32_e32 v2, 0
	s_mov_b64 s[8:9], exec
; %bb.148:                              ;   in Loop: Header=BB111_36 Depth=1
	s_or_b64 exec, exec, s[2:3]
	v_mov_b32_e32 v8, v29
	s_and_b64 s[8:9], s[8:9], exec
	v_mov_b32_e32 v9, v30
.LBB111_149:                            ;   in Loop: Header=BB111_36 Depth=1
	s_or_b64 exec, exec, s[6:7]
	s_mov_b64 s[20:21], -1
	s_mov_b64 s[2:3], -1
                                        ; implicit-def: $sgpr6_sgpr7
                                        ; implicit-def: $sgpr86_sgpr87
	s_and_saveexec_b64 s[0:1], s[8:9]
	s_xor_b64 s[82:83], exec, s[0:1]
	s_cbranch_execz .LBB111_295
; %bb.150:                              ;   in Loop: Header=BB111_36 Depth=1
	v_cmp_eq_u64_e32 vcc, 1, v[6:7]
	v_cmp_eq_u64_e64 s[6:7], 1, v[8:9]
                                        ; implicit-def: $sgpr86_sgpr87
	s_and_b64 s[38:39], vcc, s[6:7]
                                        ; implicit-def: $sgpr6_sgpr7
	s_and_saveexec_b64 s[40:41], s[38:39]
	s_cbranch_execz .LBB111_187
; %bb.151:                              ;   in Loop: Header=BB111_36 Depth=1
	ds_read_b64 v[4:5], v3 offset:5120
	s_waitcnt lgkmcnt(0)
	s_barrier
	v_readfirstlane_b32 s10, v4
	v_readfirstlane_b32 s11, v5
	s_mov_b64 s[0:1], exec
	v_readlane_b32 s2, v59, 14
	v_readlane_b32 s3, v59, 15
	s_and_b64 s[2:3], s[0:1], s[2:3]
	s_mov_b64 exec, s[2:3]
; %bb.152:                              ;   in Loop: Header=BB111_36 Depth=1
	ds_write_b16 v50, v3
; %bb.153:                              ;   in Loop: Header=BB111_36 Depth=1
	s_or_b64 exec, exec, s[0:1]
	v_and_b32_e32 v4, s60, v48
	v_lshl_or_b32 v48, 1, s66, v4
	v_or_b32_e32 v53, s49, v53
	s_mov_b64 s[6:7], -1
	s_mov_b64 s[86:87], 0
	s_cmp_eq_u64 s[10:11], 0
	s_mov_b64 s[12:13], 0
	s_mov_b64 s[34:35], -1
	s_waitcnt lgkmcnt(0)
	s_barrier
                                        ; implicit-def: $vgpr54
	s_cbranch_scc1 .LBB111_172
; %bb.154:                              ;   in Loop: Header=BB111_36 Depth=1
	s_add_u32 s8, s10, s61
	s_addc_u32 s13, s11, s62
	s_mov_b32 s12, s47
	s_cmp_lg_u64 s[12:13], 0
	s_cbranch_scc0 .LBB111_214
; %bb.155:                              ;   in Loop: Header=BB111_36 Depth=1
	v_cvt_f32_u32_e32 v4, s33
	s_sub_u32 s2, 0, s33
	s_subb_u32 s3, 0, 0
	v_mac_f32_e32 v4, 0, v51
	v_rcp_f32_e32 v4, v4
	v_mul_f32_e32 v4, 0x5f7ffffc, v4
	v_mul_f32_e32 v5, 0x2f800000, v4
	v_trunc_f32_e32 v5, v5
	v_mac_f32_e32 v4, 0xcf800000, v5
	v_cvt_u32_f32_e32 v5, v5
	v_cvt_u32_f32_e32 v4, v4
	v_readfirstlane_b32 s9, v5
	v_readfirstlane_b32 s0, v4
	s_mul_i32 s1, s2, s9
	s_mul_hi_u32 s34, s2, s0
	s_mul_i32 s12, s3, s0
	s_add_i32 s1, s34, s1
	s_mul_i32 s35, s2, s0
	s_add_i32 s1, s1, s12
	s_mul_hi_u32 s34, s0, s35
	s_mul_i32 s42, s0, s1
	s_mul_hi_u32 s12, s0, s1
	s_add_u32 s34, s34, s42
	s_addc_u32 s12, 0, s12
	s_mul_hi_u32 s43, s9, s35
	s_mul_i32 s35, s9, s35
	s_add_u32 s34, s34, s35
	s_mul_hi_u32 s42, s9, s1
	s_addc_u32 s12, s12, s43
	s_addc_u32 s34, s42, 0
	s_mul_i32 s1, s9, s1
	s_add_u32 s1, s12, s1
	s_addc_u32 s12, 0, s34
	s_add_u32 s34, s0, s1
	s_cselect_b64 s[0:1], -1, 0
	s_cmp_lg_u64 s[0:1], 0
	s_addc_u32 s9, s9, s12
	s_mul_i32 s0, s2, s9
	s_mul_hi_u32 s1, s2, s34
	s_add_i32 s0, s1, s0
	s_mul_i32 s3, s3, s34
	s_add_i32 s0, s0, s3
	s_mul_i32 s2, s2, s34
	s_mul_hi_u32 s3, s9, s2
	s_mul_i32 s12, s9, s2
	s_mul_i32 s42, s34, s0
	s_mul_hi_u32 s2, s34, s2
	s_mul_hi_u32 s35, s34, s0
	s_add_u32 s2, s2, s42
	s_addc_u32 s35, 0, s35
	s_add_u32 s2, s2, s12
	s_mul_hi_u32 s1, s9, s0
	s_addc_u32 s2, s35, s3
	s_addc_u32 s1, s1, 0
	s_mul_i32 s0, s9, s0
	s_add_u32 s0, s2, s0
	s_addc_u32 s2, 0, s1
	s_add_u32 s3, s34, s0
	s_cselect_b64 s[0:1], -1, 0
	s_cmp_lg_u64 s[0:1], 0
	s_addc_u32 s0, s9, s2
	s_mul_i32 s2, s8, s0
	s_mul_hi_u32 s9, s8, s3
	s_mul_hi_u32 s1, s8, s0
	s_add_u32 s2, s9, s2
	s_addc_u32 s1, 0, s1
	s_mul_hi_u32 s12, s13, s3
	s_mul_i32 s3, s13, s3
	s_add_u32 s2, s2, s3
	s_mul_hi_u32 s9, s13, s0
	s_addc_u32 s1, s1, s12
	s_addc_u32 s2, s9, 0
	s_mul_i32 s0, s13, s0
	s_add_u32 s0, s1, s0
	s_addc_u32 s1, 0, s2
	s_mul_i32 s1, s33, s1
	s_mul_hi_u32 s2, s33, s0
	s_add_i32 s2, s2, s1
	s_mul_i32 s0, s33, s0
	s_sub_u32 s9, s8, s0
	s_cselect_b64 s[0:1], -1, 0
	s_cmp_lg_u64 s[0:1], 0
	s_subb_u32 s2, s13, s2
	s_sub_u32 s3, s9, s33
	s_cselect_b64 s[0:1], -1, 0
	s_cmp_lg_u64 s[0:1], 0
	s_subb_u32 s12, s2, 0
	;; [unrolled: 4-line block ×3, first 2 shown]
	s_cmp_ge_u32 s3, s33
	s_cselect_b32 s1, -1, 0
	s_cmp_eq_u32 s12, 0
	s_cselect_b32 s1, s1, -1
	s_cmp_lg_u32 s1, 0
	s_cselect_b32 s0, s0, s12
	s_cselect_b32 s1, s34, s3
	s_cmp_ge_u32 s9, s33
	s_cselect_b32 s3, -1, 0
	s_cmp_eq_u32 s2, 0
	s_cselect_b32 s3, s3, -1
	s_cmp_lg_u32 s3, 0
	s_cselect_b32 s3, s0, s2
	s_cselect_b32 s2, s1, s9
	s_cbranch_execnz .LBB111_157
.LBB111_156:                            ;   in Loop: Header=BB111_36 Depth=1
	v_cvt_f32_u32_e32 v4, s33
	s_sub_i32 s0, 0, s33
	v_rcp_iflag_f32_e32 v4, v4
	v_mul_f32_e32 v4, 0x4f7ffffe, v4
	v_cvt_u32_f32_e32 v4, v4
	v_readfirstlane_b32 s1, v4
	s_mul_i32 s0, s0, s1
	s_mul_hi_u32 s0, s1, s0
	s_add_i32 s1, s1, s0
	s_mul_hi_u32 s0, s8, s1
	s_mul_i32 s0, s0, s33
	s_sub_i32 s0, s8, s0
	s_sub_i32 s1, s0, s33
	s_cmp_ge_u32 s0, s33
	s_cselect_b32 s0, s1, s0
	s_sub_i32 s1, s0, s33
	s_cmp_ge_u32 s0, s33
	s_cselect_b32 s46, s1, s0
	s_mov_b64 s[2:3], s[46:47]
	v_readlane_b32 s46, v59, 35
.LBB111_157:                            ;   in Loop: Header=BB111_36 Depth=1
	s_sub_u32 s42, s8, s2
	s_subb_u32 s43, s13, s3
	v_cmp_gt_u64_e32 vcc, s[42:43], v[0:1]
	s_mov_b64 s[34:35], 0
	s_mov_b64 s[12:13], 0
                                        ; implicit-def: $vgpr54
	s_and_saveexec_b64 s[2:3], vcc
	s_cbranch_execz .LBB111_171
; %bb.158:                              ;   in Loop: Header=BB111_36 Depth=1
	v_mov_b32_e32 v5, v1
	v_mov_b32_e32 v10, v49
	v_mov_b32_e32 v4, v0
                                        ; implicit-def: $sgpr58_sgpr59
	s_branch .LBB111_161
.LBB111_159:                            ;   in Loop: Header=BB111_161 Depth=2
	s_or_b64 exec, exec, s[8:9]
	s_waitcnt lgkmcnt(0)
	s_barrier
	ds_read_b32 v11, v3 offset:3072
	s_mov_b64 s[0:1], -1
	s_waitcnt lgkmcnt(0)
	s_barrier
	v_cmp_ne_u32_sdwa s[8:9], v11, v3 src0_sel:WORD_0 src1_sel:DWORD
	s_and_b64 vcc, exec, s[8:9]
	s_mov_b64 s[8:9], -1
	s_cbranch_vccz .LBB111_164
.LBB111_160:                            ;   in Loop: Header=BB111_161 Depth=2
	s_and_b64 s[0:1], exec, s[0:1]
	s_or_b64 s[12:13], s[0:1], s[12:13]
	s_andn2_b64 s[0:1], s[58:59], exec
	s_and_b64 s[8:9], s[8:9], exec
	s_or_b64 s[58:59], s[0:1], s[8:9]
	s_andn2_b64 exec, exec, s[12:13]
	s_cbranch_execz .LBB111_170
.LBB111_161:                            ;   Parent Loop BB111_36 Depth=1
                                        ; =>  This Inner Loop Header: Depth=2
	v_cmp_gt_u64_e32 vcc, s[10:11], v[4:5]
	s_and_saveexec_b64 s[8:9], vcc
	s_cbranch_execz .LBB111_159
; %bb.162:                              ;   in Loop: Header=BB111_161 Depth=2
	ds_read_u16 v11, v10
	s_waitcnt lgkmcnt(0)
	v_add_u32_sdwa v29, sext(v11), s67 dst_sel:DWORD dst_unused:UNUSED_PAD src0_sel:WORD_0 src1_sel:DWORD
	v_and_b32_e32 v29, v29, v53
	v_cmp_eq_u32_e32 vcc, v29, v48
	s_and_b64 exec, exec, vcc
	s_cbranch_execz .LBB111_159
; %bb.163:                              ;   in Loop: Header=BB111_161 Depth=2
	v_perm_b32 v11, v11, 1, v52
	ds_write_b32 v3, v11 offset:3072
	s_branch .LBB111_159
.LBB111_164:                            ;   in Loop: Header=BB111_161 Depth=2
	v_add_co_u32_e32 v4, vcc, s33, v4
	v_addc_co_u32_e32 v5, vcc, 0, v5, vcc
	v_cmp_le_u64_e32 vcc, s[42:43], v[4:5]
	v_add_u32_e32 v10, s64, v10
	s_mov_b64 s[8:9], 0
	s_orn2_b64 s[0:1], vcc, exec
	s_branch .LBB111_160
.LBB111_165:                            ;   in Loop: Header=BB111_36 Depth=1
                                        ; implicit-def: $sgpr2_sgpr3
	s_branch .LBB111_113
.LBB111_166:                            ;   in Loop: Header=BB111_36 Depth=1
	s_or_b64 exec, exec, s[12:13]
	s_waitcnt lgkmcnt(0)
	s_barrier
	s_mov_b64 s[0:1], exec
	v_readlane_b32 s2, v59, 4
	v_readlane_b32 s3, v59, 5
	s_and_b64 s[2:3], s[0:1], s[2:3]
	s_mov_b64 exec, s[2:3]
	s_cbranch_execz .LBB111_168
; %bb.167:                              ;   in Loop: Header=BB111_36 Depth=1
	ds_read_b32 v4, v3 offset:5144
	s_waitcnt lgkmcnt(0)
	v_ashrrev_i32_e32 v5, 31, v4
	ds_write_b64 v3, v[4:5] offset:5120
.LBB111_168:                            ;   in Loop: Header=BB111_36 Depth=1
	s_or_b64 exec, exec, s[0:1]
	s_waitcnt lgkmcnt(0)
	s_barrier
	s_mov_b64 s[2:3], -1
	s_and_b64 vcc, exec, s[10:11]
	s_cbranch_vccnz .LBB111_51
	s_branch .LBB111_66
.LBB111_169:                            ;   in Loop: Header=BB111_36 Depth=1
                                        ; implicit-def: $sgpr2_sgpr3
	s_branch .LBB111_127
.LBB111_170:                            ;   in Loop: Header=BB111_36 Depth=1
	s_or_b64 exec, exec, s[12:13]
	v_lshrrev_b32_e32 v54, 16, v11
	s_and_b64 s[12:13], s[58:59], exec
.LBB111_171:                            ;   in Loop: Header=BB111_36 Depth=1
	s_or_b64 exec, exec, s[2:3]
.LBB111_172:                            ;   in Loop: Header=BB111_36 Depth=1
	s_and_b64 vcc, exec, s[34:35]
	s_cbranch_vccz .LBB111_186
; %bb.173:                              ;   in Loop: Header=BB111_36 Depth=1
	s_mov_b32 s54, s47
	s_cmp_lg_u64 s[54:55], 0
	s_cbranch_scc0 .LBB111_215
; %bb.174:                              ;   in Loop: Header=BB111_36 Depth=1
	v_cvt_f32_u32_e32 v4, s33
	s_sub_u32 s2, 0, s33
	s_subb_u32 s3, 0, 0
	v_mac_f32_e32 v4, 0, v51
	v_rcp_f32_e32 v4, v4
	v_mul_f32_e32 v4, 0x5f7ffffc, v4
	v_mul_f32_e32 v5, 0x2f800000, v4
	v_trunc_f32_e32 v5, v5
	v_mac_f32_e32 v4, 0xcf800000, v5
	v_cvt_u32_f32_e32 v5, v5
	v_cvt_u32_f32_e32 v4, v4
	v_readfirstlane_b32 s6, v5
	v_readfirstlane_b32 s0, v4
	s_mul_i32 s1, s2, s6
	s_mul_hi_u32 s8, s2, s0
	s_mul_i32 s7, s3, s0
	s_add_i32 s1, s8, s1
	s_mul_i32 s9, s2, s0
	s_add_i32 s1, s1, s7
	s_mul_hi_u32 s8, s0, s9
	s_mul_i32 s10, s0, s1
	s_mul_hi_u32 s7, s0, s1
	s_add_u32 s8, s8, s10
	s_addc_u32 s7, 0, s7
	s_mul_hi_u32 s11, s6, s9
	s_mul_i32 s9, s6, s9
	s_add_u32 s8, s8, s9
	s_mul_hi_u32 s10, s6, s1
	s_addc_u32 s7, s7, s11
	s_addc_u32 s8, s10, 0
	s_mul_i32 s1, s6, s1
	s_add_u32 s1, s7, s1
	s_addc_u32 s7, 0, s8
	s_add_u32 s8, s0, s1
	s_cselect_b64 s[0:1], -1, 0
	s_cmp_lg_u64 s[0:1], 0
	s_addc_u32 s6, s6, s7
	s_mul_i32 s0, s2, s6
	s_mul_hi_u32 s1, s2, s8
	s_add_i32 s0, s1, s0
	s_mul_i32 s3, s3, s8
	s_add_i32 s0, s0, s3
	s_mul_i32 s2, s2, s8
	s_mul_hi_u32 s3, s6, s2
	s_mul_i32 s7, s6, s2
	s_mul_i32 s10, s8, s0
	s_mul_hi_u32 s2, s8, s2
	s_mul_hi_u32 s9, s8, s0
	s_add_u32 s2, s2, s10
	s_addc_u32 s9, 0, s9
	s_add_u32 s2, s2, s7
	s_mul_hi_u32 s1, s6, s0
	s_addc_u32 s2, s9, s3
	s_addc_u32 s1, s1, 0
	s_mul_i32 s0, s6, s0
	s_add_u32 s0, s2, s0
	s_addc_u32 s2, 0, s1
	s_add_u32 s3, s8, s0
	s_cselect_b64 s[0:1], -1, 0
	s_cmp_lg_u64 s[0:1], 0
	s_addc_u32 s0, s6, s2
	s_mul_i32 s2, s16, s0
	s_mul_hi_u32 s6, s16, s3
	s_mul_hi_u32 s1, s16, s0
	s_add_u32 s2, s6, s2
	s_addc_u32 s1, 0, s1
	s_mul_hi_u32 s7, s55, s3
	s_mul_i32 s3, s55, s3
	s_add_u32 s2, s2, s3
	s_mul_hi_u32 s6, s55, s0
	s_addc_u32 s1, s1, s7
	s_addc_u32 s2, s6, 0
	s_mul_i32 s0, s55, s0
	s_add_u32 s0, s1, s0
	s_addc_u32 s1, 0, s2
	s_mul_i32 s1, s33, s1
	s_mul_hi_u32 s2, s33, s0
	s_add_i32 s2, s2, s1
	s_mul_i32 s0, s33, s0
	s_sub_u32 s6, s16, s0
	s_cselect_b64 s[0:1], -1, 0
	s_cmp_lg_u64 s[0:1], 0
	s_subb_u32 s2, s55, s2
	s_sub_u32 s3, s6, s33
	s_cselect_b64 s[0:1], -1, 0
	s_cmp_lg_u64 s[0:1], 0
	s_subb_u32 s7, s2, 0
	;; [unrolled: 4-line block ×3, first 2 shown]
	s_cmp_ge_u32 s3, s33
	s_cselect_b32 s1, -1, 0
	s_cmp_eq_u32 s7, 0
	s_cselect_b32 s1, s1, -1
	s_cmp_lg_u32 s1, 0
	s_cselect_b32 s0, s0, s7
	s_cselect_b32 s1, s8, s3
	s_cmp_ge_u32 s6, s33
	s_cselect_b32 s3, -1, 0
	s_cmp_eq_u32 s2, 0
	s_cselect_b32 s3, s3, -1
	s_cmp_lg_u32 s3, 0
	s_cselect_b32 s3, s0, s2
	s_cselect_b32 s2, s1, s6
	s_cbranch_execnz .LBB111_176
.LBB111_175:                            ;   in Loop: Header=BB111_36 Depth=1
	v_cvt_f32_u32_e32 v4, s33
	s_sub_i32 s0, 0, s33
	v_rcp_iflag_f32_e32 v4, v4
	v_mul_f32_e32 v4, 0x4f7ffffe, v4
	v_cvt_u32_f32_e32 v4, v4
	v_readfirstlane_b32 s1, v4
	s_mul_i32 s0, s0, s1
	s_mul_hi_u32 s0, s1, s0
	s_add_i32 s1, s1, s0
	s_mul_hi_u32 s0, s16, s1
	s_mul_i32 s0, s0, s33
	s_sub_i32 s0, s16, s0
	s_sub_i32 s1, s0, s33
	s_cmp_ge_u32 s0, s33
	s_cselect_b32 s0, s1, s0
	s_sub_i32 s1, s0, s33
	s_cmp_ge_u32 s0, s33
	s_cselect_b32 s46, s1, s0
	s_mov_b64 s[2:3], s[46:47]
	v_readlane_b32 s46, v59, 35
.LBB111_176:                            ;   in Loop: Header=BB111_36 Depth=1
	s_sub_u32 s6, s16, s2
	s_subb_u32 s7, s55, s3
	v_cmp_gt_u64_e32 vcc, s[6:7], v[0:1]
                                        ; implicit-def: $vgpr54
	s_and_saveexec_b64 s[2:3], vcc
	s_cbranch_execz .LBB111_185
; %bb.177:                              ;   in Loop: Header=BB111_36 Depth=1
	v_mov_b32_e32 v4, v12
	v_mov_b32_e32 v11, v1
	s_mov_b64 s[10:11], 0
	v_mov_b32_e32 v5, v13
	v_mov_b32_e32 v10, v0
                                        ; implicit-def: $sgpr34_sgpr35
	s_branch .LBB111_180
.LBB111_178:                            ;   in Loop: Header=BB111_180 Depth=2
	s_or_b64 exec, exec, s[8:9]
	s_waitcnt lgkmcnt(0)
	s_barrier
	ds_read_b32 v29, v3 offset:3072
	s_mov_b64 s[0:1], -1
	s_waitcnt lgkmcnt(0)
	s_barrier
	v_cmp_eq_u32_sdwa s[8:9], v29, v3 src0_sel:WORD_0 src1_sel:DWORD
	s_and_b64 vcc, exec, s[8:9]
	s_mov_b64 s[8:9], -1
	s_cbranch_vccnz .LBB111_183
.LBB111_179:                            ;   in Loop: Header=BB111_180 Depth=2
	s_and_b64 s[0:1], exec, s[0:1]
	s_or_b64 s[10:11], s[0:1], s[10:11]
	s_andn2_b64 s[0:1], s[34:35], exec
	s_and_b64 s[8:9], s[8:9], exec
	s_or_b64 s[34:35], s[0:1], s[8:9]
	s_andn2_b64 exec, exec, s[10:11]
	s_cbranch_execz .LBB111_184
.LBB111_180:                            ;   Parent Loop BB111_36 Depth=1
                                        ; =>  This Inner Loop Header: Depth=2
	v_cmp_gt_u64_e32 vcc, s[24:25], v[10:11]
	s_and_saveexec_b64 s[8:9], vcc
	s_cbranch_execz .LBB111_178
; %bb.181:                              ;   in Loop: Header=BB111_180 Depth=2
	global_load_ushort v29, v[4:5], off
	s_waitcnt vmcnt(0)
	v_add_u32_sdwa v30, sext(v29), s67 dst_sel:DWORD dst_unused:UNUSED_PAD src0_sel:WORD_0 src1_sel:DWORD
	v_and_b32_e32 v30, v30, v53
	v_cmp_eq_u32_e32 vcc, v30, v48
	s_and_b64 exec, exec, vcc
	s_cbranch_execz .LBB111_178
; %bb.182:                              ;   in Loop: Header=BB111_180 Depth=2
	v_perm_b32 v29, v29, 1, v52
	ds_write_b32 v3, v29 offset:3072
	s_branch .LBB111_178
.LBB111_183:                            ;   in Loop: Header=BB111_180 Depth=2
	v_add_co_u32_e32 v10, vcc, s33, v10
	v_addc_co_u32_e32 v11, vcc, 0, v11, vcc
	v_mov_b32_e32 v30, s51
	v_add_co_u32_e32 v4, vcc, s50, v4
	v_addc_co_u32_e32 v5, vcc, v5, v30, vcc
	v_cmp_le_u64_e32 vcc, s[6:7], v[10:11]
	s_mov_b64 s[8:9], 0
	s_orn2_b64 s[0:1], vcc, exec
	s_branch .LBB111_179
.LBB111_184:                            ;   in Loop: Header=BB111_36 Depth=1
	s_or_b64 exec, exec, s[10:11]
	s_andn2_b64 s[0:1], s[12:13], exec
	s_and_b64 s[6:7], s[34:35], exec
	v_lshrrev_b32_e32 v54, 16, v29
	s_or_b64 s[12:13], s[0:1], s[6:7]
.LBB111_185:                            ;   in Loop: Header=BB111_36 Depth=1
	s_or_b64 exec, exec, s[2:3]
	s_mov_b64 s[6:7], 0
	s_mov_b64 s[86:87], -1
.LBB111_186:                            ;   in Loop: Header=BB111_36 Depth=1
	s_orn2_b64 s[2:3], s[12:13], exec
.LBB111_187:                            ;   in Loop: Header=BB111_36 Depth=1
	s_or_b64 exec, exec, s[40:41]
	s_mov_b64 s[8:9], 0
	s_and_saveexec_b64 s[88:89], s[2:3]
	s_cbranch_execz .LBB111_294
; %bb.188:                              ;   in Loop: Header=BB111_36 Depth=1
	v_mov_b32_e32 v4, 1
	s_xor_b64 s[0:1], s[38:39], -1
	v_mov_b32_e32 v2, 1
	v_mov_b32_e32 v5, 0
	s_and_saveexec_b64 s[10:11], s[0:1]
	s_cbranch_execz .LBB111_198
; %bb.189:                              ;   in Loop: Header=BB111_36 Depth=1
	v_cmp_le_u64_e32 vcc, v[8:9], v[6:7]
	s_and_saveexec_b64 s[0:1], vcc
	s_xor_b64 s[2:3], exec, s[0:1]
	s_cbranch_execz .LBB111_195
; %bb.190:                              ;   in Loop: Header=BB111_36 Depth=1
	ds_read_b64 v[4:5], v3 offset:5120
	v_and_b32_e32 v2, s60, v48
	v_lshl_or_b32 v48, 1, s66, v2
	v_or_b32_e32 v53, s49, v53
	s_waitcnt lgkmcnt(0)
	v_cmp_ne_u64_e32 vcc, 0, v[4:5]
	s_cbranch_vccnz .LBB111_194
; %bb.191:                              ;   in Loop: Header=BB111_36 Depth=1
	s_mov_b64 s[0:1], exec
	v_readlane_b32 s8, v59, 4
	v_readlane_b32 s9, v59, 5
	s_and_b64 s[8:9], s[0:1], s[8:9]
	s_mov_b64 exec, s[8:9]
; %bb.192:                              ;   in Loop: Header=BB111_36 Depth=1
	ds_write_b64 v3, v[6:7] offset:5128
; %bb.193:                              ;   in Loop: Header=BB111_36 Depth=1
	s_or_b64 exec, exec, s[0:1]
	s_waitcnt lgkmcnt(0)
	s_barrier
.LBB111_194:                            ;   in Loop: Header=BB111_36 Depth=1
                                        ; implicit-def: $vgpr4_vgpr5_vgpr6_vgpr7
.LBB111_195:                            ;   in Loop: Header=BB111_36 Depth=1
	s_or_saveexec_b64 s[2:3], s[2:3]
	s_mov_b64 s[8:9], 0
	v_mov_b32_e32 v2, 8
	s_xor_b64 exec, exec, s[2:3]
; %bb.196:                              ;   in Loop: Header=BB111_36 Depth=1
	v_sub_co_u32_e32 v8, vcc, v8, v6
	v_subb_co_u32_e32 v9, vcc, v9, v7, vcc
	v_mov_b32_e32 v2, 0
	s_mov_b64 s[8:9], exec
; %bb.197:                              ;   in Loop: Header=BB111_36 Depth=1
	s_or_b64 exec, exec, s[2:3]
	v_mov_b32_e32 v4, v8
	s_and_b64 s[8:9], s[8:9], exec
	v_mov_b32_e32 v5, v9
.LBB111_198:                            ;   in Loop: Header=BB111_36 Depth=1
	s_or_b64 exec, exec, s[10:11]
	s_mov_b64 s[2:3], -1
                                        ; implicit-def: $sgpr92_sgpr93
                                        ; implicit-def: $sgpr94_sgpr95
	s_and_saveexec_b64 s[90:91], s[8:9]
	s_cbranch_execz .LBB111_293
; %bb.199:                              ;   in Loop: Header=BB111_36 Depth=1
	s_cmp_eq_u64 s[84:85], 1
	v_cmp_eq_u64_e32 vcc, 1, v[4:5]
	s_cselect_b64 s[0:1], -1, 0
	s_and_b64 s[40:41], s[0:1], vcc
                                        ; implicit-def: $sgpr94_sgpr95
                                        ; implicit-def: $sgpr92_sgpr93
	s_and_saveexec_b64 s[38:39], s[40:41]
	s_cbranch_execz .LBB111_233
; %bb.200:                              ;   in Loop: Header=BB111_36 Depth=1
	ds_read_b64 v[6:7], v3 offset:5120
	s_waitcnt lgkmcnt(0)
	s_barrier
	v_readfirstlane_b32 s10, v6
	v_readfirstlane_b32 s11, v7
	s_mov_b64 s[0:1], exec
	v_readlane_b32 s2, v59, 14
	v_readlane_b32 s3, v59, 15
	s_and_b64 s[2:3], s[0:1], s[2:3]
	s_mov_b64 exec, s[2:3]
; %bb.201:                              ;   in Loop: Header=BB111_36 Depth=1
	ds_write_b16 v50, v3
; %bb.202:                              ;   in Loop: Header=BB111_36 Depth=1
	s_or_b64 exec, exec, s[0:1]
	v_and_b32_e32 v6, s60, v48
	v_lshl_or_b32 v48, 2, s66, v6
	v_or_b32_e32 v53, s49, v53
	s_mov_b64 s[92:93], -1
	s_mov_b64 s[94:95], 0
	s_cmp_eq_u64 s[10:11], 0
	s_mov_b64 s[12:13], 0
	s_mov_b64 s[34:35], -1
	s_waitcnt lgkmcnt(0)
	s_barrier
                                        ; implicit-def: $vgpr54
	s_cbranch_scc1 .LBB111_218
; %bb.203:                              ;   in Loop: Header=BB111_36 Depth=1
	s_add_u32 s8, s10, s61
	s_addc_u32 s13, s11, s62
	s_mov_b32 s12, s47
	s_cmp_lg_u64 s[12:13], 0
	s_cbranch_scc0 .LBB111_259
; %bb.204:                              ;   in Loop: Header=BB111_36 Depth=1
	v_cvt_f32_u32_e32 v6, s33
	s_sub_u32 s2, 0, s33
	s_subb_u32 s3, 0, 0
	v_mac_f32_e32 v6, 0, v51
	v_rcp_f32_e32 v6, v6
	v_mul_f32_e32 v6, 0x5f7ffffc, v6
	v_mul_f32_e32 v7, 0x2f800000, v6
	v_trunc_f32_e32 v7, v7
	v_mac_f32_e32 v6, 0xcf800000, v7
	v_cvt_u32_f32_e32 v7, v7
	v_cvt_u32_f32_e32 v6, v6
	v_readfirstlane_b32 s9, v7
	v_readfirstlane_b32 s0, v6
	s_mul_i32 s1, s2, s9
	s_mul_hi_u32 s34, s2, s0
	s_mul_i32 s12, s3, s0
	s_add_i32 s1, s34, s1
	s_mul_i32 s35, s2, s0
	s_add_i32 s1, s1, s12
	s_mul_hi_u32 s34, s0, s35
	s_mul_i32 s42, s0, s1
	s_mul_hi_u32 s12, s0, s1
	s_add_u32 s34, s34, s42
	s_addc_u32 s12, 0, s12
	s_mul_hi_u32 s43, s9, s35
	s_mul_i32 s35, s9, s35
	s_add_u32 s34, s34, s35
	s_mul_hi_u32 s42, s9, s1
	s_addc_u32 s12, s12, s43
	s_addc_u32 s34, s42, 0
	s_mul_i32 s1, s9, s1
	s_add_u32 s1, s12, s1
	s_addc_u32 s12, 0, s34
	s_add_u32 s34, s0, s1
	s_cselect_b64 s[0:1], -1, 0
	s_cmp_lg_u64 s[0:1], 0
	s_addc_u32 s9, s9, s12
	s_mul_i32 s0, s2, s9
	s_mul_hi_u32 s1, s2, s34
	s_add_i32 s0, s1, s0
	s_mul_i32 s3, s3, s34
	s_add_i32 s0, s0, s3
	s_mul_i32 s2, s2, s34
	s_mul_hi_u32 s3, s9, s2
	s_mul_i32 s12, s9, s2
	s_mul_i32 s42, s34, s0
	s_mul_hi_u32 s2, s34, s2
	s_mul_hi_u32 s35, s34, s0
	s_add_u32 s2, s2, s42
	s_addc_u32 s35, 0, s35
	s_add_u32 s2, s2, s12
	s_mul_hi_u32 s1, s9, s0
	s_addc_u32 s2, s35, s3
	s_addc_u32 s1, s1, 0
	s_mul_i32 s0, s9, s0
	s_add_u32 s0, s2, s0
	s_addc_u32 s2, 0, s1
	s_add_u32 s3, s34, s0
	s_cselect_b64 s[0:1], -1, 0
	s_cmp_lg_u64 s[0:1], 0
	s_addc_u32 s0, s9, s2
	s_mul_i32 s2, s8, s0
	s_mul_hi_u32 s9, s8, s3
	s_mul_hi_u32 s1, s8, s0
	s_add_u32 s2, s9, s2
	s_addc_u32 s1, 0, s1
	s_mul_hi_u32 s12, s13, s3
	s_mul_i32 s3, s13, s3
	s_add_u32 s2, s2, s3
	s_mul_hi_u32 s9, s13, s0
	s_addc_u32 s1, s1, s12
	s_addc_u32 s2, s9, 0
	s_mul_i32 s0, s13, s0
	s_add_u32 s0, s1, s0
	s_addc_u32 s1, 0, s2
	s_mul_i32 s1, s33, s1
	s_mul_hi_u32 s2, s33, s0
	s_add_i32 s2, s2, s1
	s_mul_i32 s0, s33, s0
	s_sub_u32 s9, s8, s0
	s_cselect_b64 s[0:1], -1, 0
	s_cmp_lg_u64 s[0:1], 0
	s_subb_u32 s2, s13, s2
	s_sub_u32 s3, s9, s33
	s_cselect_b64 s[0:1], -1, 0
	s_cmp_lg_u64 s[0:1], 0
	s_subb_u32 s12, s2, 0
	;; [unrolled: 4-line block ×3, first 2 shown]
	s_cmp_ge_u32 s3, s33
	s_cselect_b32 s1, -1, 0
	s_cmp_eq_u32 s12, 0
	s_cselect_b32 s1, s1, -1
	s_cmp_lg_u32 s1, 0
	s_cselect_b32 s0, s0, s12
	s_cselect_b32 s1, s34, s3
	s_cmp_ge_u32 s9, s33
	s_cselect_b32 s3, -1, 0
	s_cmp_eq_u32 s2, 0
	s_cselect_b32 s3, s3, -1
	s_cmp_lg_u32 s3, 0
	s_cselect_b32 s3, s0, s2
	s_cselect_b32 s2, s1, s9
	s_cbranch_execnz .LBB111_206
.LBB111_205:                            ;   in Loop: Header=BB111_36 Depth=1
	v_cvt_f32_u32_e32 v6, s33
	s_sub_i32 s0, 0, s33
	v_rcp_iflag_f32_e32 v6, v6
	v_mul_f32_e32 v6, 0x4f7ffffe, v6
	v_cvt_u32_f32_e32 v6, v6
	v_readfirstlane_b32 s1, v6
	s_mul_i32 s0, s0, s1
	s_mul_hi_u32 s0, s1, s0
	s_add_i32 s1, s1, s0
	s_mul_hi_u32 s0, s8, s1
	s_mul_i32 s0, s0, s33
	s_sub_i32 s0, s8, s0
	s_sub_i32 s1, s0, s33
	s_cmp_ge_u32 s0, s33
	s_cselect_b32 s0, s1, s0
	s_sub_i32 s1, s0, s33
	s_cmp_ge_u32 s0, s33
	s_cselect_b32 s46, s1, s0
	s_mov_b64 s[2:3], s[46:47]
	v_readlane_b32 s46, v59, 35
.LBB111_206:                            ;   in Loop: Header=BB111_36 Depth=1
	s_sub_u32 s42, s8, s2
	s_subb_u32 s43, s13, s3
	v_cmp_gt_u64_e32 vcc, s[42:43], v[0:1]
	s_mov_b64 s[34:35], 0
	s_mov_b64 s[12:13], 0
                                        ; implicit-def: $vgpr54
	s_and_saveexec_b64 s[2:3], vcc
	s_cbranch_execz .LBB111_217
; %bb.207:                              ;   in Loop: Header=BB111_36 Depth=1
	v_mov_b32_e32 v7, v1
	v_mov_b32_e32 v8, v49
	;; [unrolled: 1-line block ×3, first 2 shown]
                                        ; implicit-def: $sgpr58_sgpr59
	s_branch .LBB111_210
.LBB111_208:                            ;   in Loop: Header=BB111_210 Depth=2
	s_or_b64 exec, exec, s[8:9]
	s_waitcnt lgkmcnt(0)
	s_barrier
	ds_read_b32 v9, v3 offset:3072
	s_mov_b64 s[0:1], -1
	s_waitcnt lgkmcnt(0)
	s_barrier
	v_cmp_ne_u32_sdwa s[8:9], v9, v3 src0_sel:WORD_0 src1_sel:DWORD
	s_and_b64 vcc, exec, s[8:9]
	s_mov_b64 s[8:9], -1
	s_cbranch_vccz .LBB111_213
.LBB111_209:                            ;   in Loop: Header=BB111_210 Depth=2
	s_and_b64 s[0:1], exec, s[0:1]
	s_or_b64 s[12:13], s[0:1], s[12:13]
	s_andn2_b64 s[0:1], s[58:59], exec
	s_and_b64 s[8:9], s[8:9], exec
	s_or_b64 s[58:59], s[0:1], s[8:9]
	s_andn2_b64 exec, exec, s[12:13]
	s_cbranch_execz .LBB111_216
.LBB111_210:                            ;   Parent Loop BB111_36 Depth=1
                                        ; =>  This Inner Loop Header: Depth=2
	v_cmp_gt_u64_e32 vcc, s[10:11], v[6:7]
	s_and_saveexec_b64 s[8:9], vcc
	s_cbranch_execz .LBB111_208
; %bb.211:                              ;   in Loop: Header=BB111_210 Depth=2
	ds_read_u16 v9, v8
	s_waitcnt lgkmcnt(0)
	v_add_u32_sdwa v10, sext(v9), s67 dst_sel:DWORD dst_unused:UNUSED_PAD src0_sel:WORD_0 src1_sel:DWORD
	v_and_b32_e32 v10, v10, v53
	v_cmp_eq_u32_e32 vcc, v10, v48
	s_and_b64 exec, exec, vcc
	s_cbranch_execz .LBB111_208
; %bb.212:                              ;   in Loop: Header=BB111_210 Depth=2
	v_perm_b32 v9, v9, 1, v52
	ds_write_b32 v3, v9 offset:3072
	s_branch .LBB111_208
.LBB111_213:                            ;   in Loop: Header=BB111_210 Depth=2
	v_add_co_u32_e32 v6, vcc, s33, v6
	v_addc_co_u32_e32 v7, vcc, 0, v7, vcc
	v_cmp_le_u64_e32 vcc, s[42:43], v[6:7]
	v_add_u32_e32 v8, s64, v8
	s_mov_b64 s[8:9], 0
	s_orn2_b64 s[0:1], vcc, exec
	s_branch .LBB111_209
.LBB111_214:                            ;   in Loop: Header=BB111_36 Depth=1
                                        ; implicit-def: $sgpr2_sgpr3
	s_branch .LBB111_156
.LBB111_215:                            ;   in Loop: Header=BB111_36 Depth=1
                                        ; implicit-def: $sgpr2_sgpr3
	s_branch .LBB111_175
.LBB111_216:                            ;   in Loop: Header=BB111_36 Depth=1
	s_or_b64 exec, exec, s[12:13]
	v_lshrrev_b32_e32 v54, 16, v9
	s_and_b64 s[12:13], s[58:59], exec
.LBB111_217:                            ;   in Loop: Header=BB111_36 Depth=1
	s_or_b64 exec, exec, s[2:3]
.LBB111_218:                            ;   in Loop: Header=BB111_36 Depth=1
	s_and_b64 vcc, exec, s[34:35]
	s_cbranch_vccz .LBB111_232
; %bb.219:                              ;   in Loop: Header=BB111_36 Depth=1
	s_mov_b32 s54, s47
	s_cmp_lg_u64 s[54:55], 0
	s_cbranch_scc0 .LBB111_260
; %bb.220:                              ;   in Loop: Header=BB111_36 Depth=1
	v_cvt_f32_u32_e32 v6, s33
	s_sub_u32 s2, 0, s33
	s_subb_u32 s3, 0, 0
	v_mac_f32_e32 v6, 0, v51
	v_rcp_f32_e32 v6, v6
	v_mul_f32_e32 v6, 0x5f7ffffc, v6
	v_mul_f32_e32 v7, 0x2f800000, v6
	v_trunc_f32_e32 v7, v7
	v_mac_f32_e32 v6, 0xcf800000, v7
	v_cvt_u32_f32_e32 v7, v7
	v_cvt_u32_f32_e32 v6, v6
	v_readfirstlane_b32 s8, v7
	v_readfirstlane_b32 s0, v6
	s_mul_i32 s1, s2, s8
	s_mul_hi_u32 s10, s2, s0
	s_mul_i32 s9, s3, s0
	s_add_i32 s1, s10, s1
	s_mul_i32 s11, s2, s0
	s_add_i32 s1, s1, s9
	s_mul_hi_u32 s10, s0, s11
	s_mul_i32 s34, s0, s1
	s_mul_hi_u32 s9, s0, s1
	s_add_u32 s10, s10, s34
	s_addc_u32 s9, 0, s9
	s_mul_hi_u32 s35, s8, s11
	s_mul_i32 s11, s8, s11
	s_add_u32 s10, s10, s11
	s_mul_hi_u32 s34, s8, s1
	s_addc_u32 s9, s9, s35
	s_addc_u32 s10, s34, 0
	s_mul_i32 s1, s8, s1
	s_add_u32 s1, s9, s1
	s_addc_u32 s9, 0, s10
	s_add_u32 s10, s0, s1
	s_cselect_b64 s[0:1], -1, 0
	s_cmp_lg_u64 s[0:1], 0
	s_addc_u32 s8, s8, s9
	s_mul_i32 s0, s2, s8
	s_mul_hi_u32 s1, s2, s10
	s_add_i32 s0, s1, s0
	s_mul_i32 s3, s3, s10
	s_add_i32 s0, s0, s3
	s_mul_i32 s2, s2, s10
	s_mul_hi_u32 s3, s8, s2
	s_mul_i32 s9, s8, s2
	s_mul_i32 s34, s10, s0
	s_mul_hi_u32 s2, s10, s2
	s_mul_hi_u32 s11, s10, s0
	s_add_u32 s2, s2, s34
	s_addc_u32 s11, 0, s11
	s_add_u32 s2, s2, s9
	s_mul_hi_u32 s1, s8, s0
	s_addc_u32 s2, s11, s3
	s_addc_u32 s1, s1, 0
	s_mul_i32 s0, s8, s0
	s_add_u32 s0, s2, s0
	s_addc_u32 s2, 0, s1
	s_add_u32 s3, s10, s0
	s_cselect_b64 s[0:1], -1, 0
	s_cmp_lg_u64 s[0:1], 0
	s_addc_u32 s0, s8, s2
	s_mul_i32 s2, s16, s0
	s_mul_hi_u32 s8, s16, s3
	s_mul_hi_u32 s1, s16, s0
	s_add_u32 s2, s8, s2
	s_addc_u32 s1, 0, s1
	s_mul_hi_u32 s9, s55, s3
	s_mul_i32 s3, s55, s3
	s_add_u32 s2, s2, s3
	s_mul_hi_u32 s8, s55, s0
	s_addc_u32 s1, s1, s9
	s_addc_u32 s2, s8, 0
	s_mul_i32 s0, s55, s0
	s_add_u32 s0, s1, s0
	s_addc_u32 s1, 0, s2
	s_mul_i32 s1, s33, s1
	s_mul_hi_u32 s2, s33, s0
	s_add_i32 s2, s2, s1
	s_mul_i32 s0, s33, s0
	s_sub_u32 s8, s16, s0
	s_cselect_b64 s[0:1], -1, 0
	s_cmp_lg_u64 s[0:1], 0
	s_subb_u32 s2, s55, s2
	s_sub_u32 s3, s8, s33
	s_cselect_b64 s[0:1], -1, 0
	s_cmp_lg_u64 s[0:1], 0
	s_subb_u32 s9, s2, 0
	;; [unrolled: 4-line block ×3, first 2 shown]
	s_cmp_ge_u32 s3, s33
	s_cselect_b32 s1, -1, 0
	s_cmp_eq_u32 s9, 0
	s_cselect_b32 s1, s1, -1
	s_cmp_lg_u32 s1, 0
	s_cselect_b32 s0, s0, s9
	s_cselect_b32 s1, s10, s3
	s_cmp_ge_u32 s8, s33
	s_cselect_b32 s3, -1, 0
	s_cmp_eq_u32 s2, 0
	s_cselect_b32 s3, s3, -1
	s_cmp_lg_u32 s3, 0
	s_cselect_b32 s3, s0, s2
	s_cselect_b32 s2, s1, s8
	s_cbranch_execnz .LBB111_222
.LBB111_221:                            ;   in Loop: Header=BB111_36 Depth=1
	v_cvt_f32_u32_e32 v6, s33
	s_sub_i32 s0, 0, s33
	v_rcp_iflag_f32_e32 v6, v6
	v_mul_f32_e32 v6, 0x4f7ffffe, v6
	v_cvt_u32_f32_e32 v6, v6
	v_readfirstlane_b32 s1, v6
	s_mul_i32 s0, s0, s1
	s_mul_hi_u32 s0, s1, s0
	s_add_i32 s1, s1, s0
	s_mul_hi_u32 s0, s16, s1
	s_mul_i32 s0, s0, s33
	s_sub_i32 s0, s16, s0
	s_sub_i32 s1, s0, s33
	s_cmp_ge_u32 s0, s33
	s_cselect_b32 s0, s1, s0
	s_sub_i32 s1, s0, s33
	s_cmp_ge_u32 s0, s33
	s_cselect_b32 s46, s1, s0
	s_mov_b64 s[2:3], s[46:47]
	v_readlane_b32 s46, v59, 35
.LBB111_222:                            ;   in Loop: Header=BB111_36 Depth=1
	s_sub_u32 s10, s16, s2
	s_subb_u32 s11, s55, s3
	v_cmp_gt_u64_e32 vcc, s[10:11], v[0:1]
                                        ; implicit-def: $vgpr54
	s_and_saveexec_b64 s[2:3], vcc
	s_cbranch_execz .LBB111_231
; %bb.223:                              ;   in Loop: Header=BB111_36 Depth=1
	v_mov_b32_e32 v6, v12
	v_mov_b32_e32 v9, v1
	s_mov_b64 s[34:35], 0
	v_mov_b32_e32 v7, v13
	v_mov_b32_e32 v8, v0
                                        ; implicit-def: $sgpr42_sgpr43
	s_branch .LBB111_226
.LBB111_224:                            ;   in Loop: Header=BB111_226 Depth=2
	s_or_b64 exec, exec, s[8:9]
	s_waitcnt lgkmcnt(0)
	s_barrier
	ds_read_b32 v10, v3 offset:3072
	s_mov_b64 s[0:1], -1
	s_waitcnt lgkmcnt(0)
	s_barrier
	v_cmp_eq_u32_sdwa s[8:9], v10, v3 src0_sel:WORD_0 src1_sel:DWORD
	s_and_b64 vcc, exec, s[8:9]
	s_mov_b64 s[8:9], -1
	s_cbranch_vccnz .LBB111_229
.LBB111_225:                            ;   in Loop: Header=BB111_226 Depth=2
	s_and_b64 s[0:1], exec, s[0:1]
	s_or_b64 s[34:35], s[0:1], s[34:35]
	s_andn2_b64 s[0:1], s[42:43], exec
	s_and_b64 s[8:9], s[8:9], exec
	s_or_b64 s[42:43], s[0:1], s[8:9]
	s_andn2_b64 exec, exec, s[34:35]
	s_cbranch_execz .LBB111_230
.LBB111_226:                            ;   Parent Loop BB111_36 Depth=1
                                        ; =>  This Inner Loop Header: Depth=2
	v_cmp_gt_u64_e32 vcc, s[24:25], v[8:9]
	s_and_saveexec_b64 s[8:9], vcc
	s_cbranch_execz .LBB111_224
; %bb.227:                              ;   in Loop: Header=BB111_226 Depth=2
	global_load_ushort v10, v[6:7], off
	s_waitcnt vmcnt(0)
	v_add_u32_sdwa v11, sext(v10), s67 dst_sel:DWORD dst_unused:UNUSED_PAD src0_sel:WORD_0 src1_sel:DWORD
	v_and_b32_e32 v11, v11, v53
	v_cmp_eq_u32_e32 vcc, v11, v48
	s_and_b64 exec, exec, vcc
	s_cbranch_execz .LBB111_224
; %bb.228:                              ;   in Loop: Header=BB111_226 Depth=2
	v_perm_b32 v10, v10, 1, v52
	ds_write_b32 v3, v10 offset:3072
	s_branch .LBB111_224
.LBB111_229:                            ;   in Loop: Header=BB111_226 Depth=2
	v_add_co_u32_e32 v8, vcc, s33, v8
	v_addc_co_u32_e32 v9, vcc, 0, v9, vcc
	v_mov_b32_e32 v11, s51
	v_add_co_u32_e32 v6, vcc, s50, v6
	v_addc_co_u32_e32 v7, vcc, v7, v11, vcc
	v_cmp_le_u64_e32 vcc, s[10:11], v[8:9]
	s_mov_b64 s[8:9], 0
	s_orn2_b64 s[0:1], vcc, exec
	s_branch .LBB111_225
.LBB111_230:                            ;   in Loop: Header=BB111_36 Depth=1
	s_or_b64 exec, exec, s[34:35]
	s_andn2_b64 s[0:1], s[12:13], exec
	s_and_b64 s[8:9], s[42:43], exec
	v_lshrrev_b32_e32 v54, 16, v10
	s_or_b64 s[12:13], s[0:1], s[8:9]
.LBB111_231:                            ;   in Loop: Header=BB111_36 Depth=1
	s_or_b64 exec, exec, s[2:3]
	s_mov_b64 s[92:93], 0
	s_mov_b64 s[94:95], -1
.LBB111_232:                            ;   in Loop: Header=BB111_36 Depth=1
	s_orn2_b64 s[2:3], s[12:13], exec
.LBB111_233:                            ;   in Loop: Header=BB111_36 Depth=1
	s_or_b64 exec, exec, s[38:39]
	s_mov_b64 s[8:9], 0
	s_and_saveexec_b64 s[38:39], s[2:3]
	s_cbranch_execz .LBB111_292
; %bb.234:                              ;   in Loop: Header=BB111_36 Depth=1
	v_mov_b32_e32 v6, 1
	s_xor_b64 s[0:1], s[40:41], -1
	v_mov_b32_e32 v2, 1
	v_mov_b32_e32 v7, 0
	s_and_saveexec_b64 s[10:11], s[0:1]
	s_cbranch_execz .LBB111_243
; %bb.235:                              ;   in Loop: Header=BB111_36 Depth=1
	v_cmp_ge_u64_e32 vcc, s[84:85], v[4:5]
	s_and_saveexec_b64 s[0:1], vcc
	s_xor_b64 s[2:3], exec, s[0:1]
	s_cbranch_execz .LBB111_240
; %bb.236:                              ;   in Loop: Header=BB111_36 Depth=1
	ds_read_b64 v[6:7], v3 offset:5120
	v_and_b32_e32 v2, s60, v48
	v_lshl_or_b32 v48, 2, s66, v2
	v_or_b32_e32 v53, s49, v53
	s_waitcnt lgkmcnt(0)
	v_cmp_ne_u64_e32 vcc, 0, v[6:7]
	s_cbranch_vccnz .LBB111_240
; %bb.237:                              ;   in Loop: Header=BB111_36 Depth=1
	s_mov_b64 s[0:1], exec
	v_readlane_b32 s8, v59, 4
	v_readlane_b32 s9, v59, 5
	s_and_b64 s[8:9], s[0:1], s[8:9]
	s_mov_b64 exec, s[8:9]
; %bb.238:                              ;   in Loop: Header=BB111_36 Depth=1
	v_mov_b32_e32 v6, s84
	v_mov_b32_e32 v7, s85
	ds_write_b64 v3, v[6:7] offset:5128
; %bb.239:                              ;   in Loop: Header=BB111_36 Depth=1
	s_or_b64 exec, exec, s[0:1]
	s_waitcnt lgkmcnt(0)
	s_barrier
.LBB111_240:                            ;   in Loop: Header=BB111_36 Depth=1
	s_or_saveexec_b64 s[2:3], s[2:3]
	s_mov_b64 s[8:9], 0
	v_mov_b32_e32 v2, 8
	s_xor_b64 exec, exec, s[2:3]
; %bb.241:                              ;   in Loop: Header=BB111_36 Depth=1
	v_subrev_co_u32_e32 v4, vcc, s84, v4
	v_mov_b32_e32 v2, s85
	v_subb_co_u32_e32 v5, vcc, v5, v2, vcc
	v_mov_b32_e32 v2, 0
	s_mov_b64 s[8:9], exec
; %bb.242:                              ;   in Loop: Header=BB111_36 Depth=1
	s_or_b64 exec, exec, s[2:3]
	v_mov_b32_e32 v7, v5
	s_and_b64 s[8:9], s[8:9], exec
	v_mov_b32_e32 v6, v4
.LBB111_243:                            ;   in Loop: Header=BB111_36 Depth=1
	s_or_b64 exec, exec, s[10:11]
	s_mov_b64 s[2:3], -1
                                        ; implicit-def: $sgpr34_sgpr35
                                        ; implicit-def: $sgpr12_sgpr13
	s_and_saveexec_b64 s[40:41], s[8:9]
	s_cbranch_execz .LBB111_291
; %bb.244:                              ;   in Loop: Header=BB111_36 Depth=1
	s_cmp_eq_u64 s[14:15], 1
	v_cmp_eq_u64_e32 vcc, 1, v[6:7]
	s_cselect_b64 s[0:1], -1, 0
	s_and_b64 s[84:85], s[0:1], vcc
                                        ; implicit-def: $sgpr34_sgpr35
                                        ; implicit-def: $sgpr12_sgpr13
	s_and_saveexec_b64 s[42:43], s[84:85]
	s_cbranch_execz .LBB111_279
; %bb.245:                              ;   in Loop: Header=BB111_36 Depth=1
	ds_read_b64 v[4:5], v3 offset:5120
	v_writelane_b32 v59, s62, 36
	s_waitcnt lgkmcnt(0)
	s_barrier
	v_readfirstlane_b32 s62, v4
	v_readfirstlane_b32 s63, v5
	s_mov_b64 s[0:1], exec
	v_readlane_b32 s2, v59, 14
	v_readlane_b32 s3, v59, 15
	s_and_b64 s[2:3], s[0:1], s[2:3]
	s_mov_b64 exec, s[2:3]
; %bb.246:                              ;   in Loop: Header=BB111_36 Depth=1
	ds_write_b16 v50, v3
; %bb.247:                              ;   in Loop: Header=BB111_36 Depth=1
	s_or_b64 exec, exec, s[0:1]
	v_or_b32_e32 v48, s49, v48
	v_or_b32_e32 v53, s49, v53
	s_mov_b64 s[12:13], -1
	s_mov_b64 s[34:35], 0
	s_cmp_eq_u64 s[62:63], 0
	s_mov_b64 s[10:11], 0
	s_mov_b64 s[2:3], -1
	s_waitcnt lgkmcnt(0)
	s_barrier
                                        ; implicit-def: $vgpr54
	s_cbranch_scc1 .LBB111_263
; %bb.248:                              ;   in Loop: Header=BB111_36 Depth=1
	s_add_u32 s8, s62, s61
	v_readlane_b32 s0, v59, 36
	s_addc_u32 s11, s63, s0
	s_mov_b32 s10, s47
	s_cmp_lg_u64 s[10:11], 0
	s_cbranch_scc0 .LBB111_298
; %bb.249:                              ;   in Loop: Header=BB111_36 Depth=1
	v_cvt_f32_u32_e32 v4, s33
	s_sub_u32 s2, 0, s33
	s_subb_u32 s3, 0, 0
	v_mac_f32_e32 v4, 0, v51
	v_rcp_f32_e32 v4, v4
	v_mul_f32_e32 v4, 0x5f7ffffc, v4
	v_mul_f32_e32 v5, 0x2f800000, v4
	v_trunc_f32_e32 v5, v5
	v_mac_f32_e32 v4, 0xcf800000, v5
	v_cvt_u32_f32_e32 v5, v5
	v_cvt_u32_f32_e32 v4, v4
	v_readfirstlane_b32 s9, v5
	v_readfirstlane_b32 s0, v4
	s_mul_i32 s1, s2, s9
	s_mul_hi_u32 s46, s2, s0
	s_mul_i32 s10, s3, s0
	s_add_i32 s1, s46, s1
	s_mul_i32 s54, s2, s0
	s_add_i32 s1, s1, s10
	s_mul_hi_u32 s46, s0, s54
	s_mul_i32 s58, s0, s1
	s_mul_hi_u32 s10, s0, s1
	s_add_u32 s46, s46, s58
	s_addc_u32 s10, 0, s10
	s_mul_hi_u32 s59, s9, s54
	s_mul_i32 s54, s9, s54
	s_add_u32 s46, s46, s54
	s_mul_hi_u32 s58, s9, s1
	s_addc_u32 s10, s10, s59
	s_addc_u32 s46, s58, 0
	s_mul_i32 s1, s9, s1
	s_add_u32 s1, s10, s1
	s_addc_u32 s10, 0, s46
	s_add_u32 s46, s0, s1
	s_cselect_b64 s[0:1], -1, 0
	s_cmp_lg_u64 s[0:1], 0
	s_addc_u32 s9, s9, s10
	s_mul_i32 s0, s2, s9
	s_mul_hi_u32 s1, s2, s46
	s_add_i32 s0, s1, s0
	s_mul_i32 s3, s3, s46
	s_add_i32 s0, s0, s3
	s_mul_i32 s2, s2, s46
	s_mul_hi_u32 s3, s9, s2
	s_mul_i32 s10, s9, s2
	s_mul_i32 s58, s46, s0
	s_mul_hi_u32 s2, s46, s2
	s_mul_hi_u32 s54, s46, s0
	s_add_u32 s2, s2, s58
	s_addc_u32 s54, 0, s54
	s_add_u32 s2, s2, s10
	s_mul_hi_u32 s1, s9, s0
	s_addc_u32 s2, s54, s3
	s_addc_u32 s1, s1, 0
	s_mul_i32 s0, s9, s0
	s_add_u32 s0, s2, s0
	s_addc_u32 s2, 0, s1
	s_add_u32 s3, s46, s0
	s_cselect_b64 s[0:1], -1, 0
	s_cmp_lg_u64 s[0:1], 0
	s_addc_u32 s0, s9, s2
	s_mul_i32 s2, s8, s0
	s_mul_hi_u32 s9, s8, s3
	s_mul_hi_u32 s1, s8, s0
	s_add_u32 s2, s9, s2
	s_addc_u32 s1, 0, s1
	s_mul_hi_u32 s10, s11, s3
	s_mul_i32 s3, s11, s3
	s_add_u32 s2, s2, s3
	s_mul_hi_u32 s9, s11, s0
	s_addc_u32 s1, s1, s10
	s_addc_u32 s2, s9, 0
	s_mul_i32 s0, s11, s0
	s_add_u32 s0, s1, s0
	s_addc_u32 s1, 0, s2
	s_mul_i32 s1, s33, s1
	s_mul_hi_u32 s2, s33, s0
	s_add_i32 s2, s2, s1
	s_mul_i32 s0, s33, s0
	s_sub_u32 s9, s8, s0
	s_cselect_b64 s[0:1], -1, 0
	s_cmp_lg_u64 s[0:1], 0
	s_subb_u32 s2, s11, s2
	s_sub_u32 s3, s9, s33
	s_cselect_b64 s[0:1], -1, 0
	s_cmp_lg_u64 s[0:1], 0
	s_subb_u32 s10, s2, 0
	;; [unrolled: 4-line block ×3, first 2 shown]
	s_cmp_ge_u32 s3, s33
	s_cselect_b32 s1, -1, 0
	s_cmp_eq_u32 s10, 0
	s_cselect_b32 s1, s1, -1
	s_cmp_lg_u32 s1, 0
	s_cselect_b32 s0, s0, s10
	s_cselect_b32 s1, s46, s3
	s_cmp_ge_u32 s9, s33
	s_cselect_b32 s3, -1, 0
	s_cmp_eq_u32 s2, 0
	s_cselect_b32 s3, s3, -1
	s_cmp_lg_u32 s3, 0
	v_readlane_b32 s46, v59, 35
	s_cselect_b32 s3, s0, s2
	s_cselect_b32 s2, s1, s9
	s_mov_b32 s54, s61
	s_cbranch_execnz .LBB111_251
.LBB111_250:                            ;   in Loop: Header=BB111_36 Depth=1
	v_cvt_f32_u32_e32 v4, s33
	s_sub_i32 s0, 0, s33
	v_rcp_iflag_f32_e32 v4, v4
	v_mul_f32_e32 v4, 0x4f7ffffe, v4
	v_cvt_u32_f32_e32 v4, v4
	v_readfirstlane_b32 s1, v4
	s_mul_i32 s0, s0, s1
	s_mul_hi_u32 s0, s1, s0
	s_add_i32 s1, s1, s0
	s_mul_hi_u32 s0, s8, s1
	s_mul_i32 s0, s0, s33
	s_sub_i32 s0, s8, s0
	s_sub_i32 s1, s0, s33
	s_cmp_ge_u32 s0, s33
	s_cselect_b32 s0, s1, s0
	s_sub_i32 s1, s0, s33
	s_cmp_ge_u32 s0, s33
	s_cselect_b32 s46, s1, s0
	s_mov_b64 s[2:3], s[46:47]
	v_readlane_b32 s46, v59, 35
.LBB111_251:                            ;   in Loop: Header=BB111_36 Depth=1
	s_sub_u32 s60, s8, s2
	s_subb_u32 s61, s11, s3
	v_cmp_gt_u64_e32 vcc, s[60:61], v[0:1]
	s_mov_b64 s[2:3], 0
	s_mov_b64 s[10:11], 0
                                        ; implicit-def: $vgpr54
	s_and_saveexec_b64 s[58:59], vcc
	s_cbranch_execz .LBB111_262
; %bb.252:                              ;   in Loop: Header=BB111_36 Depth=1
	v_mov_b32_e32 v5, v1
	v_writelane_b32 v59, s84, 37
	v_mov_b32_e32 v8, v49
	v_mov_b32_e32 v4, v0
	v_writelane_b32 v59, s85, 38
                                        ; implicit-def: $sgpr8_sgpr9
	s_branch .LBB111_255
.LBB111_253:                            ;   in Loop: Header=BB111_255 Depth=2
	s_or_b64 exec, exec, s[0:1]
	s_waitcnt lgkmcnt(0)
	s_barrier
	ds_read_b32 v9, v3 offset:3072
	s_mov_b64 s[0:1], -1
	s_waitcnt lgkmcnt(0)
	s_barrier
	v_cmp_ne_u32_sdwa s[84:85], v9, v3 src0_sel:WORD_0 src1_sel:DWORD
	s_and_b64 vcc, exec, s[84:85]
	s_mov_b64 s[84:85], -1
	s_cbranch_vccz .LBB111_258
.LBB111_254:                            ;   in Loop: Header=BB111_255 Depth=2
	s_and_b64 s[0:1], exec, s[0:1]
	s_or_b64 s[10:11], s[0:1], s[10:11]
	s_andn2_b64 s[0:1], s[8:9], exec
	s_and_b64 s[8:9], s[84:85], exec
	s_or_b64 s[8:9], s[0:1], s[8:9]
	s_andn2_b64 exec, exec, s[10:11]
	s_cbranch_execz .LBB111_261
.LBB111_255:                            ;   Parent Loop BB111_36 Depth=1
                                        ; =>  This Inner Loop Header: Depth=2
	v_cmp_gt_u64_e32 vcc, s[62:63], v[4:5]
	s_and_saveexec_b64 s[0:1], vcc
	s_cbranch_execz .LBB111_253
; %bb.256:                              ;   in Loop: Header=BB111_255 Depth=2
	ds_read_u16 v9, v8
	s_waitcnt lgkmcnt(0)
	v_add_u32_sdwa v10, sext(v9), s67 dst_sel:DWORD dst_unused:UNUSED_PAD src0_sel:WORD_0 src1_sel:DWORD
	v_and_b32_e32 v10, v10, v53
	v_cmp_eq_u32_e32 vcc, v10, v48
	s_and_b64 exec, exec, vcc
	s_cbranch_execz .LBB111_253
; %bb.257:                              ;   in Loop: Header=BB111_255 Depth=2
	v_perm_b32 v9, v9, 1, v52
	ds_write_b32 v3, v9 offset:3072
	s_branch .LBB111_253
.LBB111_258:                            ;   in Loop: Header=BB111_255 Depth=2
	v_add_co_u32_e32 v4, vcc, s33, v4
	v_addc_co_u32_e32 v5, vcc, 0, v5, vcc
	v_cmp_le_u64_e32 vcc, s[60:61], v[4:5]
	v_add_u32_e32 v8, s64, v8
	s_mov_b64 s[84:85], 0
	s_orn2_b64 s[0:1], vcc, exec
	s_branch .LBB111_254
.LBB111_259:                            ;   in Loop: Header=BB111_36 Depth=1
                                        ; implicit-def: $sgpr2_sgpr3
	s_branch .LBB111_205
.LBB111_260:                            ;   in Loop: Header=BB111_36 Depth=1
                                        ; implicit-def: $sgpr2_sgpr3
	s_branch .LBB111_221
.LBB111_261:                            ;   in Loop: Header=BB111_36 Depth=1
	s_or_b64 exec, exec, s[10:11]
	v_readlane_b32 s84, v59, 37
	v_lshrrev_b32_e32 v54, 16, v9
	s_and_b64 s[10:11], s[8:9], exec
	v_readlane_b32 s85, v59, 38
.LBB111_262:                            ;   in Loop: Header=BB111_36 Depth=1
	s_or_b64 exec, exec, s[58:59]
	s_mov_b32 s61, s54
.LBB111_263:                            ;   in Loop: Header=BB111_36 Depth=1
	s_and_b64 vcc, exec, s[2:3]
	s_cbranch_vccz .LBB111_275
; %bb.264:                              ;   in Loop: Header=BB111_36 Depth=1
	s_mov_b32 s54, s47
	s_cmp_lg_u64 s[54:55], 0
	v_readlane_b32 s62, v59, 36
	s_cbranch_scc0 .LBB111_299
; %bb.265:                              ;   in Loop: Header=BB111_36 Depth=1
	v_cvt_f32_u32_e32 v4, s33
	s_sub_u32 s2, 0, s33
	s_subb_u32 s3, 0, 0
	v_mac_f32_e32 v4, 0, v51
	v_rcp_f32_e32 v4, v4
	v_mul_f32_e32 v4, 0x5f7ffffc, v4
	v_mul_f32_e32 v5, 0x2f800000, v4
	v_trunc_f32_e32 v5, v5
	v_mac_f32_e32 v4, 0xcf800000, v5
	v_cvt_u32_f32_e32 v5, v5
	v_cvt_u32_f32_e32 v4, v4
	v_readfirstlane_b32 s8, v5
	v_readfirstlane_b32 s0, v4
	s_mul_i32 s1, s2, s8
	s_mul_hi_u32 s12, s2, s0
	s_mul_i32 s9, s3, s0
	s_add_i32 s1, s12, s1
	s_mul_i32 s13, s2, s0
	s_add_i32 s1, s1, s9
	s_mul_hi_u32 s12, s0, s13
	s_mul_i32 s34, s0, s1
	s_mul_hi_u32 s9, s0, s1
	s_add_u32 s12, s12, s34
	s_addc_u32 s9, 0, s9
	s_mul_hi_u32 s35, s8, s13
	s_mul_i32 s13, s8, s13
	s_add_u32 s12, s12, s13
	s_mul_hi_u32 s34, s8, s1
	s_addc_u32 s9, s9, s35
	s_addc_u32 s12, s34, 0
	s_mul_i32 s1, s8, s1
	s_add_u32 s1, s9, s1
	s_addc_u32 s9, 0, s12
	s_add_u32 s12, s0, s1
	s_cselect_b64 s[0:1], -1, 0
	s_cmp_lg_u64 s[0:1], 0
	s_addc_u32 s8, s8, s9
	s_mul_i32 s0, s2, s8
	s_mul_hi_u32 s1, s2, s12
	s_add_i32 s0, s1, s0
	s_mul_i32 s3, s3, s12
	s_add_i32 s0, s0, s3
	s_mul_i32 s2, s2, s12
	s_mul_hi_u32 s3, s8, s2
	s_mul_i32 s9, s8, s2
	s_mul_i32 s34, s12, s0
	s_mul_hi_u32 s2, s12, s2
	s_mul_hi_u32 s13, s12, s0
	s_add_u32 s2, s2, s34
	s_addc_u32 s13, 0, s13
	s_add_u32 s2, s2, s9
	s_mul_hi_u32 s1, s8, s0
	s_addc_u32 s2, s13, s3
	s_addc_u32 s1, s1, 0
	s_mul_i32 s0, s8, s0
	s_add_u32 s0, s2, s0
	s_addc_u32 s2, 0, s1
	s_add_u32 s3, s12, s0
	s_cselect_b64 s[0:1], -1, 0
	s_cmp_lg_u64 s[0:1], 0
	s_addc_u32 s0, s8, s2
	s_mul_i32 s2, s16, s0
	s_mul_hi_u32 s8, s16, s3
	s_mul_hi_u32 s1, s16, s0
	s_add_u32 s2, s8, s2
	s_addc_u32 s1, 0, s1
	s_mul_hi_u32 s9, s55, s3
	s_mul_i32 s3, s55, s3
	s_add_u32 s2, s2, s3
	s_mul_hi_u32 s8, s55, s0
	s_addc_u32 s1, s1, s9
	s_addc_u32 s2, s8, 0
	s_mul_i32 s0, s55, s0
	s_add_u32 s0, s1, s0
	s_addc_u32 s1, 0, s2
	s_mul_i32 s1, s33, s1
	s_mul_hi_u32 s2, s33, s0
	s_add_i32 s2, s2, s1
	s_mul_i32 s0, s33, s0
	s_sub_u32 s8, s16, s0
	s_cselect_b64 s[0:1], -1, 0
	s_cmp_lg_u64 s[0:1], 0
	s_subb_u32 s2, s55, s2
	s_sub_u32 s3, s8, s33
	s_cselect_b64 s[0:1], -1, 0
	s_cmp_lg_u64 s[0:1], 0
	s_subb_u32 s9, s2, 0
	;; [unrolled: 4-line block ×3, first 2 shown]
	s_cmp_ge_u32 s3, s33
	s_cselect_b32 s1, -1, 0
	s_cmp_eq_u32 s9, 0
	s_cselect_b32 s1, s1, -1
	s_cmp_lg_u32 s1, 0
	s_cselect_b32 s0, s0, s9
	s_cselect_b32 s1, s12, s3
	s_cmp_ge_u32 s8, s33
	s_cselect_b32 s3, -1, 0
	s_cmp_eq_u32 s2, 0
	s_cselect_b32 s3, s3, -1
	s_cmp_lg_u32 s3, 0
	s_cselect_b32 s3, s0, s2
	s_cselect_b32 s2, s1, s8
	s_cbranch_execnz .LBB111_267
.LBB111_266:                            ;   in Loop: Header=BB111_36 Depth=1
	v_cvt_f32_u32_e32 v4, s33
	s_sub_i32 s0, 0, s33
	v_rcp_iflag_f32_e32 v4, v4
	v_mul_f32_e32 v4, 0x4f7ffffe, v4
	v_cvt_u32_f32_e32 v4, v4
	v_readfirstlane_b32 s1, v4
	s_mul_i32 s0, s0, s1
	s_mul_hi_u32 s0, s1, s0
	s_add_i32 s1, s1, s0
	s_mul_hi_u32 s0, s16, s1
	s_mul_i32 s0, s0, s33
	s_sub_i32 s0, s16, s0
	s_sub_i32 s1, s0, s33
	s_cmp_ge_u32 s0, s33
	s_cselect_b32 s0, s1, s0
	s_sub_i32 s1, s0, s33
	s_cmp_ge_u32 s0, s33
	s_cselect_b32 s46, s1, s0
	s_mov_b64 s[2:3], s[46:47]
	v_readlane_b32 s46, v59, 35
.LBB111_267:                            ;   in Loop: Header=BB111_36 Depth=1
	s_sub_u32 s12, s16, s2
	s_subb_u32 s13, s55, s3
	v_cmp_gt_u64_e32 vcc, s[12:13], v[0:1]
                                        ; implicit-def: $vgpr54
	s_and_saveexec_b64 s[2:3], vcc
	s_cbranch_execz .LBB111_277
; %bb.268:                              ;   in Loop: Header=BB111_36 Depth=1
	v_mov_b32_e32 v4, v12
	v_mov_b32_e32 v9, v1
	s_mov_b64 s[34:35], 0
	v_mov_b32_e32 v5, v13
	v_mov_b32_e32 v8, v0
                                        ; implicit-def: $sgpr58_sgpr59
	s_branch .LBB111_271
.LBB111_269:                            ;   in Loop: Header=BB111_271 Depth=2
	s_or_b64 exec, exec, s[0:1]
	s_waitcnt lgkmcnt(0)
	s_barrier
	ds_read_b32 v10, v3 offset:3072
	s_mov_b64 s[0:1], -1
	s_waitcnt lgkmcnt(0)
	s_barrier
	v_cmp_eq_u32_sdwa s[8:9], v10, v3 src0_sel:WORD_0 src1_sel:DWORD
	s_and_b64 vcc, exec, s[8:9]
	s_mov_b64 s[8:9], -1
	s_cbranch_vccnz .LBB111_274
.LBB111_270:                            ;   in Loop: Header=BB111_271 Depth=2
	s_and_b64 s[0:1], exec, s[0:1]
	s_or_b64 s[34:35], s[0:1], s[34:35]
	s_andn2_b64 s[0:1], s[58:59], exec
	s_and_b64 s[8:9], s[8:9], exec
	s_or_b64 s[58:59], s[0:1], s[8:9]
	s_andn2_b64 exec, exec, s[34:35]
	s_cbranch_execz .LBB111_276
.LBB111_271:                            ;   Parent Loop BB111_36 Depth=1
                                        ; =>  This Inner Loop Header: Depth=2
	v_cmp_gt_u64_e32 vcc, s[24:25], v[8:9]
	s_and_saveexec_b64 s[0:1], vcc
	s_cbranch_execz .LBB111_269
; %bb.272:                              ;   in Loop: Header=BB111_271 Depth=2
	global_load_ushort v10, v[4:5], off
	s_waitcnt vmcnt(0)
	v_add_u32_sdwa v11, sext(v10), s67 dst_sel:DWORD dst_unused:UNUSED_PAD src0_sel:WORD_0 src1_sel:DWORD
	v_and_b32_e32 v11, v11, v53
	v_cmp_eq_u32_e32 vcc, v11, v48
	s_and_b64 exec, exec, vcc
	s_cbranch_execz .LBB111_269
; %bb.273:                              ;   in Loop: Header=BB111_271 Depth=2
	v_perm_b32 v10, v10, 1, v52
	ds_write_b32 v3, v10 offset:3072
	s_branch .LBB111_269
.LBB111_274:                            ;   in Loop: Header=BB111_271 Depth=2
	v_add_co_u32_e32 v8, vcc, s33, v8
	v_addc_co_u32_e32 v9, vcc, 0, v9, vcc
	v_mov_b32_e32 v11, s51
	v_add_co_u32_e32 v4, vcc, s50, v4
	v_addc_co_u32_e32 v5, vcc, v5, v11, vcc
	v_cmp_le_u64_e32 vcc, s[12:13], v[8:9]
	s_mov_b64 s[8:9], 0
	s_orn2_b64 s[0:1], vcc, exec
	s_branch .LBB111_270
.LBB111_275:                            ;   in Loop: Header=BB111_36 Depth=1
	v_readlane_b32 s62, v59, 36
	s_branch .LBB111_278
.LBB111_276:                            ;   in Loop: Header=BB111_36 Depth=1
	s_or_b64 exec, exec, s[34:35]
	s_andn2_b64 s[0:1], s[10:11], exec
	s_and_b64 s[8:9], s[58:59], exec
	v_lshrrev_b32_e32 v54, 16, v10
	s_or_b64 s[10:11], s[0:1], s[8:9]
.LBB111_277:                            ;   in Loop: Header=BB111_36 Depth=1
	s_or_b64 exec, exec, s[2:3]
	s_mov_b64 s[12:13], 0
	s_mov_b64 s[34:35], -1
.LBB111_278:                            ;   in Loop: Header=BB111_36 Depth=1
	s_orn2_b64 s[2:3], s[10:11], exec
.LBB111_279:                            ;   in Loop: Header=BB111_36 Depth=1
	s_or_b64 exec, exec, s[42:43]
	s_mov_b64 s[8:9], 0
	s_and_saveexec_b64 s[10:11], s[2:3]
	s_cbranch_execz .LBB111_290
; %bb.280:                              ;   in Loop: Header=BB111_36 Depth=1
	v_mov_b32_e32 v4, 1
	s_xor_b64 s[0:1], s[84:85], -1
	v_mov_b32_e32 v5, 0
	v_mov_b32_e32 v2, 1
	s_and_saveexec_b64 s[2:3], s[0:1]
	s_cbranch_execz .LBB111_289
; %bb.281:                              ;   in Loop: Header=BB111_36 Depth=1
	v_cmp_ge_u64_e32 vcc, s[14:15], v[6:7]
	s_and_saveexec_b64 s[0:1], vcc
	s_xor_b64 s[8:9], exec, s[0:1]
	s_cbranch_execz .LBB111_286
; %bb.282:                              ;   in Loop: Header=BB111_36 Depth=1
	ds_read_b64 v[4:5], v3 offset:5120
	v_or_b32_e32 v48, s49, v48
	v_or_b32_e32 v53, s49, v53
	s_waitcnt lgkmcnt(0)
	v_cmp_ne_u64_e32 vcc, 0, v[4:5]
	s_cbranch_vccnz .LBB111_286
; %bb.283:                              ;   in Loop: Header=BB111_36 Depth=1
	s_mov_b64 s[0:1], exec
	v_readlane_b32 s42, v59, 4
	v_readlane_b32 s43, v59, 5
	s_and_b64 s[42:43], s[0:1], s[42:43]
	s_mov_b64 exec, s[42:43]
; %bb.284:                              ;   in Loop: Header=BB111_36 Depth=1
	v_mov_b32_e32 v4, s14
	v_mov_b32_e32 v5, s15
	ds_write_b64 v3, v[4:5] offset:5128
; %bb.285:                              ;   in Loop: Header=BB111_36 Depth=1
	s_or_b64 exec, exec, s[0:1]
	s_waitcnt lgkmcnt(0)
	s_barrier
.LBB111_286:                            ;   in Loop: Header=BB111_36 Depth=1
	s_andn2_saveexec_b64 s[8:9], s[8:9]
; %bb.287:                              ;   in Loop: Header=BB111_36 Depth=1
	v_mov_b32_e32 v2, s15
	v_subrev_co_u32_e32 v6, vcc, s14, v6
	v_subb_co_u32_e32 v7, vcc, v7, v2, vcc
; %bb.288:                              ;   in Loop: Header=BB111_36 Depth=1
	s_or_b64 exec, exec, s[8:9]
	v_mov_b32_e32 v4, v6
	v_mov_b32_e32 v2, 8
	;; [unrolled: 1-line block ×3, first 2 shown]
.LBB111_289:                            ;   in Loop: Header=BB111_36 Depth=1
	s_or_b64 exec, exec, s[2:3]
	v_mov_b32_e32 v7, v5
	s_mov_b64 s[8:9], exec
	v_mov_b32_e32 v6, v4
.LBB111_290:                            ;   in Loop: Header=BB111_36 Depth=1
	s_or_b64 exec, exec, s[10:11]
	s_orn2_b64 s[2:3], s[8:9], exec
.LBB111_291:                            ;   in Loop: Header=BB111_36 Depth=1
	s_or_b64 exec, exec, s[40:41]
	s_andn2_b64 s[0:1], s[94:95], exec
	s_and_b64 s[8:9], s[34:35], exec
	s_or_b64 s[94:95], s[0:1], s[8:9]
	s_andn2_b64 s[0:1], s[92:93], exec
	s_and_b64 s[8:9], s[12:13], exec
	v_mov_b32_e32 v4, v6
	s_or_b64 s[92:93], s[0:1], s[8:9]
	s_and_b64 s[8:9], s[2:3], exec
	v_mov_b32_e32 v5, v7
.LBB111_292:                            ;   in Loop: Header=BB111_36 Depth=1
	s_or_b64 exec, exec, s[38:39]
	s_orn2_b64 s[2:3], s[8:9], exec
.LBB111_293:                            ;   in Loop: Header=BB111_36 Depth=1
	s_or_b64 exec, exec, s[90:91]
	s_andn2_b64 s[0:1], s[86:87], exec
	s_and_b64 s[8:9], s[94:95], exec
	s_or_b64 s[86:87], s[0:1], s[8:9]
	s_andn2_b64 s[0:1], s[6:7], exec
	s_and_b64 s[6:7], s[92:93], exec
	v_mov_b32_e32 v9, v5
	s_or_b64 s[6:7], s[0:1], s[6:7]
	s_and_b64 s[8:9], s[2:3], exec
	v_mov_b32_e32 v8, v4
.LBB111_294:                            ;   in Loop: Header=BB111_36 Depth=1
	s_or_b64 exec, exec, s[88:89]
	s_orn2_b64 s[2:3], s[8:9], exec
.LBB111_295:                            ;   in Loop: Header=BB111_36 Depth=1
	s_or_b64 exec, exec, s[82:83]
	s_mov_b64 s[8:9], 0
	s_and_saveexec_b64 s[0:1], s[2:3]
	s_xor_b64 s[2:3], exec, s[0:1]
	s_cbranch_execz .LBB111_34
; %bb.296:                              ;   in Loop: Header=BB111_36 Depth=1
	v_and_b32_e32 v2, 7, v2
	v_cmp_eq_u32_e32 vcc, 0, v2
	s_mov_b64 s[10:11], -1
	s_mov_b64 s[8:9], -1
	s_and_saveexec_b64 s[0:1], vcc
	s_cbranch_execz .LBB111_33
; %bb.297:                              ;   in Loop: Header=BB111_36 Depth=1
	s_xor_b32 s48, s48, 1
	s_add_i32 s12, s66, -2
	s_cmp_eq_u32 s66, 0
	s_cselect_b64 s[10:11], -1, 0
	s_xor_b64 s[8:9], exec, -1
	s_orn2_b64 s[10:11], s[10:11], exec
	s_mov_b32 s66, s12
	s_branch .LBB111_33
.LBB111_298:                            ;   in Loop: Header=BB111_36 Depth=1
                                        ; implicit-def: $sgpr2_sgpr3
	s_mov_b32 s54, s61
	s_branch .LBB111_250
.LBB111_299:                            ;   in Loop: Header=BB111_36 Depth=1
                                        ; implicit-def: $sgpr2_sgpr3
	s_branch .LBB111_266
.LBB111_300:
	s_or_b64 exec, exec, s[68:69]
	s_xor_b64 s[4:5], s[74:75], -1
	s_xor_b64 s[0:1], s[70:71], -1
	;; [unrolled: 1-line block ×3, first 2 shown]
	s_mov_b64 s[2:3], 0
	s_and_saveexec_b64 s[8:9], s[0:1]
	s_xor_b64 s[0:1], exec, s[8:9]
	s_cbranch_execnz .LBB111_305
; %bb.301:
	s_andn2_saveexec_b64 s[0:1], s[0:1]
	s_cbranch_execnz .LBB111_318
.LBB111_302:
	s_or_b64 exec, exec, s[0:1]
	s_and_saveexec_b64 s[0:1], s[2:3]
.LBB111_303:
	; divergent unreachable
.LBB111_304:
	s_endpgm
.LBB111_305:
	s_and_saveexec_b64 s[2:3], s[4:5]
	s_xor_b64 s[4:5], exec, s[2:3]
	s_cbranch_execz .LBB111_316
; %bb.306:
	s_and_saveexec_b64 s[2:3], s[6:7]
	s_xor_b64 s[2:3], exec, s[2:3]
; %bb.307:
	v_xor_b32_e32 v54, 0xffff8000, v48
; %bb.308:
	s_or_b64 exec, exec, s[2:3]
	v_readlane_b32 s6, v59, 0
	v_readlane_b32 s7, v59, 1
	s_mul_i32 s2, s6, s31
	s_mul_hi_u32 s3, s6, s30
	s_add_i32 s2, s3, s2
	s_mul_i32 s3, s7, s30
	s_add_i32 s3, s2, s3
	s_mul_i32 s2, s6, s30
	s_lshl_b64 s[2:3], s[2:3], 1
	v_readlane_b32 s6, v59, 6
	v_readlane_b32 s7, v59, 7
	s_add_u32 s6, s6, s2
	s_addc_u32 s7, s7, s3
	s_lshl_b64 s[2:3], s[22:23], 1
	s_add_u32 s2, s6, s2
	s_addc_u32 s3, s7, s3
	v_mov_b32_e32 v2, 0
	global_store_short v2, v54, s[2:3]
	s_mov_b64 s[2:3], exec
	v_readlane_b32 s6, v59, 10
	v_readlane_b32 s7, v59, 11
	s_and_b64 s[6:7], s[2:3], s[6:7]
	s_mov_b64 exec, s[6:7]
	s_cbranch_execz .LBB111_315
; %bb.309:
	s_mov_b64 s[6:7], 0
                                        ; implicit-def: $sgpr8_sgpr9
                                        ; implicit-def: $sgpr12_sgpr13
                                        ; implicit-def: $sgpr10_sgpr11
	s_branch .LBB111_311
.LBB111_310:                            ;   in Loop: Header=BB111_311 Depth=1
	s_or_b64 exec, exec, s[14:15]
	s_and_b64 s[14:15], exec, s[12:13]
	s_or_b64 s[6:7], s[14:15], s[6:7]
	s_andn2_b64 s[8:9], s[8:9], exec
	s_and_b64 s[14:15], s[10:11], exec
	s_or_b64 s[8:9], s[8:9], s[14:15]
	s_andn2_b64 exec, exec, s[6:7]
	s_cbranch_execz .LBB111_313
.LBB111_311:                            ; =>This Inner Loop Header: Depth=1
	global_load_ushort v4, v[12:13], off
	v_mov_b32_e32 v3, v1
	v_mov_b32_e32 v2, v0
	s_or_b64 s[10:11], s[10:11], exec
	s_or_b64 s[12:13], s[12:13], exec
                                        ; implicit-def: $vgpr0_vgpr1
	s_waitcnt vmcnt(0)
	v_cmp_ne_u16_e32 vcc, v4, v54
	s_and_saveexec_b64 s[14:15], vcc
	s_cbranch_execz .LBB111_310
; %bb.312:                              ;   in Loop: Header=BB111_311 Depth=1
	v_add_co_u32_e32 v0, vcc, s33, v2
	v_addc_co_u32_e32 v1, vcc, 0, v3, vcc
	v_mov_b32_e32 v4, s51
	v_add_co_u32_e32 v12, vcc, s50, v12
	v_addc_co_u32_e32 v13, vcc, v13, v4, vcc
	v_cmp_le_u64_e32 vcc, s[24:25], v[0:1]
	s_andn2_b64 s[12:13], s[12:13], exec
	s_and_b64 s[16:17], vcc, exec
	s_andn2_b64 s[10:11], s[10:11], exec
	s_or_b64 s[12:13], s[12:13], s[16:17]
	s_branch .LBB111_310
.LBB111_313:
	s_or_b64 exec, exec, s[6:7]
	s_and_saveexec_b64 s[6:7], s[8:9]
	s_xor_b64 s[6:7], exec, s[6:7]
	s_cbranch_execz .LBB111_315
; %bb.314:
	v_readlane_b32 s8, v59, 2
	v_readlane_b32 s9, v59, 3
	s_mul_i32 s6, s8, s37
	s_mul_hi_u32 s7, s8, s36
	s_add_i32 s6, s7, s6
	s_mul_i32 s7, s9, s36
	s_add_i32 s7, s6, s7
	s_mul_i32 s6, s8, s36
	s_lshl_b64 s[6:7], s[6:7], 3
	v_readlane_b32 s8, v59, 8
	v_readlane_b32 s9, v59, 9
	s_add_u32 s8, s8, s6
	s_addc_u32 s9, s9, s7
	s_lshl_b64 s[6:7], s[28:29], 3
	s_add_u32 s6, s8, s6
	s_addc_u32 s7, s9, s7
	v_mov_b32_e32 v0, 0
	global_store_dwordx2 v0, v[2:3], s[6:7]
.LBB111_315:
	s_or_b64 exec, exec, s[2:3]
.LBB111_316:
	s_or_saveexec_b64 s[2:3], s[4:5]
	s_mov_b64 s[4:5], 0
	s_xor_b64 exec, exec, s[2:3]
	s_cbranch_execnz .LBB111_319
.LBB111_317:
	s_or_b64 exec, exec, s[2:3]
	s_and_b64 s[2:3], s[4:5], exec
	s_andn2_saveexec_b64 s[0:1], s[0:1]
	s_cbranch_execz .LBB111_302
.LBB111_318:
	s_or_b64 s[2:3], s[2:3], exec
	s_trap 2
	s_or_b64 exec, exec, s[0:1]
	s_and_saveexec_b64 s[0:1], s[2:3]
	s_cbranch_execnz .LBB111_303
	s_branch .LBB111_304
.LBB111_319:
	s_mov_b64 s[4:5], exec
	s_trap 2
	s_branch .LBB111_317
	.section	.rodata,"a",@progbits
	.p2align	6, 0x0
	.amdhsa_kernel _ZN2at6native12_GLOBAL__N_112gatherMedianIsmLin1EEEvNS_4cuda6detail10TensorInfoIT_T0_EENS5_IlS7_EENS5_IKS6_S7_EES7_S7_S7_b
		.amdhsa_group_segment_fixed_size 5152
		.amdhsa_private_segment_fixed_size 0
		.amdhsa_kernarg_size 1536
		.amdhsa_user_sgpr_count 6
		.amdhsa_user_sgpr_private_segment_buffer 1
		.amdhsa_user_sgpr_dispatch_ptr 0
		.amdhsa_user_sgpr_queue_ptr 0
		.amdhsa_user_sgpr_kernarg_segment_ptr 1
		.amdhsa_user_sgpr_dispatch_id 0
		.amdhsa_user_sgpr_flat_scratch_init 0
		.amdhsa_user_sgpr_private_segment_size 0
		.amdhsa_uses_dynamic_stack 0
		.amdhsa_system_sgpr_private_segment_wavefront_offset 0
		.amdhsa_system_sgpr_workgroup_id_x 1
		.amdhsa_system_sgpr_workgroup_id_y 1
		.amdhsa_system_sgpr_workgroup_id_z 1
		.amdhsa_system_sgpr_workgroup_info 0
		.amdhsa_system_vgpr_workitem_id 0
		.amdhsa_next_free_vgpr 60
		.amdhsa_next_free_sgpr 96
		.amdhsa_reserve_vcc 1
		.amdhsa_reserve_flat_scratch 0
		.amdhsa_float_round_mode_32 0
		.amdhsa_float_round_mode_16_64 0
		.amdhsa_float_denorm_mode_32 3
		.amdhsa_float_denorm_mode_16_64 3
		.amdhsa_dx10_clamp 1
		.amdhsa_ieee_mode 1
		.amdhsa_fp16_overflow 0
		.amdhsa_exception_fp_ieee_invalid_op 0
		.amdhsa_exception_fp_denorm_src 0
		.amdhsa_exception_fp_ieee_div_zero 0
		.amdhsa_exception_fp_ieee_overflow 0
		.amdhsa_exception_fp_ieee_underflow 0
		.amdhsa_exception_fp_ieee_inexact 0
		.amdhsa_exception_int_div_zero 0
	.end_amdhsa_kernel
	.section	.text._ZN2at6native12_GLOBAL__N_112gatherMedianIsmLin1EEEvNS_4cuda6detail10TensorInfoIT_T0_EENS5_IlS7_EENS5_IKS6_S7_EES7_S7_S7_b,"axG",@progbits,_ZN2at6native12_GLOBAL__N_112gatherMedianIsmLin1EEEvNS_4cuda6detail10TensorInfoIT_T0_EENS5_IlS7_EENS5_IKS6_S7_EES7_S7_S7_b,comdat
.Lfunc_end111:
	.size	_ZN2at6native12_GLOBAL__N_112gatherMedianIsmLin1EEEvNS_4cuda6detail10TensorInfoIT_T0_EENS5_IlS7_EENS5_IKS6_S7_EES7_S7_S7_b, .Lfunc_end111-_ZN2at6native12_GLOBAL__N_112gatherMedianIsmLin1EEEvNS_4cuda6detail10TensorInfoIT_T0_EENS5_IlS7_EENS5_IKS6_S7_EES7_S7_S7_b
                                        ; -- End function
	.set _ZN2at6native12_GLOBAL__N_112gatherMedianIsmLin1EEEvNS_4cuda6detail10TensorInfoIT_T0_EENS5_IlS7_EENS5_IKS6_S7_EES7_S7_S7_b.num_vgpr, 60
	.set _ZN2at6native12_GLOBAL__N_112gatherMedianIsmLin1EEEvNS_4cuda6detail10TensorInfoIT_T0_EENS5_IlS7_EENS5_IKS6_S7_EES7_S7_S7_b.num_agpr, 0
	.set _ZN2at6native12_GLOBAL__N_112gatherMedianIsmLin1EEEvNS_4cuda6detail10TensorInfoIT_T0_EENS5_IlS7_EENS5_IKS6_S7_EES7_S7_S7_b.numbered_sgpr, 96
	.set _ZN2at6native12_GLOBAL__N_112gatherMedianIsmLin1EEEvNS_4cuda6detail10TensorInfoIT_T0_EENS5_IlS7_EENS5_IKS6_S7_EES7_S7_S7_b.num_named_barrier, 0
	.set _ZN2at6native12_GLOBAL__N_112gatherMedianIsmLin1EEEvNS_4cuda6detail10TensorInfoIT_T0_EENS5_IlS7_EENS5_IKS6_S7_EES7_S7_S7_b.private_seg_size, 0
	.set _ZN2at6native12_GLOBAL__N_112gatherMedianIsmLin1EEEvNS_4cuda6detail10TensorInfoIT_T0_EENS5_IlS7_EENS5_IKS6_S7_EES7_S7_S7_b.uses_vcc, 1
	.set _ZN2at6native12_GLOBAL__N_112gatherMedianIsmLin1EEEvNS_4cuda6detail10TensorInfoIT_T0_EENS5_IlS7_EENS5_IKS6_S7_EES7_S7_S7_b.uses_flat_scratch, 0
	.set _ZN2at6native12_GLOBAL__N_112gatherMedianIsmLin1EEEvNS_4cuda6detail10TensorInfoIT_T0_EENS5_IlS7_EENS5_IKS6_S7_EES7_S7_S7_b.has_dyn_sized_stack, 0
	.set _ZN2at6native12_GLOBAL__N_112gatherMedianIsmLin1EEEvNS_4cuda6detail10TensorInfoIT_T0_EENS5_IlS7_EENS5_IKS6_S7_EES7_S7_S7_b.has_recursion, 0
	.set _ZN2at6native12_GLOBAL__N_112gatherMedianIsmLin1EEEvNS_4cuda6detail10TensorInfoIT_T0_EENS5_IlS7_EENS5_IKS6_S7_EES7_S7_S7_b.has_indirect_call, 0
	.section	.AMDGPU.csdata,"",@progbits
; Kernel info:
; codeLenInByte = 17644
; TotalNumSgprs: 100
; NumVgprs: 60
; ScratchSize: 0
; MemoryBound: 0
; FloatMode: 240
; IeeeMode: 1
; LDSByteSize: 5152 bytes/workgroup (compile time only)
; SGPRBlocks: 12
; VGPRBlocks: 14
; NumSGPRsForWavesPerEU: 100
; NumVGPRsForWavesPerEU: 60
; Occupancy: 4
; WaveLimiterHint : 1
; COMPUTE_PGM_RSRC2:SCRATCH_EN: 0
; COMPUTE_PGM_RSRC2:USER_SGPR: 6
; COMPUTE_PGM_RSRC2:TRAP_HANDLER: 0
; COMPUTE_PGM_RSRC2:TGID_X_EN: 1
; COMPUTE_PGM_RSRC2:TGID_Y_EN: 1
; COMPUTE_PGM_RSRC2:TGID_Z_EN: 1
; COMPUTE_PGM_RSRC2:TIDIG_COMP_CNT: 0
	.section	.text._ZN2at6native12_GLOBAL__N_112gatherMedianIdjLi1EEEvNS_4cuda6detail10TensorInfoIT_T0_EENS5_IlS7_EENS5_IKS6_S7_EES7_S7_S7_b,"axG",@progbits,_ZN2at6native12_GLOBAL__N_112gatherMedianIdjLi1EEEvNS_4cuda6detail10TensorInfoIT_T0_EENS5_IlS7_EENS5_IKS6_S7_EES7_S7_S7_b,comdat
	.globl	_ZN2at6native12_GLOBAL__N_112gatherMedianIdjLi1EEEvNS_4cuda6detail10TensorInfoIT_T0_EENS5_IlS7_EENS5_IKS6_S7_EES7_S7_S7_b ; -- Begin function _ZN2at6native12_GLOBAL__N_112gatherMedianIdjLi1EEEvNS_4cuda6detail10TensorInfoIT_T0_EENS5_IlS7_EENS5_IKS6_S7_EES7_S7_S7_b
	.p2align	8
	.type	_ZN2at6native12_GLOBAL__N_112gatherMedianIdjLi1EEEvNS_4cuda6detail10TensorInfoIT_T0_EENS5_IlS7_EENS5_IKS6_S7_EES7_S7_S7_b,@function
_ZN2at6native12_GLOBAL__N_112gatherMedianIdjLi1EEEvNS_4cuda6detail10TensorInfoIT_T0_EENS5_IlS7_EENS5_IKS6_S7_EES7_S7_S7_b: ; @_ZN2at6native12_GLOBAL__N_112gatherMedianIdjLi1EEEvNS_4cuda6detail10TensorInfoIT_T0_EENS5_IlS7_EENS5_IKS6_S7_EES7_S7_S7_b
; %bb.0:
	s_load_dwordx2 s[12:13], s[4:5], 0x298
	s_load_dwordx4 s[24:27], s[4:5], 0x288
	s_add_u32 s10, s4, 0x298
	s_addc_u32 s11, s5, 0
	s_waitcnt lgkmcnt(0)
	s_mul_i32 s0, s13, s8
	s_add_i32 s0, s0, s7
	s_mul_i32 s0, s0, s12
	s_add_i32 s90, s0, s6
	s_cmp_ge_u32 s90, s25
	s_cbranch_scc1 .LBB112_253
; %bb.1:
	s_load_dword s2, s[4:5], 0x21c
	s_load_dwordx2 s[0:1], s[4:5], 0x1b0
	s_load_dwordx2 s[92:93], s[4:5], 0xd8
	;; [unrolled: 1-line block ×3, first 2 shown]
	s_mov_b32 s3, 0
	s_waitcnt lgkmcnt(0)
	s_mul_i32 s2, s2, s90
	s_lshl_b64 s[2:3], s[2:3], 3
                                        ; implicit-def: $vgpr47 : SGPR spill to VGPR lane
	s_add_u32 s25, s0, s2
	v_writelane_b32 v47, s8, 0
	s_addc_u32 s95, s1, s3
	v_mov_b32_e32 v3, 0
	v_writelane_b32 v47, s9, 1
	v_cmp_gt_u32_e64 s[0:1], s24, v0
	s_mov_b64 s[2:3], exec
	v_writelane_b32 v47, s0, 2
	v_writelane_b32 v47, s1, 3
	s_and_b64 s[0:1], s[2:3], s[0:1]
	s_mov_b64 exec, s[0:1]
	s_cbranch_execz .LBB112_5
; %bb.2:
	s_load_dword s0, s[10:11], 0xc
	v_mul_lo_u32 v1, v0, s26
	v_mov_b32_e32 v2, 0
	s_mov_b64 s[8:9], 0
	v_mov_b32_e32 v4, s95
	s_waitcnt lgkmcnt(0)
	s_and_b32 s0, s0, 0xffff
	s_mul_i32 s1, s26, s0
	v_mov_b32_e32 v3, v2
	v_mov_b32_e32 v5, v0
.LBB112_3:                              ; =>This Inner Loop Header: Depth=1
	v_lshlrev_b64 v[6:7], 3, v[1:2]
	v_add_u32_e32 v5, s0, v5
	v_add_co_u32_e32 v6, vcc, s25, v6
	v_addc_co_u32_e32 v7, vcc, v4, v7, vcc
	global_load_dwordx2 v[6:7], v[6:7], off
	v_cmp_le_u32_e32 vcc, s24, v5
	s_or_b64 s[8:9], vcc, s[8:9]
	v_add_u32_e32 v1, s1, v1
	s_waitcnt vmcnt(0)
	v_cmp_u_f64_e32 vcc, v[6:7], v[6:7]
	v_addc_co_u32_e32 v3, vcc, 0, v3, vcc
	s_andn2_b64 exec, exec, s[8:9]
	s_cbranch_execnz .LBB112_3
; %bb.4:
	s_or_b64 exec, exec, s[8:9]
.LBB112_5:
	s_or_b64 exec, exec, s[2:3]
	s_load_dword s91, s[4:5], 0x144
	s_load_dword s0, s[4:5], 0x6c
	v_cmp_eq_u32_e64 s[2:3], 0, v0
                                        ; kill: killed $sgpr4 killed $sgpr5
	s_waitcnt lgkmcnt(0)
	v_writelane_b32 v47, s0, 4
	s_and_saveexec_b64 s[4:5], s[2:3]
; %bb.6:
	v_mov_b32_e32 v1, 0
	v_mov_b32_e32 v2, v1
	ds_write_b64 v1, v[1:2] offset:4096
; %bb.7:
	s_or_b64 exec, exec, s[4:5]
	v_cmp_ne_u32_e32 vcc, 0, v3
	s_waitcnt lgkmcnt(0)
	s_barrier
	s_and_saveexec_b64 s[4:5], vcc
	s_cbranch_execz .LBB112_12
; %bb.8:
	s_mov_b64 s[14:15], exec
	v_mov_b32_e32 v1, 0
	s_mov_b64 s[8:9], 0
.LBB112_9:                              ; =>This Inner Loop Header: Depth=1
	s_ff1_i32_b64 s0, s[14:15]
	v_readlane_b32 s7, v3, s0
	v_readlane_b32 s1, v1, s0
	s_add_u32 s8, s8, s7
	s_addc_u32 s9, s9, s1
	s_lshl_b64 s[0:1], 1, s0
	s_andn2_b64 s[14:15], s[14:15], s[0:1]
	s_cmp_lg_u64 s[14:15], 0
	s_cbranch_scc1 .LBB112_9
; %bb.10:
	v_mbcnt_lo_u32_b32 v1, exec_lo, 0
	v_mbcnt_hi_u32_b32 v1, exec_hi, v1
	v_cmp_eq_u32_e32 vcc, 0, v1
	s_and_saveexec_b64 s[0:1], vcc
	s_xor_b64 s[0:1], exec, s[0:1]
; %bb.11:
	v_mov_b32_e32 v1, s8
	v_mov_b32_e32 v3, 0
	;; [unrolled: 1-line block ×3, first 2 shown]
	ds_add_u64 v3, v[1:2] offset:4096
.LBB112_12:
	s_or_b64 exec, exec, s[4:5]
	v_mov_b32_e32 v1, 0
	s_waitcnt lgkmcnt(0)
	s_barrier
	ds_read_b64 v[1:2], v1 offset:4096
	s_bitcmp1_b32 s27, 0
	s_cselect_b64 s[8:9], -1, 0
	s_waitcnt lgkmcnt(0)
	v_readfirstlane_b32 s4, v1
	v_readfirstlane_b32 s5, v2
	v_cmp_lt_i64_e64 s[0:1], s[4:5], 1
	s_or_b64 s[0:1], s[8:9], s[0:1]
	s_andn2_b64 vcc, exec, s[0:1]
	s_mov_b32 s1, s24
	s_cbranch_vccnz .LBB112_14
; %bb.13:
	s_not_b64 s[0:1], s[4:5]
	s_add_u32 s0, s0, s24
	s_addc_u32 s1, s1, 0
	s_lshr_b32 s4, s1, 31
	s_add_u32 s0, s0, s4
	s_addc_u32 s1, s1, 0
	s_lshr_b64 s[0:1], s[0:1], 1
	s_add_i32 s1, s0, 1
.LBB112_14:
	s_and_saveexec_b64 s[4:5], s[2:3]
	s_cbranch_execz .LBB112_16
; %bb.15:
	v_mov_b32_e32 v1, 0
	v_mov_b32_e32 v2, s24
	ds_write_b32 v1, v1 offset:4112
	ds_write_b64 v1, v[1:2] offset:4104
.LBB112_16:
	s_or_b64 exec, exec, s[4:5]
	v_mul_lo_u32 v11, s26, v0
	v_mov_b32_e32 v13, 0
	v_mbcnt_lo_u32_b32 v1, -1, 0
	v_mov_b32_e32 v12, v13
	s_waitcnt lgkmcnt(0)
	s_barrier
	s_load_dword s0, s[10:11], 0xc
	v_mbcnt_hi_u32_b32 v27, -1, v1
	v_lshlrev_b64 v[1:2], 3, v[11:12]
	v_cmp_gt_u32_e32 vcc, 64, v0
	v_cmp_gt_i32_e64 s[8:9], 4, v27
	s_and_b64 s[34:35], vcc, s[8:9]
	v_mov_b32_e32 v3, s95
	v_add_co_u32_e32 v14, vcc, s25, v1
	v_addc_co_u32_e32 v15, vcc, v3, v2, vcc
	v_lshlrev_b64 v[1:2], v27, -1
	s_waitcnt lgkmcnt(0)
	s_and_b32 s27, s0, 0xffff
	v_not_b32_e32 v32, v1
	v_lshrrev_b32_e32 v1, 2, v0
	s_lshl_b32 s29, s27, 2
	v_and_b32_e32 v1, 0xf0, v1
	s_add_i32 s94, s27, -1
	v_or_b32_e32 v33, 0xc00, v1
	v_cvt_f32_u32_e32 v1, s29
	s_bfe_u32 s0, s0, 0xa0006
	s_add_i32 s7, s94, s24
	s_cmpk_gt_u32 s24, 0x180
	s_cselect_b64 s[36:37], -1, 0
	s_cmp_gt_u32 s27, 63
	s_cselect_b64 s[38:39], -1, 0
	s_cmp_lt_u32 s6, s12
	v_rcp_iflag_f32_e32 v1, v1
	s_cselect_b32 s6, 12, 18
	s_add_u32 s8, s10, s6
	s_addc_u32 s9, s11, 0
	v_writelane_b32 v47, s8, 5
	s_add_i32 s6, s0, -1
	v_mul_f32_e32 v1, 0x4f7ffffe, v1
	v_writelane_b32 v47, s9, 6
	s_bfe_u32 s8, s27, 0x30006
	s_and_b32 s6, s6, 0xffff
	v_cvt_u32_f32_e32 v1, v1
	s_cmp_gt_u32 s6, 6
	s_cselect_b64 s[10:11], -1, 0
	v_writelane_b32 v47, s10, 7
	s_and_b32 s31, s0, 0x3f8
	v_writelane_b32 v47, s11, 8
	s_cmp_lg_u32 s8, 0
	v_readfirstlane_b32 s6, v1
	v_cvt_f32_u32_e32 v1, s27
	v_writelane_b32 v47, s8, 9
	s_cselect_b64 s[8:9], -1, 0
	s_sub_i32 s0, 0, s29
	s_mul_i32 s0, s0, s6
	s_mul_hi_u32 s0, s6, s0
	s_add_i32 s33, s6, s0
	v_rcp_iflag_f32_e32 v4, v1
	s_mul_hi_u32 s0, s24, s33
	s_mul_i32 s0, s0, s29
	s_sub_i32 s0, s24, s0
	s_sub_i32 s6, s0, s29
	v_mul_f32_e32 v4, 0x4f7ffffe, v4
	s_cmp_ge_u32 s0, s29
	v_cvt_u32_f32_e32 v4, v4
	s_cselect_b32 s0, s6, s0
	s_sub_i32 s6, s0, s29
	s_cmp_ge_u32 s0, s29
	s_cselect_b32 s0, s6, s0
	s_sub_i32 s6, 0, s27
	v_readfirstlane_b32 s12, v4
	s_mul_i32 s6, s6, s12
	s_mul_hi_u32 s6, s12, s6
	s_sub_i32 s30, s24, s0
	s_add_i32 s41, s12, s6
	v_add_u32_e32 v34, s30, v0
	s_mul_hi_u32 s6, s7, s41
	v_mul_lo_u32 v12, v34, s26
	s_mul_i32 s6, s6, s27
	s_sub_i32 s6, s7, s6
	s_sub_i32 s12, s6, s27
	s_cmp_ge_u32 s6, s27
	v_not_b32_e32 v31, v2
	v_lshlrev_b64 v[1:2], 3, v[12:13]
	s_cselect_b32 s6, s12, s6
	v_lshlrev_b32_e32 v26, 2, v0
	s_sub_i32 s12, s6, s27
	v_add_co_u32_e32 v16, vcc, s25, v1
	s_cmp_ge_u32 s6, s27
	v_mul_lo_u32 v1, s26, v26
	s_cselect_b32 s6, s12, s6
	v_writelane_b32 v47, s8, 10
	s_sub_i32 s42, s7, s6
	v_writelane_b32 v47, s9, 11
	v_cmp_gt_u32_e64 s[6:7], s42, v0
	v_writelane_b32 v47, s6, 12
	v_add_u32_e32 v35, s26, v1
	v_or_b32_e32 v1, 2, v26
	v_writelane_b32 v47, s7, 13
	v_mul_lo_u32 v36, s26, v1
	v_or_b32_e32 v1, 3, v26
	s_add_i32 s6, s27, s24
	v_mul_lo_u32 v37, s26, v1
	v_add_u32_e32 v1, s6, v0
	v_subrev_u32_e32 v1, s0, v1
	v_mul_lo_u32 v39, s26, v1
	v_mov_b32_e32 v5, s95
	v_lshlrev_b32_e32 v28, 3, v0
	v_lshlrev_b32_e32 v3, 2, v27
	v_addc_co_u32_e32 v17, vcc, v5, v2, vcc
	s_mul_i32 s28, s26, s27
	v_mov_b32_e32 v18, 0
	v_mov_b32_e32 v20, 0
	v_mov_b32_e32 v5, 0
	s_mov_b32 s40, 0
	v_cmp_eq_u32_e64 s[4:5], 0, v27
	v_cmp_gt_u32_e64 s[20:21], 2, v0
	v_add_u32_e32 v29, 0xc00, v28
	v_and_b32_e32 v30, 0x100, v3
	v_cmp_gt_u32_e64 s[8:9], s30, v26
	v_cmp_gt_u32_e64 s[10:11], s24, v34
	s_lshl_b32 s43, s28, 2
	v_lshlrev_b32_e32 v38, 2, v11
	v_lshlrev_b32_e32 v40, 5, v0
	s_lshl_b32 s44, s27, 5
	s_lshl_b32 s45, s27, 3
	v_or_b32_e32 v41, 0xc00, v3
	s_mov_b32 s0, 62
	s_mov_b64 s[46:47], 0
	v_mov_b32_e32 v42, s1
	v_mov_b32_e32 v19, 0
	;; [unrolled: 1-line block ×5, first 2 shown]
                                        ; implicit-def: $sgpr48_sgpr49
                                        ; implicit-def: $sgpr52_sgpr53
                                        ; implicit-def: $sgpr50_sgpr51
                                        ; implicit-def: $sgpr56_sgpr57
                                        ; implicit-def: $sgpr58_sgpr59
                                        ; implicit-def: $sgpr54_sgpr55
	s_branch .LBB112_20
.LBB112_17:                             ;   in Loop: Header=BB112_20 Depth=1
	s_or_b64 exec, exec, s[62:63]
	s_and_b64 s[18:19], s[18:19], exec
	s_andn2_b64 s[60:61], s[60:61], exec
	s_andn2_b64 s[22:23], s[22:23], exec
	s_orn2_b64 s[16:17], s[16:17], exec
.LBB112_18:                             ;   in Loop: Header=BB112_20 Depth=1
	s_or_b64 exec, exec, s[6:7]
	s_andn2_b64 s[0:1], s[54:55], exec
	s_and_b64 s[6:7], s[18:19], exec
	s_or_b64 s[54:55], s[0:1], s[6:7]
	s_andn2_b64 s[0:1], s[58:59], exec
	s_and_b64 s[6:7], s[60:61], exec
	s_or_b64 s[58:59], s[0:1], s[6:7]
	;; [unrolled: 3-line block ×3, first 2 shown]
	s_orn2_b64 s[16:17], s[16:17], exec
.LBB112_19:                             ;   in Loop: Header=BB112_20 Depth=1
	s_or_b64 exec, exec, s[14:15]
	s_and_b64 s[0:1], exec, s[16:17]
	s_or_b64 s[46:47], s[0:1], s[46:47]
	s_andn2_b64 s[0:1], s[50:51], exec
	s_and_b64 s[6:7], s[54:55], exec
	s_or_b64 s[50:51], s[0:1], s[6:7]
	s_andn2_b64 s[0:1], s[52:53], exec
	s_and_b64 s[6:7], s[58:59], exec
	;; [unrolled: 3-line block ×3, first 2 shown]
	s_or_b64 s[48:49], s[0:1], s[6:7]
	s_mov_b32 s40, s13
	s_mov_b32 s0, s12
	v_mov_b32_e32 v42, v8
	s_andn2_b64 exec, exec, s[46:47]
	s_cbranch_execz .LBB112_249
.LBB112_20:                             ; =>This Loop Header: Depth=1
                                        ;     Child Loop BB112_26 Depth 2
                                        ;     Child Loop BB112_39 Depth 2
	;; [unrolled: 1-line block ×16, first 2 shown]
	ds_read_b64 v[3:4], v13 offset:4104
	s_waitcnt lgkmcnt(0)
	v_readfirstlane_b32 s1, v3
	s_cmp_lg_u32 s1, 0
	s_cbranch_scc1 .LBB112_47
; %bb.21:                               ;   in Loop: Header=BB112_20 Depth=1
	s_and_b64 vcc, exec, s[36:37]
	s_cbranch_vccz .LBB112_34
; %bb.22:                               ;   in Loop: Header=BB112_20 Depth=1
	s_movk_i32 s1, 0x181
	v_cmp_gt_u32_e32 vcc, s1, v4
	s_mov_b64 s[16:17], 0
	s_mov_b64 s[6:7], 0
	s_cbranch_vccz .LBB112_35
; %bb.23:                               ;   in Loop: Header=BB112_20 Depth=1
	s_mov_b64 s[18:19], exec
	v_readlane_b32 s6, v47, 2
	v_readlane_b32 s7, v47, 3
	s_and_b64 s[6:7], s[18:19], s[6:7]
	s_mov_b64 exec, s[6:7]
	s_cbranch_execz .LBB112_134
; %bb.24:                               ;   in Loop: Header=BB112_20 Depth=1
	v_readlane_b32 s6, v47, 5
	v_readlane_b32 s7, v47, 6
	s_nop 4
	global_load_ushort v1, v13, s[6:7]
	global_load_dwordx2 v[3:4], v[14:15], off
	s_mov_b64 s[22:23], 0
	v_mov_b32_e32 v10, v0
	s_waitcnt vmcnt(1)
	v_add_u32_e32 v7, v0, v1
	v_mul_lo_u32 v12, s26, v7
	v_mul_lo_u32 v9, s26, v1
	s_branch .LBB112_26
.LBB112_25:                             ;   in Loop: Header=BB112_26 Depth=2
	s_or_b64 exec, exec, s[6:7]
	v_mov_b32_e32 v3, v7
	v_add_u32_e32 v12, v12, v9
	v_mov_b32_e32 v4, v8
	s_andn2_b64 exec, exec, s[22:23]
	s_cbranch_execz .LBB112_134
.LBB112_26:                             ;   Parent Loop BB112_20 Depth=1
                                        ; =>  This Inner Loop Header: Depth=2
	v_add_u32_e32 v10, v10, v1
	v_mov_b32_e32 v7, 0
	v_cmp_gt_u32_e64 s[6:7], s24, v10
	v_mov_b32_e32 v8, 0
	v_cmp_le_u32_e32 vcc, s24, v10
	s_and_saveexec_b64 s[14:15], s[6:7]
	s_cbranch_execz .LBB112_28
; %bb.27:                               ;   in Loop: Header=BB112_26 Depth=2
	v_lshlrev_b64 v[7:8], 3, v[12:13]
	s_waitcnt lgkmcnt(0)
	v_mov_b32_e32 v22, s95
	v_add_co_u32_e64 v7, s[6:7], s25, v7
	v_addc_co_u32_e64 v8, s[6:7], v22, v8, s[6:7]
	global_load_dwordx2 v[7:8], v[7:8], off
.LBB112_28:                             ;   in Loop: Header=BB112_26 Depth=2
	s_or_b64 exec, exec, s[14:15]
	s_waitcnt vmcnt(0)
	v_cmp_o_f64_e64 s[6:7], v[3:4], v[3:4]
	s_waitcnt lgkmcnt(0)
	v_ashrrev_i32_e32 v22, 31, v4
	v_or_b32_e32 v23, 0x80000000, v22
	v_xor_b32_e32 v23, v23, v4
	v_xor_b32_e32 v22, v22, v3
	v_cndmask_b32_e64 v23, -1, v23, s[6:7]
	v_cndmask_b32_e64 v22, -1, v22, s[6:7]
	v_and_b32_e32 v23, v23, v21
	v_and_b32_e32 v22, v22, v20
	v_cmp_eq_u64_e64 s[14:15], v[22:23], v[18:19]
	v_mov_b32_e32 v22, 0
	s_cmp_lg_u64 s[14:15], 0
	s_cselect_b64 s[6:7], -1, 0
	s_and_b64 s[6:7], s[4:5], s[6:7]
	s_and_saveexec_b64 s[60:61], s[6:7]
	s_cbranch_execz .LBB112_32
; %bb.29:                               ;   in Loop: Header=BB112_26 Depth=2
	s_mov_b64 s[64:65], exec
	v_mbcnt_lo_u32_b32 v22, s64, 0
	v_mbcnt_hi_u32_b32 v22, s65, v22
	s_bcnt1_i32_b64 s1, s[14:15]
	v_cmp_eq_u32_e64 s[6:7], 0, v22
                                        ; implicit-def: $vgpr23
	s_and_saveexec_b64 s[62:63], s[6:7]
; %bb.30:                               ;   in Loop: Header=BB112_26 Depth=2
	s_bcnt1_i32_b64 s6, s[64:65]
	s_mul_i32 s6, s1, s6
	v_mov_b32_e32 v23, s6
	ds_add_rtn_u32 v23, v13, v23 offset:4112
; %bb.31:                               ;   in Loop: Header=BB112_26 Depth=2
	s_or_b64 exec, exec, s[62:63]
	s_waitcnt lgkmcnt(0)
	v_readfirstlane_b32 s6, v23
	v_mov_b32_e32 v23, s6
	v_mad_u32_u24 v22, s1, v22, v23
.LBB112_32:                             ;   in Loop: Header=BB112_26 Depth=2
	s_or_b64 exec, exec, s[60:61]
	ds_bpermute_b32 v22, v30, v22
	s_and_b64 s[6:7], exec, vcc
	s_or_b64 s[22:23], s[6:7], s[22:23]
	s_and_saveexec_b64 s[6:7], s[14:15]
	s_cbranch_execz .LBB112_25
; %bb.33:                               ;   in Loop: Header=BB112_26 Depth=2
	v_and_b32_e32 v24, s14, v32
	v_and_b32_e32 v23, s15, v31
	v_bcnt_u32_b32 v24, v24, 0
	v_bcnt_u32_b32 v23, v23, v24
	v_lshlrev_b32_e32 v23, 3, v23
	s_waitcnt lgkmcnt(0)
	v_lshl_add_u32 v22, v22, 3, v23
	ds_write_b64 v22, v[3:4]
	s_branch .LBB112_25
.LBB112_34:                             ;   in Loop: Header=BB112_20 Depth=1
	s_mov_b64 s[16:17], -1
	s_mov_b64 s[6:7], 0
.LBB112_35:                             ;   in Loop: Header=BB112_20 Depth=1
	s_and_b64 vcc, exec, s[16:17]
	s_cbranch_vccz .LBB112_45
.LBB112_36:                             ;   in Loop: Header=BB112_20 Depth=1
	s_mov_b64 s[6:7], exec
	v_readlane_b32 s12, v47, 2
	v_readlane_b32 s13, v47, 3
	s_and_b64 s[12:13], s[6:7], s[12:13]
	s_mov_b64 exec, s[12:13]
	s_cbranch_execz .LBB112_42
; %bb.37:                               ;   in Loop: Header=BB112_20 Depth=1
	v_readlane_b32 s12, v47, 5
	v_readlane_b32 s13, v47, 6
	s_nop 4
	global_load_ushort v1, v13, s[12:13]
	global_load_dwordx2 v[3:4], v[14:15], off
	v_mov_b32_e32 v9, v0
	s_waitcnt vmcnt(1)
	v_add_u32_e32 v7, v0, v1
	v_cmp_gt_u32_e32 vcc, s24, v7
	s_and_saveexec_b64 s[14:15], vcc
	s_cbranch_execz .LBB112_41
; %bb.38:                               ;   in Loop: Header=BB112_20 Depth=1
	v_mul_lo_u32 v12, s26, v7
	v_mul_lo_u32 v22, s26, v1
	v_lshlrev_b32_e32 v10, 3, v1
	s_mov_b64 s[16:17], 0
	v_mov_b32_e32 v23, v28
	v_mov_b32_e32 v9, v0
.LBB112_39:                             ;   Parent Loop BB112_20 Depth=1
                                        ; =>  This Inner Loop Header: Depth=2
	v_lshlrev_b64 v[7:8], 3, v[12:13]
	v_mov_b32_e32 v24, s95
	v_add_co_u32_e32 v7, vcc, s25, v7
	v_addc_co_u32_e32 v8, vcc, v24, v8, vcc
	global_load_dwordx2 v[7:8], v[7:8], off
	v_add_u32_e32 v9, v9, v1
	s_waitcnt vmcnt(1)
	ds_write_b64 v23, v[3:4]
	v_add_u32_e32 v3, v1, v9
	v_cmp_le_u32_e32 vcc, s24, v3
	v_add_u32_e32 v23, v23, v10
	v_add_u32_e32 v12, v12, v22
	s_or_b64 s[16:17], vcc, s[16:17]
	s_waitcnt vmcnt(0)
	v_mov_b32_e32 v3, v7
	v_mov_b32_e32 v4, v8
	s_andn2_b64 exec, exec, s[16:17]
	s_cbranch_execnz .LBB112_39
; %bb.40:                               ;   in Loop: Header=BB112_20 Depth=1
	s_or_b64 exec, exec, s[16:17]
	v_mov_b32_e32 v3, v7
	v_mov_b32_e32 v4, v8
.LBB112_41:                             ;   in Loop: Header=BB112_20 Depth=1
	s_or_b64 exec, exec, s[14:15]
	v_lshlrev_b32_e32 v1, 3, v9
	s_waitcnt vmcnt(0)
	ds_write_b64 v1, v[3:4]
.LBB112_42:                             ;   in Loop: Header=BB112_20 Depth=1
	s_or_b64 exec, exec, s[6:7]
	s_waitcnt lgkmcnt(0)
	s_barrier
	s_and_saveexec_b64 s[6:7], s[2:3]
; %bb.43:                               ;   in Loop: Header=BB112_20 Depth=1
	v_mov_b32_e32 v1, s24
	ds_write_b32 v13, v1 offset:4104
; %bb.44:                               ;   in Loop: Header=BB112_20 Depth=1
	s_or_b64 exec, exec, s[6:7]
	s_mov_b64 s[6:7], -1
	s_waitcnt lgkmcnt(0)
	s_barrier
.LBB112_45:                             ;   in Loop: Header=BB112_20 Depth=1
	s_mov_b32 s1, 0
	s_and_b64 vcc, exec, s[6:7]
	s_cbranch_vccz .LBB112_47
; %bb.46:                               ;   in Loop: Header=BB112_20 Depth=1
	ds_read_b32 v1, v13 offset:4104
	s_waitcnt lgkmcnt(0)
	v_readfirstlane_b32 s1, v1
.LBB112_47:                             ;   in Loop: Header=BB112_20 Depth=1
	s_cmp_lt_i32 s1, 1
	s_mov_b64 s[6:7], -1
                                        ; implicit-def: $vgpr7
	s_cbranch_scc1 .LBB112_57
; %bb.48:                               ;   in Loop: Header=BB112_20 Depth=1
	s_and_b64 vcc, exec, s[6:7]
	s_cbranch_vccnz .LBB112_68
.LBB112_49:                             ;   in Loop: Header=BB112_20 Depth=1
	s_lshl_b32 s1, s40, 6
	s_and_saveexec_b64 s[6:7], s[4:5]
.LBB112_50:                             ;   in Loop: Header=BB112_20 Depth=1
	v_lshl_add_u32 v1, s1, 2, v33
	ds_write_b128 v1, v[7:10]
.LBB112_51:                             ;   in Loop: Header=BB112_20 Depth=1
	s_or_b64 exec, exec, s[6:7]
	s_waitcnt lgkmcnt(0)
	s_barrier
	s_and_saveexec_b64 s[6:7], s[34:35]
	s_cbranch_execz .LBB112_82
; %bb.52:                               ;   in Loop: Header=BB112_20 Depth=1
	s_andn2_b64 vcc, exec, s[38:39]
	v_mov_b32_e32 v1, 0
	s_cbranch_vccnz .LBB112_81
; %bb.53:                               ;   in Loop: Header=BB112_20 Depth=1
	v_readlane_b32 s12, v47, 7
	v_readlane_b32 s13, v47, 8
	s_andn2_b64 vcc, exec, s[12:13]
	s_cbranch_vccnz .LBB112_77
; %bb.54:                               ;   in Loop: Header=BB112_20 Depth=1
	v_lshl_add_u32 v3, s40, 8, v41
	s_mov_b32 s12, 0
	v_mov_b32_e32 v1, 0
.LBB112_55:                             ;   Parent Loop BB112_20 Depth=1
                                        ; =>  This Inner Loop Header: Depth=2
	ds_read2_b32 v[7:8], v3 offset1:4
	ds_read2_b32 v[9:10], v3 offset0:8 offset1:12
	ds_read2_b32 v[22:23], v3 offset0:16 offset1:20
	;; [unrolled: 1-line block ×3, first 2 shown]
	s_add_i32 s12, s12, 8
	s_waitcnt lgkmcnt(3)
	v_add3_u32 v1, v7, v1, v8
	s_waitcnt lgkmcnt(2)
	v_add3_u32 v1, v9, v1, v10
	;; [unrolled: 2-line block ×3, first 2 shown]
	v_add_u32_e32 v3, 0x80, v3
	s_cmp_eq_u32 s31, s12
	s_waitcnt lgkmcnt(0)
	v_add3_u32 v1, v24, v1, v25
	s_cbranch_scc0 .LBB112_55
; %bb.56:                               ;   in Loop: Header=BB112_20 Depth=1
	s_mov_b32 s12, s31
	s_branch .LBB112_78
.LBB112_57:                             ;   in Loop: Header=BB112_20 Depth=1
	v_mov_b32_e32 v7, 0
	v_mov_b32_e32 v8, 0
	;; [unrolled: 1-line block ×4, first 2 shown]
	s_and_saveexec_b64 s[22:23], s[8:9]
	s_cbranch_execz .LBB112_61
; %bb.58:                               ;   in Loop: Header=BB112_20 Depth=1
	s_mov_b32 s62, 0
	s_mov_b64 s[60:61], 0
	s_mov_b32 s63, 0
	s_mov_b32 s64, 0
	;; [unrolled: 1-line block ×4, first 2 shown]
	v_mov_b32_e32 v1, v26
.LBB112_59:                             ;   Parent Loop BB112_20 Depth=1
                                        ; =>  This Inner Loop Header: Depth=2
	v_add_u32_e32 v12, s62, v38
	v_lshlrev_b64 v[3:4], 3, v[12:13]
	v_mov_b32_e32 v24, s95
	v_add_co_u32_e32 v3, vcc, s25, v3
	v_addc_co_u32_e32 v4, vcc, v24, v4, vcc
	global_load_dwordx2 v[3:4], v[3:4], off
	v_add_u32_e32 v12, s62, v35
	v_lshlrev_b64 v[7:8], 3, v[12:13]
	v_add_u32_e32 v12, s62, v36
	v_add_co_u32_e32 v7, vcc, s25, v7
	v_addc_co_u32_e32 v8, vcc, v24, v8, vcc
	global_load_dwordx2 v[7:8], v[7:8], off
	v_lshlrev_b64 v[9:10], 3, v[12:13]
	v_add_u32_e32 v12, s62, v37
	v_add_co_u32_e32 v9, vcc, s25, v9
	v_addc_co_u32_e32 v10, vcc, v24, v10, vcc
	global_load_dwordx2 v[9:10], v[9:10], off
	;; [unrolled: 5-line block ×3, first 2 shown]
	s_add_i32 s62, s62, s43
	s_waitcnt vmcnt(3)
	v_cmp_o_f64_e32 vcc, v[3:4], v[3:4]
	v_ashrrev_i32_e32 v12, 31, v4
	v_or_b32_e32 v24, 0x80000000, v12
	v_xor_b32_e32 v4, v24, v4
	v_xor_b32_e32 v3, v12, v3
	s_waitcnt vmcnt(2)
	v_ashrrev_i32_e32 v12, 31, v8
	v_cndmask_b32_e32 v4, -1, v4, vcc
	v_cndmask_b32_e32 v3, -1, v3, vcc
	v_cmp_o_f64_e32 vcc, v[7:8], v[7:8]
	v_or_b32_e32 v24, 0x80000000, v12
	v_xor_b32_e32 v8, v24, v8
	v_xor_b32_e32 v7, v12, v7
	v_cndmask_b32_e32 v25, -1, v8, vcc
	v_cndmask_b32_e32 v24, -1, v7, vcc
	s_waitcnt vmcnt(1)
	v_cmp_o_f64_e32 vcc, v[9:10], v[9:10]
	v_ashrrev_i32_e32 v7, 31, v10
	v_or_b32_e32 v8, 0x80000000, v7
	v_xor_b32_e32 v8, v8, v10
	v_xor_b32_e32 v7, v7, v9
	v_cndmask_b32_e32 v10, -1, v8, vcc
	v_cndmask_b32_e32 v9, -1, v7, vcc
	s_waitcnt vmcnt(0)
	v_cmp_o_f64_e32 vcc, v[22:23], v[22:23]
	v_ashrrev_i32_e32 v7, 31, v23
	v_or_b32_e32 v8, 0x80000000, v7
	v_xor_b32_e32 v8, v8, v23
	v_xor_b32_e32 v7, v7, v22
	v_and_b32_e32 v23, v4, v21
	v_and_b32_e32 v22, v3, v20
	v_lshrrev_b64 v[3:4], s0, v[3:4]
	v_cndmask_b32_e32 v8, -1, v8, vcc
	v_and_b32_e32 v12, 3, v3
	v_lshrrev_b64 v[3:4], s0, v[24:25]
	v_cndmask_b32_e32 v7, -1, v7, vcc
	v_cmp_eq_u64_e32 vcc, v[22:23], v[18:19]
	v_and_b32_e32 v23, v25, v21
	v_and_b32_e32 v22, v24, v20
	v_cmp_eq_u64_e64 s[6:7], 0, v[12:13]
	v_cmp_eq_u64_e64 s[14:15], v[22:23], v[18:19]
	v_and_b32_e32 v23, v10, v21
	v_and_b32_e32 v22, v9, v20
	;; [unrolled: 1-line block ×3, first 2 shown]
	v_mov_b32_e32 v4, v13
	v_lshrrev_b64 v[9:10], s0, v[9:10]
	s_and_b64 s[12:13], vcc, s[6:7]
	v_cmp_eq_u64_e64 s[6:7], 0, v[3:4]
	v_cmp_eq_u64_e64 s[16:17], v[22:23], v[18:19]
	v_and_b32_e32 v23, v8, v21
	v_and_b32_e32 v22, v7, v20
	;; [unrolled: 1-line block ×3, first 2 shown]
	v_mov_b32_e32 v10, v13
	v_lshrrev_b64 v[7:8], s0, v[7:8]
	s_and_b64 s[68:69], s[14:15], s[6:7]
	v_cmp_eq_u64_e64 s[6:7], 0, v[9:10]
	v_and_b32_e32 v7, 3, v7
	v_mov_b32_e32 v8, v13
	v_cmp_eq_u64_e64 s[18:19], v[22:23], v[18:19]
	s_and_b64 s[70:71], s[16:17], s[6:7]
	v_cmp_eq_u64_e64 s[6:7], 0, v[7:8]
	v_cndmask_b32_e64 v22, 0, 1, s[12:13]
	s_and_b64 s[72:73], s[18:19], s[6:7]
	v_cmp_ne_u32_e64 s[6:7], 0, v22
	v_cndmask_b32_e64 v22, 0, 1, s[68:69]
	s_bcnt1_i32_b64 s12, s[6:7]
	v_cmp_ne_u32_e64 s[6:7], 0, v22
	v_cndmask_b32_e64 v22, 0, 1, s[70:71]
	s_bcnt1_i32_b64 s13, s[6:7]
	;; [unrolled: 3-line block ×3, first 2 shown]
	v_cmp_ne_u32_e64 s[6:7], 0, v22
	s_bcnt1_i32_b64 s6, s[6:7]
	s_add_i32 s7, s66, s12
	s_add_i32 s7, s7, s13
	;; [unrolled: 1-line block ×4, first 2 shown]
	v_cmp_eq_u64_e64 s[6:7], 1, v[12:13]
	s_and_b64 s[12:13], vcc, s[6:7]
	v_cmp_eq_u64_e64 s[6:7], 1, v[3:4]
	v_cndmask_b32_e64 v22, 0, 1, s[12:13]
	s_and_b64 s[68:69], s[14:15], s[6:7]
	v_cmp_eq_u64_e64 s[6:7], 1, v[9:10]
	s_and_b64 s[70:71], s[16:17], s[6:7]
	v_cmp_eq_u64_e64 s[6:7], 1, v[7:8]
	s_and_b64 s[72:73], s[18:19], s[6:7]
	v_cmp_ne_u32_e64 s[6:7], 0, v22
	v_cndmask_b32_e64 v22, 0, 1, s[68:69]
	s_bcnt1_i32_b64 s12, s[6:7]
	v_cmp_ne_u32_e64 s[6:7], 0, v22
	v_cndmask_b32_e64 v22, 0, 1, s[70:71]
	s_bcnt1_i32_b64 s13, s[6:7]
	;; [unrolled: 3-line block ×3, first 2 shown]
	v_cmp_ne_u32_e64 s[6:7], 0, v22
	s_bcnt1_i32_b64 s6, s[6:7]
	s_add_i32 s7, s65, s12
	s_add_i32 s7, s7, s13
	;; [unrolled: 1-line block ×4, first 2 shown]
	v_cmp_eq_u64_e64 s[6:7], 2, v[12:13]
	s_and_b64 s[12:13], vcc, s[6:7]
	v_cmp_eq_u64_e64 s[6:7], 2, v[3:4]
	v_cndmask_b32_e64 v22, 0, 1, s[12:13]
	s_and_b64 s[68:69], s[14:15], s[6:7]
	v_cmp_eq_u64_e64 s[6:7], 2, v[9:10]
	s_and_b64 s[70:71], s[16:17], s[6:7]
	v_cmp_eq_u64_e64 s[6:7], 2, v[7:8]
	s_and_b64 s[72:73], s[18:19], s[6:7]
	v_cmp_ne_u32_e64 s[6:7], 0, v22
	v_cndmask_b32_e64 v22, 0, 1, s[68:69]
	s_bcnt1_i32_b64 s12, s[6:7]
	v_cmp_ne_u32_e64 s[6:7], 0, v22
	v_cndmask_b32_e64 v22, 0, 1, s[70:71]
	s_bcnt1_i32_b64 s13, s[6:7]
	;; [unrolled: 3-line block ×3, first 2 shown]
	v_cmp_ne_u32_e64 s[6:7], 0, v22
	s_bcnt1_i32_b64 s6, s[6:7]
	s_add_i32 s7, s64, s12
	s_add_i32 s7, s7, s13
	;; [unrolled: 1-line block ×4, first 2 shown]
	v_cmp_eq_u64_e64 s[6:7], 3, v[12:13]
	s_and_b64 s[6:7], vcc, s[6:7]
	v_cmp_eq_u64_e32 vcc, 3, v[3:4]
	v_cndmask_b32_e64 v3, 0, 1, s[6:7]
	s_and_b64 s[12:13], s[14:15], vcc
	v_cmp_eq_u64_e32 vcc, 3, v[9:10]
	v_mov_b32_e32 v9, s64
	s_and_b64 s[14:15], s[16:17], vcc
	v_cmp_eq_u64_e32 vcc, 3, v[7:8]
	v_mov_b32_e32 v7, s66
	s_and_b64 s[16:17], s[18:19], vcc
	v_cmp_ne_u32_e32 vcc, 0, v3
	v_cndmask_b32_e64 v3, 0, 1, s[12:13]
	s_bcnt1_i32_b64 s6, vcc
	v_cmp_ne_u32_e32 vcc, 0, v3
	v_cndmask_b32_e64 v3, 0, 1, s[14:15]
	s_bcnt1_i32_b64 s7, vcc
	v_cmp_ne_u32_e32 vcc, 0, v3
	v_cndmask_b32_e64 v3, 0, 1, s[16:17]
	s_add_i32 s6, s63, s6
	s_bcnt1_i32_b64 s12, vcc
	v_cmp_ne_u32_e32 vcc, 0, v3
	s_add_i32 s6, s6, s7
	s_bcnt1_i32_b64 s13, vcc
	s_add_i32 s6, s6, s12
	s_add_i32 s63, s6, s13
	v_cmp_le_u32_e32 vcc, s30, v1
	s_or_b64 s[60:61], vcc, s[60:61]
	v_mov_b32_e32 v8, s65
	v_mov_b32_e32 v10, s63
	s_andn2_b64 exec, exec, s[60:61]
	s_cbranch_execnz .LBB112_59
; %bb.60:                               ;   in Loop: Header=BB112_20 Depth=1
	s_or_b64 exec, exec, s[60:61]
.LBB112_61:                             ;   in Loop: Header=BB112_20 Depth=1
	s_or_b64 exec, exec, s[22:23]
	s_and_saveexec_b64 s[14:15], s[10:11]
	s_cbranch_execz .LBB112_67
; %bb.62:                               ;   in Loop: Header=BB112_20 Depth=1
	global_load_dwordx2 v[24:25], v[16:17], off
	s_mov_b64 s[16:17], 0
	v_mov_b32_e32 v3, v39
	v_mov_b32_e32 v1, v34
	s_branch .LBB112_64
.LBB112_63:                             ;   in Loop: Header=BB112_64 Depth=2
	s_or_b64 exec, exec, s[18:19]
	s_waitcnt vmcnt(0)
	v_cmp_o_f64_e64 s[6:7], v[24:25], v[24:25]
	v_ashrrev_i32_e32 v4, 31, v25
	v_or_b32_e32 v12, 0x80000000, v4
	v_xor_b32_e32 v12, v12, v25
	v_xor_b32_e32 v4, v4, v24
	s_and_b64 s[12:13], exec, vcc
	s_or_b64 s[16:17], s[12:13], s[16:17]
	v_add_u32_e32 v3, s28, v3
	v_cndmask_b32_e64 v25, -1, v12, s[6:7]
	v_cndmask_b32_e64 v24, -1, v4, s[6:7]
	v_and_b32_e32 v44, v25, v21
	v_and_b32_e32 v43, v24, v20
	v_lshrrev_b64 v[24:25], s0, v[24:25]
	v_cmp_eq_u64_e32 vcc, v[43:44], v[18:19]
	v_and_b32_e32 v12, 3, v24
	v_cmp_eq_u64_e64 s[6:7], 0, v[12:13]
	v_mov_b32_e32 v25, v23
	s_and_b64 s[6:7], vcc, s[6:7]
	v_cndmask_b32_e64 v4, 0, 1, s[6:7]
	v_cmp_ne_u32_e64 s[6:7], 0, v4
	s_bcnt1_i32_b64 s12, s[6:7]
	v_cmp_eq_u64_e64 s[6:7], 1, v[12:13]
	v_add_u32_e32 v7, s12, v7
	s_and_b64 s[6:7], vcc, s[6:7]
	v_cndmask_b32_e64 v4, 0, 1, s[6:7]
	v_cmp_ne_u32_e64 s[6:7], 0, v4
	s_bcnt1_i32_b64 s12, s[6:7]
	v_cmp_eq_u64_e64 s[6:7], 2, v[12:13]
	v_add_u32_e32 v8, s12, v8
	;; [unrolled: 6-line block ×3, first 2 shown]
	s_and_b64 s[6:7], vcc, s[6:7]
	v_cndmask_b32_e64 v4, 0, 1, s[6:7]
	v_cmp_ne_u32_e32 vcc, 0, v4
	s_bcnt1_i32_b64 s6, vcc
	v_add_u32_e32 v10, s6, v10
	v_mov_b32_e32 v24, v22
	s_andn2_b64 exec, exec, s[16:17]
	s_cbranch_execz .LBB112_66
.LBB112_64:                             ;   Parent Loop BB112_20 Depth=1
                                        ; =>  This Inner Loop Header: Depth=2
	v_add_u32_e32 v1, s27, v1
	v_mov_b32_e32 v22, 0
	v_cmp_gt_u32_e64 s[6:7], s24, v1
	v_mov_b32_e32 v23, 0
	v_cmp_le_u32_e32 vcc, s24, v1
	s_and_saveexec_b64 s[18:19], s[6:7]
	s_cbranch_execz .LBB112_63
; %bb.65:                               ;   in Loop: Header=BB112_64 Depth=2
	v_mov_b32_e32 v4, v13
	v_lshlrev_b64 v[22:23], 3, v[3:4]
	v_mov_b32_e32 v4, s95
	v_add_co_u32_e64 v22, s[6:7], s25, v22
	v_addc_co_u32_e64 v23, s[6:7], v4, v23, s[6:7]
	global_load_dwordx2 v[22:23], v[22:23], off
	s_branch .LBB112_63
.LBB112_66:                             ;   in Loop: Header=BB112_20 Depth=1
	s_or_b64 exec, exec, s[16:17]
.LBB112_67:                             ;   in Loop: Header=BB112_20 Depth=1
	s_or_b64 exec, exec, s[14:15]
	s_branch .LBB112_49
.LBB112_68:                             ;   in Loop: Header=BB112_20 Depth=1
	s_mul_hi_u32 s6, s1, s33
	s_mul_i32 s6, s6, s29
	s_sub_i32 s6, s1, s6
	s_sub_i32 s7, s6, s29
	s_cmp_ge_u32 s6, s29
	s_cselect_b32 s6, s7, s6
	s_sub_i32 s7, s6, s29
	s_cmp_ge_u32 s6, s29
	s_cselect_b32 s6, s7, s6
	s_sub_i32 s62, s1, s6
	v_cmp_gt_u32_e32 vcc, s62, v26
	v_mov_b32_e32 v7, 0
	v_mov_b32_e32 v8, 0
	;; [unrolled: 1-line block ×4, first 2 shown]
	s_and_saveexec_b64 s[22:23], vcc
	s_cbranch_execz .LBB112_72
; %bb.69:                               ;   in Loop: Header=BB112_20 Depth=1
	s_mov_b32 s63, 0
	s_mov_b64 s[60:61], 0
	v_mov_b32_e32 v1, v40
	s_mov_b32 s64, 0
	s_mov_b32 s65, 0
	;; [unrolled: 1-line block ×3, first 2 shown]
	v_mov_b32_e32 v22, v26
.LBB112_70:                             ;   Parent Loop BB112_20 Depth=1
                                        ; =>  This Inner Loop Header: Depth=2
	ds_read_b128 v[7:10], v1
	ds_read_b128 v[43:46], v1 offset:16
	v_add_u32_e32 v22, s29, v22
	v_add_u32_e32 v1, s44, v1
	s_waitcnt lgkmcnt(1)
	v_cmp_o_f64_e32 vcc, v[7:8], v[7:8]
	v_ashrrev_i32_e32 v3, 31, v8
	v_or_b32_e32 v4, 0x80000000, v3
	v_xor_b32_e32 v4, v4, v8
	v_xor_b32_e32 v3, v3, v7
	v_ashrrev_i32_e32 v7, 31, v10
	v_or_b32_e32 v8, 0x80000000, v7
	v_xor_b32_e32 v8, v8, v10
	v_cndmask_b32_e32 v4, -1, v4, vcc
	v_cndmask_b32_e32 v3, -1, v3, vcc
	v_cmp_o_f64_e32 vcc, v[9:10], v[9:10]
	v_xor_b32_e32 v7, v7, v9
	v_cndmask_b32_e32 v24, -1, v8, vcc
	v_cndmask_b32_e32 v23, -1, v7, vcc
	s_waitcnt lgkmcnt(0)
	v_cmp_o_f64_e32 vcc, v[43:44], v[43:44]
	v_ashrrev_i32_e32 v7, 31, v44
	v_or_b32_e32 v8, 0x80000000, v7
	v_xor_b32_e32 v8, v8, v44
	v_xor_b32_e32 v7, v7, v43
	v_and_b32_e32 v44, v4, v21
	v_and_b32_e32 v43, v3, v20
	v_lshrrev_b64 v[3:4], s0, v[3:4]
	v_cndmask_b32_e32 v10, -1, v8, vcc
	v_cndmask_b32_e32 v9, -1, v7, vcc
	v_cmp_o_f64_e32 vcc, v[45:46], v[45:46]
	v_ashrrev_i32_e32 v7, 31, v46
	v_or_b32_e32 v8, 0x80000000, v7
	v_xor_b32_e32 v8, v8, v46
	v_xor_b32_e32 v7, v7, v45
	v_and_b32_e32 v12, 3, v3
	v_lshrrev_b64 v[3:4], s0, v[23:24]
	v_cmp_eq_u64_e64 s[6:7], 0, v[12:13]
	v_cndmask_b32_e32 v8, -1, v8, vcc
	v_cndmask_b32_e32 v7, -1, v7, vcc
	v_cmp_eq_u64_e32 vcc, v[43:44], v[18:19]
	v_and_b32_e32 v44, v24, v21
	v_and_b32_e32 v43, v23, v20
	v_cmp_eq_u64_e64 s[14:15], v[43:44], v[18:19]
	v_and_b32_e32 v44, v10, v21
	v_and_b32_e32 v43, v9, v20
	;; [unrolled: 1-line block ×3, first 2 shown]
	v_mov_b32_e32 v4, v13
	v_lshrrev_b64 v[9:10], s0, v[9:10]
	s_and_b64 s[12:13], vcc, s[6:7]
	v_cmp_eq_u64_e64 s[6:7], 0, v[3:4]
	v_cmp_eq_u64_e64 s[16:17], v[43:44], v[18:19]
	v_and_b32_e32 v44, v8, v21
	v_and_b32_e32 v43, v7, v20
	;; [unrolled: 1-line block ×3, first 2 shown]
	v_mov_b32_e32 v10, v13
	v_lshrrev_b64 v[7:8], s0, v[7:8]
	s_and_b64 s[68:69], s[14:15], s[6:7]
	v_cmp_eq_u64_e64 s[6:7], 0, v[9:10]
	v_and_b32_e32 v7, 3, v7
	v_mov_b32_e32 v8, v13
	v_cmp_eq_u64_e64 s[18:19], v[43:44], v[18:19]
	s_and_b64 s[70:71], s[16:17], s[6:7]
	v_cmp_eq_u64_e64 s[6:7], 0, v[7:8]
	v_cndmask_b32_e64 v23, 0, 1, s[12:13]
	s_and_b64 s[72:73], s[18:19], s[6:7]
	v_cmp_ne_u32_e64 s[6:7], 0, v23
	v_cndmask_b32_e64 v23, 0, 1, s[68:69]
	s_bcnt1_i32_b64 s12, s[6:7]
	v_cmp_ne_u32_e64 s[6:7], 0, v23
	v_cndmask_b32_e64 v23, 0, 1, s[70:71]
	s_bcnt1_i32_b64 s13, s[6:7]
	;; [unrolled: 3-line block ×3, first 2 shown]
	v_cmp_ne_u32_e64 s[6:7], 0, v23
	s_bcnt1_i32_b64 s6, s[6:7]
	s_add_i32 s7, s66, s12
	s_add_i32 s7, s7, s13
	;; [unrolled: 1-line block ×4, first 2 shown]
	v_cmp_eq_u64_e64 s[6:7], 1, v[12:13]
	s_and_b64 s[12:13], vcc, s[6:7]
	v_cmp_eq_u64_e64 s[6:7], 1, v[3:4]
	v_cndmask_b32_e64 v23, 0, 1, s[12:13]
	s_and_b64 s[68:69], s[14:15], s[6:7]
	v_cmp_eq_u64_e64 s[6:7], 1, v[9:10]
	s_and_b64 s[70:71], s[16:17], s[6:7]
	v_cmp_eq_u64_e64 s[6:7], 1, v[7:8]
	s_and_b64 s[72:73], s[18:19], s[6:7]
	v_cmp_ne_u32_e64 s[6:7], 0, v23
	v_cndmask_b32_e64 v23, 0, 1, s[68:69]
	s_bcnt1_i32_b64 s12, s[6:7]
	v_cmp_ne_u32_e64 s[6:7], 0, v23
	v_cndmask_b32_e64 v23, 0, 1, s[70:71]
	s_bcnt1_i32_b64 s13, s[6:7]
	;; [unrolled: 3-line block ×3, first 2 shown]
	v_cmp_ne_u32_e64 s[6:7], 0, v23
	s_bcnt1_i32_b64 s6, s[6:7]
	s_add_i32 s7, s65, s12
	s_add_i32 s7, s7, s13
	;; [unrolled: 1-line block ×4, first 2 shown]
	v_cmp_eq_u64_e64 s[6:7], 2, v[12:13]
	s_and_b64 s[12:13], vcc, s[6:7]
	v_cmp_eq_u64_e64 s[6:7], 2, v[3:4]
	v_cndmask_b32_e64 v23, 0, 1, s[12:13]
	s_and_b64 s[68:69], s[14:15], s[6:7]
	v_cmp_eq_u64_e64 s[6:7], 2, v[9:10]
	s_and_b64 s[70:71], s[16:17], s[6:7]
	v_cmp_eq_u64_e64 s[6:7], 2, v[7:8]
	s_and_b64 s[72:73], s[18:19], s[6:7]
	v_cmp_ne_u32_e64 s[6:7], 0, v23
	v_cndmask_b32_e64 v23, 0, 1, s[68:69]
	s_bcnt1_i32_b64 s12, s[6:7]
	v_cmp_ne_u32_e64 s[6:7], 0, v23
	v_cndmask_b32_e64 v23, 0, 1, s[70:71]
	s_bcnt1_i32_b64 s13, s[6:7]
	;; [unrolled: 3-line block ×3, first 2 shown]
	v_cmp_ne_u32_e64 s[6:7], 0, v23
	s_bcnt1_i32_b64 s6, s[6:7]
	s_add_i32 s7, s64, s12
	s_add_i32 s7, s7, s13
	;; [unrolled: 1-line block ×4, first 2 shown]
	v_cmp_eq_u64_e64 s[6:7], 3, v[12:13]
	s_and_b64 s[6:7], vcc, s[6:7]
	v_cmp_eq_u64_e32 vcc, 3, v[3:4]
	v_cndmask_b32_e64 v3, 0, 1, s[6:7]
	s_and_b64 s[12:13], s[14:15], vcc
	v_cmp_eq_u64_e32 vcc, 3, v[9:10]
	v_mov_b32_e32 v9, s64
	s_and_b64 s[14:15], s[16:17], vcc
	v_cmp_eq_u64_e32 vcc, 3, v[7:8]
	v_mov_b32_e32 v7, s66
	s_and_b64 s[16:17], s[18:19], vcc
	v_cmp_ne_u32_e32 vcc, 0, v3
	v_cndmask_b32_e64 v3, 0, 1, s[12:13]
	s_bcnt1_i32_b64 s6, vcc
	v_cmp_ne_u32_e32 vcc, 0, v3
	v_cndmask_b32_e64 v3, 0, 1, s[14:15]
	s_bcnt1_i32_b64 s7, vcc
	v_cmp_ne_u32_e32 vcc, 0, v3
	v_cndmask_b32_e64 v3, 0, 1, s[16:17]
	s_add_i32 s6, s63, s6
	s_bcnt1_i32_b64 s12, vcc
	v_cmp_ne_u32_e32 vcc, 0, v3
	s_add_i32 s6, s6, s7
	s_bcnt1_i32_b64 s13, vcc
	s_add_i32 s6, s6, s12
	s_add_i32 s63, s6, s13
	v_cmp_le_u32_e32 vcc, s62, v22
	s_or_b64 s[60:61], vcc, s[60:61]
	v_mov_b32_e32 v8, s65
	v_mov_b32_e32 v10, s63
	s_andn2_b64 exec, exec, s[60:61]
	s_cbranch_execnz .LBB112_70
; %bb.71:                               ;   in Loop: Header=BB112_20 Depth=1
	s_or_b64 exec, exec, s[60:61]
.LBB112_72:                             ;   in Loop: Header=BB112_20 Depth=1
	s_or_b64 exec, exec, s[22:23]
	v_add_u32_e32 v1, s62, v0
	v_cmp_gt_u32_e32 vcc, s1, v1
	s_and_saveexec_b64 s[60:61], vcc
	s_cbranch_execz .LBB112_76
; %bb.73:                               ;   in Loop: Header=BB112_20 Depth=1
	v_lshlrev_b32_e32 v3, 3, v1
	s_mov_b64 s[62:63], 0
.LBB112_74:                             ;   Parent Loop BB112_20 Depth=1
                                        ; =>  This Inner Loop Header: Depth=2
	ds_read_b64 v[22:23], v3
	v_add_u32_e32 v1, s27, v1
	v_cmp_le_u32_e32 vcc, s1, v1
	v_add_u32_e32 v3, s45, v3
	s_waitcnt lgkmcnt(0)
	v_cmp_o_f64_e64 s[6:7], v[22:23], v[22:23]
	v_ashrrev_i32_e32 v4, 31, v23
	v_or_b32_e32 v12, 0x80000000, v4
	v_xor_b32_e32 v4, v4, v22
	v_xor_b32_e32 v12, v12, v23
	v_cndmask_b32_e64 v23, -1, v12, s[6:7]
	v_cndmask_b32_e64 v22, -1, v4, s[6:7]
	v_and_b32_e32 v25, v23, v21
	v_and_b32_e32 v24, v22, v20
	v_lshrrev_b64 v[22:23], s0, v[22:23]
	v_cmp_eq_u64_e64 s[6:7], v[24:25], v[18:19]
	v_and_b32_e32 v12, 3, v22
	v_cmp_eq_u64_e64 s[14:15], 0, v[12:13]
	v_cmp_eq_u64_e64 s[16:17], 1, v[12:13]
	;; [unrolled: 1-line block ×4, first 2 shown]
	s_and_b64 s[12:13], s[6:7], s[14:15]
	v_cndmask_b32_e64 v4, 0, 1, s[12:13]
	s_and_b64 s[12:13], s[6:7], s[16:17]
	v_cndmask_b32_e64 v12, 0, 1, s[12:13]
	s_and_b64 s[12:13], s[6:7], s[18:19]
	s_and_b64 s[6:7], s[6:7], s[22:23]
	v_cndmask_b32_e64 v22, 0, 1, s[12:13]
	v_cndmask_b32_e64 v23, 0, 1, s[6:7]
	v_cmp_ne_u32_e64 s[6:7], 0, v4
	v_cmp_ne_u32_e64 s[14:15], 0, v12
	;; [unrolled: 1-line block ×4, first 2 shown]
	s_bcnt1_i32_b64 s6, s[6:7]
	s_bcnt1_i32_b64 s7, s[14:15]
	;; [unrolled: 1-line block ×4, first 2 shown]
	v_add_u32_e32 v7, s6, v7
	v_add_u32_e32 v8, s7, v8
	;; [unrolled: 1-line block ×3, first 2 shown]
	s_or_b64 s[62:63], vcc, s[62:63]
	v_add_u32_e32 v10, s13, v10
	s_andn2_b64 exec, exec, s[62:63]
	s_cbranch_execnz .LBB112_74
; %bb.75:                               ;   in Loop: Header=BB112_20 Depth=1
	s_or_b64 exec, exec, s[62:63]
.LBB112_76:                             ;   in Loop: Header=BB112_20 Depth=1
	s_or_b64 exec, exec, s[60:61]
	s_lshl_b32 s1, s40, 6
	s_and_saveexec_b64 s[6:7], s[4:5]
	s_cbranch_execnz .LBB112_50
	s_branch .LBB112_51
.LBB112_77:                             ;   in Loop: Header=BB112_20 Depth=1
	v_mov_b32_e32 v1, 0
	s_mov_b32 s12, 0
.LBB112_78:                             ;   in Loop: Header=BB112_20 Depth=1
	v_readlane_b32 s14, v47, 10
	v_readlane_b32 s15, v47, 11
	s_andn2_b64 vcc, exec, s[14:15]
	s_cbranch_vccnz .LBB112_81
; %bb.79:                               ;   in Loop: Header=BB112_20 Depth=1
	s_lshl_b32 s13, s40, 8
	s_lshl_b32 s12, s12, 4
	s_add_i32 s13, s13, s12
	v_add_u32_e32 v3, s13, v41
	v_readlane_b32 s12, v47, 9
.LBB112_80:                             ;   Parent Loop BB112_20 Depth=1
                                        ; =>  This Inner Loop Header: Depth=2
	ds_read_b32 v4, v3
	s_add_i32 s12, s12, -1
	v_add_u32_e32 v3, 16, v3
	s_cmp_lg_u32 s12, 0
	s_waitcnt lgkmcnt(0)
	v_add_u32_e32 v1, v4, v1
	s_cbranch_scc1 .LBB112_80
.LBB112_81:                             ;   in Loop: Header=BB112_20 Depth=1
	v_add_lshl_u32 v3, s1, v27, 2
	ds_write_b32 v3, v1 offset:3072
.LBB112_82:                             ;   in Loop: Header=BB112_20 Depth=1
	s_or_b64 exec, exec, s[6:7]
	s_lshl_b32 s1, s1, 2
	v_mov_b32_e32 v1, s1
	s_waitcnt lgkmcnt(0)
	s_barrier
	ds_read_b128 v[7:10], v1 offset:3072
	s_lshl_b64 s[6:7], 3, s0
	s_not_b64 s[62:63], s[6:7]
	v_cmp_eq_u32_e32 vcc, 1, v42
	s_mov_b64 s[16:17], -1
	s_waitcnt lgkmcnt(0)
	v_readfirstlane_b32 s76, v7
	s_cmp_eq_u32 s76, 1
	s_cselect_b64 s[12:13], -1, 0
	v_readfirstlane_b32 s80, v8
	v_readfirstlane_b32 s88, v9
	;; [unrolled: 1-line block ×3, first 2 shown]
	s_and_b64 s[18:19], s[12:13], vcc
	s_mov_b64 s[64:65], -1
                                        ; implicit-def: $sgpr60_sgpr61
                                        ; implicit-def: $sgpr22_sgpr23
	s_and_saveexec_b64 s[14:15], s[18:19]
	s_cbranch_execz .LBB112_110
; %bb.83:                               ;   in Loop: Header=BB112_20 Depth=1
	ds_read_b32 v1, v13 offset:4104
	s_waitcnt lgkmcnt(0)
	s_barrier
	v_readfirstlane_b32 s12, v1
	s_and_saveexec_b64 s[22:23], s[20:21]
; %bb.84:                               ;   in Loop: Header=BB112_20 Depth=1
	v_mov_b32_e32 v12, v13
	ds_write_b64 v29, v[12:13]
; %bb.85:                               ;   in Loop: Header=BB112_20 Depth=1
	s_or_b64 exec, exec, s[22:23]
	v_and_b32_e32 v19, s63, v19
	v_and_b32_e32 v18, s62, v18
	v_or_b32_e32 v21, s7, v21
	v_or_b32_e32 v20, s6, v20
	s_mov_b64 s[22:23], -1
	s_mov_b64 s[60:61], 0
	s_cmp_eq_u32 s12, 0
	s_mov_b64 s[64:65], 0
	s_mov_b64 s[66:67], -1
	s_waitcnt lgkmcnt(0)
	s_barrier
                                        ; implicit-def: $vgpr5_vgpr6
	s_cbranch_scc1 .LBB112_97
; %bb.86:                               ;   in Loop: Header=BB112_20 Depth=1
	s_add_i32 s13, s12, s94
	s_mul_hi_u32 s64, s13, s41
	s_mul_i32 s64, s64, s27
	s_sub_i32 s64, s13, s64
	s_sub_i32 s65, s64, s27
	s_cmp_ge_u32 s64, s27
	s_cselect_b32 s64, s65, s64
	s_sub_i32 s65, s64, s27
	s_cmp_ge_u32 s64, s27
	s_cselect_b32 s64, s65, s64
	s_sub_i32 s13, s13, s64
	v_cmp_gt_u32_e32 vcc, s13, v0
	s_mov_b64 s[66:67], 0
	s_mov_b64 s[64:65], 0
                                        ; implicit-def: $vgpr5_vgpr6
	s_and_saveexec_b64 s[68:69], vcc
	s_cbranch_execz .LBB112_96
; %bb.87:                               ;   in Loop: Header=BB112_20 Depth=1
	v_mov_b32_e32 v7, v28
	v_mov_b32_e32 v8, v0
                                        ; implicit-def: $sgpr70_sgpr71
	s_branch .LBB112_91
.LBB112_88:                             ;   in Loop: Header=BB112_91 Depth=2
	s_or_b64 exec, exec, s[72:73]
	s_waitcnt lgkmcnt(0)
	s_barrier
	ds_read_b128 v[3:6], v13 offset:3072
	s_waitcnt lgkmcnt(0)
	s_barrier
	v_cmp_neq_f64_e32 vcc, 0, v[3:4]
	s_cbranch_vccnz .LBB112_94
; %bb.89:                               ;   in Loop: Header=BB112_91 Depth=2
	v_add_u32_e32 v8, s27, v8
	v_cmp_le_u32_e32 vcc, s13, v8
	v_add_u32_e32 v7, s45, v7
	s_mov_b64 s[72:73], 0
	s_orn2_b64 s[74:75], vcc, exec
.LBB112_90:                             ;   in Loop: Header=BB112_91 Depth=2
	s_and_b64 s[74:75], exec, s[74:75]
	s_or_b64 s[64:65], s[74:75], s[64:65]
	s_andn2_b64 s[70:71], s[70:71], exec
	s_and_b64 s[72:73], s[72:73], exec
	s_or_b64 s[70:71], s[70:71], s[72:73]
	s_andn2_b64 exec, exec, s[64:65]
	s_cbranch_execz .LBB112_95
.LBB112_91:                             ;   Parent Loop BB112_20 Depth=1
                                        ; =>  This Inner Loop Header: Depth=2
	v_cmp_gt_u32_e32 vcc, s12, v8
	s_and_saveexec_b64 s[72:73], vcc
	s_cbranch_execz .LBB112_88
; %bb.92:                               ;   in Loop: Header=BB112_91 Depth=2
	ds_read_b64 v[3:4], v7
	s_waitcnt lgkmcnt(0)
	v_cmp_o_f64_e32 vcc, v[3:4], v[3:4]
	v_ashrrev_i32_e32 v1, 31, v4
	v_or_b32_e32 v5, 0x80000000, v1
	v_xor_b32_e32 v5, v5, v4
	v_xor_b32_e32 v1, v1, v3
	v_cndmask_b32_e32 v5, -1, v5, vcc
	v_cndmask_b32_e32 v1, -1, v1, vcc
	v_and_b32_e32 v6, v5, v21
	v_and_b32_e32 v5, v1, v20
	v_cmp_eq_u64_e32 vcc, v[5:6], v[18:19]
	s_and_b64 exec, exec, vcc
	s_cbranch_execz .LBB112_88
; %bb.93:                               ;   in Loop: Header=BB112_91 Depth=2
	v_mov_b32_e32 v1, v13
	ds_write_b128 v13, v[1:4] offset:3072
	s_branch .LBB112_88
.LBB112_94:                             ;   in Loop: Header=BB112_91 Depth=2
	s_mov_b64 s[74:75], -1
                                        ; implicit-def: $vgpr8
                                        ; implicit-def: $vgpr7
	s_mov_b64 s[72:73], -1
	s_branch .LBB112_90
.LBB112_95:                             ;   in Loop: Header=BB112_20 Depth=1
	s_or_b64 exec, exec, s[64:65]
	s_and_b64 s[64:65], s[70:71], exec
.LBB112_96:                             ;   in Loop: Header=BB112_20 Depth=1
	s_or_b64 exec, exec, s[68:69]
.LBB112_97:                             ;   in Loop: Header=BB112_20 Depth=1
	s_and_b64 vcc, exec, s[66:67]
	s_cbranch_vccz .LBB112_109
; %bb.98:                               ;   in Loop: Header=BB112_20 Depth=1
                                        ; implicit-def: $vgpr5_vgpr6
	s_mov_b64 s[22:23], exec
	v_readlane_b32 s12, v47, 12
	v_readlane_b32 s13, v47, 13
	s_and_b64 s[12:13], s[22:23], s[12:13]
	s_mov_b64 exec, s[12:13]
	s_cbranch_execz .LBB112_108
; %bb.99:                               ;   in Loop: Header=BB112_20 Depth=1
	s_mov_b64 s[66:67], 0
	v_mov_b32_e32 v12, v11
	v_mov_b32_e32 v7, v0
                                        ; implicit-def: $sgpr60_sgpr61
	s_branch .LBB112_103
.LBB112_100:                            ;   in Loop: Header=BB112_103 Depth=2
	s_or_b64 exec, exec, s[68:69]
	s_waitcnt lgkmcnt(0)
	s_barrier
	ds_read_b128 v[3:6], v13 offset:3072
	s_waitcnt lgkmcnt(0)
	s_barrier
	v_cmp_neq_f64_e32 vcc, 0, v[3:4]
	s_cbranch_vccnz .LBB112_106
; %bb.101:                              ;   in Loop: Header=BB112_103 Depth=2
	v_add_u32_e32 v7, s27, v7
	v_cmp_le_u32_e32 vcc, s42, v7
	v_add_u32_e32 v12, s28, v12
	s_mov_b64 s[68:69], 0
	s_orn2_b64 s[70:71], vcc, exec
.LBB112_102:                            ;   in Loop: Header=BB112_103 Depth=2
	s_and_b64 s[12:13], exec, s[70:71]
	s_or_b64 s[66:67], s[12:13], s[66:67]
	s_andn2_b64 s[12:13], s[60:61], exec
	s_and_b64 s[60:61], s[68:69], exec
	s_or_b64 s[60:61], s[12:13], s[60:61]
	s_andn2_b64 exec, exec, s[66:67]
	s_cbranch_execz .LBB112_107
.LBB112_103:                            ;   Parent Loop BB112_20 Depth=1
                                        ; =>  This Inner Loop Header: Depth=2
	v_cmp_gt_u32_e32 vcc, s24, v7
	s_and_saveexec_b64 s[68:69], vcc
	s_cbranch_execz .LBB112_100
; %bb.104:                              ;   in Loop: Header=BB112_103 Depth=2
	v_lshlrev_b64 v[3:4], 3, v[12:13]
	v_mov_b32_e32 v1, s95
	v_add_co_u32_e32 v3, vcc, s25, v3
	v_addc_co_u32_e32 v4, vcc, v1, v4, vcc
	global_load_dwordx2 v[3:4], v[3:4], off
	s_waitcnt vmcnt(0)
	v_cmp_o_f64_e32 vcc, v[3:4], v[3:4]
	v_ashrrev_i32_e32 v1, 31, v4
	v_or_b32_e32 v5, 0x80000000, v1
	v_xor_b32_e32 v5, v5, v4
	v_xor_b32_e32 v1, v1, v3
	v_cndmask_b32_e32 v5, -1, v5, vcc
	v_cndmask_b32_e32 v1, -1, v1, vcc
	v_and_b32_e32 v6, v5, v21
	v_and_b32_e32 v5, v1, v20
	v_cmp_eq_u64_e32 vcc, v[5:6], v[18:19]
	s_and_b64 exec, exec, vcc
	s_cbranch_execz .LBB112_100
; %bb.105:                              ;   in Loop: Header=BB112_103 Depth=2
	v_mov_b32_e32 v1, v13
	ds_write_b128 v13, v[1:4] offset:3072
	s_branch .LBB112_100
.LBB112_106:                            ;   in Loop: Header=BB112_103 Depth=2
	s_mov_b64 s[70:71], -1
                                        ; implicit-def: $vgpr7
	s_mov_b64 s[68:69], -1
	s_branch .LBB112_102
.LBB112_107:                            ;   in Loop: Header=BB112_20 Depth=1
	s_or_b64 exec, exec, s[66:67]
	s_andn2_b64 s[12:13], s[64:65], exec
	s_and_b64 s[60:61], s[60:61], exec
	s_or_b64 s[64:65], s[12:13], s[60:61]
.LBB112_108:                            ;   in Loop: Header=BB112_20 Depth=1
	s_or_b64 exec, exec, s[22:23]
	s_mov_b64 s[22:23], 0
	s_mov_b64 s[60:61], -1
.LBB112_109:                            ;   in Loop: Header=BB112_20 Depth=1
	s_orn2_b64 s[64:65], s[64:65], exec
.LBB112_110:                            ;   in Loop: Header=BB112_20 Depth=1
	s_or_b64 exec, exec, s[14:15]
	s_andn2_b64 s[14:15], s[58:59], exec
	s_and_b64 s[58:59], s[60:61], exec
	s_or_b64 s[58:59], s[14:15], s[58:59]
	s_andn2_b64 s[14:15], s[56:57], exec
	s_and_b64 s[22:23], s[22:23], exec
	v_readfirstlane_b32 s12, v0
	v_readfirstlane_b32 s13, v0
	s_andn2_b64 s[54:55], s[54:55], exec
	s_or_b64 s[56:57], s[14:15], s[22:23]
                                        ; implicit-def: $vgpr8
	s_and_saveexec_b64 s[14:15], s[64:65]
	s_cbranch_execz .LBB112_19
; %bb.111:                              ;   in Loop: Header=BB112_20 Depth=1
	s_xor_b64 s[12:13], s[18:19], -1
	s_mov_b64 s[18:19], 0
	v_mov_b32_e32 v8, 1
	v_mov_b32_e32 v7, 1
	s_and_saveexec_b64 s[16:17], s[12:13]
	s_cbranch_execz .LBB112_120
; %bb.112:                              ;   in Loop: Header=BB112_20 Depth=1
	v_cmp_ge_u32_e32 vcc, s76, v42
	s_and_saveexec_b64 s[12:13], vcc
	s_xor_b64 s[18:19], exec, s[12:13]
	s_cbranch_execz .LBB112_117
; %bb.113:                              ;   in Loop: Header=BB112_20 Depth=1
	ds_read_b32 v1, v13 offset:4104
	v_and_b32_e32 v19, s63, v19
	v_and_b32_e32 v18, s62, v18
	v_or_b32_e32 v21, s7, v21
	v_or_b32_e32 v20, s6, v20
	s_waitcnt lgkmcnt(0)
	v_cmp_ne_u32_e32 vcc, 0, v1
	s_cbranch_vccnz .LBB112_117
; %bb.114:                              ;   in Loop: Header=BB112_20 Depth=1
	s_and_saveexec_b64 s[22:23], s[2:3]
; %bb.115:                              ;   in Loop: Header=BB112_20 Depth=1
	v_mov_b32_e32 v1, s76
	ds_write_b32 v13, v1 offset:4108
; %bb.116:                              ;   in Loop: Header=BB112_20 Depth=1
	s_or_b64 exec, exec, s[22:23]
	s_waitcnt lgkmcnt(0)
	s_barrier
.LBB112_117:                            ;   in Loop: Header=BB112_20 Depth=1
	s_or_saveexec_b64 s[18:19], s[18:19]
	s_mov_b64 s[22:23], 0
	v_mov_b32_e32 v7, 8
	s_xor_b64 exec, exec, s[18:19]
; %bb.118:                              ;   in Loop: Header=BB112_20 Depth=1
	s_mov_b64 s[22:23], exec
	v_subrev_u32_e32 v42, s76, v42
	v_mov_b32_e32 v7, 0
; %bb.119:                              ;   in Loop: Header=BB112_20 Depth=1
	s_or_b64 exec, exec, s[18:19]
	s_and_b64 s[18:19], s[22:23], exec
	v_mov_b32_e32 v8, v42
.LBB112_120:                            ;   in Loop: Header=BB112_20 Depth=1
	s_or_b64 exec, exec, s[16:17]
	s_mov_b64 s[16:17], -1
	s_mov_b64 s[64:65], -1
                                        ; implicit-def: $sgpr22_sgpr23
                                        ; implicit-def: $sgpr60_sgpr61
	s_and_saveexec_b64 s[12:13], s[18:19]
	s_xor_b64 s[18:19], exec, s[12:13]
	s_cbranch_execz .LBB112_246
; %bb.121:                              ;   in Loop: Header=BB112_20 Depth=1
	s_cmp_eq_u32 s80, 1
	s_cselect_b64 s[12:13], -1, 0
	v_cmp_eq_u32_e32 vcc, 1, v8
	s_and_b64 s[66:67], s[12:13], vcc
	s_mov_b64 s[68:69], -1
                                        ; implicit-def: $sgpr60_sgpr61
                                        ; implicit-def: $sgpr22_sgpr23
	s_and_saveexec_b64 s[64:65], s[66:67]
	s_cbranch_execz .LBB112_152
; %bb.122:                              ;   in Loop: Header=BB112_20 Depth=1
	ds_read_b32 v1, v13 offset:4104
	s_waitcnt lgkmcnt(0)
	s_barrier
	v_readfirstlane_b32 s12, v1
	s_and_saveexec_b64 s[22:23], s[20:21]
; %bb.123:                              ;   in Loop: Header=BB112_20 Depth=1
	v_mov_b32_e32 v12, v13
	ds_write_b64 v29, v[12:13]
; %bb.124:                              ;   in Loop: Header=BB112_20 Depth=1
	s_or_b64 exec, exec, s[22:23]
	s_lshl_b64 s[22:23], 1, s0
	v_and_b32_e32 v1, s63, v19
	v_and_b32_e32 v3, s62, v18
	v_or_b32_e32 v19, s23, v1
	v_or_b32_e32 v18, s22, v3
	;; [unrolled: 1-line block ×4, first 2 shown]
	s_mov_b64 s[22:23], -1
	s_mov_b64 s[60:61], 0
	s_cmp_eq_u32 s12, 0
	s_mov_b64 s[68:69], 0
	s_mov_b64 s[70:71], -1
	s_waitcnt lgkmcnt(0)
	s_barrier
                                        ; implicit-def: $vgpr5_vgpr6
	s_cbranch_scc1 .LBB112_139
; %bb.125:                              ;   in Loop: Header=BB112_20 Depth=1
	s_add_i32 s13, s12, s94
	s_mul_hi_u32 s68, s13, s41
	s_mul_i32 s68, s68, s27
	s_sub_i32 s68, s13, s68
	s_sub_i32 s69, s68, s27
	s_cmp_ge_u32 s68, s27
	s_cselect_b32 s68, s69, s68
	s_sub_i32 s69, s68, s27
	s_cmp_ge_u32 s68, s27
	s_cselect_b32 s68, s69, s68
	s_sub_i32 s13, s13, s68
	v_cmp_gt_u32_e32 vcc, s13, v0
	s_mov_b64 s[70:71], 0
	s_mov_b64 s[68:69], 0
                                        ; implicit-def: $vgpr5_vgpr6
	s_and_saveexec_b64 s[72:73], vcc
	s_cbranch_execz .LBB112_138
; %bb.126:                              ;   in Loop: Header=BB112_20 Depth=1
	v_mov_b32_e32 v9, v28
	v_mov_b32_e32 v10, v0
                                        ; implicit-def: $sgpr74_sgpr75
	s_branch .LBB112_130
.LBB112_127:                            ;   in Loop: Header=BB112_130 Depth=2
	s_or_b64 exec, exec, s[76:77]
	s_waitcnt lgkmcnt(0)
	s_barrier
	ds_read_b128 v[3:6], v13 offset:3072
	s_waitcnt lgkmcnt(0)
	s_barrier
	v_cmp_neq_f64_e32 vcc, 0, v[3:4]
	s_cbranch_vccnz .LBB112_133
; %bb.128:                              ;   in Loop: Header=BB112_130 Depth=2
	v_add_u32_e32 v10, s27, v10
	v_cmp_le_u32_e32 vcc, s13, v10
	v_add_u32_e32 v9, s45, v9
	s_mov_b64 s[76:77], 0
	s_orn2_b64 s[78:79], vcc, exec
.LBB112_129:                            ;   in Loop: Header=BB112_130 Depth=2
	s_and_b64 s[78:79], exec, s[78:79]
	s_or_b64 s[68:69], s[78:79], s[68:69]
	s_andn2_b64 s[74:75], s[74:75], exec
	s_and_b64 s[76:77], s[76:77], exec
	s_or_b64 s[74:75], s[74:75], s[76:77]
	s_andn2_b64 exec, exec, s[68:69]
	s_cbranch_execz .LBB112_137
.LBB112_130:                            ;   Parent Loop BB112_20 Depth=1
                                        ; =>  This Inner Loop Header: Depth=2
	v_cmp_gt_u32_e32 vcc, s12, v10
	s_and_saveexec_b64 s[76:77], vcc
	s_cbranch_execz .LBB112_127
; %bb.131:                              ;   in Loop: Header=BB112_130 Depth=2
	ds_read_b64 v[3:4], v9
	s_waitcnt lgkmcnt(0)
	v_cmp_o_f64_e32 vcc, v[3:4], v[3:4]
	v_ashrrev_i32_e32 v1, 31, v4
	v_or_b32_e32 v5, 0x80000000, v1
	v_xor_b32_e32 v5, v5, v4
	v_xor_b32_e32 v1, v1, v3
	v_cndmask_b32_e32 v5, -1, v5, vcc
	v_cndmask_b32_e32 v1, -1, v1, vcc
	v_and_b32_e32 v6, v5, v21
	v_and_b32_e32 v5, v1, v20
	v_cmp_eq_u64_e32 vcc, v[5:6], v[18:19]
	s_and_b64 exec, exec, vcc
	s_cbranch_execz .LBB112_127
; %bb.132:                              ;   in Loop: Header=BB112_130 Depth=2
	v_mov_b32_e32 v1, v13
	ds_write_b128 v13, v[1:4] offset:3072
	s_branch .LBB112_127
.LBB112_133:                            ;   in Loop: Header=BB112_130 Depth=2
	s_mov_b64 s[78:79], -1
                                        ; implicit-def: $vgpr10
                                        ; implicit-def: $vgpr9
	s_mov_b64 s[76:77], -1
	s_branch .LBB112_129
.LBB112_134:                            ;   in Loop: Header=BB112_20 Depth=1
	s_or_b64 exec, exec, s[18:19]
	s_waitcnt lgkmcnt(0)
	s_barrier
	s_and_saveexec_b64 s[6:7], s[2:3]
	s_cbranch_execz .LBB112_136
; %bb.135:                              ;   in Loop: Header=BB112_20 Depth=1
	ds_read_b32 v1, v13 offset:4112
	s_waitcnt lgkmcnt(0)
	ds_write_b32 v13, v1 offset:4104
.LBB112_136:                            ;   in Loop: Header=BB112_20 Depth=1
	s_or_b64 exec, exec, s[6:7]
	s_waitcnt lgkmcnt(0)
	s_barrier
	s_mov_b64 s[6:7], -1
	s_and_b64 vcc, exec, s[16:17]
	s_cbranch_vccnz .LBB112_36
	s_branch .LBB112_45
.LBB112_137:                            ;   in Loop: Header=BB112_20 Depth=1
	s_or_b64 exec, exec, s[68:69]
	s_and_b64 s[68:69], s[74:75], exec
.LBB112_138:                            ;   in Loop: Header=BB112_20 Depth=1
	s_or_b64 exec, exec, s[72:73]
.LBB112_139:                            ;   in Loop: Header=BB112_20 Depth=1
	s_and_b64 vcc, exec, s[70:71]
	s_cbranch_vccz .LBB112_151
; %bb.140:                              ;   in Loop: Header=BB112_20 Depth=1
                                        ; implicit-def: $vgpr5_vgpr6
	s_mov_b64 s[22:23], exec
	v_readlane_b32 s12, v47, 12
	v_readlane_b32 s13, v47, 13
	s_and_b64 s[12:13], s[22:23], s[12:13]
	s_mov_b64 exec, s[12:13]
	s_cbranch_execz .LBB112_150
; %bb.141:                              ;   in Loop: Header=BB112_20 Depth=1
	s_mov_b64 s[60:61], 0
	v_mov_b32_e32 v12, v11
	v_mov_b32_e32 v9, v0
                                        ; implicit-def: $sgpr70_sgpr71
	s_branch .LBB112_145
.LBB112_142:                            ;   in Loop: Header=BB112_145 Depth=2
	s_or_b64 exec, exec, s[72:73]
	s_waitcnt lgkmcnt(0)
	s_barrier
	ds_read_b128 v[3:6], v13 offset:3072
	s_waitcnt lgkmcnt(0)
	s_barrier
	v_cmp_eq_f64_e32 vcc, 0, v[3:4]
	s_cbranch_vccz .LBB112_148
; %bb.143:                              ;   in Loop: Header=BB112_145 Depth=2
	v_add_u32_e32 v9, s27, v9
	v_cmp_le_u32_e32 vcc, s42, v9
	v_add_u32_e32 v12, s28, v12
	s_mov_b64 s[72:73], 0
	s_orn2_b64 s[74:75], vcc, exec
.LBB112_144:                            ;   in Loop: Header=BB112_145 Depth=2
	s_and_b64 s[12:13], exec, s[74:75]
	s_or_b64 s[60:61], s[12:13], s[60:61]
	s_andn2_b64 s[12:13], s[70:71], exec
	s_and_b64 s[70:71], s[72:73], exec
	s_or_b64 s[70:71], s[12:13], s[70:71]
	s_andn2_b64 exec, exec, s[60:61]
	s_cbranch_execz .LBB112_149
.LBB112_145:                            ;   Parent Loop BB112_20 Depth=1
                                        ; =>  This Inner Loop Header: Depth=2
	v_cmp_gt_u32_e32 vcc, s24, v9
	s_and_saveexec_b64 s[72:73], vcc
	s_cbranch_execz .LBB112_142
; %bb.146:                              ;   in Loop: Header=BB112_145 Depth=2
	v_lshlrev_b64 v[3:4], 3, v[12:13]
	v_mov_b32_e32 v1, s95
	v_add_co_u32_e32 v3, vcc, s25, v3
	v_addc_co_u32_e32 v4, vcc, v1, v4, vcc
	global_load_dwordx2 v[3:4], v[3:4], off
	s_waitcnt vmcnt(0)
	v_cmp_o_f64_e32 vcc, v[3:4], v[3:4]
	v_ashrrev_i32_e32 v1, 31, v4
	v_or_b32_e32 v5, 0x80000000, v1
	v_xor_b32_e32 v5, v5, v4
	v_xor_b32_e32 v1, v1, v3
	v_cndmask_b32_e32 v5, -1, v5, vcc
	v_cndmask_b32_e32 v1, -1, v1, vcc
	v_and_b32_e32 v6, v5, v21
	v_and_b32_e32 v5, v1, v20
	v_cmp_eq_u64_e32 vcc, v[5:6], v[18:19]
	s_and_b64 exec, exec, vcc
	s_cbranch_execz .LBB112_142
; %bb.147:                              ;   in Loop: Header=BB112_145 Depth=2
	v_mov_b32_e32 v1, v13
	ds_write_b128 v13, v[1:4] offset:3072
	s_branch .LBB112_142
.LBB112_148:                            ;   in Loop: Header=BB112_145 Depth=2
	s_mov_b64 s[74:75], -1
                                        ; implicit-def: $vgpr9
	s_mov_b64 s[72:73], -1
	s_branch .LBB112_144
.LBB112_149:                            ;   in Loop: Header=BB112_20 Depth=1
	s_or_b64 exec, exec, s[60:61]
	s_andn2_b64 s[12:13], s[68:69], exec
	s_and_b64 s[60:61], s[70:71], exec
	s_or_b64 s[68:69], s[12:13], s[60:61]
.LBB112_150:                            ;   in Loop: Header=BB112_20 Depth=1
	s_or_b64 exec, exec, s[22:23]
	s_mov_b64 s[22:23], 0
	s_mov_b64 s[60:61], -1
.LBB112_151:                            ;   in Loop: Header=BB112_20 Depth=1
	s_orn2_b64 s[68:69], s[68:69], exec
.LBB112_152:                            ;   in Loop: Header=BB112_20 Depth=1
	s_or_b64 exec, exec, s[64:65]
	s_mov_b64 s[70:71], 0
	s_and_saveexec_b64 s[64:65], s[68:69]
	s_cbranch_execz .LBB112_245
; %bb.153:                              ;   in Loop: Header=BB112_20 Depth=1
	s_xor_b64 s[12:13], s[66:67], -1
	s_mov_b64 s[74:75], 0
	v_mov_b32_e32 v9, 1
	v_mov_b32_e32 v7, 1
	s_and_saveexec_b64 s[66:67], s[12:13]
	s_cbranch_execz .LBB112_162
; %bb.154:                              ;   in Loop: Header=BB112_20 Depth=1
	v_cmp_ge_u32_e32 vcc, s80, v8
	s_and_saveexec_b64 s[12:13], vcc
	s_xor_b64 s[68:69], exec, s[12:13]
	s_cbranch_execz .LBB112_159
; %bb.155:                              ;   in Loop: Header=BB112_20 Depth=1
	ds_read_b32 v3, v13 offset:4104
	s_lshl_b64 s[12:13], 1, s0
	v_and_b32_e32 v1, s63, v19
	v_and_b32_e32 v4, s62, v18
	v_or_b32_e32 v19, s13, v1
	s_waitcnt lgkmcnt(0)
	v_cmp_ne_u32_e32 vcc, 0, v3
	v_or_b32_e32 v18, s12, v4
	v_or_b32_e32 v21, s7, v21
	;; [unrolled: 1-line block ×3, first 2 shown]
	s_cbranch_vccnz .LBB112_159
; %bb.156:                              ;   in Loop: Header=BB112_20 Depth=1
	s_and_saveexec_b64 s[70:71], s[2:3]
; %bb.157:                              ;   in Loop: Header=BB112_20 Depth=1
	v_mov_b32_e32 v1, s80
	ds_write_b32 v13, v1 offset:4108
; %bb.158:                              ;   in Loop: Header=BB112_20 Depth=1
	s_or_b64 exec, exec, s[70:71]
	s_waitcnt lgkmcnt(0)
	s_barrier
.LBB112_159:                            ;   in Loop: Header=BB112_20 Depth=1
	s_or_saveexec_b64 s[68:69], s[68:69]
	s_mov_b64 s[70:71], 0
	v_mov_b32_e32 v7, 8
	s_xor_b64 exec, exec, s[68:69]
; %bb.160:                              ;   in Loop: Header=BB112_20 Depth=1
	s_mov_b64 s[70:71], exec
	v_subrev_u32_e32 v8, s80, v8
	v_mov_b32_e32 v7, 0
; %bb.161:                              ;   in Loop: Header=BB112_20 Depth=1
	s_or_b64 exec, exec, s[68:69]
	s_and_b64 s[74:75], s[70:71], exec
	v_mov_b32_e32 v9, v8
.LBB112_162:                            ;   in Loop: Header=BB112_20 Depth=1
	s_or_b64 exec, exec, s[66:67]
	s_mov_b64 s[72:73], -1
                                        ; implicit-def: $sgpr68_sgpr69
                                        ; implicit-def: $sgpr70_sgpr71
	s_and_saveexec_b64 s[66:67], s[74:75]
	s_cbranch_execz .LBB112_244
; %bb.163:                              ;   in Loop: Header=BB112_20 Depth=1
	s_cmp_eq_u32 s88, 1
	s_cselect_b64 s[12:13], -1, 0
	v_cmp_eq_u32_e32 vcc, 1, v9
	s_and_b64 s[74:75], s[12:13], vcc
	s_mov_b64 s[76:77], -1
                                        ; implicit-def: $sgpr70_sgpr71
                                        ; implicit-def: $sgpr68_sgpr69
	s_and_saveexec_b64 s[72:73], s[74:75]
	s_cbranch_execz .LBB112_191
; %bb.164:                              ;   in Loop: Header=BB112_20 Depth=1
	ds_read_b32 v1, v13 offset:4104
	s_waitcnt lgkmcnt(0)
	s_barrier
	v_readfirstlane_b32 s89, v1
	s_and_saveexec_b64 s[68:69], s[20:21]
; %bb.165:                              ;   in Loop: Header=BB112_20 Depth=1
	v_mov_b32_e32 v12, v13
	ds_write_b64 v29, v[12:13]
; %bb.166:                              ;   in Loop: Header=BB112_20 Depth=1
	s_or_b64 exec, exec, s[68:69]
	s_lshl_b64 s[12:13], 2, s0
	v_and_b32_e32 v1, s63, v19
	v_and_b32_e32 v3, s62, v18
	v_or_b32_e32 v19, s13, v1
	v_or_b32_e32 v18, s12, v3
	;; [unrolled: 1-line block ×4, first 2 shown]
	s_mov_b64 s[68:69], -1
	s_mov_b64 s[70:71], 0
	s_cmp_eq_u32 s89, 0
	s_mov_b64 s[76:77], 0
	s_mov_b64 s[78:79], -1
	s_waitcnt lgkmcnt(0)
	s_barrier
                                        ; implicit-def: $vgpr5_vgpr6
	s_cbranch_scc1 .LBB112_178
; %bb.167:                              ;   in Loop: Header=BB112_20 Depth=1
	s_add_i32 s12, s89, s94
	s_mul_hi_u32 s13, s12, s41
	s_mul_i32 s13, s13, s27
	s_sub_i32 s13, s12, s13
	s_sub_i32 s76, s13, s27
	s_cmp_ge_u32 s13, s27
	s_cselect_b32 s13, s76, s13
	s_sub_i32 s76, s13, s27
	s_cmp_ge_u32 s13, s27
	s_cselect_b32 s13, s76, s13
	s_sub_i32 s12, s12, s13
	v_cmp_gt_u32_e32 vcc, s12, v0
	s_mov_b64 s[78:79], 0
	s_mov_b64 s[76:77], 0
                                        ; implicit-def: $vgpr5_vgpr6
	s_and_saveexec_b64 s[80:81], vcc
	s_cbranch_execz .LBB112_177
; %bb.168:                              ;   in Loop: Header=BB112_20 Depth=1
	v_mov_b32_e32 v8, v28
	v_mov_b32_e32 v10, v0
                                        ; implicit-def: $sgpr82_sgpr83
	s_branch .LBB112_172
.LBB112_169:                            ;   in Loop: Header=BB112_172 Depth=2
	s_or_b64 exec, exec, s[84:85]
	s_waitcnt lgkmcnt(0)
	s_barrier
	ds_read_b128 v[3:6], v13 offset:3072
	s_waitcnt lgkmcnt(0)
	s_barrier
	v_cmp_neq_f64_e32 vcc, 0, v[3:4]
	s_cbranch_vccnz .LBB112_175
; %bb.170:                              ;   in Loop: Header=BB112_172 Depth=2
	v_add_u32_e32 v10, s27, v10
	v_cmp_le_u32_e32 vcc, s12, v10
	v_add_u32_e32 v8, s45, v8
	s_mov_b64 s[84:85], 0
	s_orn2_b64 s[86:87], vcc, exec
.LBB112_171:                            ;   in Loop: Header=BB112_172 Depth=2
	s_and_b64 s[86:87], exec, s[86:87]
	s_or_b64 s[76:77], s[86:87], s[76:77]
	s_andn2_b64 s[82:83], s[82:83], exec
	s_and_b64 s[84:85], s[84:85], exec
	s_or_b64 s[82:83], s[82:83], s[84:85]
	s_andn2_b64 exec, exec, s[76:77]
	s_cbranch_execz .LBB112_176
.LBB112_172:                            ;   Parent Loop BB112_20 Depth=1
                                        ; =>  This Inner Loop Header: Depth=2
	v_cmp_gt_u32_e32 vcc, s89, v10
	s_and_saveexec_b64 s[84:85], vcc
	s_cbranch_execz .LBB112_169
; %bb.173:                              ;   in Loop: Header=BB112_172 Depth=2
	ds_read_b64 v[3:4], v8
	s_waitcnt lgkmcnt(0)
	v_cmp_o_f64_e32 vcc, v[3:4], v[3:4]
	v_ashrrev_i32_e32 v1, 31, v4
	v_or_b32_e32 v5, 0x80000000, v1
	v_xor_b32_e32 v5, v5, v4
	v_xor_b32_e32 v1, v1, v3
	v_cndmask_b32_e32 v5, -1, v5, vcc
	v_cndmask_b32_e32 v1, -1, v1, vcc
	v_and_b32_e32 v6, v5, v21
	v_and_b32_e32 v5, v1, v20
	v_cmp_eq_u64_e32 vcc, v[5:6], v[18:19]
	s_and_b64 exec, exec, vcc
	s_cbranch_execz .LBB112_169
; %bb.174:                              ;   in Loop: Header=BB112_172 Depth=2
	v_mov_b32_e32 v1, v13
	ds_write_b128 v13, v[1:4] offset:3072
	s_branch .LBB112_169
.LBB112_175:                            ;   in Loop: Header=BB112_172 Depth=2
	s_mov_b64 s[86:87], -1
                                        ; implicit-def: $vgpr10
                                        ; implicit-def: $vgpr8
	s_mov_b64 s[84:85], -1
	s_branch .LBB112_171
.LBB112_176:                            ;   in Loop: Header=BB112_20 Depth=1
	s_or_b64 exec, exec, s[76:77]
	s_and_b64 s[76:77], s[82:83], exec
.LBB112_177:                            ;   in Loop: Header=BB112_20 Depth=1
	s_or_b64 exec, exec, s[80:81]
.LBB112_178:                            ;   in Loop: Header=BB112_20 Depth=1
	s_and_b64 vcc, exec, s[78:79]
	s_cbranch_vccz .LBB112_190
; %bb.179:                              ;   in Loop: Header=BB112_20 Depth=1
                                        ; implicit-def: $vgpr5_vgpr6
	s_mov_b64 s[68:69], exec
	v_readlane_b32 s12, v47, 12
	v_readlane_b32 s13, v47, 13
	s_and_b64 s[12:13], s[68:69], s[12:13]
	s_mov_b64 exec, s[12:13]
	s_cbranch_execz .LBB112_189
; %bb.180:                              ;   in Loop: Header=BB112_20 Depth=1
	s_mov_b64 s[70:71], 0
	v_mov_b32_e32 v12, v11
	v_mov_b32_e32 v8, v0
                                        ; implicit-def: $sgpr78_sgpr79
	s_branch .LBB112_184
.LBB112_181:                            ;   in Loop: Header=BB112_184 Depth=2
	s_or_b64 exec, exec, s[80:81]
	s_waitcnt lgkmcnt(0)
	s_barrier
	ds_read_b128 v[3:6], v13 offset:3072
	s_waitcnt lgkmcnt(0)
	s_barrier
	v_cmp_eq_f64_e32 vcc, 0, v[3:4]
	s_cbranch_vccz .LBB112_187
; %bb.182:                              ;   in Loop: Header=BB112_184 Depth=2
	v_add_u32_e32 v8, s27, v8
	v_cmp_le_u32_e32 vcc, s42, v8
	v_add_u32_e32 v12, s28, v12
	s_mov_b64 s[80:81], 0
	s_orn2_b64 s[82:83], vcc, exec
.LBB112_183:                            ;   in Loop: Header=BB112_184 Depth=2
	s_and_b64 s[12:13], exec, s[82:83]
	s_or_b64 s[70:71], s[12:13], s[70:71]
	s_andn2_b64 s[12:13], s[78:79], exec
	s_and_b64 s[78:79], s[80:81], exec
	s_or_b64 s[78:79], s[12:13], s[78:79]
	s_andn2_b64 exec, exec, s[70:71]
	s_cbranch_execz .LBB112_188
.LBB112_184:                            ;   Parent Loop BB112_20 Depth=1
                                        ; =>  This Inner Loop Header: Depth=2
	v_cmp_gt_u32_e32 vcc, s24, v8
	s_and_saveexec_b64 s[80:81], vcc
	s_cbranch_execz .LBB112_181
; %bb.185:                              ;   in Loop: Header=BB112_184 Depth=2
	v_lshlrev_b64 v[3:4], 3, v[12:13]
	v_mov_b32_e32 v1, s95
	v_add_co_u32_e32 v3, vcc, s25, v3
	v_addc_co_u32_e32 v4, vcc, v1, v4, vcc
	global_load_dwordx2 v[3:4], v[3:4], off
	s_waitcnt vmcnt(0)
	v_cmp_o_f64_e32 vcc, v[3:4], v[3:4]
	v_ashrrev_i32_e32 v1, 31, v4
	v_or_b32_e32 v5, 0x80000000, v1
	v_xor_b32_e32 v5, v5, v4
	v_xor_b32_e32 v1, v1, v3
	v_cndmask_b32_e32 v5, -1, v5, vcc
	v_cndmask_b32_e32 v1, -1, v1, vcc
	v_and_b32_e32 v6, v5, v21
	v_and_b32_e32 v5, v1, v20
	v_cmp_eq_u64_e32 vcc, v[5:6], v[18:19]
	s_and_b64 exec, exec, vcc
	s_cbranch_execz .LBB112_181
; %bb.186:                              ;   in Loop: Header=BB112_184 Depth=2
	v_mov_b32_e32 v1, v13
	ds_write_b128 v13, v[1:4] offset:3072
	s_branch .LBB112_181
.LBB112_187:                            ;   in Loop: Header=BB112_184 Depth=2
	s_mov_b64 s[82:83], -1
                                        ; implicit-def: $vgpr8
	s_mov_b64 s[80:81], -1
	s_branch .LBB112_183
.LBB112_188:                            ;   in Loop: Header=BB112_20 Depth=1
	s_or_b64 exec, exec, s[70:71]
	s_andn2_b64 s[12:13], s[76:77], exec
	s_and_b64 s[70:71], s[78:79], exec
	s_or_b64 s[76:77], s[12:13], s[70:71]
.LBB112_189:                            ;   in Loop: Header=BB112_20 Depth=1
	s_or_b64 exec, exec, s[68:69]
	s_mov_b64 s[68:69], 0
	s_mov_b64 s[70:71], -1
.LBB112_190:                            ;   in Loop: Header=BB112_20 Depth=1
	s_orn2_b64 s[76:77], s[76:77], exec
.LBB112_191:                            ;   in Loop: Header=BB112_20 Depth=1
	s_or_b64 exec, exec, s[72:73]
	s_mov_b64 s[78:79], 0
	s_and_saveexec_b64 s[72:73], s[76:77]
	s_cbranch_execz .LBB112_243
; %bb.192:                              ;   in Loop: Header=BB112_20 Depth=1
	s_xor_b64 s[12:13], s[74:75], -1
	s_mov_b64 s[80:81], 0
	v_mov_b32_e32 v8, 1
	v_mov_b32_e32 v7, 1
	s_and_saveexec_b64 s[74:75], s[12:13]
	s_cbranch_execz .LBB112_201
; %bb.193:                              ;   in Loop: Header=BB112_20 Depth=1
	v_cmp_ge_u32_e32 vcc, s88, v9
	s_and_saveexec_b64 s[12:13], vcc
	s_xor_b64 s[76:77], exec, s[12:13]
	s_cbranch_execz .LBB112_198
; %bb.194:                              ;   in Loop: Header=BB112_20 Depth=1
	ds_read_b32 v3, v13 offset:4104
	s_lshl_b64 s[12:13], 2, s0
	v_and_b32_e32 v1, s63, v19
	v_and_b32_e32 v4, s62, v18
	v_or_b32_e32 v19, s13, v1
	s_waitcnt lgkmcnt(0)
	v_cmp_ne_u32_e32 vcc, 0, v3
	v_or_b32_e32 v18, s12, v4
	v_or_b32_e32 v21, s7, v21
	;; [unrolled: 1-line block ×3, first 2 shown]
	s_cbranch_vccnz .LBB112_198
; %bb.195:                              ;   in Loop: Header=BB112_20 Depth=1
	s_and_saveexec_b64 s[62:63], s[2:3]
; %bb.196:                              ;   in Loop: Header=BB112_20 Depth=1
	v_mov_b32_e32 v1, s88
	ds_write_b32 v13, v1 offset:4108
; %bb.197:                              ;   in Loop: Header=BB112_20 Depth=1
	s_or_b64 exec, exec, s[62:63]
	s_waitcnt lgkmcnt(0)
	s_barrier
.LBB112_198:                            ;   in Loop: Header=BB112_20 Depth=1
	s_or_saveexec_b64 s[62:63], s[76:77]
	s_mov_b64 s[76:77], 0
	v_mov_b32_e32 v7, 8
	s_xor_b64 exec, exec, s[62:63]
; %bb.199:                              ;   in Loop: Header=BB112_20 Depth=1
	s_mov_b64 s[76:77], exec
	v_subrev_u32_e32 v9, s88, v9
	v_mov_b32_e32 v7, 0
; %bb.200:                              ;   in Loop: Header=BB112_20 Depth=1
	s_or_b64 exec, exec, s[62:63]
	s_and_b64 s[80:81], s[76:77], exec
	v_mov_b32_e32 v8, v9
.LBB112_201:                            ;   in Loop: Header=BB112_20 Depth=1
	s_or_b64 exec, exec, s[74:75]
	s_mov_b64 s[78:79], -1
                                        ; implicit-def: $sgpr76_sgpr77
                                        ; implicit-def: $sgpr74_sgpr75
	s_and_saveexec_b64 s[62:63], s[80:81]
	s_cbranch_execz .LBB112_242
; %bb.202:                              ;   in Loop: Header=BB112_20 Depth=1
	s_cmp_eq_u32 s1, 1
	s_cselect_b64 s[12:13], -1, 0
	v_cmp_eq_u32_e32 vcc, 1, v8
	s_and_b64 s[78:79], s[12:13], vcc
	s_mov_b64 s[82:83], -1
                                        ; implicit-def: $sgpr76_sgpr77
                                        ; implicit-def: $sgpr74_sgpr75
	s_and_saveexec_b64 s[80:81], s[78:79]
	s_cbranch_execz .LBB112_230
; %bb.203:                              ;   in Loop: Header=BB112_20 Depth=1
	ds_read_b32 v1, v13 offset:4104
	s_waitcnt lgkmcnt(0)
	s_barrier
	v_readfirstlane_b32 s12, v1
	s_and_saveexec_b64 s[74:75], s[20:21]
; %bb.204:                              ;   in Loop: Header=BB112_20 Depth=1
	v_mov_b32_e32 v12, v13
	ds_write_b64 v29, v[12:13]
; %bb.205:                              ;   in Loop: Header=BB112_20 Depth=1
	s_or_b64 exec, exec, s[74:75]
	v_or_b32_e32 v19, s7, v19
	v_or_b32_e32 v18, s6, v18
	v_or_b32_e32 v21, s7, v21
	v_or_b32_e32 v20, s6, v20
	s_mov_b64 s[74:75], -1
	s_mov_b64 s[76:77], 0
	s_cmp_eq_u32 s12, 0
	s_mov_b64 s[82:83], 0
	s_mov_b64 s[84:85], -1
	s_waitcnt lgkmcnt(0)
	s_barrier
                                        ; implicit-def: $vgpr5_vgpr6
	s_cbranch_scc1 .LBB112_217
; %bb.206:                              ;   in Loop: Header=BB112_20 Depth=1
	s_add_i32 s13, s12, s94
	s_mul_hi_u32 s82, s13, s41
	s_mul_i32 s82, s82, s27
	s_sub_i32 s82, s13, s82
	s_sub_i32 s83, s82, s27
	s_cmp_ge_u32 s82, s27
	s_cselect_b32 s82, s83, s82
	s_sub_i32 s83, s82, s27
	s_cmp_ge_u32 s82, s27
	s_cselect_b32 s82, s83, s82
	s_sub_i32 s13, s13, s82
	v_cmp_gt_u32_e32 vcc, s13, v0
	s_mov_b64 s[84:85], 0
	s_mov_b64 s[82:83], 0
                                        ; implicit-def: $vgpr5_vgpr6
	s_and_saveexec_b64 s[86:87], vcc
	s_cbranch_execz .LBB112_216
; %bb.207:                              ;   in Loop: Header=BB112_20 Depth=1
	v_writelane_b32 v47, s91, 14
	v_writelane_b32 v47, s92, 15
	;; [unrolled: 1-line block ×3, first 2 shown]
	v_mov_b32_e32 v9, v28
	v_mov_b32_e32 v10, v0
	v_writelane_b32 v47, s90, 17
                                        ; implicit-def: $sgpr88_sgpr89
	s_branch .LBB112_211
.LBB112_208:                            ;   in Loop: Header=BB112_211 Depth=2
	s_or_b64 exec, exec, s[90:91]
	s_waitcnt lgkmcnt(0)
	s_barrier
	ds_read_b128 v[3:6], v13 offset:3072
	s_waitcnt lgkmcnt(0)
	s_barrier
	v_cmp_neq_f64_e32 vcc, 0, v[3:4]
	s_cbranch_vccnz .LBB112_214
; %bb.209:                              ;   in Loop: Header=BB112_211 Depth=2
	v_add_u32_e32 v10, s27, v10
	v_cmp_le_u32_e32 vcc, s13, v10
	v_add_u32_e32 v9, s45, v9
	s_mov_b64 s[90:91], 0
	s_orn2_b64 s[92:93], vcc, exec
.LBB112_210:                            ;   in Loop: Header=BB112_211 Depth=2
	s_and_b64 s[92:93], exec, s[92:93]
	s_or_b64 s[82:83], s[92:93], s[82:83]
	s_andn2_b64 s[88:89], s[88:89], exec
	s_and_b64 s[90:91], s[90:91], exec
	s_or_b64 s[88:89], s[88:89], s[90:91]
	s_andn2_b64 exec, exec, s[82:83]
	s_cbranch_execz .LBB112_215
.LBB112_211:                            ;   Parent Loop BB112_20 Depth=1
                                        ; =>  This Inner Loop Header: Depth=2
	v_cmp_gt_u32_e32 vcc, s12, v10
	s_and_saveexec_b64 s[90:91], vcc
	s_cbranch_execz .LBB112_208
; %bb.212:                              ;   in Loop: Header=BB112_211 Depth=2
	ds_read_b64 v[3:4], v9
	s_waitcnt lgkmcnt(0)
	v_cmp_o_f64_e32 vcc, v[3:4], v[3:4]
	v_ashrrev_i32_e32 v1, 31, v4
	v_or_b32_e32 v5, 0x80000000, v1
	v_xor_b32_e32 v5, v5, v4
	v_xor_b32_e32 v1, v1, v3
	v_cndmask_b32_e32 v5, -1, v5, vcc
	v_cndmask_b32_e32 v1, -1, v1, vcc
	v_and_b32_e32 v6, v5, v21
	v_and_b32_e32 v5, v1, v20
	v_cmp_eq_u64_e32 vcc, v[5:6], v[18:19]
	s_and_b64 exec, exec, vcc
	s_cbranch_execz .LBB112_208
; %bb.213:                              ;   in Loop: Header=BB112_211 Depth=2
	v_mov_b32_e32 v1, v13
	ds_write_b128 v13, v[1:4] offset:3072
	s_branch .LBB112_208
.LBB112_214:                            ;   in Loop: Header=BB112_211 Depth=2
	s_mov_b64 s[92:93], -1
                                        ; implicit-def: $vgpr10
                                        ; implicit-def: $vgpr9
	s_mov_b64 s[90:91], -1
	s_branch .LBB112_210
.LBB112_215:                            ;   in Loop: Header=BB112_20 Depth=1
	s_or_b64 exec, exec, s[82:83]
	v_readlane_b32 s92, v47, 15
	s_and_b64 s[82:83], s[88:89], exec
	v_readlane_b32 s90, v47, 17
	v_readlane_b32 s93, v47, 16
	;; [unrolled: 1-line block ×3, first 2 shown]
.LBB112_216:                            ;   in Loop: Header=BB112_20 Depth=1
	s_or_b64 exec, exec, s[86:87]
.LBB112_217:                            ;   in Loop: Header=BB112_20 Depth=1
	s_and_b64 vcc, exec, s[84:85]
	s_cbranch_vccz .LBB112_229
; %bb.218:                              ;   in Loop: Header=BB112_20 Depth=1
                                        ; implicit-def: $vgpr5_vgpr6
	s_mov_b64 s[74:75], exec
	v_readlane_b32 s12, v47, 12
	v_readlane_b32 s13, v47, 13
	s_and_b64 s[12:13], s[74:75], s[12:13]
	s_mov_b64 exec, s[12:13]
	s_cbranch_execz .LBB112_228
; %bb.219:                              ;   in Loop: Header=BB112_20 Depth=1
	s_mov_b64 s[76:77], 0
	v_mov_b32_e32 v12, v11
	v_mov_b32_e32 v9, v0
                                        ; implicit-def: $sgpr84_sgpr85
	s_branch .LBB112_223
.LBB112_220:                            ;   in Loop: Header=BB112_223 Depth=2
	s_or_b64 exec, exec, s[86:87]
	s_waitcnt lgkmcnt(0)
	s_barrier
	ds_read_b128 v[3:6], v13 offset:3072
	s_waitcnt lgkmcnt(0)
	s_barrier
	v_cmp_eq_f64_e32 vcc, 0, v[3:4]
	s_cbranch_vccz .LBB112_226
; %bb.221:                              ;   in Loop: Header=BB112_223 Depth=2
	v_add_u32_e32 v9, s27, v9
	v_cmp_le_u32_e32 vcc, s42, v9
	v_add_u32_e32 v12, s28, v12
	s_mov_b64 s[86:87], 0
	s_orn2_b64 s[88:89], vcc, exec
.LBB112_222:                            ;   in Loop: Header=BB112_223 Depth=2
	s_and_b64 s[12:13], exec, s[88:89]
	s_or_b64 s[76:77], s[12:13], s[76:77]
	s_andn2_b64 s[12:13], s[84:85], exec
	s_and_b64 s[84:85], s[86:87], exec
	s_or_b64 s[84:85], s[12:13], s[84:85]
	s_andn2_b64 exec, exec, s[76:77]
	s_cbranch_execz .LBB112_227
.LBB112_223:                            ;   Parent Loop BB112_20 Depth=1
                                        ; =>  This Inner Loop Header: Depth=2
	v_cmp_gt_u32_e32 vcc, s24, v9
	s_and_saveexec_b64 s[86:87], vcc
	s_cbranch_execz .LBB112_220
; %bb.224:                              ;   in Loop: Header=BB112_223 Depth=2
	v_lshlrev_b64 v[3:4], 3, v[12:13]
	v_mov_b32_e32 v1, s95
	v_add_co_u32_e32 v3, vcc, s25, v3
	v_addc_co_u32_e32 v4, vcc, v1, v4, vcc
	global_load_dwordx2 v[3:4], v[3:4], off
	s_waitcnt vmcnt(0)
	v_cmp_o_f64_e32 vcc, v[3:4], v[3:4]
	v_ashrrev_i32_e32 v1, 31, v4
	v_or_b32_e32 v5, 0x80000000, v1
	v_xor_b32_e32 v5, v5, v4
	v_xor_b32_e32 v1, v1, v3
	v_cndmask_b32_e32 v5, -1, v5, vcc
	v_cndmask_b32_e32 v1, -1, v1, vcc
	v_and_b32_e32 v6, v5, v21
	v_and_b32_e32 v5, v1, v20
	v_cmp_eq_u64_e32 vcc, v[5:6], v[18:19]
	s_and_b64 exec, exec, vcc
	s_cbranch_execz .LBB112_220
; %bb.225:                              ;   in Loop: Header=BB112_223 Depth=2
	v_mov_b32_e32 v1, v13
	ds_write_b128 v13, v[1:4] offset:3072
	s_branch .LBB112_220
.LBB112_226:                            ;   in Loop: Header=BB112_223 Depth=2
	s_mov_b64 s[88:89], -1
                                        ; implicit-def: $vgpr9
	s_mov_b64 s[86:87], -1
	s_branch .LBB112_222
.LBB112_227:                            ;   in Loop: Header=BB112_20 Depth=1
	s_or_b64 exec, exec, s[76:77]
	s_andn2_b64 s[12:13], s[82:83], exec
	s_and_b64 s[76:77], s[84:85], exec
	s_or_b64 s[82:83], s[12:13], s[76:77]
.LBB112_228:                            ;   in Loop: Header=BB112_20 Depth=1
	s_or_b64 exec, exec, s[74:75]
	s_mov_b64 s[74:75], 0
	s_mov_b64 s[76:77], -1
.LBB112_229:                            ;   in Loop: Header=BB112_20 Depth=1
	s_orn2_b64 s[82:83], s[82:83], exec
.LBB112_230:                            ;   in Loop: Header=BB112_20 Depth=1
	s_or_b64 exec, exec, s[80:81]
	s_mov_b64 s[84:85], 0
	s_and_saveexec_b64 s[80:81], s[82:83]
	s_cbranch_execz .LBB112_241
; %bb.231:                              ;   in Loop: Header=BB112_20 Depth=1
	s_xor_b64 s[12:13], s[78:79], -1
	v_mov_b32_e32 v7, 1
	v_mov_b32_e32 v1, 1
	s_and_saveexec_b64 s[78:79], s[12:13]
	s_cbranch_execz .LBB112_240
; %bb.232:                              ;   in Loop: Header=BB112_20 Depth=1
	v_cmp_ge_u32_e32 vcc, s1, v8
	s_and_saveexec_b64 s[12:13], vcc
	s_xor_b64 s[82:83], exec, s[12:13]
	s_cbranch_execz .LBB112_237
; %bb.233:                              ;   in Loop: Header=BB112_20 Depth=1
	ds_read_b32 v1, v13 offset:4104
	v_or_b32_e32 v19, s7, v19
	v_or_b32_e32 v18, s6, v18
	;; [unrolled: 1-line block ×4, first 2 shown]
	s_waitcnt lgkmcnt(0)
	v_cmp_ne_u32_e32 vcc, 0, v1
	s_cbranch_vccnz .LBB112_237
; %bb.234:                              ;   in Loop: Header=BB112_20 Depth=1
	s_and_saveexec_b64 s[6:7], s[2:3]
; %bb.235:                              ;   in Loop: Header=BB112_20 Depth=1
	v_mov_b32_e32 v1, s1
	ds_write_b32 v13, v1 offset:4108
; %bb.236:                              ;   in Loop: Header=BB112_20 Depth=1
	s_or_b64 exec, exec, s[6:7]
	s_waitcnt lgkmcnt(0)
	s_barrier
.LBB112_237:                            ;   in Loop: Header=BB112_20 Depth=1
	s_andn2_saveexec_b64 s[6:7], s[82:83]
; %bb.238:                              ;   in Loop: Header=BB112_20 Depth=1
	v_subrev_u32_e32 v8, s1, v8
; %bb.239:                              ;   in Loop: Header=BB112_20 Depth=1
	s_or_b64 exec, exec, s[6:7]
	v_mov_b32_e32 v7, 8
	v_mov_b32_e32 v1, v8
.LBB112_240:                            ;   in Loop: Header=BB112_20 Depth=1
	s_or_b64 exec, exec, s[78:79]
	s_mov_b64 s[84:85], exec
	v_mov_b32_e32 v8, v1
.LBB112_241:                            ;   in Loop: Header=BB112_20 Depth=1
	s_or_b64 exec, exec, s[80:81]
	s_orn2_b64 s[78:79], s[84:85], exec
.LBB112_242:                            ;   in Loop: Header=BB112_20 Depth=1
	s_or_b64 exec, exec, s[62:63]
	s_andn2_b64 s[6:7], s[70:71], exec
	s_and_b64 s[12:13], s[76:77], exec
	s_or_b64 s[70:71], s[6:7], s[12:13]
	s_andn2_b64 s[6:7], s[68:69], exec
	s_and_b64 s[12:13], s[74:75], exec
	s_or_b64 s[68:69], s[6:7], s[12:13]
	s_and_b64 s[78:79], s[78:79], exec
	v_mov_b32_e32 v9, v8
.LBB112_243:                            ;   in Loop: Header=BB112_20 Depth=1
	s_or_b64 exec, exec, s[72:73]
	s_orn2_b64 s[72:73], s[78:79], exec
.LBB112_244:                            ;   in Loop: Header=BB112_20 Depth=1
	s_or_b64 exec, exec, s[66:67]
	s_andn2_b64 s[6:7], s[60:61], exec
	s_and_b64 s[12:13], s[70:71], exec
	s_or_b64 s[60:61], s[6:7], s[12:13]
	s_andn2_b64 s[6:7], s[22:23], exec
	s_and_b64 s[12:13], s[68:69], exec
	s_or_b64 s[22:23], s[6:7], s[12:13]
	s_and_b64 s[70:71], s[72:73], exec
	v_mov_b32_e32 v8, v9
.LBB112_245:                            ;   in Loop: Header=BB112_20 Depth=1
	s_or_b64 exec, exec, s[64:65]
	s_orn2_b64 s[64:65], s[70:71], exec
.LBB112_246:                            ;   in Loop: Header=BB112_20 Depth=1
	s_or_b64 exec, exec, s[18:19]
	s_mov_b64 s[18:19], 0
                                        ; implicit-def: $sgpr12
                                        ; implicit-def: $sgpr13
	s_and_saveexec_b64 s[6:7], s[64:65]
	s_xor_b64 s[6:7], exec, s[6:7]
	s_cbranch_execz .LBB112_18
; %bb.247:                              ;   in Loop: Header=BB112_20 Depth=1
	v_and_b32_e32 v1, 7, v7
	v_cmp_eq_u32_e32 vcc, 0, v1
	s_mov_b64 s[16:17], -1
	s_mov_b64 s[18:19], -1
                                        ; implicit-def: $sgpr12
                                        ; implicit-def: $sgpr13
	s_and_saveexec_b64 s[62:63], vcc
	s_cbranch_execz .LBB112_17
; %bb.248:                              ;   in Loop: Header=BB112_20 Depth=1
	s_xor_b32 s13, s40, 1
	s_add_i32 s12, s0, -2
	s_cmp_eq_u32 s0, 0
	s_cselect_b64 s[0:1], -1, 0
	s_xor_b64 s[18:19], exec, -1
	s_orn2_b64 s[16:17], s[0:1], exec
	s_branch .LBB112_17
.LBB112_249:
	s_or_b64 exec, exec, s[46:47]
	s_xor_b64 s[8:9], s[52:53], -1
	s_xor_b64 s[0:1], s[48:49], -1
	;; [unrolled: 1-line block ×3, first 2 shown]
	s_mov_b64 s[4:5], 0
	s_and_saveexec_b64 s[2:3], s[0:1]
	s_xor_b64 s[2:3], exec, s[2:3]
	s_cbranch_execnz .LBB112_254
; %bb.250:
	s_andn2_saveexec_b64 s[0:1], s[2:3]
	s_cbranch_execnz .LBB112_267
.LBB112_251:
	s_or_b64 exec, exec, s[0:1]
	s_and_saveexec_b64 s[0:1], s[4:5]
.LBB112_252:
	; divergent unreachable
.LBB112_253:
	s_endpgm
.LBB112_254:
	s_and_saveexec_b64 s[0:1], s[8:9]
	s_xor_b64 s[4:5], exec, s[0:1]
	s_cbranch_execz .LBB112_265
; %bb.255:
	s_and_saveexec_b64 s[0:1], s[6:7]
	s_xor_b64 s[6:7], exec, s[0:1]
; %bb.256:
	v_lshrrev_b32_e32 v1, 31, v19
	v_add_co_u32_e32 v1, vcc, -1, v1
	v_addc_co_u32_e64 v2, s[0:1], 0, -1, vcc
	v_or_b32_e32 v2, 0x80000000, v2
	v_xor_b32_e32 v6, v2, v19
	v_xor_b32_e32 v5, v1, v18
; %bb.257:
	s_or_b64 exec, exec, s[6:7]
	v_readlane_b32 s0, v47, 4
	s_mul_i32 s0, s0, s90
	s_mov_b32 s1, 0
	s_lshl_b64 s[0:1], s[0:1], 3
	v_readlane_b32 s6, v47, 0
	v_readlane_b32 s7, v47, 1
	s_add_u32 s0, s6, s0
	s_addc_u32 s1, s7, s1
	v_mov_b32_e32 v12, 0
	global_store_dwordx2 v12, v[5:6], s[0:1]
	s_mov_b64 s[6:7], exec
	v_readlane_b32 s0, v47, 2
	v_readlane_b32 s1, v47, 3
	s_and_b64 s[0:1], s[6:7], s[0:1]
	s_mov_b64 exec, s[0:1]
	s_cbranch_execz .LBB112_264
; %bb.258:
	v_cmp_u_f64_e32 vcc, v[5:6], v[5:6]
	s_mov_b64 s[8:9], 0
	v_mov_b32_e32 v2, s95
                                        ; implicit-def: $sgpr10_sgpr11
                                        ; implicit-def: $sgpr16_sgpr17
                                        ; implicit-def: $sgpr14_sgpr15
	s_xor_b64 s[12:13], vcc, -1
	s_branch .LBB112_260
.LBB112_259:                            ;   in Loop: Header=BB112_260 Depth=1
	s_or_b64 exec, exec, s[0:1]
	s_and_b64 s[0:1], exec, s[16:17]
	s_or_b64 s[8:9], s[0:1], s[8:9]
	s_andn2_b64 s[0:1], s[10:11], exec
	s_and_b64 s[10:11], s[14:15], exec
	s_or_b64 s[10:11], s[0:1], s[10:11]
	s_andn2_b64 exec, exec, s[8:9]
	s_cbranch_execz .LBB112_262
.LBB112_260:                            ; =>This Inner Loop Header: Depth=1
	v_lshlrev_b64 v[3:4], 3, v[11:12]
	v_mov_b32_e32 v1, v0
	v_add_co_u32_e32 v3, vcc, s25, v3
	v_addc_co_u32_e32 v4, vcc, v2, v4, vcc
	global_load_dwordx2 v[3:4], v[3:4], off
	s_or_b64 s[14:15], s[14:15], exec
	s_or_b64 s[16:17], s[16:17], exec
                                        ; implicit-def: $vgpr0
	s_waitcnt vmcnt(0)
	v_cmp_o_f64_e32 vcc, v[3:4], v[3:4]
	v_cmp_neq_f64_e64 s[0:1], v[3:4], v[5:6]
	s_or_b64 s[18:19], vcc, s[12:13]
	s_and_b64 s[18:19], s[0:1], s[18:19]
	s_and_saveexec_b64 s[0:1], s[18:19]
	s_cbranch_execz .LBB112_259
; %bb.261:                              ;   in Loop: Header=BB112_260 Depth=1
	v_add_u32_e32 v0, s27, v1
	v_cmp_le_u32_e32 vcc, s24, v0
	s_andn2_b64 s[16:17], s[16:17], exec
	s_and_b64 s[18:19], vcc, exec
	v_add_u32_e32 v11, s28, v11
	s_andn2_b64 s[14:15], s[14:15], exec
	s_or_b64 s[16:17], s[16:17], s[18:19]
	s_branch .LBB112_259
.LBB112_262:
	s_or_b64 exec, exec, s[8:9]
	s_and_saveexec_b64 s[0:1], s[10:11]
	s_xor_b64 s[0:1], exec, s[0:1]
	s_cbranch_execz .LBB112_264
; %bb.263:
	s_mul_i32 s0, s91, s90
	s_mov_b32 s1, 0
	s_lshl_b64 s[0:1], s[0:1], 3
	s_add_u32 s0, s92, s0
	s_addc_u32 s1, s93, s1
	v_mov_b32_e32 v2, 0
	global_store_dwordx2 v2, v[1:2], s[0:1]
.LBB112_264:
	s_or_b64 exec, exec, s[6:7]
.LBB112_265:
	s_or_saveexec_b64 s[0:1], s[4:5]
	s_mov_b64 s[4:5], 0
	s_xor_b64 exec, exec, s[0:1]
	s_cbranch_execnz .LBB112_268
.LBB112_266:
	s_or_b64 exec, exec, s[0:1]
	s_and_b64 s[4:5], s[4:5], exec
	s_andn2_saveexec_b64 s[0:1], s[2:3]
	s_cbranch_execz .LBB112_251
.LBB112_267:
	s_or_b64 s[4:5], s[4:5], exec
	s_trap 2
	s_or_b64 exec, exec, s[0:1]
	s_and_saveexec_b64 s[0:1], s[4:5]
	s_cbranch_execnz .LBB112_252
	s_branch .LBB112_253
.LBB112_268:
	s_mov_b64 s[4:5], exec
	s_trap 2
	s_branch .LBB112_266
	.section	.rodata,"a",@progbits
	.p2align	6, 0x0
	.amdhsa_kernel _ZN2at6native12_GLOBAL__N_112gatherMedianIdjLi1EEEvNS_4cuda6detail10TensorInfoIT_T0_EENS5_IlS7_EENS5_IKS6_S7_EES7_S7_S7_b
		.amdhsa_group_segment_fixed_size 4120
		.amdhsa_private_segment_fixed_size 0
		.amdhsa_kernarg_size 920
		.amdhsa_user_sgpr_count 6
		.amdhsa_user_sgpr_private_segment_buffer 1
		.amdhsa_user_sgpr_dispatch_ptr 0
		.amdhsa_user_sgpr_queue_ptr 0
		.amdhsa_user_sgpr_kernarg_segment_ptr 1
		.amdhsa_user_sgpr_dispatch_id 0
		.amdhsa_user_sgpr_flat_scratch_init 0
		.amdhsa_user_sgpr_private_segment_size 0
		.amdhsa_uses_dynamic_stack 0
		.amdhsa_system_sgpr_private_segment_wavefront_offset 0
		.amdhsa_system_sgpr_workgroup_id_x 1
		.amdhsa_system_sgpr_workgroup_id_y 1
		.amdhsa_system_sgpr_workgroup_id_z 1
		.amdhsa_system_sgpr_workgroup_info 0
		.amdhsa_system_vgpr_workitem_id 0
		.amdhsa_next_free_vgpr 48
		.amdhsa_next_free_sgpr 96
		.amdhsa_reserve_vcc 1
		.amdhsa_reserve_flat_scratch 0
		.amdhsa_float_round_mode_32 0
		.amdhsa_float_round_mode_16_64 0
		.amdhsa_float_denorm_mode_32 3
		.amdhsa_float_denorm_mode_16_64 3
		.amdhsa_dx10_clamp 1
		.amdhsa_ieee_mode 1
		.amdhsa_fp16_overflow 0
		.amdhsa_exception_fp_ieee_invalid_op 0
		.amdhsa_exception_fp_denorm_src 0
		.amdhsa_exception_fp_ieee_div_zero 0
		.amdhsa_exception_fp_ieee_overflow 0
		.amdhsa_exception_fp_ieee_underflow 0
		.amdhsa_exception_fp_ieee_inexact 0
		.amdhsa_exception_int_div_zero 0
	.end_amdhsa_kernel
	.section	.text._ZN2at6native12_GLOBAL__N_112gatherMedianIdjLi1EEEvNS_4cuda6detail10TensorInfoIT_T0_EENS5_IlS7_EENS5_IKS6_S7_EES7_S7_S7_b,"axG",@progbits,_ZN2at6native12_GLOBAL__N_112gatherMedianIdjLi1EEEvNS_4cuda6detail10TensorInfoIT_T0_EENS5_IlS7_EENS5_IKS6_S7_EES7_S7_S7_b,comdat
.Lfunc_end112:
	.size	_ZN2at6native12_GLOBAL__N_112gatherMedianIdjLi1EEEvNS_4cuda6detail10TensorInfoIT_T0_EENS5_IlS7_EENS5_IKS6_S7_EES7_S7_S7_b, .Lfunc_end112-_ZN2at6native12_GLOBAL__N_112gatherMedianIdjLi1EEEvNS_4cuda6detail10TensorInfoIT_T0_EENS5_IlS7_EENS5_IKS6_S7_EES7_S7_S7_b
                                        ; -- End function
	.set _ZN2at6native12_GLOBAL__N_112gatherMedianIdjLi1EEEvNS_4cuda6detail10TensorInfoIT_T0_EENS5_IlS7_EENS5_IKS6_S7_EES7_S7_S7_b.num_vgpr, 48
	.set _ZN2at6native12_GLOBAL__N_112gatherMedianIdjLi1EEEvNS_4cuda6detail10TensorInfoIT_T0_EENS5_IlS7_EENS5_IKS6_S7_EES7_S7_S7_b.num_agpr, 0
	.set _ZN2at6native12_GLOBAL__N_112gatherMedianIdjLi1EEEvNS_4cuda6detail10TensorInfoIT_T0_EENS5_IlS7_EENS5_IKS6_S7_EES7_S7_S7_b.numbered_sgpr, 96
	.set _ZN2at6native12_GLOBAL__N_112gatherMedianIdjLi1EEEvNS_4cuda6detail10TensorInfoIT_T0_EENS5_IlS7_EENS5_IKS6_S7_EES7_S7_S7_b.num_named_barrier, 0
	.set _ZN2at6native12_GLOBAL__N_112gatherMedianIdjLi1EEEvNS_4cuda6detail10TensorInfoIT_T0_EENS5_IlS7_EENS5_IKS6_S7_EES7_S7_S7_b.private_seg_size, 0
	.set _ZN2at6native12_GLOBAL__N_112gatherMedianIdjLi1EEEvNS_4cuda6detail10TensorInfoIT_T0_EENS5_IlS7_EENS5_IKS6_S7_EES7_S7_S7_b.uses_vcc, 1
	.set _ZN2at6native12_GLOBAL__N_112gatherMedianIdjLi1EEEvNS_4cuda6detail10TensorInfoIT_T0_EENS5_IlS7_EENS5_IKS6_S7_EES7_S7_S7_b.uses_flat_scratch, 0
	.set _ZN2at6native12_GLOBAL__N_112gatherMedianIdjLi1EEEvNS_4cuda6detail10TensorInfoIT_T0_EENS5_IlS7_EENS5_IKS6_S7_EES7_S7_S7_b.has_dyn_sized_stack, 0
	.set _ZN2at6native12_GLOBAL__N_112gatherMedianIdjLi1EEEvNS_4cuda6detail10TensorInfoIT_T0_EENS5_IlS7_EENS5_IKS6_S7_EES7_S7_S7_b.has_recursion, 0
	.set _ZN2at6native12_GLOBAL__N_112gatherMedianIdjLi1EEEvNS_4cuda6detail10TensorInfoIT_T0_EENS5_IlS7_EENS5_IKS6_S7_EES7_S7_S7_b.has_indirect_call, 0
	.section	.AMDGPU.csdata,"",@progbits
; Kernel info:
; codeLenInByte = 9608
; TotalNumSgprs: 100
; NumVgprs: 48
; ScratchSize: 0
; MemoryBound: 0
; FloatMode: 240
; IeeeMode: 1
; LDSByteSize: 4120 bytes/workgroup (compile time only)
; SGPRBlocks: 12
; VGPRBlocks: 11
; NumSGPRsForWavesPerEU: 100
; NumVGPRsForWavesPerEU: 48
; Occupancy: 5
; WaveLimiterHint : 1
; COMPUTE_PGM_RSRC2:SCRATCH_EN: 0
; COMPUTE_PGM_RSRC2:USER_SGPR: 6
; COMPUTE_PGM_RSRC2:TRAP_HANDLER: 0
; COMPUTE_PGM_RSRC2:TGID_X_EN: 1
; COMPUTE_PGM_RSRC2:TGID_Y_EN: 1
; COMPUTE_PGM_RSRC2:TGID_Z_EN: 1
; COMPUTE_PGM_RSRC2:TIDIG_COMP_CNT: 0
	.section	.text._ZN2at6native12_GLOBAL__N_112gatherMedianIdjLi2EEEvNS_4cuda6detail10TensorInfoIT_T0_EENS5_IlS7_EENS5_IKS6_S7_EES7_S7_S7_b,"axG",@progbits,_ZN2at6native12_GLOBAL__N_112gatherMedianIdjLi2EEEvNS_4cuda6detail10TensorInfoIT_T0_EENS5_IlS7_EENS5_IKS6_S7_EES7_S7_S7_b,comdat
	.globl	_ZN2at6native12_GLOBAL__N_112gatherMedianIdjLi2EEEvNS_4cuda6detail10TensorInfoIT_T0_EENS5_IlS7_EENS5_IKS6_S7_EES7_S7_S7_b ; -- Begin function _ZN2at6native12_GLOBAL__N_112gatherMedianIdjLi2EEEvNS_4cuda6detail10TensorInfoIT_T0_EENS5_IlS7_EENS5_IKS6_S7_EES7_S7_S7_b
	.p2align	8
	.type	_ZN2at6native12_GLOBAL__N_112gatherMedianIdjLi2EEEvNS_4cuda6detail10TensorInfoIT_T0_EENS5_IlS7_EENS5_IKS6_S7_EES7_S7_S7_b,@function
_ZN2at6native12_GLOBAL__N_112gatherMedianIdjLi2EEEvNS_4cuda6detail10TensorInfoIT_T0_EENS5_IlS7_EENS5_IKS6_S7_EES7_S7_S7_b: ; @_ZN2at6native12_GLOBAL__N_112gatherMedianIdjLi2EEEvNS_4cuda6detail10TensorInfoIT_T0_EENS5_IlS7_EENS5_IKS6_S7_EES7_S7_S7_b
; %bb.0:
	s_load_dwordx2 s[12:13], s[4:5], 0x298
	s_load_dwordx4 s[24:27], s[4:5], 0x288
	s_add_u32 s10, s4, 0x298
	s_addc_u32 s11, s5, 0
	s_waitcnt lgkmcnt(0)
	s_mul_i32 s0, s13, s8
	s_add_i32 s0, s0, s7
	s_mul_i32 s0, s0, s12
	s_add_i32 s94, s0, s6
	s_cmp_ge_u32 s94, s25
	s_cbranch_scc1 .LBB113_253
; %bb.1:
	s_load_dword s8, s[4:5], 0xc
	s_load_dword s95, s[4:5], 0xe4
	;; [unrolled: 1-line block ×3, first 2 shown]
	s_load_dwordx2 s[0:1], s[4:5], 0x1b0
	s_load_dwordx2 s[2:3], s[4:5], 0x144
                                        ; implicit-def: $vgpr47 : SGPR spill to VGPR lane
                                        ; kill: killed $sgpr4 killed $sgpr5
	v_mov_b32_e32 v3, 0
	s_waitcnt lgkmcnt(0)
	v_cvt_f32_u32_e32 v1, s8
	v_cvt_f32_u32_e32 v2, s95
	v_writelane_b32 v47, s2, 0
	v_writelane_b32 v47, s3, 1
	s_load_dwordx2 s[2:3], s[4:5], 0xd8
	v_rcp_iflag_f32_e32 v1, v1
	v_rcp_iflag_f32_e32 v2, v2
	s_waitcnt lgkmcnt(0)
	v_writelane_b32 v47, s2, 2
	v_writelane_b32 v47, s3, 3
	s_load_dwordx2 s[2:3], s[4:5], 0x6c
	v_mul_f32_e32 v1, 0x4f7ffffe, v1
	v_cvt_u32_f32_e32 v1, v1
	v_mul_f32_e32 v2, 0x4f7ffffe, v2
	v_cvt_u32_f32_e32 v2, v2
	s_waitcnt lgkmcnt(0)
	v_writelane_b32 v47, s2, 4
	v_writelane_b32 v47, s3, 5
	s_load_dwordx2 s[2:3], s[4:5], 0x0
	s_waitcnt lgkmcnt(0)
	v_writelane_b32 v47, s2, 6
	v_writelane_b32 v47, s3, 7
	s_load_dwordx2 s[2:3], s[4:5], 0x21c
	v_writelane_b32 v47, s8, 8
	s_sub_i32 s4, 0, s8
	v_readfirstlane_b32 s8, v1
	v_cvt_f32_u32_e32 v1, s7
	s_mul_i32 s4, s4, s8
	s_mul_hi_u32 s4, s8, s4
	s_add_i32 s8, s8, s4
	v_rcp_iflag_f32_e32 v1, v1
	s_mul_hi_u32 s4, s94, s8
	v_writelane_b32 v47, s4, 9
	s_sub_i32 s4, 0, s95
	v_readfirstlane_b32 s8, v2
	v_mul_f32_e32 v1, 0x4f7ffffe, v1
	s_mul_i32 s4, s4, s8
	v_cvt_u32_f32_e32 v1, v1
	s_mul_hi_u32 s4, s8, s4
	s_add_i32 s8, s8, s4
	s_mul_hi_u32 s4, s94, s8
	v_writelane_b32 v47, s4, 10
	s_sub_i32 s4, 0, s7
	v_readfirstlane_b32 s8, v1
	s_mul_i32 s4, s4, s8
	s_mul_hi_u32 s4, s8, s4
	s_add_i32 s8, s8, s4
	s_mul_hi_u32 s4, s94, s8
	s_mul_i32 s8, s4, s7
	s_sub_i32 s8, s94, s8
	s_add_i32 s9, s4, 1
	s_sub_i32 s13, s8, s7
	s_cmp_ge_u32 s8, s7
	s_cselect_b32 s4, s9, s4
	s_cselect_b32 s8, s13, s8
	s_add_i32 s9, s4, 1
	s_cmp_ge_u32 s8, s7
	s_cselect_b32 s4, s9, s4
	s_mul_i32 s7, s4, s7
	s_sub_i32 s7, s94, s7
	s_waitcnt lgkmcnt(0)
	s_mul_i32 s7, s7, s3
	s_mul_i32 s2, s4, s2
	s_mov_b32 s5, 0
	s_add_i32 s4, s2, s7
	s_lshl_b64 s[2:3], s[4:5], 3
	s_add_u32 s29, s0, s2
	s_addc_u32 s28, s1, s3
	v_cmp_gt_u32_e64 s[0:1], s24, v0
	s_mov_b64 s[2:3], exec
	v_writelane_b32 v47, s0, 11
	v_writelane_b32 v47, s1, 12
	s_and_b64 s[0:1], s[2:3], s[0:1]
	s_mov_b64 exec, s[0:1]
	s_cbranch_execz .LBB113_5
; %bb.2:
	s_load_dword s0, s[10:11], 0xc
	v_mul_lo_u32 v1, v0, s26
	v_mov_b32_e32 v2, 0
	s_mov_b64 s[4:5], 0
	v_mov_b32_e32 v4, s28
	s_waitcnt lgkmcnt(0)
	s_and_b32 s0, s0, 0xffff
	s_mul_i32 s1, s26, s0
	v_mov_b32_e32 v3, v2
	v_mov_b32_e32 v5, v0
.LBB113_3:                              ; =>This Inner Loop Header: Depth=1
	v_lshlrev_b64 v[6:7], 3, v[1:2]
	v_add_u32_e32 v5, s0, v5
	v_add_co_u32_e32 v6, vcc, s29, v6
	v_addc_co_u32_e32 v7, vcc, v4, v7, vcc
	global_load_dwordx2 v[6:7], v[6:7], off
	v_cmp_le_u32_e32 vcc, s24, v5
	s_or_b64 s[4:5], vcc, s[4:5]
	v_add_u32_e32 v1, s1, v1
	s_waitcnt vmcnt(0)
	v_cmp_u_f64_e32 vcc, v[6:7], v[6:7]
	v_addc_co_u32_e32 v3, vcc, 0, v3, vcc
	s_andn2_b64 exec, exec, s[4:5]
	s_cbranch_execnz .LBB113_3
; %bb.4:
	s_or_b64 exec, exec, s[4:5]
.LBB113_5:
	s_or_b64 exec, exec, s[2:3]
	v_cmp_eq_u32_e64 s[2:3], 0, v0
	s_and_saveexec_b64 s[4:5], s[2:3]
; %bb.6:
	v_mov_b32_e32 v1, 0
	v_mov_b32_e32 v2, v1
	ds_write_b64 v1, v[1:2] offset:4096
; %bb.7:
	s_or_b64 exec, exec, s[4:5]
	v_cmp_ne_u32_e32 vcc, 0, v3
	s_waitcnt lgkmcnt(0)
	s_barrier
	s_and_saveexec_b64 s[4:5], vcc
	s_cbranch_execz .LBB113_12
; %bb.8:
	s_mov_b64 s[14:15], exec
	v_mov_b32_e32 v1, 0
	s_mov_b64 s[8:9], 0
.LBB113_9:                              ; =>This Inner Loop Header: Depth=1
	s_ff1_i32_b64 s0, s[14:15]
	v_readlane_b32 s7, v3, s0
	v_readlane_b32 s1, v1, s0
	s_add_u32 s8, s8, s7
	s_addc_u32 s9, s9, s1
	s_lshl_b64 s[0:1], 1, s0
	s_andn2_b64 s[14:15], s[14:15], s[0:1]
	s_cmp_lg_u64 s[14:15], 0
	s_cbranch_scc1 .LBB113_9
; %bb.10:
	v_mbcnt_lo_u32_b32 v1, exec_lo, 0
	v_mbcnt_hi_u32_b32 v1, exec_hi, v1
	v_cmp_eq_u32_e32 vcc, 0, v1
	s_and_saveexec_b64 s[0:1], vcc
	s_xor_b64 s[0:1], exec, s[0:1]
; %bb.11:
	v_mov_b32_e32 v1, s8
	v_mov_b32_e32 v3, 0
	v_mov_b32_e32 v2, s9
	ds_add_u64 v3, v[1:2] offset:4096
.LBB113_12:
	s_or_b64 exec, exec, s[4:5]
	v_mov_b32_e32 v1, 0
	s_waitcnt lgkmcnt(0)
	s_barrier
	ds_read_b64 v[1:2], v1 offset:4096
	s_bitcmp1_b32 s27, 0
	s_cselect_b64 s[8:9], -1, 0
	s_mov_b32 s7, s24
	s_waitcnt lgkmcnt(0)
	v_readfirstlane_b32 s4, v1
	v_readfirstlane_b32 s5, v2
	v_cmp_lt_i64_e64 s[0:1], s[4:5], 1
	s_or_b64 s[0:1], s[8:9], s[0:1]
	s_andn2_b64 vcc, exec, s[0:1]
	s_cbranch_vccnz .LBB113_14
; %bb.13:
	s_not_b64 s[0:1], s[4:5]
	s_add_u32 s0, s0, s24
	s_addc_u32 s1, s1, 0
	s_lshr_b32 s4, s1, 31
	s_add_u32 s0, s0, s4
	s_addc_u32 s1, s1, 0
	s_lshr_b64 s[0:1], s[0:1], 1
	s_add_i32 s7, s0, 1
.LBB113_14:
	s_and_saveexec_b64 s[4:5], s[2:3]
	s_cbranch_execz .LBB113_16
; %bb.15:
	v_mov_b32_e32 v1, 0
	v_mov_b32_e32 v2, s24
	ds_write_b32 v1, v1 offset:4112
	ds_write_b64 v1, v[1:2] offset:4104
.LBB113_16:
	s_or_b64 exec, exec, s[4:5]
	v_mul_lo_u32 v11, s26, v0
	v_mov_b32_e32 v13, 0
	v_mbcnt_lo_u32_b32 v1, -1, 0
	v_mov_b32_e32 v12, v13
	s_waitcnt lgkmcnt(0)
	s_barrier
	s_load_dword s0, s[10:11], 0xc
	v_mbcnt_hi_u32_b32 v27, -1, v1
	v_lshlrev_b64 v[1:2], 3, v[11:12]
	v_cmp_gt_u32_e32 vcc, 64, v0
	v_cmp_gt_i32_e64 s[8:9], 4, v27
	s_and_b64 s[38:39], vcc, s[8:9]
	v_mov_b32_e32 v3, s28
	v_add_co_u32_e32 v14, vcc, s29, v1
	v_addc_co_u32_e32 v15, vcc, v3, v2, vcc
	v_lshlrev_b64 v[1:2], v27, -1
	s_waitcnt lgkmcnt(0)
	s_and_b32 s27, s0, 0xffff
	v_not_b32_e32 v32, v1
	v_lshrrev_b32_e32 v1, 2, v0
	s_lshl_b32 s35, s27, 2
	s_add_i32 s36, s27, -1
	v_and_b32_e32 v1, 0xf0, v1
	s_bfe_u32 s0, s0, 0xa0006
	s_add_i32 s1, s36, s24
	v_or_b32_e32 v33, 0xc00, v1
	v_cvt_f32_u32_e32 v1, s35
	s_cmpk_gt_u32 s24, 0x180
	s_cselect_b64 s[40:41], -1, 0
	s_cmp_gt_u32 s27, 63
	s_cselect_b64 s[42:43], -1, 0
	s_cmp_lt_u32 s6, s12
	s_cselect_b32 s6, 12, 18
	v_rcp_iflag_f32_e32 v1, v1
	s_add_u32 s8, s10, s6
	s_addc_u32 s9, s11, 0
	v_writelane_b32 v47, s8, 13
	s_add_i32 s6, s0, -1
	v_writelane_b32 v47, s9, 14
	s_bfe_u32 s8, s27, 0x30006
	s_and_b32 s6, s6, 0xffff
	v_mul_f32_e32 v1, 0x4f7ffffe, v1
	s_cmp_gt_u32 s6, 6
	v_cvt_u32_f32_e32 v1, v1
	s_cselect_b64 s[10:11], -1, 0
	v_writelane_b32 v47, s10, 15
	s_and_b32 s31, s0, 0x3f8
	v_writelane_b32 v47, s11, 16
	s_cmp_lg_u32 s8, 0
	v_writelane_b32 v47, s8, 17
	s_cselect_b64 s[8:9], -1, 0
	s_sub_i32 s0, 0, s35
	v_readfirstlane_b32 s6, v1
	v_cvt_f32_u32_e32 v1, s27
	s_mul_i32 s0, s0, s6
	s_mul_hi_u32 s0, s6, s0
	s_add_i32 s25, s6, s0
	s_mul_hi_u32 s0, s24, s25
	v_rcp_iflag_f32_e32 v4, v1
	s_mul_i32 s0, s0, s35
	s_sub_i32 s0, s24, s0
	s_sub_i32 s6, s0, s35
	s_cmp_ge_u32 s0, s35
	v_mul_f32_e32 v4, 0x4f7ffffe, v4
	s_cselect_b32 s0, s6, s0
	v_cvt_u32_f32_e32 v4, v4
	s_sub_i32 s6, s0, s35
	s_cmp_ge_u32 s0, s35
	s_cselect_b32 s0, s6, s0
	s_sub_i32 s30, s24, s0
	s_sub_i32 s6, 0, s27
	v_readfirstlane_b32 s12, v4
	v_add_u32_e32 v34, s30, v0
	s_mul_i32 s6, s6, s12
	v_mul_lo_u32 v12, v34, s26
	s_mul_hi_u32 s6, s12, s6
	s_add_i32 s44, s12, s6
	s_mul_hi_u32 s6, s1, s44
	s_mul_i32 s6, s6, s27
	v_not_b32_e32 v31, v2
	v_lshlrev_b64 v[1:2], 3, v[12:13]
	s_sub_i32 s6, s1, s6
	v_lshlrev_b32_e32 v26, 2, v0
	s_sub_i32 s12, s6, s27
	v_add_co_u32_e32 v16, vcc, s29, v1
	s_cmp_ge_u32 s6, s27
	v_mul_lo_u32 v1, s26, v26
	s_cselect_b32 s6, s12, s6
	s_sub_i32 s12, s6, s27
	s_cmp_ge_u32 s6, s27
	s_cselect_b32 s6, s12, s6
	v_add_u32_e32 v35, s26, v1
	v_or_b32_e32 v1, 2, v26
	s_sub_i32 s45, s1, s6
	v_mul_lo_u32 v36, s26, v1
	v_or_b32_e32 v1, 3, v26
	s_add_i32 s1, s27, s24
	v_mul_lo_u32 v37, s26, v1
	v_add_u32_e32 v1, s1, v0
	v_subrev_u32_e32 v1, s0, v1
	v_mul_lo_u32 v39, s26, v1
	v_mov_b32_e32 v5, s28
	v_lshlrev_b32_e32 v28, 3, v0
	v_lshlrev_b32_e32 v3, 2, v27
	v_writelane_b32 v47, s8, 18
	v_addc_co_u32_e32 v17, vcc, v5, v2, vcc
	s_mul_i32 s34, s26, s27
	v_mov_b32_e32 v18, 0
	v_mov_b32_e32 v20, 0
	;; [unrolled: 1-line block ×3, first 2 shown]
	s_mov_b32 s37, 0
	v_cmp_eq_u32_e64 s[4:5], 0, v27
	v_cmp_gt_u32_e64 s[20:21], 2, v0
	v_add_u32_e32 v29, 0xc00, v28
	v_and_b32_e32 v30, 0x100, v3
	v_writelane_b32 v47, s9, 19
	v_cmp_gt_u32_e64 s[8:9], s30, v26
	v_cmp_gt_u32_e64 s[10:11], s24, v34
	;; [unrolled: 1-line block ×3, first 2 shown]
	s_lshl_b32 s33, s34, 2
	v_lshlrev_b32_e32 v38, 2, v11
	v_lshlrev_b32_e32 v40, 5, v0
	s_lshl_b32 s46, s27, 5
	s_lshl_b32 s47, s27, 3
	v_or_b32_e32 v41, 0xc00, v3
	s_mov_b32 s48, 62
	s_mov_b64 s[50:51], 0
	v_mov_b32_e32 v42, s7
	v_mov_b32_e32 v19, 0
	;; [unrolled: 1-line block ×5, first 2 shown]
                                        ; implicit-def: $sgpr52_sgpr53
                                        ; implicit-def: $sgpr56_sgpr57
                                        ; implicit-def: $sgpr54_sgpr55
                                        ; implicit-def: $sgpr60_sgpr61
                                        ; implicit-def: $sgpr62_sgpr63
                                        ; implicit-def: $sgpr58_sgpr59
	s_branch .LBB113_20
.LBB113_17:                             ;   in Loop: Header=BB113_20 Depth=1
	s_or_b64 exec, exec, s[66:67]
	s_and_b64 s[18:19], s[18:19], exec
	s_andn2_b64 s[64:65], s[64:65], exec
	s_andn2_b64 s[22:23], s[22:23], exec
	s_orn2_b64 s[16:17], s[16:17], exec
.LBB113_18:                             ;   in Loop: Header=BB113_20 Depth=1
	s_or_b64 exec, exec, s[6:7]
	s_andn2_b64 s[6:7], s[58:59], exec
	s_and_b64 s[18:19], s[18:19], exec
	s_or_b64 s[58:59], s[6:7], s[18:19]
	s_andn2_b64 s[6:7], s[62:63], exec
	s_and_b64 s[18:19], s[64:65], exec
	s_or_b64 s[62:63], s[6:7], s[18:19]
	;; [unrolled: 3-line block ×3, first 2 shown]
	s_orn2_b64 s[16:17], s[16:17], exec
.LBB113_19:                             ;   in Loop: Header=BB113_20 Depth=1
	s_or_b64 exec, exec, s[14:15]
	s_and_b64 s[6:7], exec, s[16:17]
	s_or_b64 s[50:51], s[6:7], s[50:51]
	s_andn2_b64 s[6:7], s[54:55], exec
	s_and_b64 s[14:15], s[58:59], exec
	s_or_b64 s[54:55], s[6:7], s[14:15]
	s_andn2_b64 s[6:7], s[56:57], exec
	s_and_b64 s[14:15], s[62:63], exec
	;; [unrolled: 3-line block ×3, first 2 shown]
	s_or_b64 s[52:53], s[6:7], s[14:15]
	s_mov_b32 s37, s1
	s_mov_b32 s48, s0
	v_mov_b32_e32 v42, v8
	s_andn2_b64 exec, exec, s[50:51]
	s_cbranch_execz .LBB113_249
.LBB113_20:                             ; =>This Loop Header: Depth=1
                                        ;     Child Loop BB113_26 Depth 2
                                        ;     Child Loop BB113_39 Depth 2
	;; [unrolled: 1-line block ×16, first 2 shown]
	ds_read_b64 v[3:4], v13 offset:4104
	s_waitcnt lgkmcnt(0)
	v_readfirstlane_b32 s49, v3
	s_cmp_lg_u32 s49, 0
	s_cbranch_scc1 .LBB113_47
; %bb.21:                               ;   in Loop: Header=BB113_20 Depth=1
	s_and_b64 vcc, exec, s[40:41]
	s_cbranch_vccz .LBB113_34
; %bb.22:                               ;   in Loop: Header=BB113_20 Depth=1
	s_movk_i32 s0, 0x181
	v_cmp_gt_u32_e32 vcc, s0, v4
	s_mov_b64 s[16:17], 0
	s_mov_b64 s[6:7], 0
	s_cbranch_vccz .LBB113_35
; %bb.23:                               ;   in Loop: Header=BB113_20 Depth=1
	s_mov_b64 s[18:19], exec
	v_readlane_b32 s0, v47, 11
	v_readlane_b32 s1, v47, 12
	s_and_b64 s[0:1], s[18:19], s[0:1]
	s_mov_b64 exec, s[0:1]
	s_cbranch_execz .LBB113_134
; %bb.24:                               ;   in Loop: Header=BB113_20 Depth=1
	v_readlane_b32 s0, v47, 13
	v_readlane_b32 s1, v47, 14
	s_nop 4
	global_load_ushort v1, v13, s[0:1]
	global_load_dwordx2 v[3:4], v[14:15], off
	s_mov_b64 s[22:23], 0
	v_mov_b32_e32 v10, v0
	s_waitcnt vmcnt(1)
	v_add_u32_e32 v7, v0, v1
	v_mul_lo_u32 v12, s26, v7
	v_mul_lo_u32 v9, s26, v1
	s_branch .LBB113_26
.LBB113_25:                             ;   in Loop: Header=BB113_26 Depth=2
	s_or_b64 exec, exec, s[6:7]
	v_mov_b32_e32 v3, v7
	v_add_u32_e32 v12, v12, v9
	v_mov_b32_e32 v4, v8
	s_andn2_b64 exec, exec, s[22:23]
	s_cbranch_execz .LBB113_134
.LBB113_26:                             ;   Parent Loop BB113_20 Depth=1
                                        ; =>  This Inner Loop Header: Depth=2
	v_add_u32_e32 v10, v10, v1
	v_mov_b32_e32 v7, 0
	v_cmp_gt_u32_e64 s[6:7], s24, v10
	v_mov_b32_e32 v8, 0
	v_cmp_le_u32_e32 vcc, s24, v10
	s_and_saveexec_b64 s[14:15], s[6:7]
	s_cbranch_execz .LBB113_28
; %bb.27:                               ;   in Loop: Header=BB113_26 Depth=2
	v_lshlrev_b64 v[7:8], 3, v[12:13]
	s_waitcnt lgkmcnt(0)
	v_mov_b32_e32 v22, s28
	v_add_co_u32_e64 v7, s[6:7], s29, v7
	v_addc_co_u32_e64 v8, s[6:7], v22, v8, s[6:7]
	global_load_dwordx2 v[7:8], v[7:8], off
.LBB113_28:                             ;   in Loop: Header=BB113_26 Depth=2
	s_or_b64 exec, exec, s[14:15]
	s_waitcnt vmcnt(0)
	v_cmp_o_f64_e64 s[6:7], v[3:4], v[3:4]
	s_waitcnt lgkmcnt(0)
	v_ashrrev_i32_e32 v22, 31, v4
	v_or_b32_e32 v23, 0x80000000, v22
	v_xor_b32_e32 v23, v23, v4
	v_xor_b32_e32 v22, v22, v3
	v_cndmask_b32_e64 v23, -1, v23, s[6:7]
	v_cndmask_b32_e64 v22, -1, v22, s[6:7]
	v_and_b32_e32 v23, v23, v21
	v_and_b32_e32 v22, v22, v20
	v_cmp_eq_u64_e64 s[14:15], v[22:23], v[18:19]
	v_mov_b32_e32 v22, 0
	s_cmp_lg_u64 s[14:15], 0
	s_cselect_b64 s[0:1], -1, 0
	s_and_b64 s[0:1], s[4:5], s[0:1]
	s_and_saveexec_b64 s[64:65], s[0:1]
	s_cbranch_execz .LBB113_32
; %bb.29:                               ;   in Loop: Header=BB113_26 Depth=2
	s_mov_b64 s[68:69], exec
	v_mbcnt_lo_u32_b32 v22, s68, 0
	v_mbcnt_hi_u32_b32 v22, s69, v22
	s_bcnt1_i32_b64 s0, s[14:15]
	v_cmp_eq_u32_e64 s[6:7], 0, v22
                                        ; implicit-def: $vgpr23
	s_and_saveexec_b64 s[66:67], s[6:7]
; %bb.30:                               ;   in Loop: Header=BB113_26 Depth=2
	s_bcnt1_i32_b64 s1, s[68:69]
	s_mul_i32 s1, s0, s1
	v_mov_b32_e32 v23, s1
	ds_add_rtn_u32 v23, v13, v23 offset:4112
; %bb.31:                               ;   in Loop: Header=BB113_26 Depth=2
	s_or_b64 exec, exec, s[66:67]
	s_waitcnt lgkmcnt(0)
	v_readfirstlane_b32 s1, v23
	v_mov_b32_e32 v23, s1
	v_mad_u32_u24 v22, s0, v22, v23
.LBB113_32:                             ;   in Loop: Header=BB113_26 Depth=2
	s_or_b64 exec, exec, s[64:65]
	ds_bpermute_b32 v22, v30, v22
	s_and_b64 s[0:1], exec, vcc
	s_or_b64 s[22:23], s[0:1], s[22:23]
	s_and_saveexec_b64 s[6:7], s[14:15]
	s_cbranch_execz .LBB113_25
; %bb.33:                               ;   in Loop: Header=BB113_26 Depth=2
	v_and_b32_e32 v24, s14, v32
	v_and_b32_e32 v23, s15, v31
	v_bcnt_u32_b32 v24, v24, 0
	v_bcnt_u32_b32 v23, v23, v24
	v_lshlrev_b32_e32 v23, 3, v23
	s_waitcnt lgkmcnt(0)
	v_lshl_add_u32 v22, v22, 3, v23
	ds_write_b64 v22, v[3:4]
	s_branch .LBB113_25
.LBB113_34:                             ;   in Loop: Header=BB113_20 Depth=1
	s_mov_b64 s[16:17], -1
	s_mov_b64 s[6:7], 0
.LBB113_35:                             ;   in Loop: Header=BB113_20 Depth=1
	s_and_b64 vcc, exec, s[16:17]
	s_cbranch_vccz .LBB113_45
.LBB113_36:                             ;   in Loop: Header=BB113_20 Depth=1
	s_mov_b64 s[6:7], exec
	v_readlane_b32 s0, v47, 11
	v_readlane_b32 s1, v47, 12
	s_and_b64 s[0:1], s[6:7], s[0:1]
	s_mov_b64 exec, s[0:1]
	s_cbranch_execz .LBB113_42
; %bb.37:                               ;   in Loop: Header=BB113_20 Depth=1
	v_readlane_b32 s0, v47, 13
	v_readlane_b32 s1, v47, 14
	s_nop 4
	global_load_ushort v1, v13, s[0:1]
	global_load_dwordx2 v[3:4], v[14:15], off
	v_mov_b32_e32 v9, v0
	s_waitcnt vmcnt(1)
	v_add_u32_e32 v7, v0, v1
	v_cmp_gt_u32_e32 vcc, s24, v7
	s_and_saveexec_b64 s[14:15], vcc
	s_cbranch_execz .LBB113_41
; %bb.38:                               ;   in Loop: Header=BB113_20 Depth=1
	v_mul_lo_u32 v12, s26, v7
	v_mul_lo_u32 v22, s26, v1
	v_lshlrev_b32_e32 v10, 3, v1
	s_mov_b64 s[16:17], 0
	v_mov_b32_e32 v23, v28
	v_mov_b32_e32 v9, v0
.LBB113_39:                             ;   Parent Loop BB113_20 Depth=1
                                        ; =>  This Inner Loop Header: Depth=2
	v_lshlrev_b64 v[7:8], 3, v[12:13]
	v_mov_b32_e32 v24, s28
	v_add_co_u32_e32 v7, vcc, s29, v7
	v_addc_co_u32_e32 v8, vcc, v24, v8, vcc
	global_load_dwordx2 v[7:8], v[7:8], off
	v_add_u32_e32 v9, v9, v1
	s_waitcnt vmcnt(1)
	ds_write_b64 v23, v[3:4]
	v_add_u32_e32 v3, v1, v9
	v_cmp_le_u32_e32 vcc, s24, v3
	v_add_u32_e32 v23, v23, v10
	v_add_u32_e32 v12, v12, v22
	s_or_b64 s[16:17], vcc, s[16:17]
	s_waitcnt vmcnt(0)
	v_mov_b32_e32 v3, v7
	v_mov_b32_e32 v4, v8
	s_andn2_b64 exec, exec, s[16:17]
	s_cbranch_execnz .LBB113_39
; %bb.40:                               ;   in Loop: Header=BB113_20 Depth=1
	s_or_b64 exec, exec, s[16:17]
	v_mov_b32_e32 v3, v7
	v_mov_b32_e32 v4, v8
.LBB113_41:                             ;   in Loop: Header=BB113_20 Depth=1
	s_or_b64 exec, exec, s[14:15]
	v_lshlrev_b32_e32 v1, 3, v9
	s_waitcnt vmcnt(0)
	ds_write_b64 v1, v[3:4]
.LBB113_42:                             ;   in Loop: Header=BB113_20 Depth=1
	s_or_b64 exec, exec, s[6:7]
	s_waitcnt lgkmcnt(0)
	s_barrier
	s_and_saveexec_b64 s[6:7], s[2:3]
; %bb.43:                               ;   in Loop: Header=BB113_20 Depth=1
	v_mov_b32_e32 v1, s24
	ds_write_b32 v13, v1 offset:4104
; %bb.44:                               ;   in Loop: Header=BB113_20 Depth=1
	s_or_b64 exec, exec, s[6:7]
	s_mov_b64 s[6:7], -1
	s_waitcnt lgkmcnt(0)
	s_barrier
.LBB113_45:                             ;   in Loop: Header=BB113_20 Depth=1
	s_mov_b32 s49, 0
	s_and_b64 vcc, exec, s[6:7]
	s_cbranch_vccz .LBB113_47
; %bb.46:                               ;   in Loop: Header=BB113_20 Depth=1
	ds_read_b32 v1, v13 offset:4104
	s_waitcnt lgkmcnt(0)
	v_readfirstlane_b32 s49, v1
.LBB113_47:                             ;   in Loop: Header=BB113_20 Depth=1
	s_cmp_lt_i32 s49, 1
	s_mov_b64 s[6:7], -1
                                        ; implicit-def: $vgpr7
	s_cbranch_scc1 .LBB113_57
; %bb.48:                               ;   in Loop: Header=BB113_20 Depth=1
	s_and_b64 vcc, exec, s[6:7]
	s_cbranch_vccnz .LBB113_68
.LBB113_49:                             ;   in Loop: Header=BB113_20 Depth=1
	s_lshl_b32 s0, s37, 6
	s_and_saveexec_b64 s[6:7], s[4:5]
.LBB113_50:                             ;   in Loop: Header=BB113_20 Depth=1
	v_lshl_add_u32 v1, s0, 2, v33
	ds_write_b128 v1, v[7:10]
.LBB113_51:                             ;   in Loop: Header=BB113_20 Depth=1
	s_or_b64 exec, exec, s[6:7]
	s_waitcnt lgkmcnt(0)
	s_barrier
	s_and_saveexec_b64 s[6:7], s[38:39]
	s_cbranch_execz .LBB113_82
; %bb.52:                               ;   in Loop: Header=BB113_20 Depth=1
	s_andn2_b64 vcc, exec, s[42:43]
	v_mov_b32_e32 v1, 0
	s_cbranch_vccnz .LBB113_81
; %bb.53:                               ;   in Loop: Header=BB113_20 Depth=1
	v_readlane_b32 s14, v47, 15
	v_readlane_b32 s15, v47, 16
	s_andn2_b64 vcc, exec, s[14:15]
	s_cbranch_vccnz .LBB113_77
; %bb.54:                               ;   in Loop: Header=BB113_20 Depth=1
	v_lshl_add_u32 v3, s37, 8, v41
	s_mov_b32 s1, 0
	v_mov_b32_e32 v1, 0
.LBB113_55:                             ;   Parent Loop BB113_20 Depth=1
                                        ; =>  This Inner Loop Header: Depth=2
	ds_read2_b32 v[7:8], v3 offset1:4
	ds_read2_b32 v[9:10], v3 offset0:8 offset1:12
	ds_read2_b32 v[22:23], v3 offset0:16 offset1:20
	;; [unrolled: 1-line block ×3, first 2 shown]
	s_add_i32 s1, s1, 8
	s_waitcnt lgkmcnt(3)
	v_add3_u32 v1, v7, v1, v8
	s_waitcnt lgkmcnt(2)
	v_add3_u32 v1, v9, v1, v10
	;; [unrolled: 2-line block ×3, first 2 shown]
	v_add_u32_e32 v3, 0x80, v3
	s_cmp_eq_u32 s31, s1
	s_waitcnt lgkmcnt(0)
	v_add3_u32 v1, v24, v1, v25
	s_cbranch_scc0 .LBB113_55
; %bb.56:                               ;   in Loop: Header=BB113_20 Depth=1
	s_mov_b32 s1, s31
	s_branch .LBB113_78
.LBB113_57:                             ;   in Loop: Header=BB113_20 Depth=1
	v_mov_b32_e32 v7, 0
	v_mov_b32_e32 v8, 0
	;; [unrolled: 1-line block ×4, first 2 shown]
	s_and_saveexec_b64 s[22:23], s[8:9]
	s_cbranch_execz .LBB113_61
; %bb.58:                               ;   in Loop: Header=BB113_20 Depth=1
	s_mov_b32 s66, 0
	s_mov_b64 s[64:65], 0
	s_mov_b32 s67, 0
	s_mov_b32 s68, 0
	;; [unrolled: 1-line block ×4, first 2 shown]
	v_mov_b32_e32 v1, v26
.LBB113_59:                             ;   Parent Loop BB113_20 Depth=1
                                        ; =>  This Inner Loop Header: Depth=2
	v_add_u32_e32 v12, s66, v38
	v_lshlrev_b64 v[3:4], 3, v[12:13]
	v_mov_b32_e32 v24, s28
	v_add_co_u32_e32 v3, vcc, s29, v3
	v_addc_co_u32_e32 v4, vcc, v24, v4, vcc
	global_load_dwordx2 v[3:4], v[3:4], off
	v_add_u32_e32 v12, s66, v35
	v_lshlrev_b64 v[7:8], 3, v[12:13]
	v_add_u32_e32 v12, s66, v36
	v_add_co_u32_e32 v7, vcc, s29, v7
	v_addc_co_u32_e32 v8, vcc, v24, v8, vcc
	global_load_dwordx2 v[7:8], v[7:8], off
	v_lshlrev_b64 v[9:10], 3, v[12:13]
	v_add_u32_e32 v12, s66, v37
	v_add_co_u32_e32 v9, vcc, s29, v9
	v_addc_co_u32_e32 v10, vcc, v24, v10, vcc
	global_load_dwordx2 v[9:10], v[9:10], off
	;; [unrolled: 5-line block ×3, first 2 shown]
	s_add_i32 s66, s66, s33
	s_waitcnt vmcnt(3)
	v_cmp_o_f64_e32 vcc, v[3:4], v[3:4]
	v_ashrrev_i32_e32 v12, 31, v4
	v_or_b32_e32 v24, 0x80000000, v12
	v_xor_b32_e32 v4, v24, v4
	v_xor_b32_e32 v3, v12, v3
	s_waitcnt vmcnt(2)
	v_ashrrev_i32_e32 v12, 31, v8
	v_cndmask_b32_e32 v4, -1, v4, vcc
	v_cndmask_b32_e32 v3, -1, v3, vcc
	v_cmp_o_f64_e32 vcc, v[7:8], v[7:8]
	v_or_b32_e32 v24, 0x80000000, v12
	v_xor_b32_e32 v8, v24, v8
	v_xor_b32_e32 v7, v12, v7
	v_cndmask_b32_e32 v25, -1, v8, vcc
	v_cndmask_b32_e32 v24, -1, v7, vcc
	s_waitcnt vmcnt(1)
	v_cmp_o_f64_e32 vcc, v[9:10], v[9:10]
	v_ashrrev_i32_e32 v7, 31, v10
	v_or_b32_e32 v8, 0x80000000, v7
	v_xor_b32_e32 v8, v8, v10
	v_xor_b32_e32 v7, v7, v9
	v_cndmask_b32_e32 v10, -1, v8, vcc
	v_cndmask_b32_e32 v9, -1, v7, vcc
	s_waitcnt vmcnt(0)
	v_cmp_o_f64_e32 vcc, v[22:23], v[22:23]
	v_ashrrev_i32_e32 v7, 31, v23
	v_or_b32_e32 v8, 0x80000000, v7
	v_xor_b32_e32 v8, v8, v23
	v_xor_b32_e32 v7, v7, v22
	v_and_b32_e32 v23, v4, v21
	v_and_b32_e32 v22, v3, v20
	v_lshrrev_b64 v[3:4], s48, v[3:4]
	v_cndmask_b32_e32 v8, -1, v8, vcc
	v_and_b32_e32 v12, 3, v3
	v_lshrrev_b64 v[3:4], s48, v[24:25]
	v_cndmask_b32_e32 v7, -1, v7, vcc
	v_cmp_eq_u64_e32 vcc, v[22:23], v[18:19]
	v_and_b32_e32 v23, v25, v21
	v_and_b32_e32 v22, v24, v20
	v_cmp_eq_u64_e64 s[6:7], 0, v[12:13]
	v_cmp_eq_u64_e64 s[14:15], v[22:23], v[18:19]
	v_and_b32_e32 v23, v10, v21
	v_and_b32_e32 v22, v9, v20
	;; [unrolled: 1-line block ×3, first 2 shown]
	v_mov_b32_e32 v4, v13
	v_lshrrev_b64 v[9:10], s48, v[9:10]
	s_and_b64 s[0:1], vcc, s[6:7]
	v_cmp_eq_u64_e64 s[6:7], 0, v[3:4]
	v_cmp_eq_u64_e64 s[16:17], v[22:23], v[18:19]
	v_and_b32_e32 v23, v8, v21
	v_and_b32_e32 v22, v7, v20
	;; [unrolled: 1-line block ×3, first 2 shown]
	v_mov_b32_e32 v10, v13
	v_lshrrev_b64 v[7:8], s48, v[7:8]
	s_and_b64 s[72:73], s[14:15], s[6:7]
	v_cmp_eq_u64_e64 s[6:7], 0, v[9:10]
	v_and_b32_e32 v7, 3, v7
	v_mov_b32_e32 v8, v13
	v_cmp_eq_u64_e64 s[18:19], v[22:23], v[18:19]
	s_and_b64 s[74:75], s[16:17], s[6:7]
	v_cmp_eq_u64_e64 s[6:7], 0, v[7:8]
	v_cndmask_b32_e64 v22, 0, 1, s[0:1]
	s_and_b64 s[76:77], s[18:19], s[6:7]
	v_cmp_ne_u32_e64 s[6:7], 0, v22
	v_cndmask_b32_e64 v22, 0, 1, s[72:73]
	s_bcnt1_i32_b64 s0, s[6:7]
	v_cmp_ne_u32_e64 s[6:7], 0, v22
	v_cndmask_b32_e64 v22, 0, 1, s[74:75]
	s_bcnt1_i32_b64 s1, s[6:7]
	v_cmp_ne_u32_e64 s[6:7], 0, v22
	v_cndmask_b32_e64 v22, 0, 1, s[76:77]
	s_add_i32 s0, s70, s0
	s_bcnt1_i32_b64 s71, s[6:7]
	v_cmp_ne_u32_e64 s[6:7], 0, v22
	s_add_i32 s0, s0, s1
	s_bcnt1_i32_b64 s6, s[6:7]
	s_add_i32 s0, s0, s71
	s_add_i32 s70, s0, s6
	v_cmp_eq_u64_e64 s[6:7], 1, v[12:13]
	s_and_b64 s[0:1], vcc, s[6:7]
	v_cmp_eq_u64_e64 s[6:7], 1, v[3:4]
	v_cndmask_b32_e64 v22, 0, 1, s[0:1]
	s_and_b64 s[72:73], s[14:15], s[6:7]
	v_cmp_eq_u64_e64 s[6:7], 1, v[9:10]
	s_and_b64 s[74:75], s[16:17], s[6:7]
	v_cmp_eq_u64_e64 s[6:7], 1, v[7:8]
	s_and_b64 s[76:77], s[18:19], s[6:7]
	v_cmp_ne_u32_e64 s[6:7], 0, v22
	v_cndmask_b32_e64 v22, 0, 1, s[72:73]
	s_bcnt1_i32_b64 s0, s[6:7]
	v_cmp_ne_u32_e64 s[6:7], 0, v22
	v_cndmask_b32_e64 v22, 0, 1, s[74:75]
	s_bcnt1_i32_b64 s1, s[6:7]
	v_cmp_ne_u32_e64 s[6:7], 0, v22
	v_cndmask_b32_e64 v22, 0, 1, s[76:77]
	s_add_i32 s0, s69, s0
	s_bcnt1_i32_b64 s71, s[6:7]
	v_cmp_ne_u32_e64 s[6:7], 0, v22
	s_add_i32 s0, s0, s1
	s_bcnt1_i32_b64 s6, s[6:7]
	s_add_i32 s0, s0, s71
	s_add_i32 s69, s0, s6
	v_cmp_eq_u64_e64 s[6:7], 2, v[12:13]
	s_and_b64 s[0:1], vcc, s[6:7]
	v_cmp_eq_u64_e64 s[6:7], 2, v[3:4]
	v_cndmask_b32_e64 v22, 0, 1, s[0:1]
	s_and_b64 s[72:73], s[14:15], s[6:7]
	v_cmp_eq_u64_e64 s[6:7], 2, v[9:10]
	s_and_b64 s[74:75], s[16:17], s[6:7]
	v_cmp_eq_u64_e64 s[6:7], 2, v[7:8]
	s_and_b64 s[76:77], s[18:19], s[6:7]
	v_cmp_ne_u32_e64 s[6:7], 0, v22
	v_cndmask_b32_e64 v22, 0, 1, s[72:73]
	s_bcnt1_i32_b64 s0, s[6:7]
	v_cmp_ne_u32_e64 s[6:7], 0, v22
	v_cndmask_b32_e64 v22, 0, 1, s[74:75]
	s_bcnt1_i32_b64 s1, s[6:7]
	v_cmp_ne_u32_e64 s[6:7], 0, v22
	v_cndmask_b32_e64 v22, 0, 1, s[76:77]
	s_add_i32 s0, s68, s0
	s_bcnt1_i32_b64 s71, s[6:7]
	v_cmp_ne_u32_e64 s[6:7], 0, v22
	s_add_i32 s0, s0, s1
	s_bcnt1_i32_b64 s6, s[6:7]
	s_add_i32 s0, s0, s71
	s_add_i32 s68, s0, s6
	v_cmp_eq_u64_e64 s[6:7], 3, v[12:13]
	s_and_b64 s[0:1], vcc, s[6:7]
	v_cmp_eq_u64_e32 vcc, 3, v[3:4]
	v_cndmask_b32_e64 v3, 0, 1, s[0:1]
	s_and_b64 s[6:7], s[14:15], vcc
	v_cmp_eq_u64_e32 vcc, 3, v[9:10]
	v_mov_b32_e32 v9, s68
	s_and_b64 s[14:15], s[16:17], vcc
	v_cmp_eq_u64_e32 vcc, 3, v[7:8]
	v_mov_b32_e32 v7, s70
	s_and_b64 s[16:17], s[18:19], vcc
	v_cmp_ne_u32_e32 vcc, 0, v3
	v_cndmask_b32_e64 v3, 0, 1, s[6:7]
	s_bcnt1_i32_b64 s0, vcc
	v_cmp_ne_u32_e32 vcc, 0, v3
	v_cndmask_b32_e64 v3, 0, 1, s[14:15]
	s_bcnt1_i32_b64 s1, vcc
	v_cmp_ne_u32_e32 vcc, 0, v3
	v_cndmask_b32_e64 v3, 0, 1, s[16:17]
	s_add_i32 s0, s67, s0
	s_bcnt1_i32_b64 s6, vcc
	v_cmp_ne_u32_e32 vcc, 0, v3
	s_add_i32 s0, s0, s1
	s_bcnt1_i32_b64 s7, vcc
	s_add_i32 s0, s0, s6
	s_add_i32 s67, s0, s7
	v_cmp_le_u32_e32 vcc, s30, v1
	s_or_b64 s[64:65], vcc, s[64:65]
	v_mov_b32_e32 v8, s69
	v_mov_b32_e32 v10, s67
	s_andn2_b64 exec, exec, s[64:65]
	s_cbranch_execnz .LBB113_59
; %bb.60:                               ;   in Loop: Header=BB113_20 Depth=1
	s_or_b64 exec, exec, s[64:65]
.LBB113_61:                             ;   in Loop: Header=BB113_20 Depth=1
	s_or_b64 exec, exec, s[22:23]
	s_and_saveexec_b64 s[14:15], s[10:11]
	s_cbranch_execz .LBB113_67
; %bb.62:                               ;   in Loop: Header=BB113_20 Depth=1
	global_load_dwordx2 v[24:25], v[16:17], off
	s_mov_b64 s[16:17], 0
	v_mov_b32_e32 v3, v39
	v_mov_b32_e32 v1, v34
	s_branch .LBB113_64
.LBB113_63:                             ;   in Loop: Header=BB113_64 Depth=2
	s_or_b64 exec, exec, s[18:19]
	s_waitcnt vmcnt(0)
	v_cmp_o_f64_e64 s[6:7], v[24:25], v[24:25]
	v_ashrrev_i32_e32 v4, 31, v25
	v_or_b32_e32 v12, 0x80000000, v4
	v_xor_b32_e32 v12, v12, v25
	v_xor_b32_e32 v4, v4, v24
	s_and_b64 s[0:1], exec, vcc
	s_or_b64 s[16:17], s[0:1], s[16:17]
	v_add_u32_e32 v3, s34, v3
	v_cndmask_b32_e64 v25, -1, v12, s[6:7]
	v_cndmask_b32_e64 v24, -1, v4, s[6:7]
	v_and_b32_e32 v44, v25, v21
	v_and_b32_e32 v43, v24, v20
	v_lshrrev_b64 v[24:25], s48, v[24:25]
	v_cmp_eq_u64_e32 vcc, v[43:44], v[18:19]
	v_and_b32_e32 v12, 3, v24
	v_cmp_eq_u64_e64 s[6:7], 0, v[12:13]
	v_mov_b32_e32 v25, v23
	s_and_b64 s[0:1], vcc, s[6:7]
	v_cndmask_b32_e64 v4, 0, 1, s[0:1]
	v_cmp_ne_u32_e64 s[6:7], 0, v4
	s_bcnt1_i32_b64 s0, s[6:7]
	v_cmp_eq_u64_e64 s[6:7], 1, v[12:13]
	v_add_u32_e32 v7, s0, v7
	s_and_b64 s[0:1], vcc, s[6:7]
	v_cndmask_b32_e64 v4, 0, 1, s[0:1]
	v_cmp_ne_u32_e64 s[6:7], 0, v4
	s_bcnt1_i32_b64 s0, s[6:7]
	v_cmp_eq_u64_e64 s[6:7], 2, v[12:13]
	v_add_u32_e32 v8, s0, v8
	;; [unrolled: 6-line block ×3, first 2 shown]
	s_and_b64 s[0:1], vcc, s[6:7]
	v_cndmask_b32_e64 v4, 0, 1, s[0:1]
	v_cmp_ne_u32_e32 vcc, 0, v4
	s_bcnt1_i32_b64 s0, vcc
	v_add_u32_e32 v10, s0, v10
	v_mov_b32_e32 v24, v22
	s_andn2_b64 exec, exec, s[16:17]
	s_cbranch_execz .LBB113_66
.LBB113_64:                             ;   Parent Loop BB113_20 Depth=1
                                        ; =>  This Inner Loop Header: Depth=2
	v_add_u32_e32 v1, s27, v1
	v_mov_b32_e32 v22, 0
	v_cmp_gt_u32_e64 s[6:7], s24, v1
	v_mov_b32_e32 v23, 0
	v_cmp_le_u32_e32 vcc, s24, v1
	s_and_saveexec_b64 s[18:19], s[6:7]
	s_cbranch_execz .LBB113_63
; %bb.65:                               ;   in Loop: Header=BB113_64 Depth=2
	v_mov_b32_e32 v4, v13
	v_lshlrev_b64 v[22:23], 3, v[3:4]
	v_mov_b32_e32 v4, s28
	v_add_co_u32_e64 v22, s[6:7], s29, v22
	v_addc_co_u32_e64 v23, s[6:7], v4, v23, s[6:7]
	global_load_dwordx2 v[22:23], v[22:23], off
	s_branch .LBB113_63
.LBB113_66:                             ;   in Loop: Header=BB113_20 Depth=1
	s_or_b64 exec, exec, s[16:17]
.LBB113_67:                             ;   in Loop: Header=BB113_20 Depth=1
	s_or_b64 exec, exec, s[14:15]
	s_branch .LBB113_49
.LBB113_68:                             ;   in Loop: Header=BB113_20 Depth=1
	s_mul_hi_u32 s0, s49, s25
	s_mul_i32 s0, s0, s35
	s_sub_i32 s0, s49, s0
	s_sub_i32 s1, s0, s35
	s_cmp_ge_u32 s0, s35
	s_cselect_b32 s0, s1, s0
	s_sub_i32 s1, s0, s35
	s_cmp_ge_u32 s0, s35
	s_cselect_b32 s0, s1, s0
	s_sub_i32 s66, s49, s0
	v_cmp_gt_u32_e32 vcc, s66, v26
	v_mov_b32_e32 v7, 0
	v_mov_b32_e32 v8, 0
	;; [unrolled: 1-line block ×4, first 2 shown]
	s_and_saveexec_b64 s[22:23], vcc
	s_cbranch_execz .LBB113_72
; %bb.69:                               ;   in Loop: Header=BB113_20 Depth=1
	s_mov_b32 s67, 0
	s_mov_b64 s[64:65], 0
	v_mov_b32_e32 v1, v40
	s_mov_b32 s68, 0
	s_mov_b32 s69, 0
	;; [unrolled: 1-line block ×3, first 2 shown]
	v_mov_b32_e32 v22, v26
.LBB113_70:                             ;   Parent Loop BB113_20 Depth=1
                                        ; =>  This Inner Loop Header: Depth=2
	ds_read_b128 v[7:10], v1
	ds_read_b128 v[43:46], v1 offset:16
	v_add_u32_e32 v22, s35, v22
	v_add_u32_e32 v1, s46, v1
	s_waitcnt lgkmcnt(1)
	v_cmp_o_f64_e32 vcc, v[7:8], v[7:8]
	v_ashrrev_i32_e32 v3, 31, v8
	v_or_b32_e32 v4, 0x80000000, v3
	v_xor_b32_e32 v4, v4, v8
	v_xor_b32_e32 v3, v3, v7
	v_ashrrev_i32_e32 v7, 31, v10
	v_or_b32_e32 v8, 0x80000000, v7
	v_xor_b32_e32 v8, v8, v10
	v_cndmask_b32_e32 v4, -1, v4, vcc
	v_cndmask_b32_e32 v3, -1, v3, vcc
	v_cmp_o_f64_e32 vcc, v[9:10], v[9:10]
	v_xor_b32_e32 v7, v7, v9
	v_cndmask_b32_e32 v24, -1, v8, vcc
	v_cndmask_b32_e32 v23, -1, v7, vcc
	s_waitcnt lgkmcnt(0)
	v_cmp_o_f64_e32 vcc, v[43:44], v[43:44]
	v_ashrrev_i32_e32 v7, 31, v44
	v_or_b32_e32 v8, 0x80000000, v7
	v_xor_b32_e32 v8, v8, v44
	v_xor_b32_e32 v7, v7, v43
	v_and_b32_e32 v44, v4, v21
	v_and_b32_e32 v43, v3, v20
	v_lshrrev_b64 v[3:4], s48, v[3:4]
	v_cndmask_b32_e32 v10, -1, v8, vcc
	v_cndmask_b32_e32 v9, -1, v7, vcc
	v_cmp_o_f64_e32 vcc, v[45:46], v[45:46]
	v_ashrrev_i32_e32 v7, 31, v46
	v_or_b32_e32 v8, 0x80000000, v7
	v_xor_b32_e32 v8, v8, v46
	v_xor_b32_e32 v7, v7, v45
	v_and_b32_e32 v12, 3, v3
	v_lshrrev_b64 v[3:4], s48, v[23:24]
	v_cmp_eq_u64_e64 s[6:7], 0, v[12:13]
	v_cndmask_b32_e32 v8, -1, v8, vcc
	v_cndmask_b32_e32 v7, -1, v7, vcc
	v_cmp_eq_u64_e32 vcc, v[43:44], v[18:19]
	v_and_b32_e32 v44, v24, v21
	v_and_b32_e32 v43, v23, v20
	v_cmp_eq_u64_e64 s[14:15], v[43:44], v[18:19]
	v_and_b32_e32 v44, v10, v21
	v_and_b32_e32 v43, v9, v20
	v_and_b32_e32 v3, 3, v3
	v_mov_b32_e32 v4, v13
	v_lshrrev_b64 v[9:10], s48, v[9:10]
	s_and_b64 s[0:1], vcc, s[6:7]
	v_cmp_eq_u64_e64 s[6:7], 0, v[3:4]
	v_cmp_eq_u64_e64 s[16:17], v[43:44], v[18:19]
	v_and_b32_e32 v44, v8, v21
	v_and_b32_e32 v43, v7, v20
	;; [unrolled: 1-line block ×3, first 2 shown]
	v_mov_b32_e32 v10, v13
	v_lshrrev_b64 v[7:8], s48, v[7:8]
	s_and_b64 s[72:73], s[14:15], s[6:7]
	v_cmp_eq_u64_e64 s[6:7], 0, v[9:10]
	v_and_b32_e32 v7, 3, v7
	v_mov_b32_e32 v8, v13
	v_cmp_eq_u64_e64 s[18:19], v[43:44], v[18:19]
	s_and_b64 s[74:75], s[16:17], s[6:7]
	v_cmp_eq_u64_e64 s[6:7], 0, v[7:8]
	v_cndmask_b32_e64 v23, 0, 1, s[0:1]
	s_and_b64 s[76:77], s[18:19], s[6:7]
	v_cmp_ne_u32_e64 s[6:7], 0, v23
	v_cndmask_b32_e64 v23, 0, 1, s[72:73]
	s_bcnt1_i32_b64 s0, s[6:7]
	v_cmp_ne_u32_e64 s[6:7], 0, v23
	v_cndmask_b32_e64 v23, 0, 1, s[74:75]
	s_bcnt1_i32_b64 s1, s[6:7]
	v_cmp_ne_u32_e64 s[6:7], 0, v23
	v_cndmask_b32_e64 v23, 0, 1, s[76:77]
	s_add_i32 s0, s70, s0
	s_bcnt1_i32_b64 s71, s[6:7]
	v_cmp_ne_u32_e64 s[6:7], 0, v23
	s_add_i32 s0, s0, s1
	s_bcnt1_i32_b64 s6, s[6:7]
	s_add_i32 s0, s0, s71
	s_add_i32 s70, s0, s6
	v_cmp_eq_u64_e64 s[6:7], 1, v[12:13]
	s_and_b64 s[0:1], vcc, s[6:7]
	v_cmp_eq_u64_e64 s[6:7], 1, v[3:4]
	v_cndmask_b32_e64 v23, 0, 1, s[0:1]
	s_and_b64 s[72:73], s[14:15], s[6:7]
	v_cmp_eq_u64_e64 s[6:7], 1, v[9:10]
	s_and_b64 s[74:75], s[16:17], s[6:7]
	v_cmp_eq_u64_e64 s[6:7], 1, v[7:8]
	s_and_b64 s[76:77], s[18:19], s[6:7]
	v_cmp_ne_u32_e64 s[6:7], 0, v23
	v_cndmask_b32_e64 v23, 0, 1, s[72:73]
	s_bcnt1_i32_b64 s0, s[6:7]
	v_cmp_ne_u32_e64 s[6:7], 0, v23
	v_cndmask_b32_e64 v23, 0, 1, s[74:75]
	s_bcnt1_i32_b64 s1, s[6:7]
	v_cmp_ne_u32_e64 s[6:7], 0, v23
	v_cndmask_b32_e64 v23, 0, 1, s[76:77]
	s_add_i32 s0, s69, s0
	s_bcnt1_i32_b64 s71, s[6:7]
	v_cmp_ne_u32_e64 s[6:7], 0, v23
	s_add_i32 s0, s0, s1
	s_bcnt1_i32_b64 s6, s[6:7]
	s_add_i32 s0, s0, s71
	s_add_i32 s69, s0, s6
	v_cmp_eq_u64_e64 s[6:7], 2, v[12:13]
	s_and_b64 s[0:1], vcc, s[6:7]
	v_cmp_eq_u64_e64 s[6:7], 2, v[3:4]
	v_cndmask_b32_e64 v23, 0, 1, s[0:1]
	s_and_b64 s[72:73], s[14:15], s[6:7]
	v_cmp_eq_u64_e64 s[6:7], 2, v[9:10]
	s_and_b64 s[74:75], s[16:17], s[6:7]
	v_cmp_eq_u64_e64 s[6:7], 2, v[7:8]
	s_and_b64 s[76:77], s[18:19], s[6:7]
	v_cmp_ne_u32_e64 s[6:7], 0, v23
	v_cndmask_b32_e64 v23, 0, 1, s[72:73]
	s_bcnt1_i32_b64 s0, s[6:7]
	v_cmp_ne_u32_e64 s[6:7], 0, v23
	v_cndmask_b32_e64 v23, 0, 1, s[74:75]
	s_bcnt1_i32_b64 s1, s[6:7]
	v_cmp_ne_u32_e64 s[6:7], 0, v23
	v_cndmask_b32_e64 v23, 0, 1, s[76:77]
	s_add_i32 s0, s68, s0
	s_bcnt1_i32_b64 s71, s[6:7]
	v_cmp_ne_u32_e64 s[6:7], 0, v23
	s_add_i32 s0, s0, s1
	s_bcnt1_i32_b64 s6, s[6:7]
	s_add_i32 s0, s0, s71
	s_add_i32 s68, s0, s6
	v_cmp_eq_u64_e64 s[6:7], 3, v[12:13]
	s_and_b64 s[0:1], vcc, s[6:7]
	v_cmp_eq_u64_e32 vcc, 3, v[3:4]
	v_cndmask_b32_e64 v3, 0, 1, s[0:1]
	s_and_b64 s[6:7], s[14:15], vcc
	v_cmp_eq_u64_e32 vcc, 3, v[9:10]
	v_mov_b32_e32 v9, s68
	s_and_b64 s[14:15], s[16:17], vcc
	v_cmp_eq_u64_e32 vcc, 3, v[7:8]
	v_mov_b32_e32 v7, s70
	s_and_b64 s[16:17], s[18:19], vcc
	v_cmp_ne_u32_e32 vcc, 0, v3
	v_cndmask_b32_e64 v3, 0, 1, s[6:7]
	s_bcnt1_i32_b64 s0, vcc
	v_cmp_ne_u32_e32 vcc, 0, v3
	v_cndmask_b32_e64 v3, 0, 1, s[14:15]
	s_bcnt1_i32_b64 s1, vcc
	v_cmp_ne_u32_e32 vcc, 0, v3
	v_cndmask_b32_e64 v3, 0, 1, s[16:17]
	s_add_i32 s0, s67, s0
	s_bcnt1_i32_b64 s6, vcc
	v_cmp_ne_u32_e32 vcc, 0, v3
	s_add_i32 s0, s0, s1
	s_bcnt1_i32_b64 s7, vcc
	s_add_i32 s0, s0, s6
	s_add_i32 s67, s0, s7
	v_cmp_le_u32_e32 vcc, s66, v22
	s_or_b64 s[64:65], vcc, s[64:65]
	v_mov_b32_e32 v8, s69
	v_mov_b32_e32 v10, s67
	s_andn2_b64 exec, exec, s[64:65]
	s_cbranch_execnz .LBB113_70
; %bb.71:                               ;   in Loop: Header=BB113_20 Depth=1
	s_or_b64 exec, exec, s[64:65]
.LBB113_72:                             ;   in Loop: Header=BB113_20 Depth=1
	s_or_b64 exec, exec, s[22:23]
	v_add_u32_e32 v1, s66, v0
	v_cmp_gt_u32_e32 vcc, s49, v1
	s_and_saveexec_b64 s[64:65], vcc
	s_cbranch_execz .LBB113_76
; %bb.73:                               ;   in Loop: Header=BB113_20 Depth=1
	v_lshlrev_b32_e32 v3, 3, v1
	s_mov_b64 s[66:67], 0
.LBB113_74:                             ;   Parent Loop BB113_20 Depth=1
                                        ; =>  This Inner Loop Header: Depth=2
	ds_read_b64 v[22:23], v3
	v_add_u32_e32 v1, s27, v1
	v_cmp_le_u32_e32 vcc, s49, v1
	v_add_u32_e32 v3, s47, v3
	s_waitcnt lgkmcnt(0)
	v_cmp_o_f64_e64 s[6:7], v[22:23], v[22:23]
	v_ashrrev_i32_e32 v4, 31, v23
	v_or_b32_e32 v12, 0x80000000, v4
	v_xor_b32_e32 v4, v4, v22
	v_xor_b32_e32 v12, v12, v23
	v_cndmask_b32_e64 v23, -1, v12, s[6:7]
	v_cndmask_b32_e64 v22, -1, v4, s[6:7]
	v_and_b32_e32 v25, v23, v21
	v_and_b32_e32 v24, v22, v20
	v_lshrrev_b64 v[22:23], s48, v[22:23]
	v_cmp_eq_u64_e64 s[6:7], v[24:25], v[18:19]
	v_and_b32_e32 v12, 3, v22
	v_cmp_eq_u64_e64 s[14:15], 0, v[12:13]
	v_cmp_eq_u64_e64 s[16:17], 1, v[12:13]
	;; [unrolled: 1-line block ×3, first 2 shown]
	s_and_b64 s[0:1], s[6:7], s[14:15]
	v_cmp_eq_u64_e64 s[22:23], 3, v[12:13]
	v_cndmask_b32_e64 v4, 0, 1, s[0:1]
	s_and_b64 s[0:1], s[6:7], s[16:17]
	v_cndmask_b32_e64 v12, 0, 1, s[0:1]
	s_and_b64 s[0:1], s[6:7], s[18:19]
	;; [unrolled: 2-line block ×3, first 2 shown]
	v_cndmask_b32_e64 v23, 0, 1, s[0:1]
	v_cmp_ne_u32_e64 s[6:7], 0, v4
	v_cmp_ne_u32_e64 s[14:15], 0, v12
	;; [unrolled: 1-line block ×4, first 2 shown]
	s_bcnt1_i32_b64 s0, s[6:7]
	s_bcnt1_i32_b64 s1, s[14:15]
	;; [unrolled: 1-line block ×4, first 2 shown]
	v_add_u32_e32 v7, s0, v7
	v_add_u32_e32 v8, s1, v8
	;; [unrolled: 1-line block ×3, first 2 shown]
	s_or_b64 s[66:67], vcc, s[66:67]
	v_add_u32_e32 v10, s7, v10
	s_andn2_b64 exec, exec, s[66:67]
	s_cbranch_execnz .LBB113_74
; %bb.75:                               ;   in Loop: Header=BB113_20 Depth=1
	s_or_b64 exec, exec, s[66:67]
.LBB113_76:                             ;   in Loop: Header=BB113_20 Depth=1
	s_or_b64 exec, exec, s[64:65]
	s_lshl_b32 s0, s37, 6
	s_and_saveexec_b64 s[6:7], s[4:5]
	s_cbranch_execnz .LBB113_50
	s_branch .LBB113_51
.LBB113_77:                             ;   in Loop: Header=BB113_20 Depth=1
	v_mov_b32_e32 v1, 0
	s_mov_b32 s1, 0
.LBB113_78:                             ;   in Loop: Header=BB113_20 Depth=1
	v_readlane_b32 s14, v47, 18
	v_readlane_b32 s15, v47, 19
	s_andn2_b64 vcc, exec, s[14:15]
	s_cbranch_vccnz .LBB113_81
; %bb.79:                               ;   in Loop: Header=BB113_20 Depth=1
	s_lshl_b32 s14, s37, 8
	s_lshl_b32 s1, s1, 4
	s_add_i32 s14, s14, s1
	v_add_u32_e32 v3, s14, v41
	v_readlane_b32 s1, v47, 17
.LBB113_80:                             ;   Parent Loop BB113_20 Depth=1
                                        ; =>  This Inner Loop Header: Depth=2
	ds_read_b32 v4, v3
	s_add_i32 s1, s1, -1
	v_add_u32_e32 v3, 16, v3
	s_cmp_lg_u32 s1, 0
	s_waitcnt lgkmcnt(0)
	v_add_u32_e32 v1, v4, v1
	s_cbranch_scc1 .LBB113_80
.LBB113_81:                             ;   in Loop: Header=BB113_20 Depth=1
	v_add_lshl_u32 v3, s0, v27, 2
	ds_write_b32 v3, v1 offset:3072
.LBB113_82:                             ;   in Loop: Header=BB113_20 Depth=1
	s_or_b64 exec, exec, s[6:7]
	s_lshl_b32 s0, s0, 2
	v_mov_b32_e32 v1, s0
	s_waitcnt lgkmcnt(0)
	s_barrier
	ds_read_b128 v[7:10], v1 offset:3072
	s_lshl_b64 s[6:7], 3, s48
	s_not_b64 s[66:67], s[6:7]
	v_cmp_eq_u32_e32 vcc, 1, v42
	s_mov_b64 s[16:17], -1
	s_waitcnt lgkmcnt(0)
	v_readfirstlane_b32 s80, v7
	s_cmp_eq_u32 s80, 1
	s_cselect_b64 s[0:1], -1, 0
	v_readfirstlane_b32 s84, v8
	v_readfirstlane_b32 s92, v9
	;; [unrolled: 1-line block ×3, first 2 shown]
	s_and_b64 s[18:19], s[0:1], vcc
	s_mov_b64 s[68:69], -1
                                        ; implicit-def: $sgpr64_sgpr65
                                        ; implicit-def: $sgpr22_sgpr23
	s_and_saveexec_b64 s[14:15], s[18:19]
	s_cbranch_execz .LBB113_110
; %bb.83:                               ;   in Loop: Header=BB113_20 Depth=1
	ds_read_b32 v1, v13 offset:4104
	s_waitcnt lgkmcnt(0)
	s_barrier
	v_readfirstlane_b32 s0, v1
	s_and_saveexec_b64 s[22:23], s[20:21]
; %bb.84:                               ;   in Loop: Header=BB113_20 Depth=1
	v_mov_b32_e32 v12, v13
	ds_write_b64 v29, v[12:13]
; %bb.85:                               ;   in Loop: Header=BB113_20 Depth=1
	s_or_b64 exec, exec, s[22:23]
	v_and_b32_e32 v19, s67, v19
	v_and_b32_e32 v18, s66, v18
	v_or_b32_e32 v21, s7, v21
	v_or_b32_e32 v20, s6, v20
	s_mov_b64 s[22:23], -1
	s_mov_b64 s[64:65], 0
	s_cmp_eq_u32 s0, 0
	s_mov_b64 s[68:69], 0
	s_mov_b64 s[70:71], -1
	s_waitcnt lgkmcnt(0)
	s_barrier
                                        ; implicit-def: $vgpr5_vgpr6
	s_cbranch_scc1 .LBB113_97
; %bb.86:                               ;   in Loop: Header=BB113_20 Depth=1
	s_add_i32 s1, s0, s36
	s_mul_hi_u32 s68, s1, s44
	s_mul_i32 s68, s68, s27
	s_sub_i32 s68, s1, s68
	s_sub_i32 s69, s68, s27
	s_cmp_ge_u32 s68, s27
	s_cselect_b32 s68, s69, s68
	s_sub_i32 s69, s68, s27
	s_cmp_ge_u32 s68, s27
	s_cselect_b32 s68, s69, s68
	s_sub_i32 s1, s1, s68
	v_cmp_gt_u32_e32 vcc, s1, v0
	s_mov_b64 s[70:71], 0
	s_mov_b64 s[68:69], 0
                                        ; implicit-def: $vgpr5_vgpr6
	s_and_saveexec_b64 s[72:73], vcc
	s_cbranch_execz .LBB113_96
; %bb.87:                               ;   in Loop: Header=BB113_20 Depth=1
	v_mov_b32_e32 v7, v28
	v_mov_b32_e32 v8, v0
                                        ; implicit-def: $sgpr74_sgpr75
	s_branch .LBB113_91
.LBB113_88:                             ;   in Loop: Header=BB113_91 Depth=2
	s_or_b64 exec, exec, s[76:77]
	s_waitcnt lgkmcnt(0)
	s_barrier
	ds_read_b128 v[3:6], v13 offset:3072
	s_waitcnt lgkmcnt(0)
	s_barrier
	v_cmp_neq_f64_e32 vcc, 0, v[3:4]
	s_cbranch_vccnz .LBB113_94
; %bb.89:                               ;   in Loop: Header=BB113_91 Depth=2
	v_add_u32_e32 v8, s27, v8
	v_cmp_le_u32_e32 vcc, s1, v8
	v_add_u32_e32 v7, s47, v7
	s_mov_b64 s[76:77], 0
	s_orn2_b64 s[78:79], vcc, exec
.LBB113_90:                             ;   in Loop: Header=BB113_91 Depth=2
	s_and_b64 s[78:79], exec, s[78:79]
	s_or_b64 s[68:69], s[78:79], s[68:69]
	s_andn2_b64 s[74:75], s[74:75], exec
	s_and_b64 s[76:77], s[76:77], exec
	s_or_b64 s[74:75], s[74:75], s[76:77]
	s_andn2_b64 exec, exec, s[68:69]
	s_cbranch_execz .LBB113_95
.LBB113_91:                             ;   Parent Loop BB113_20 Depth=1
                                        ; =>  This Inner Loop Header: Depth=2
	v_cmp_gt_u32_e32 vcc, s0, v8
	s_and_saveexec_b64 s[76:77], vcc
	s_cbranch_execz .LBB113_88
; %bb.92:                               ;   in Loop: Header=BB113_91 Depth=2
	ds_read_b64 v[3:4], v7
	s_waitcnt lgkmcnt(0)
	v_cmp_o_f64_e32 vcc, v[3:4], v[3:4]
	v_ashrrev_i32_e32 v1, 31, v4
	v_or_b32_e32 v5, 0x80000000, v1
	v_xor_b32_e32 v5, v5, v4
	v_xor_b32_e32 v1, v1, v3
	v_cndmask_b32_e32 v5, -1, v5, vcc
	v_cndmask_b32_e32 v1, -1, v1, vcc
	v_and_b32_e32 v6, v5, v21
	v_and_b32_e32 v5, v1, v20
	v_cmp_eq_u64_e32 vcc, v[5:6], v[18:19]
	s_and_b64 exec, exec, vcc
	s_cbranch_execz .LBB113_88
; %bb.93:                               ;   in Loop: Header=BB113_91 Depth=2
	v_mov_b32_e32 v1, v13
	ds_write_b128 v13, v[1:4] offset:3072
	s_branch .LBB113_88
.LBB113_94:                             ;   in Loop: Header=BB113_91 Depth=2
	s_mov_b64 s[78:79], -1
                                        ; implicit-def: $vgpr8
                                        ; implicit-def: $vgpr7
	s_mov_b64 s[76:77], -1
	s_branch .LBB113_90
.LBB113_95:                             ;   in Loop: Header=BB113_20 Depth=1
	s_or_b64 exec, exec, s[68:69]
	s_and_b64 s[68:69], s[74:75], exec
.LBB113_96:                             ;   in Loop: Header=BB113_20 Depth=1
	s_or_b64 exec, exec, s[72:73]
.LBB113_97:                             ;   in Loop: Header=BB113_20 Depth=1
	s_and_b64 vcc, exec, s[70:71]
	s_cbranch_vccz .LBB113_109
; %bb.98:                               ;   in Loop: Header=BB113_20 Depth=1
                                        ; implicit-def: $vgpr5_vgpr6
	s_and_saveexec_b64 s[22:23], s[12:13]
	s_cbranch_execz .LBB113_108
; %bb.99:                               ;   in Loop: Header=BB113_20 Depth=1
	s_mov_b64 s[70:71], 0
	v_mov_b32_e32 v12, v11
	v_mov_b32_e32 v7, v0
                                        ; implicit-def: $sgpr64_sgpr65
	s_branch .LBB113_103
.LBB113_100:                            ;   in Loop: Header=BB113_103 Depth=2
	s_or_b64 exec, exec, s[72:73]
	s_waitcnt lgkmcnt(0)
	s_barrier
	ds_read_b128 v[3:6], v13 offset:3072
	s_waitcnt lgkmcnt(0)
	s_barrier
	v_cmp_neq_f64_e32 vcc, 0, v[3:4]
	s_cbranch_vccnz .LBB113_106
; %bb.101:                              ;   in Loop: Header=BB113_103 Depth=2
	v_add_u32_e32 v7, s27, v7
	v_cmp_le_u32_e32 vcc, s45, v7
	v_add_u32_e32 v12, s34, v12
	s_mov_b64 s[72:73], 0
	s_orn2_b64 s[74:75], vcc, exec
.LBB113_102:                            ;   in Loop: Header=BB113_103 Depth=2
	s_and_b64 s[0:1], exec, s[74:75]
	s_or_b64 s[70:71], s[0:1], s[70:71]
	s_andn2_b64 s[0:1], s[64:65], exec
	s_and_b64 s[64:65], s[72:73], exec
	s_or_b64 s[64:65], s[0:1], s[64:65]
	s_andn2_b64 exec, exec, s[70:71]
	s_cbranch_execz .LBB113_107
.LBB113_103:                            ;   Parent Loop BB113_20 Depth=1
                                        ; =>  This Inner Loop Header: Depth=2
	v_cmp_gt_u32_e32 vcc, s24, v7
	s_and_saveexec_b64 s[72:73], vcc
	s_cbranch_execz .LBB113_100
; %bb.104:                              ;   in Loop: Header=BB113_103 Depth=2
	v_lshlrev_b64 v[3:4], 3, v[12:13]
	v_mov_b32_e32 v1, s28
	v_add_co_u32_e32 v3, vcc, s29, v3
	v_addc_co_u32_e32 v4, vcc, v1, v4, vcc
	global_load_dwordx2 v[3:4], v[3:4], off
	s_waitcnt vmcnt(0)
	v_cmp_o_f64_e32 vcc, v[3:4], v[3:4]
	v_ashrrev_i32_e32 v1, 31, v4
	v_or_b32_e32 v5, 0x80000000, v1
	v_xor_b32_e32 v5, v5, v4
	v_xor_b32_e32 v1, v1, v3
	v_cndmask_b32_e32 v5, -1, v5, vcc
	v_cndmask_b32_e32 v1, -1, v1, vcc
	v_and_b32_e32 v6, v5, v21
	v_and_b32_e32 v5, v1, v20
	v_cmp_eq_u64_e32 vcc, v[5:6], v[18:19]
	s_and_b64 exec, exec, vcc
	s_cbranch_execz .LBB113_100
; %bb.105:                              ;   in Loop: Header=BB113_103 Depth=2
	v_mov_b32_e32 v1, v13
	ds_write_b128 v13, v[1:4] offset:3072
	s_branch .LBB113_100
.LBB113_106:                            ;   in Loop: Header=BB113_103 Depth=2
	s_mov_b64 s[74:75], -1
                                        ; implicit-def: $vgpr7
	s_mov_b64 s[72:73], -1
	s_branch .LBB113_102
.LBB113_107:                            ;   in Loop: Header=BB113_20 Depth=1
	s_or_b64 exec, exec, s[70:71]
	s_andn2_b64 s[0:1], s[68:69], exec
	s_and_b64 s[64:65], s[64:65], exec
	s_or_b64 s[68:69], s[0:1], s[64:65]
.LBB113_108:                            ;   in Loop: Header=BB113_20 Depth=1
	s_or_b64 exec, exec, s[22:23]
	s_mov_b64 s[22:23], 0
	s_mov_b64 s[64:65], -1
.LBB113_109:                            ;   in Loop: Header=BB113_20 Depth=1
	s_orn2_b64 s[68:69], s[68:69], exec
.LBB113_110:                            ;   in Loop: Header=BB113_20 Depth=1
	s_or_b64 exec, exec, s[14:15]
	s_andn2_b64 s[14:15], s[62:63], exec
	s_and_b64 s[62:63], s[64:65], exec
	s_or_b64 s[62:63], s[14:15], s[62:63]
	s_andn2_b64 s[14:15], s[60:61], exec
	s_and_b64 s[22:23], s[22:23], exec
	v_readfirstlane_b32 s0, v0
	v_readfirstlane_b32 s1, v0
	s_andn2_b64 s[58:59], s[58:59], exec
	s_or_b64 s[60:61], s[14:15], s[22:23]
                                        ; implicit-def: $vgpr8
	s_and_saveexec_b64 s[14:15], s[68:69]
	s_cbranch_execz .LBB113_19
; %bb.111:                              ;   in Loop: Header=BB113_20 Depth=1
	s_xor_b64 s[0:1], s[18:19], -1
	s_mov_b64 s[18:19], 0
	v_mov_b32_e32 v8, 1
	v_mov_b32_e32 v7, 1
	s_and_saveexec_b64 s[16:17], s[0:1]
	s_cbranch_execz .LBB113_120
; %bb.112:                              ;   in Loop: Header=BB113_20 Depth=1
	v_cmp_ge_u32_e32 vcc, s80, v42
	s_and_saveexec_b64 s[0:1], vcc
	s_xor_b64 s[18:19], exec, s[0:1]
	s_cbranch_execz .LBB113_117
; %bb.113:                              ;   in Loop: Header=BB113_20 Depth=1
	ds_read_b32 v1, v13 offset:4104
	v_and_b32_e32 v19, s67, v19
	v_and_b32_e32 v18, s66, v18
	v_or_b32_e32 v21, s7, v21
	v_or_b32_e32 v20, s6, v20
	s_waitcnt lgkmcnt(0)
	v_cmp_ne_u32_e32 vcc, 0, v1
	s_cbranch_vccnz .LBB113_117
; %bb.114:                              ;   in Loop: Header=BB113_20 Depth=1
	s_and_saveexec_b64 s[22:23], s[2:3]
; %bb.115:                              ;   in Loop: Header=BB113_20 Depth=1
	v_mov_b32_e32 v1, s80
	ds_write_b32 v13, v1 offset:4108
; %bb.116:                              ;   in Loop: Header=BB113_20 Depth=1
	s_or_b64 exec, exec, s[22:23]
	s_waitcnt lgkmcnt(0)
	s_barrier
.LBB113_117:                            ;   in Loop: Header=BB113_20 Depth=1
	s_or_saveexec_b64 s[18:19], s[18:19]
	s_mov_b64 s[22:23], 0
	v_mov_b32_e32 v7, 8
	s_xor_b64 exec, exec, s[18:19]
; %bb.118:                              ;   in Loop: Header=BB113_20 Depth=1
	s_mov_b64 s[22:23], exec
	v_subrev_u32_e32 v42, s80, v42
	v_mov_b32_e32 v7, 0
; %bb.119:                              ;   in Loop: Header=BB113_20 Depth=1
	s_or_b64 exec, exec, s[18:19]
	s_and_b64 s[18:19], s[22:23], exec
	v_mov_b32_e32 v8, v42
.LBB113_120:                            ;   in Loop: Header=BB113_20 Depth=1
	s_or_b64 exec, exec, s[16:17]
	s_mov_b64 s[16:17], -1
	s_mov_b64 s[68:69], -1
                                        ; implicit-def: $sgpr22_sgpr23
                                        ; implicit-def: $sgpr64_sgpr65
	s_and_saveexec_b64 s[0:1], s[18:19]
	s_xor_b64 s[18:19], exec, s[0:1]
	s_cbranch_execz .LBB113_246
; %bb.121:                              ;   in Loop: Header=BB113_20 Depth=1
	s_cmp_eq_u32 s84, 1
	s_cselect_b64 s[0:1], -1, 0
	v_cmp_eq_u32_e32 vcc, 1, v8
	s_and_b64 s[70:71], s[0:1], vcc
	s_mov_b64 s[72:73], -1
                                        ; implicit-def: $sgpr64_sgpr65
                                        ; implicit-def: $sgpr22_sgpr23
	s_and_saveexec_b64 s[68:69], s[70:71]
	s_cbranch_execz .LBB113_152
; %bb.122:                              ;   in Loop: Header=BB113_20 Depth=1
	ds_read_b32 v1, v13 offset:4104
	s_waitcnt lgkmcnt(0)
	s_barrier
	v_readfirstlane_b32 s85, v1
	s_and_saveexec_b64 s[22:23], s[20:21]
; %bb.123:                              ;   in Loop: Header=BB113_20 Depth=1
	v_mov_b32_e32 v12, v13
	ds_write_b64 v29, v[12:13]
; %bb.124:                              ;   in Loop: Header=BB113_20 Depth=1
	s_or_b64 exec, exec, s[22:23]
	s_lshl_b64 s[0:1], 1, s48
	v_and_b32_e32 v1, s67, v19
	v_and_b32_e32 v3, s66, v18
	v_or_b32_e32 v19, s1, v1
	v_or_b32_e32 v18, s0, v3
	;; [unrolled: 1-line block ×4, first 2 shown]
	s_mov_b64 s[22:23], -1
	s_mov_b64 s[64:65], 0
	s_cmp_eq_u32 s85, 0
	s_mov_b64 s[72:73], 0
	s_mov_b64 s[74:75], -1
	s_waitcnt lgkmcnt(0)
	s_barrier
                                        ; implicit-def: $vgpr5_vgpr6
	s_cbranch_scc1 .LBB113_139
; %bb.125:                              ;   in Loop: Header=BB113_20 Depth=1
	s_add_i32 s0, s85, s36
	s_mul_hi_u32 s1, s0, s44
	s_mul_i32 s1, s1, s27
	s_sub_i32 s1, s0, s1
	s_sub_i32 s72, s1, s27
	s_cmp_ge_u32 s1, s27
	s_cselect_b32 s1, s72, s1
	s_sub_i32 s72, s1, s27
	s_cmp_ge_u32 s1, s27
	s_cselect_b32 s1, s72, s1
	s_sub_i32 s0, s0, s1
	v_cmp_gt_u32_e32 vcc, s0, v0
	s_mov_b64 s[74:75], 0
	s_mov_b64 s[72:73], 0
                                        ; implicit-def: $vgpr5_vgpr6
	s_and_saveexec_b64 s[76:77], vcc
	s_cbranch_execz .LBB113_138
; %bb.126:                              ;   in Loop: Header=BB113_20 Depth=1
	v_mov_b32_e32 v9, v28
	v_mov_b32_e32 v10, v0
                                        ; implicit-def: $sgpr78_sgpr79
	s_branch .LBB113_130
.LBB113_127:                            ;   in Loop: Header=BB113_130 Depth=2
	s_or_b64 exec, exec, s[80:81]
	s_waitcnt lgkmcnt(0)
	s_barrier
	ds_read_b128 v[3:6], v13 offset:3072
	s_waitcnt lgkmcnt(0)
	s_barrier
	v_cmp_neq_f64_e32 vcc, 0, v[3:4]
	s_cbranch_vccnz .LBB113_133
; %bb.128:                              ;   in Loop: Header=BB113_130 Depth=2
	v_add_u32_e32 v10, s27, v10
	v_cmp_le_u32_e32 vcc, s0, v10
	v_add_u32_e32 v9, s47, v9
	s_mov_b64 s[80:81], 0
	s_orn2_b64 s[82:83], vcc, exec
.LBB113_129:                            ;   in Loop: Header=BB113_130 Depth=2
	s_and_b64 s[82:83], exec, s[82:83]
	s_or_b64 s[72:73], s[82:83], s[72:73]
	s_andn2_b64 s[78:79], s[78:79], exec
	s_and_b64 s[80:81], s[80:81], exec
	s_or_b64 s[78:79], s[78:79], s[80:81]
	s_andn2_b64 exec, exec, s[72:73]
	s_cbranch_execz .LBB113_137
.LBB113_130:                            ;   Parent Loop BB113_20 Depth=1
                                        ; =>  This Inner Loop Header: Depth=2
	v_cmp_gt_u32_e32 vcc, s85, v10
	s_and_saveexec_b64 s[80:81], vcc
	s_cbranch_execz .LBB113_127
; %bb.131:                              ;   in Loop: Header=BB113_130 Depth=2
	ds_read_b64 v[3:4], v9
	s_waitcnt lgkmcnt(0)
	v_cmp_o_f64_e32 vcc, v[3:4], v[3:4]
	v_ashrrev_i32_e32 v1, 31, v4
	v_or_b32_e32 v5, 0x80000000, v1
	v_xor_b32_e32 v5, v5, v4
	v_xor_b32_e32 v1, v1, v3
	v_cndmask_b32_e32 v5, -1, v5, vcc
	v_cndmask_b32_e32 v1, -1, v1, vcc
	v_and_b32_e32 v6, v5, v21
	v_and_b32_e32 v5, v1, v20
	v_cmp_eq_u64_e32 vcc, v[5:6], v[18:19]
	s_and_b64 exec, exec, vcc
	s_cbranch_execz .LBB113_127
; %bb.132:                              ;   in Loop: Header=BB113_130 Depth=2
	v_mov_b32_e32 v1, v13
	ds_write_b128 v13, v[1:4] offset:3072
	s_branch .LBB113_127
.LBB113_133:                            ;   in Loop: Header=BB113_130 Depth=2
	s_mov_b64 s[82:83], -1
                                        ; implicit-def: $vgpr10
                                        ; implicit-def: $vgpr9
	s_mov_b64 s[80:81], -1
	s_branch .LBB113_129
.LBB113_134:                            ;   in Loop: Header=BB113_20 Depth=1
	s_or_b64 exec, exec, s[18:19]
	s_waitcnt lgkmcnt(0)
	s_barrier
	s_and_saveexec_b64 s[6:7], s[2:3]
	s_cbranch_execz .LBB113_136
; %bb.135:                              ;   in Loop: Header=BB113_20 Depth=1
	ds_read_b32 v1, v13 offset:4112
	s_waitcnt lgkmcnt(0)
	ds_write_b32 v13, v1 offset:4104
.LBB113_136:                            ;   in Loop: Header=BB113_20 Depth=1
	s_or_b64 exec, exec, s[6:7]
	s_waitcnt lgkmcnt(0)
	s_barrier
	s_mov_b64 s[6:7], -1
	s_and_b64 vcc, exec, s[16:17]
	s_cbranch_vccnz .LBB113_36
	s_branch .LBB113_45
.LBB113_137:                            ;   in Loop: Header=BB113_20 Depth=1
	s_or_b64 exec, exec, s[72:73]
	s_and_b64 s[72:73], s[78:79], exec
.LBB113_138:                            ;   in Loop: Header=BB113_20 Depth=1
	s_or_b64 exec, exec, s[76:77]
.LBB113_139:                            ;   in Loop: Header=BB113_20 Depth=1
	s_and_b64 vcc, exec, s[74:75]
	s_cbranch_vccz .LBB113_151
; %bb.140:                              ;   in Loop: Header=BB113_20 Depth=1
                                        ; implicit-def: $vgpr5_vgpr6
	s_and_saveexec_b64 s[22:23], s[12:13]
	s_cbranch_execz .LBB113_150
; %bb.141:                              ;   in Loop: Header=BB113_20 Depth=1
	s_mov_b64 s[64:65], 0
	v_mov_b32_e32 v12, v11
	v_mov_b32_e32 v9, v0
                                        ; implicit-def: $sgpr74_sgpr75
	s_branch .LBB113_145
.LBB113_142:                            ;   in Loop: Header=BB113_145 Depth=2
	s_or_b64 exec, exec, s[76:77]
	s_waitcnt lgkmcnt(0)
	s_barrier
	ds_read_b128 v[3:6], v13 offset:3072
	s_waitcnt lgkmcnt(0)
	s_barrier
	v_cmp_eq_f64_e32 vcc, 0, v[3:4]
	s_cbranch_vccz .LBB113_148
; %bb.143:                              ;   in Loop: Header=BB113_145 Depth=2
	v_add_u32_e32 v9, s27, v9
	v_cmp_le_u32_e32 vcc, s45, v9
	v_add_u32_e32 v12, s34, v12
	s_mov_b64 s[76:77], 0
	s_orn2_b64 s[78:79], vcc, exec
.LBB113_144:                            ;   in Loop: Header=BB113_145 Depth=2
	s_and_b64 s[0:1], exec, s[78:79]
	s_or_b64 s[64:65], s[0:1], s[64:65]
	s_andn2_b64 s[0:1], s[74:75], exec
	s_and_b64 s[74:75], s[76:77], exec
	s_or_b64 s[74:75], s[0:1], s[74:75]
	s_andn2_b64 exec, exec, s[64:65]
	s_cbranch_execz .LBB113_149
.LBB113_145:                            ;   Parent Loop BB113_20 Depth=1
                                        ; =>  This Inner Loop Header: Depth=2
	v_cmp_gt_u32_e32 vcc, s24, v9
	s_and_saveexec_b64 s[76:77], vcc
	s_cbranch_execz .LBB113_142
; %bb.146:                              ;   in Loop: Header=BB113_145 Depth=2
	v_lshlrev_b64 v[3:4], 3, v[12:13]
	v_mov_b32_e32 v1, s28
	v_add_co_u32_e32 v3, vcc, s29, v3
	v_addc_co_u32_e32 v4, vcc, v1, v4, vcc
	global_load_dwordx2 v[3:4], v[3:4], off
	s_waitcnt vmcnt(0)
	v_cmp_o_f64_e32 vcc, v[3:4], v[3:4]
	v_ashrrev_i32_e32 v1, 31, v4
	v_or_b32_e32 v5, 0x80000000, v1
	v_xor_b32_e32 v5, v5, v4
	v_xor_b32_e32 v1, v1, v3
	v_cndmask_b32_e32 v5, -1, v5, vcc
	v_cndmask_b32_e32 v1, -1, v1, vcc
	v_and_b32_e32 v6, v5, v21
	v_and_b32_e32 v5, v1, v20
	v_cmp_eq_u64_e32 vcc, v[5:6], v[18:19]
	s_and_b64 exec, exec, vcc
	s_cbranch_execz .LBB113_142
; %bb.147:                              ;   in Loop: Header=BB113_145 Depth=2
	v_mov_b32_e32 v1, v13
	ds_write_b128 v13, v[1:4] offset:3072
	s_branch .LBB113_142
.LBB113_148:                            ;   in Loop: Header=BB113_145 Depth=2
	s_mov_b64 s[78:79], -1
                                        ; implicit-def: $vgpr9
	s_mov_b64 s[76:77], -1
	s_branch .LBB113_144
.LBB113_149:                            ;   in Loop: Header=BB113_20 Depth=1
	s_or_b64 exec, exec, s[64:65]
	s_andn2_b64 s[0:1], s[72:73], exec
	s_and_b64 s[64:65], s[74:75], exec
	s_or_b64 s[72:73], s[0:1], s[64:65]
.LBB113_150:                            ;   in Loop: Header=BB113_20 Depth=1
	s_or_b64 exec, exec, s[22:23]
	s_mov_b64 s[22:23], 0
	s_mov_b64 s[64:65], -1
.LBB113_151:                            ;   in Loop: Header=BB113_20 Depth=1
	s_orn2_b64 s[72:73], s[72:73], exec
.LBB113_152:                            ;   in Loop: Header=BB113_20 Depth=1
	s_or_b64 exec, exec, s[68:69]
	s_mov_b64 s[74:75], 0
	s_and_saveexec_b64 s[68:69], s[72:73]
	s_cbranch_execz .LBB113_245
; %bb.153:                              ;   in Loop: Header=BB113_20 Depth=1
	s_xor_b64 s[0:1], s[70:71], -1
	s_mov_b64 s[78:79], 0
	v_mov_b32_e32 v9, 1
	v_mov_b32_e32 v7, 1
	s_and_saveexec_b64 s[70:71], s[0:1]
	s_cbranch_execz .LBB113_162
; %bb.154:                              ;   in Loop: Header=BB113_20 Depth=1
	v_cmp_ge_u32_e32 vcc, s84, v8
	s_and_saveexec_b64 s[0:1], vcc
	s_xor_b64 s[72:73], exec, s[0:1]
	s_cbranch_execz .LBB113_159
; %bb.155:                              ;   in Loop: Header=BB113_20 Depth=1
	ds_read_b32 v3, v13 offset:4104
	s_lshl_b64 s[0:1], 1, s48
	v_and_b32_e32 v1, s67, v19
	v_and_b32_e32 v4, s66, v18
	v_or_b32_e32 v19, s1, v1
	s_waitcnt lgkmcnt(0)
	v_cmp_ne_u32_e32 vcc, 0, v3
	v_or_b32_e32 v18, s0, v4
	v_or_b32_e32 v21, s7, v21
	;; [unrolled: 1-line block ×3, first 2 shown]
	s_cbranch_vccnz .LBB113_159
; %bb.156:                              ;   in Loop: Header=BB113_20 Depth=1
	s_and_saveexec_b64 s[74:75], s[2:3]
; %bb.157:                              ;   in Loop: Header=BB113_20 Depth=1
	v_mov_b32_e32 v1, s84
	ds_write_b32 v13, v1 offset:4108
; %bb.158:                              ;   in Loop: Header=BB113_20 Depth=1
	s_or_b64 exec, exec, s[74:75]
	s_waitcnt lgkmcnt(0)
	s_barrier
.LBB113_159:                            ;   in Loop: Header=BB113_20 Depth=1
	s_or_saveexec_b64 s[72:73], s[72:73]
	s_mov_b64 s[74:75], 0
	v_mov_b32_e32 v7, 8
	s_xor_b64 exec, exec, s[72:73]
; %bb.160:                              ;   in Loop: Header=BB113_20 Depth=1
	s_mov_b64 s[74:75], exec
	v_subrev_u32_e32 v8, s84, v8
	v_mov_b32_e32 v7, 0
; %bb.161:                              ;   in Loop: Header=BB113_20 Depth=1
	s_or_b64 exec, exec, s[72:73]
	s_and_b64 s[78:79], s[74:75], exec
	v_mov_b32_e32 v9, v8
.LBB113_162:                            ;   in Loop: Header=BB113_20 Depth=1
	s_or_b64 exec, exec, s[70:71]
	s_mov_b64 s[76:77], -1
                                        ; implicit-def: $sgpr72_sgpr73
                                        ; implicit-def: $sgpr74_sgpr75
	s_and_saveexec_b64 s[70:71], s[78:79]
	s_cbranch_execz .LBB113_244
; %bb.163:                              ;   in Loop: Header=BB113_20 Depth=1
	s_cmp_eq_u32 s92, 1
	s_cselect_b64 s[0:1], -1, 0
	v_cmp_eq_u32_e32 vcc, 1, v9
	s_and_b64 s[78:79], s[0:1], vcc
	s_mov_b64 s[80:81], -1
                                        ; implicit-def: $sgpr74_sgpr75
                                        ; implicit-def: $sgpr72_sgpr73
	s_and_saveexec_b64 s[76:77], s[78:79]
	s_cbranch_execz .LBB113_191
; %bb.164:                              ;   in Loop: Header=BB113_20 Depth=1
	ds_read_b32 v1, v13 offset:4104
	s_waitcnt lgkmcnt(0)
	s_barrier
	v_readfirstlane_b32 s93, v1
	s_and_saveexec_b64 s[72:73], s[20:21]
; %bb.165:                              ;   in Loop: Header=BB113_20 Depth=1
	v_mov_b32_e32 v12, v13
	ds_write_b64 v29, v[12:13]
; %bb.166:                              ;   in Loop: Header=BB113_20 Depth=1
	s_or_b64 exec, exec, s[72:73]
	s_lshl_b64 s[0:1], 2, s48
	v_and_b32_e32 v1, s67, v19
	v_and_b32_e32 v3, s66, v18
	v_or_b32_e32 v19, s1, v1
	v_or_b32_e32 v18, s0, v3
	v_or_b32_e32 v21, s7, v21
	v_or_b32_e32 v20, s6, v20
	s_mov_b64 s[72:73], -1
	s_mov_b64 s[74:75], 0
	s_cmp_eq_u32 s93, 0
	s_mov_b64 s[80:81], 0
	s_mov_b64 s[82:83], -1
	s_waitcnt lgkmcnt(0)
	s_barrier
                                        ; implicit-def: $vgpr5_vgpr6
	s_cbranch_scc1 .LBB113_178
; %bb.167:                              ;   in Loop: Header=BB113_20 Depth=1
	s_add_i32 s0, s93, s36
	s_mul_hi_u32 s1, s0, s44
	s_mul_i32 s1, s1, s27
	s_sub_i32 s1, s0, s1
	s_sub_i32 s80, s1, s27
	s_cmp_ge_u32 s1, s27
	s_cselect_b32 s1, s80, s1
	s_sub_i32 s80, s1, s27
	s_cmp_ge_u32 s1, s27
	s_cselect_b32 s1, s80, s1
	s_sub_i32 s0, s0, s1
	v_cmp_gt_u32_e32 vcc, s0, v0
	s_mov_b64 s[82:83], 0
	s_mov_b64 s[80:81], 0
                                        ; implicit-def: $vgpr5_vgpr6
	s_and_saveexec_b64 s[84:85], vcc
	s_cbranch_execz .LBB113_177
; %bb.168:                              ;   in Loop: Header=BB113_20 Depth=1
	v_mov_b32_e32 v8, v28
	v_mov_b32_e32 v10, v0
                                        ; implicit-def: $sgpr86_sgpr87
	s_branch .LBB113_172
.LBB113_169:                            ;   in Loop: Header=BB113_172 Depth=2
	s_or_b64 exec, exec, s[88:89]
	s_waitcnt lgkmcnt(0)
	s_barrier
	ds_read_b128 v[3:6], v13 offset:3072
	s_waitcnt lgkmcnt(0)
	s_barrier
	v_cmp_neq_f64_e32 vcc, 0, v[3:4]
	s_cbranch_vccnz .LBB113_175
; %bb.170:                              ;   in Loop: Header=BB113_172 Depth=2
	v_add_u32_e32 v10, s27, v10
	v_cmp_le_u32_e32 vcc, s0, v10
	v_add_u32_e32 v8, s47, v8
	s_mov_b64 s[88:89], 0
	s_orn2_b64 s[90:91], vcc, exec
.LBB113_171:                            ;   in Loop: Header=BB113_172 Depth=2
	s_and_b64 s[90:91], exec, s[90:91]
	s_or_b64 s[80:81], s[90:91], s[80:81]
	s_andn2_b64 s[86:87], s[86:87], exec
	s_and_b64 s[88:89], s[88:89], exec
	s_or_b64 s[86:87], s[86:87], s[88:89]
	s_andn2_b64 exec, exec, s[80:81]
	s_cbranch_execz .LBB113_176
.LBB113_172:                            ;   Parent Loop BB113_20 Depth=1
                                        ; =>  This Inner Loop Header: Depth=2
	v_cmp_gt_u32_e32 vcc, s93, v10
	s_and_saveexec_b64 s[88:89], vcc
	s_cbranch_execz .LBB113_169
; %bb.173:                              ;   in Loop: Header=BB113_172 Depth=2
	ds_read_b64 v[3:4], v8
	s_waitcnt lgkmcnt(0)
	v_cmp_o_f64_e32 vcc, v[3:4], v[3:4]
	v_ashrrev_i32_e32 v1, 31, v4
	v_or_b32_e32 v5, 0x80000000, v1
	v_xor_b32_e32 v5, v5, v4
	v_xor_b32_e32 v1, v1, v3
	v_cndmask_b32_e32 v5, -1, v5, vcc
	v_cndmask_b32_e32 v1, -1, v1, vcc
	v_and_b32_e32 v6, v5, v21
	v_and_b32_e32 v5, v1, v20
	v_cmp_eq_u64_e32 vcc, v[5:6], v[18:19]
	s_and_b64 exec, exec, vcc
	s_cbranch_execz .LBB113_169
; %bb.174:                              ;   in Loop: Header=BB113_172 Depth=2
	v_mov_b32_e32 v1, v13
	ds_write_b128 v13, v[1:4] offset:3072
	s_branch .LBB113_169
.LBB113_175:                            ;   in Loop: Header=BB113_172 Depth=2
	s_mov_b64 s[90:91], -1
                                        ; implicit-def: $vgpr10
                                        ; implicit-def: $vgpr8
	s_mov_b64 s[88:89], -1
	s_branch .LBB113_171
.LBB113_176:                            ;   in Loop: Header=BB113_20 Depth=1
	s_or_b64 exec, exec, s[80:81]
	s_and_b64 s[80:81], s[86:87], exec
.LBB113_177:                            ;   in Loop: Header=BB113_20 Depth=1
	s_or_b64 exec, exec, s[84:85]
.LBB113_178:                            ;   in Loop: Header=BB113_20 Depth=1
	s_and_b64 vcc, exec, s[82:83]
	s_cbranch_vccz .LBB113_190
; %bb.179:                              ;   in Loop: Header=BB113_20 Depth=1
                                        ; implicit-def: $vgpr5_vgpr6
	s_and_saveexec_b64 s[72:73], s[12:13]
	s_cbranch_execz .LBB113_189
; %bb.180:                              ;   in Loop: Header=BB113_20 Depth=1
	s_mov_b64 s[74:75], 0
	v_mov_b32_e32 v12, v11
	v_mov_b32_e32 v8, v0
                                        ; implicit-def: $sgpr82_sgpr83
	s_branch .LBB113_184
.LBB113_181:                            ;   in Loop: Header=BB113_184 Depth=2
	s_or_b64 exec, exec, s[84:85]
	s_waitcnt lgkmcnt(0)
	s_barrier
	ds_read_b128 v[3:6], v13 offset:3072
	s_waitcnt lgkmcnt(0)
	s_barrier
	v_cmp_eq_f64_e32 vcc, 0, v[3:4]
	s_cbranch_vccz .LBB113_187
; %bb.182:                              ;   in Loop: Header=BB113_184 Depth=2
	v_add_u32_e32 v8, s27, v8
	v_cmp_le_u32_e32 vcc, s45, v8
	v_add_u32_e32 v12, s34, v12
	s_mov_b64 s[84:85], 0
	s_orn2_b64 s[86:87], vcc, exec
.LBB113_183:                            ;   in Loop: Header=BB113_184 Depth=2
	s_and_b64 s[0:1], exec, s[86:87]
	s_or_b64 s[74:75], s[0:1], s[74:75]
	s_andn2_b64 s[0:1], s[82:83], exec
	s_and_b64 s[82:83], s[84:85], exec
	s_or_b64 s[82:83], s[0:1], s[82:83]
	s_andn2_b64 exec, exec, s[74:75]
	s_cbranch_execz .LBB113_188
.LBB113_184:                            ;   Parent Loop BB113_20 Depth=1
                                        ; =>  This Inner Loop Header: Depth=2
	v_cmp_gt_u32_e32 vcc, s24, v8
	s_and_saveexec_b64 s[84:85], vcc
	s_cbranch_execz .LBB113_181
; %bb.185:                              ;   in Loop: Header=BB113_184 Depth=2
	v_lshlrev_b64 v[3:4], 3, v[12:13]
	v_mov_b32_e32 v1, s28
	v_add_co_u32_e32 v3, vcc, s29, v3
	v_addc_co_u32_e32 v4, vcc, v1, v4, vcc
	global_load_dwordx2 v[3:4], v[3:4], off
	s_waitcnt vmcnt(0)
	v_cmp_o_f64_e32 vcc, v[3:4], v[3:4]
	v_ashrrev_i32_e32 v1, 31, v4
	v_or_b32_e32 v5, 0x80000000, v1
	v_xor_b32_e32 v5, v5, v4
	v_xor_b32_e32 v1, v1, v3
	v_cndmask_b32_e32 v5, -1, v5, vcc
	v_cndmask_b32_e32 v1, -1, v1, vcc
	v_and_b32_e32 v6, v5, v21
	v_and_b32_e32 v5, v1, v20
	v_cmp_eq_u64_e32 vcc, v[5:6], v[18:19]
	s_and_b64 exec, exec, vcc
	s_cbranch_execz .LBB113_181
; %bb.186:                              ;   in Loop: Header=BB113_184 Depth=2
	v_mov_b32_e32 v1, v13
	ds_write_b128 v13, v[1:4] offset:3072
	s_branch .LBB113_181
.LBB113_187:                            ;   in Loop: Header=BB113_184 Depth=2
	s_mov_b64 s[86:87], -1
                                        ; implicit-def: $vgpr8
	s_mov_b64 s[84:85], -1
	s_branch .LBB113_183
.LBB113_188:                            ;   in Loop: Header=BB113_20 Depth=1
	s_or_b64 exec, exec, s[74:75]
	s_andn2_b64 s[0:1], s[80:81], exec
	s_and_b64 s[74:75], s[82:83], exec
	s_or_b64 s[80:81], s[0:1], s[74:75]
.LBB113_189:                            ;   in Loop: Header=BB113_20 Depth=1
	s_or_b64 exec, exec, s[72:73]
	s_mov_b64 s[72:73], 0
	s_mov_b64 s[74:75], -1
.LBB113_190:                            ;   in Loop: Header=BB113_20 Depth=1
	s_orn2_b64 s[80:81], s[80:81], exec
.LBB113_191:                            ;   in Loop: Header=BB113_20 Depth=1
	s_or_b64 exec, exec, s[76:77]
	s_mov_b64 s[82:83], 0
	s_and_saveexec_b64 s[76:77], s[80:81]
	s_cbranch_execz .LBB113_243
; %bb.192:                              ;   in Loop: Header=BB113_20 Depth=1
	s_xor_b64 s[0:1], s[78:79], -1
	s_mov_b64 s[84:85], 0
	v_mov_b32_e32 v8, 1
	v_mov_b32_e32 v7, 1
	s_and_saveexec_b64 s[78:79], s[0:1]
	s_cbranch_execz .LBB113_201
; %bb.193:                              ;   in Loop: Header=BB113_20 Depth=1
	v_cmp_ge_u32_e32 vcc, s92, v9
	s_and_saveexec_b64 s[0:1], vcc
	s_xor_b64 s[80:81], exec, s[0:1]
	s_cbranch_execz .LBB113_198
; %bb.194:                              ;   in Loop: Header=BB113_20 Depth=1
	s_lshl_b64 s[0:1], 2, s48
	v_and_b32_e32 v1, s67, v19
	v_or_b32_e32 v19, s1, v1
	ds_read_b32 v1, v13 offset:4104
	v_and_b32_e32 v3, s66, v18
	v_or_b32_e32 v18, s0, v3
	v_or_b32_e32 v21, s7, v21
	;; [unrolled: 1-line block ×3, first 2 shown]
	s_waitcnt lgkmcnt(0)
	v_cmp_ne_u32_e32 vcc, 0, v1
	s_cbranch_vccnz .LBB113_198
; %bb.195:                              ;   in Loop: Header=BB113_20 Depth=1
	s_and_saveexec_b64 s[66:67], s[2:3]
; %bb.196:                              ;   in Loop: Header=BB113_20 Depth=1
	v_mov_b32_e32 v1, s92
	ds_write_b32 v13, v1 offset:4108
; %bb.197:                              ;   in Loop: Header=BB113_20 Depth=1
	s_or_b64 exec, exec, s[66:67]
	s_waitcnt lgkmcnt(0)
	s_barrier
.LBB113_198:                            ;   in Loop: Header=BB113_20 Depth=1
	s_or_saveexec_b64 s[66:67], s[80:81]
	s_mov_b64 s[80:81], 0
	v_mov_b32_e32 v7, 8
	s_xor_b64 exec, exec, s[66:67]
; %bb.199:                              ;   in Loop: Header=BB113_20 Depth=1
	v_subrev_u32_e32 v9, s92, v9
	v_mov_b32_e32 v7, 0
	s_mov_b64 s[80:81], exec
; %bb.200:                              ;   in Loop: Header=BB113_20 Depth=1
	s_or_b64 exec, exec, s[66:67]
	s_and_b64 s[84:85], s[80:81], exec
	v_mov_b32_e32 v8, v9
.LBB113_201:                            ;   in Loop: Header=BB113_20 Depth=1
	s_or_b64 exec, exec, s[78:79]
	s_mov_b64 s[82:83], -1
                                        ; implicit-def: $sgpr80_sgpr81
                                        ; implicit-def: $sgpr78_sgpr79
	s_and_saveexec_b64 s[66:67], s[84:85]
	s_cbranch_execz .LBB113_242
; %bb.202:                              ;   in Loop: Header=BB113_20 Depth=1
	s_cmp_eq_u32 s49, 1
	s_cselect_b64 s[0:1], -1, 0
	v_cmp_eq_u32_e32 vcc, 1, v8
	s_and_b64 s[82:83], s[0:1], vcc
	s_mov_b64 s[86:87], -1
                                        ; implicit-def: $sgpr80_sgpr81
                                        ; implicit-def: $sgpr78_sgpr79
	s_and_saveexec_b64 s[84:85], s[82:83]
	s_cbranch_execz .LBB113_230
; %bb.203:                              ;   in Loop: Header=BB113_20 Depth=1
	ds_read_b32 v1, v13 offset:4104
	s_waitcnt lgkmcnt(0)
	s_barrier
	v_readfirstlane_b32 s0, v1
	s_and_saveexec_b64 s[78:79], s[20:21]
; %bb.204:                              ;   in Loop: Header=BB113_20 Depth=1
	v_mov_b32_e32 v12, v13
	ds_write_b64 v29, v[12:13]
; %bb.205:                              ;   in Loop: Header=BB113_20 Depth=1
	s_or_b64 exec, exec, s[78:79]
	v_or_b32_e32 v19, s7, v19
	v_or_b32_e32 v18, s6, v18
	;; [unrolled: 1-line block ×4, first 2 shown]
	s_mov_b64 s[78:79], -1
	s_mov_b64 s[80:81], 0
	s_cmp_eq_u32 s0, 0
	s_mov_b64 s[86:87], 0
	s_mov_b64 s[88:89], -1
	s_waitcnt lgkmcnt(0)
	s_barrier
                                        ; implicit-def: $vgpr5_vgpr6
	s_cbranch_scc1 .LBB113_217
; %bb.206:                              ;   in Loop: Header=BB113_20 Depth=1
	s_add_i32 s1, s0, s36
	s_mul_hi_u32 s86, s1, s44
	s_mul_i32 s86, s86, s27
	s_sub_i32 s86, s1, s86
	s_sub_i32 s87, s86, s27
	s_cmp_ge_u32 s86, s27
	s_cselect_b32 s86, s87, s86
	s_sub_i32 s87, s86, s27
	s_cmp_ge_u32 s86, s27
	s_cselect_b32 s86, s87, s86
	s_sub_i32 s1, s1, s86
	v_cmp_gt_u32_e32 vcc, s1, v0
	s_mov_b64 s[88:89], 0
	s_mov_b64 s[86:87], 0
                                        ; implicit-def: $vgpr5_vgpr6
	s_and_saveexec_b64 s[90:91], vcc
	s_cbranch_execz .LBB113_216
; %bb.207:                              ;   in Loop: Header=BB113_20 Depth=1
	v_writelane_b32 v47, s95, 20
	v_mov_b32_e32 v9, v28
	v_mov_b32_e32 v10, v0
	v_writelane_b32 v47, s94, 21
                                        ; implicit-def: $sgpr92_sgpr93
	s_branch .LBB113_211
.LBB113_208:                            ;   in Loop: Header=BB113_211 Depth=2
	s_or_b64 exec, exec, s[94:95]
	s_waitcnt lgkmcnt(0)
	s_barrier
	ds_read_b128 v[3:6], v13 offset:3072
	s_waitcnt lgkmcnt(0)
	s_barrier
	v_cmp_neq_f64_e32 vcc, 0, v[3:4]
	s_cbranch_vccnz .LBB113_214
; %bb.209:                              ;   in Loop: Header=BB113_211 Depth=2
	v_add_u32_e32 v10, s27, v10
	v_cmp_le_u32_e32 vcc, s1, v10
	v_add_u32_e32 v9, s47, v9
	s_mov_b64 s[94:95], 0
	s_orn2_b64 vcc, vcc, exec
.LBB113_210:                            ;   in Loop: Header=BB113_211 Depth=2
	s_and_b64 vcc, exec, vcc
	s_or_b64 s[86:87], vcc, s[86:87]
	s_andn2_b64 s[92:93], s[92:93], exec
	s_and_b64 s[94:95], s[94:95], exec
	s_or_b64 s[92:93], s[92:93], s[94:95]
	s_andn2_b64 exec, exec, s[86:87]
	s_cbranch_execz .LBB113_215
.LBB113_211:                            ;   Parent Loop BB113_20 Depth=1
                                        ; =>  This Inner Loop Header: Depth=2
	v_cmp_gt_u32_e32 vcc, s0, v10
	s_and_saveexec_b64 s[94:95], vcc
	s_cbranch_execz .LBB113_208
; %bb.212:                              ;   in Loop: Header=BB113_211 Depth=2
	ds_read_b64 v[3:4], v9
	s_waitcnt lgkmcnt(0)
	v_cmp_o_f64_e32 vcc, v[3:4], v[3:4]
	v_ashrrev_i32_e32 v1, 31, v4
	v_or_b32_e32 v5, 0x80000000, v1
	v_xor_b32_e32 v5, v5, v4
	v_xor_b32_e32 v1, v1, v3
	v_cndmask_b32_e32 v5, -1, v5, vcc
	v_cndmask_b32_e32 v1, -1, v1, vcc
	v_and_b32_e32 v6, v5, v21
	v_and_b32_e32 v5, v1, v20
	v_cmp_eq_u64_e32 vcc, v[5:6], v[18:19]
	s_and_b64 exec, exec, vcc
	s_cbranch_execz .LBB113_208
; %bb.213:                              ;   in Loop: Header=BB113_211 Depth=2
	v_mov_b32_e32 v1, v13
	ds_write_b128 v13, v[1:4] offset:3072
	s_branch .LBB113_208
.LBB113_214:                            ;   in Loop: Header=BB113_211 Depth=2
	s_mov_b64 vcc, -1
                                        ; implicit-def: $vgpr10
                                        ; implicit-def: $vgpr9
	s_mov_b64 s[94:95], -1
	s_branch .LBB113_210
.LBB113_215:                            ;   in Loop: Header=BB113_20 Depth=1
	s_or_b64 exec, exec, s[86:87]
	s_and_b64 s[86:87], s[92:93], exec
	v_readlane_b32 s94, v47, 21
	v_readlane_b32 s95, v47, 20
.LBB113_216:                            ;   in Loop: Header=BB113_20 Depth=1
	s_or_b64 exec, exec, s[90:91]
.LBB113_217:                            ;   in Loop: Header=BB113_20 Depth=1
	s_and_b64 vcc, exec, s[88:89]
	s_cbranch_vccz .LBB113_229
; %bb.218:                              ;   in Loop: Header=BB113_20 Depth=1
                                        ; implicit-def: $vgpr5_vgpr6
	s_and_saveexec_b64 s[78:79], s[12:13]
	s_cbranch_execz .LBB113_228
; %bb.219:                              ;   in Loop: Header=BB113_20 Depth=1
	s_mov_b64 s[80:81], 0
	v_mov_b32_e32 v12, v11
	v_mov_b32_e32 v9, v0
                                        ; implicit-def: $sgpr88_sgpr89
	s_branch .LBB113_223
.LBB113_220:                            ;   in Loop: Header=BB113_223 Depth=2
	s_or_b64 exec, exec, s[90:91]
	s_waitcnt lgkmcnt(0)
	s_barrier
	ds_read_b128 v[3:6], v13 offset:3072
	s_waitcnt lgkmcnt(0)
	s_barrier
	v_cmp_eq_f64_e32 vcc, 0, v[3:4]
	s_cbranch_vccz .LBB113_226
; %bb.221:                              ;   in Loop: Header=BB113_223 Depth=2
	v_add_u32_e32 v9, s27, v9
	v_cmp_le_u32_e32 vcc, s45, v9
	v_add_u32_e32 v12, s34, v12
	s_mov_b64 s[90:91], 0
	s_orn2_b64 s[92:93], vcc, exec
.LBB113_222:                            ;   in Loop: Header=BB113_223 Depth=2
	s_and_b64 s[0:1], exec, s[92:93]
	s_or_b64 s[80:81], s[0:1], s[80:81]
	s_andn2_b64 s[0:1], s[88:89], exec
	s_and_b64 s[88:89], s[90:91], exec
	s_or_b64 s[88:89], s[0:1], s[88:89]
	s_andn2_b64 exec, exec, s[80:81]
	s_cbranch_execz .LBB113_227
.LBB113_223:                            ;   Parent Loop BB113_20 Depth=1
                                        ; =>  This Inner Loop Header: Depth=2
	v_cmp_gt_u32_e32 vcc, s24, v9
	s_and_saveexec_b64 s[90:91], vcc
	s_cbranch_execz .LBB113_220
; %bb.224:                              ;   in Loop: Header=BB113_223 Depth=2
	v_lshlrev_b64 v[3:4], 3, v[12:13]
	v_mov_b32_e32 v1, s28
	v_add_co_u32_e32 v3, vcc, s29, v3
	v_addc_co_u32_e32 v4, vcc, v1, v4, vcc
	global_load_dwordx2 v[3:4], v[3:4], off
	s_waitcnt vmcnt(0)
	v_cmp_o_f64_e32 vcc, v[3:4], v[3:4]
	v_ashrrev_i32_e32 v1, 31, v4
	v_or_b32_e32 v5, 0x80000000, v1
	v_xor_b32_e32 v5, v5, v4
	v_xor_b32_e32 v1, v1, v3
	v_cndmask_b32_e32 v5, -1, v5, vcc
	v_cndmask_b32_e32 v1, -1, v1, vcc
	v_and_b32_e32 v6, v5, v21
	v_and_b32_e32 v5, v1, v20
	v_cmp_eq_u64_e32 vcc, v[5:6], v[18:19]
	s_and_b64 exec, exec, vcc
	s_cbranch_execz .LBB113_220
; %bb.225:                              ;   in Loop: Header=BB113_223 Depth=2
	v_mov_b32_e32 v1, v13
	ds_write_b128 v13, v[1:4] offset:3072
	s_branch .LBB113_220
.LBB113_226:                            ;   in Loop: Header=BB113_223 Depth=2
	s_mov_b64 s[92:93], -1
                                        ; implicit-def: $vgpr9
	s_mov_b64 s[90:91], -1
	s_branch .LBB113_222
.LBB113_227:                            ;   in Loop: Header=BB113_20 Depth=1
	s_or_b64 exec, exec, s[80:81]
	s_andn2_b64 s[0:1], s[86:87], exec
	s_and_b64 s[80:81], s[88:89], exec
	s_or_b64 s[86:87], s[0:1], s[80:81]
.LBB113_228:                            ;   in Loop: Header=BB113_20 Depth=1
	s_or_b64 exec, exec, s[78:79]
	s_mov_b64 s[78:79], 0
	s_mov_b64 s[80:81], -1
.LBB113_229:                            ;   in Loop: Header=BB113_20 Depth=1
	s_orn2_b64 s[86:87], s[86:87], exec
.LBB113_230:                            ;   in Loop: Header=BB113_20 Depth=1
	s_or_b64 exec, exec, s[84:85]
	s_mov_b64 s[88:89], 0
	s_and_saveexec_b64 s[84:85], s[86:87]
	s_cbranch_execz .LBB113_241
; %bb.231:                              ;   in Loop: Header=BB113_20 Depth=1
	s_xor_b64 s[0:1], s[82:83], -1
	v_mov_b32_e32 v7, 1
	v_mov_b32_e32 v1, 1
	s_and_saveexec_b64 s[82:83], s[0:1]
	s_cbranch_execz .LBB113_240
; %bb.232:                              ;   in Loop: Header=BB113_20 Depth=1
	v_cmp_ge_u32_e32 vcc, s49, v8
	s_and_saveexec_b64 s[0:1], vcc
	s_xor_b64 s[86:87], exec, s[0:1]
	s_cbranch_execz .LBB113_237
; %bb.233:                              ;   in Loop: Header=BB113_20 Depth=1
	ds_read_b32 v1, v13 offset:4104
	v_or_b32_e32 v19, s7, v19
	v_or_b32_e32 v18, s6, v18
	;; [unrolled: 1-line block ×4, first 2 shown]
	s_waitcnt lgkmcnt(0)
	v_cmp_ne_u32_e32 vcc, 0, v1
	s_cbranch_vccnz .LBB113_237
; %bb.234:                              ;   in Loop: Header=BB113_20 Depth=1
	s_and_saveexec_b64 s[6:7], s[2:3]
; %bb.235:                              ;   in Loop: Header=BB113_20 Depth=1
	v_mov_b32_e32 v1, s49
	ds_write_b32 v13, v1 offset:4108
; %bb.236:                              ;   in Loop: Header=BB113_20 Depth=1
	s_or_b64 exec, exec, s[6:7]
	s_waitcnt lgkmcnt(0)
	s_barrier
.LBB113_237:                            ;   in Loop: Header=BB113_20 Depth=1
	s_andn2_saveexec_b64 s[6:7], s[86:87]
; %bb.238:                              ;   in Loop: Header=BB113_20 Depth=1
	v_subrev_u32_e32 v8, s49, v8
; %bb.239:                              ;   in Loop: Header=BB113_20 Depth=1
	s_or_b64 exec, exec, s[6:7]
	v_mov_b32_e32 v7, 8
	v_mov_b32_e32 v1, v8
.LBB113_240:                            ;   in Loop: Header=BB113_20 Depth=1
	s_or_b64 exec, exec, s[82:83]
	s_mov_b64 s[88:89], exec
	v_mov_b32_e32 v8, v1
.LBB113_241:                            ;   in Loop: Header=BB113_20 Depth=1
	s_or_b64 exec, exec, s[84:85]
	s_orn2_b64 s[82:83], s[88:89], exec
.LBB113_242:                            ;   in Loop: Header=BB113_20 Depth=1
	s_or_b64 exec, exec, s[66:67]
	s_andn2_b64 s[0:1], s[74:75], exec
	s_and_b64 s[6:7], s[80:81], exec
	s_or_b64 s[74:75], s[0:1], s[6:7]
	s_andn2_b64 s[0:1], s[72:73], exec
	s_and_b64 s[6:7], s[78:79], exec
	s_or_b64 s[72:73], s[0:1], s[6:7]
	s_and_b64 s[82:83], s[82:83], exec
	v_mov_b32_e32 v9, v8
.LBB113_243:                            ;   in Loop: Header=BB113_20 Depth=1
	s_or_b64 exec, exec, s[76:77]
	s_orn2_b64 s[76:77], s[82:83], exec
.LBB113_244:                            ;   in Loop: Header=BB113_20 Depth=1
	s_or_b64 exec, exec, s[70:71]
	s_andn2_b64 s[0:1], s[64:65], exec
	s_and_b64 s[6:7], s[74:75], exec
	s_or_b64 s[64:65], s[0:1], s[6:7]
	s_andn2_b64 s[0:1], s[22:23], exec
	s_and_b64 s[6:7], s[72:73], exec
	s_or_b64 s[22:23], s[0:1], s[6:7]
	s_and_b64 s[74:75], s[76:77], exec
	v_mov_b32_e32 v8, v9
.LBB113_245:                            ;   in Loop: Header=BB113_20 Depth=1
	s_or_b64 exec, exec, s[68:69]
	s_orn2_b64 s[68:69], s[74:75], exec
.LBB113_246:                            ;   in Loop: Header=BB113_20 Depth=1
	s_or_b64 exec, exec, s[18:19]
	s_mov_b64 s[18:19], 0
                                        ; implicit-def: $sgpr0
                                        ; implicit-def: $sgpr1
	s_and_saveexec_b64 s[6:7], s[68:69]
	s_xor_b64 s[6:7], exec, s[6:7]
	s_cbranch_execz .LBB113_18
; %bb.247:                              ;   in Loop: Header=BB113_20 Depth=1
	v_and_b32_e32 v1, 7, v7
	v_cmp_eq_u32_e32 vcc, 0, v1
	s_mov_b64 s[16:17], -1
	s_mov_b64 s[18:19], -1
                                        ; implicit-def: $sgpr0
                                        ; implicit-def: $sgpr1
	s_and_saveexec_b64 s[66:67], vcc
	s_cbranch_execz .LBB113_17
; %bb.248:                              ;   in Loop: Header=BB113_20 Depth=1
	s_xor_b32 s1, s37, 1
	s_add_i32 s0, s48, -2
	s_cmp_eq_u32 s48, 0
	s_cselect_b64 s[16:17], -1, 0
	s_xor_b64 s[18:19], exec, -1
	s_orn2_b64 s[16:17], s[16:17], exec
	s_branch .LBB113_17
.LBB113_249:
	s_or_b64 exec, exec, s[50:51]
	s_xor_b64 s[8:9], s[56:57], -1
	s_xor_b64 s[0:1], s[52:53], -1
	;; [unrolled: 1-line block ×3, first 2 shown]
	s_mov_b64 s[4:5], 0
	s_and_saveexec_b64 s[2:3], s[0:1]
	s_xor_b64 s[2:3], exec, s[2:3]
	s_cbranch_execnz .LBB113_254
; %bb.250:
	s_andn2_saveexec_b64 s[0:1], s[2:3]
	s_cbranch_execnz .LBB113_267
.LBB113_251:
	s_or_b64 exec, exec, s[0:1]
	s_and_saveexec_b64 s[0:1], s[4:5]
.LBB113_252:
	; divergent unreachable
.LBB113_253:
	s_endpgm
.LBB113_254:
	s_and_saveexec_b64 s[0:1], s[8:9]
	s_xor_b64 s[4:5], exec, s[0:1]
	s_cbranch_execz .LBB113_265
; %bb.255:
	s_and_saveexec_b64 s[0:1], s[6:7]
	s_xor_b64 s[6:7], exec, s[0:1]
; %bb.256:
	v_lshrrev_b32_e32 v1, 31, v19
	v_add_co_u32_e32 v1, vcc, -1, v1
	v_addc_co_u32_e64 v2, s[0:1], 0, -1, vcc
	v_or_b32_e32 v2, 0x80000000, v2
	v_xor_b32_e32 v6, v2, v19
	v_xor_b32_e32 v5, v1, v18
; %bb.257:
	s_or_b64 exec, exec, s[6:7]
	v_readlane_b32 s7, v47, 8
	v_readlane_b32 s8, v47, 9
	s_mul_i32 s0, s8, s7
	s_sub_i32 s0, s94, s0
	s_add_i32 s1, s8, 1
	s_sub_i32 s6, s0, s7
	s_cmp_ge_u32 s0, s7
	s_cselect_b32 s1, s1, s8
	s_cselect_b32 s0, s6, s0
	s_add_i32 s6, s1, 1
	s_cmp_ge_u32 s0, s7
	s_cselect_b32 s0, s6, s1
	s_mul_i32 s1, s0, s7
	v_readlane_b32 s6, v47, 4
	s_sub_i32 s1, s94, s1
	v_readlane_b32 s7, v47, 5
	s_mul_i32 s1, s1, s7
	s_mul_i32 s0, s0, s6
	s_add_i32 s0, s0, s1
	s_mov_b32 s1, 0
	s_lshl_b64 s[0:1], s[0:1], 3
	v_readlane_b32 s6, v47, 6
	v_readlane_b32 s7, v47, 7
	s_add_u32 s0, s6, s0
	s_addc_u32 s1, s7, s1
	v_mov_b32_e32 v12, 0
	global_store_dwordx2 v12, v[5:6], s[0:1]
	s_mov_b64 s[6:7], exec
	v_readlane_b32 s0, v47, 11
	v_readlane_b32 s1, v47, 12
	s_and_b64 s[0:1], s[6:7], s[0:1]
	s_mov_b64 exec, s[0:1]
	s_cbranch_execz .LBB113_264
; %bb.258:
	v_cmp_u_f64_e32 vcc, v[5:6], v[5:6]
	s_mov_b64 s[8:9], 0
	v_mov_b32_e32 v2, s28
                                        ; implicit-def: $sgpr10_sgpr11
                                        ; implicit-def: $sgpr16_sgpr17
                                        ; implicit-def: $sgpr14_sgpr15
	s_xor_b64 s[12:13], vcc, -1
	s_branch .LBB113_260
.LBB113_259:                            ;   in Loop: Header=BB113_260 Depth=1
	s_or_b64 exec, exec, s[0:1]
	s_and_b64 s[0:1], exec, s[16:17]
	s_or_b64 s[8:9], s[0:1], s[8:9]
	s_andn2_b64 s[0:1], s[10:11], exec
	s_and_b64 s[10:11], s[14:15], exec
	s_or_b64 s[10:11], s[0:1], s[10:11]
	s_andn2_b64 exec, exec, s[8:9]
	s_cbranch_execz .LBB113_262
.LBB113_260:                            ; =>This Inner Loop Header: Depth=1
	v_lshlrev_b64 v[3:4], 3, v[11:12]
	v_mov_b32_e32 v1, v0
	v_add_co_u32_e32 v3, vcc, s29, v3
	v_addc_co_u32_e32 v4, vcc, v2, v4, vcc
	global_load_dwordx2 v[3:4], v[3:4], off
	s_or_b64 s[14:15], s[14:15], exec
	s_or_b64 s[16:17], s[16:17], exec
                                        ; implicit-def: $vgpr0
	s_waitcnt vmcnt(0)
	v_cmp_o_f64_e32 vcc, v[3:4], v[3:4]
	v_cmp_neq_f64_e64 s[0:1], v[3:4], v[5:6]
	s_or_b64 s[18:19], vcc, s[12:13]
	s_and_b64 s[18:19], s[0:1], s[18:19]
	s_and_saveexec_b64 s[0:1], s[18:19]
	s_cbranch_execz .LBB113_259
; %bb.261:                              ;   in Loop: Header=BB113_260 Depth=1
	v_add_u32_e32 v0, s27, v1
	v_cmp_le_u32_e32 vcc, s24, v0
	s_andn2_b64 s[16:17], s[16:17], exec
	s_and_b64 s[18:19], vcc, exec
	v_add_u32_e32 v11, s34, v11
	s_andn2_b64 s[14:15], s[14:15], exec
	s_or_b64 s[16:17], s[16:17], s[18:19]
	s_branch .LBB113_259
.LBB113_262:
	s_or_b64 exec, exec, s[8:9]
	s_and_saveexec_b64 s[0:1], s[10:11]
	s_xor_b64 s[0:1], exec, s[0:1]
	s_cbranch_execz .LBB113_264
; %bb.263:
	v_readlane_b32 s9, v47, 10
	s_mul_i32 s0, s9, s95
	s_sub_i32 s0, s94, s0
	s_add_i32 s1, s9, 1
	s_sub_i32 s8, s0, s95
	s_cmp_ge_u32 s0, s95
	s_cselect_b32 s1, s1, s9
	s_cselect_b32 s0, s8, s0
	s_add_i32 s8, s1, 1
	s_cmp_ge_u32 s0, s95
	s_cselect_b32 s0, s8, s1
	s_mul_i32 s1, s0, s95
	v_readlane_b32 s8, v47, 0
	s_sub_i32 s1, s94, s1
	v_readlane_b32 s9, v47, 1
	s_mul_i32 s1, s1, s9
	s_mul_i32 s0, s0, s8
	s_add_i32 s0, s0, s1
	s_mov_b32 s1, 0
	s_lshl_b64 s[0:1], s[0:1], 3
	v_readlane_b32 s8, v47, 2
	v_readlane_b32 s9, v47, 3
	s_add_u32 s0, s8, s0
	s_addc_u32 s1, s9, s1
	v_mov_b32_e32 v2, 0
	global_store_dwordx2 v2, v[1:2], s[0:1]
.LBB113_264:
	s_or_b64 exec, exec, s[6:7]
.LBB113_265:
	s_or_saveexec_b64 s[0:1], s[4:5]
	s_mov_b64 s[4:5], 0
	s_xor_b64 exec, exec, s[0:1]
	s_cbranch_execnz .LBB113_268
.LBB113_266:
	s_or_b64 exec, exec, s[0:1]
	s_and_b64 s[4:5], s[4:5], exec
	s_andn2_saveexec_b64 s[0:1], s[2:3]
	s_cbranch_execz .LBB113_251
.LBB113_267:
	s_or_b64 s[4:5], s[4:5], exec
	s_trap 2
	s_or_b64 exec, exec, s[0:1]
	s_and_saveexec_b64 s[0:1], s[4:5]
	s_cbranch_execnz .LBB113_252
	s_branch .LBB113_253
.LBB113_268:
	s_mov_b64 s[4:5], exec
	s_trap 2
	s_branch .LBB113_266
	.section	.rodata,"a",@progbits
	.p2align	6, 0x0
	.amdhsa_kernel _ZN2at6native12_GLOBAL__N_112gatherMedianIdjLi2EEEvNS_4cuda6detail10TensorInfoIT_T0_EENS5_IlS7_EENS5_IKS6_S7_EES7_S7_S7_b
		.amdhsa_group_segment_fixed_size 4120
		.amdhsa_private_segment_fixed_size 0
		.amdhsa_kernarg_size 920
		.amdhsa_user_sgpr_count 6
		.amdhsa_user_sgpr_private_segment_buffer 1
		.amdhsa_user_sgpr_dispatch_ptr 0
		.amdhsa_user_sgpr_queue_ptr 0
		.amdhsa_user_sgpr_kernarg_segment_ptr 1
		.amdhsa_user_sgpr_dispatch_id 0
		.amdhsa_user_sgpr_flat_scratch_init 0
		.amdhsa_user_sgpr_private_segment_size 0
		.amdhsa_uses_dynamic_stack 0
		.amdhsa_system_sgpr_private_segment_wavefront_offset 0
		.amdhsa_system_sgpr_workgroup_id_x 1
		.amdhsa_system_sgpr_workgroup_id_y 1
		.amdhsa_system_sgpr_workgroup_id_z 1
		.amdhsa_system_sgpr_workgroup_info 0
		.amdhsa_system_vgpr_workitem_id 0
		.amdhsa_next_free_vgpr 48
		.amdhsa_next_free_sgpr 96
		.amdhsa_reserve_vcc 1
		.amdhsa_reserve_flat_scratch 0
		.amdhsa_float_round_mode_32 0
		.amdhsa_float_round_mode_16_64 0
		.amdhsa_float_denorm_mode_32 3
		.amdhsa_float_denorm_mode_16_64 3
		.amdhsa_dx10_clamp 1
		.amdhsa_ieee_mode 1
		.amdhsa_fp16_overflow 0
		.amdhsa_exception_fp_ieee_invalid_op 0
		.amdhsa_exception_fp_denorm_src 0
		.amdhsa_exception_fp_ieee_div_zero 0
		.amdhsa_exception_fp_ieee_overflow 0
		.amdhsa_exception_fp_ieee_underflow 0
		.amdhsa_exception_fp_ieee_inexact 0
		.amdhsa_exception_int_div_zero 0
	.end_amdhsa_kernel
	.section	.text._ZN2at6native12_GLOBAL__N_112gatherMedianIdjLi2EEEvNS_4cuda6detail10TensorInfoIT_T0_EENS5_IlS7_EENS5_IKS6_S7_EES7_S7_S7_b,"axG",@progbits,_ZN2at6native12_GLOBAL__N_112gatherMedianIdjLi2EEEvNS_4cuda6detail10TensorInfoIT_T0_EENS5_IlS7_EENS5_IKS6_S7_EES7_S7_S7_b,comdat
.Lfunc_end113:
	.size	_ZN2at6native12_GLOBAL__N_112gatherMedianIdjLi2EEEvNS_4cuda6detail10TensorInfoIT_T0_EENS5_IlS7_EENS5_IKS6_S7_EES7_S7_S7_b, .Lfunc_end113-_ZN2at6native12_GLOBAL__N_112gatherMedianIdjLi2EEEvNS_4cuda6detail10TensorInfoIT_T0_EENS5_IlS7_EENS5_IKS6_S7_EES7_S7_S7_b
                                        ; -- End function
	.set _ZN2at6native12_GLOBAL__N_112gatherMedianIdjLi2EEEvNS_4cuda6detail10TensorInfoIT_T0_EENS5_IlS7_EENS5_IKS6_S7_EES7_S7_S7_b.num_vgpr, 48
	.set _ZN2at6native12_GLOBAL__N_112gatherMedianIdjLi2EEEvNS_4cuda6detail10TensorInfoIT_T0_EENS5_IlS7_EENS5_IKS6_S7_EES7_S7_S7_b.num_agpr, 0
	.set _ZN2at6native12_GLOBAL__N_112gatherMedianIdjLi2EEEvNS_4cuda6detail10TensorInfoIT_T0_EENS5_IlS7_EENS5_IKS6_S7_EES7_S7_S7_b.numbered_sgpr, 96
	.set _ZN2at6native12_GLOBAL__N_112gatherMedianIdjLi2EEEvNS_4cuda6detail10TensorInfoIT_T0_EENS5_IlS7_EENS5_IKS6_S7_EES7_S7_S7_b.num_named_barrier, 0
	.set _ZN2at6native12_GLOBAL__N_112gatherMedianIdjLi2EEEvNS_4cuda6detail10TensorInfoIT_T0_EENS5_IlS7_EENS5_IKS6_S7_EES7_S7_S7_b.private_seg_size, 0
	.set _ZN2at6native12_GLOBAL__N_112gatherMedianIdjLi2EEEvNS_4cuda6detail10TensorInfoIT_T0_EENS5_IlS7_EENS5_IKS6_S7_EES7_S7_S7_b.uses_vcc, 1
	.set _ZN2at6native12_GLOBAL__N_112gatherMedianIdjLi2EEEvNS_4cuda6detail10TensorInfoIT_T0_EENS5_IlS7_EENS5_IKS6_S7_EES7_S7_S7_b.uses_flat_scratch, 0
	.set _ZN2at6native12_GLOBAL__N_112gatherMedianIdjLi2EEEvNS_4cuda6detail10TensorInfoIT_T0_EENS5_IlS7_EENS5_IKS6_S7_EES7_S7_S7_b.has_dyn_sized_stack, 0
	.set _ZN2at6native12_GLOBAL__N_112gatherMedianIdjLi2EEEvNS_4cuda6detail10TensorInfoIT_T0_EENS5_IlS7_EENS5_IKS6_S7_EES7_S7_S7_b.has_recursion, 0
	.set _ZN2at6native12_GLOBAL__N_112gatherMedianIdjLi2EEEvNS_4cuda6detail10TensorInfoIT_T0_EENS5_IlS7_EENS5_IKS6_S7_EES7_S7_S7_b.has_indirect_call, 0
	.section	.AMDGPU.csdata,"",@progbits
; Kernel info:
; codeLenInByte = 9928
; TotalNumSgprs: 100
; NumVgprs: 48
; ScratchSize: 0
; MemoryBound: 0
; FloatMode: 240
; IeeeMode: 1
; LDSByteSize: 4120 bytes/workgroup (compile time only)
; SGPRBlocks: 12
; VGPRBlocks: 11
; NumSGPRsForWavesPerEU: 100
; NumVGPRsForWavesPerEU: 48
; Occupancy: 5
; WaveLimiterHint : 1
; COMPUTE_PGM_RSRC2:SCRATCH_EN: 0
; COMPUTE_PGM_RSRC2:USER_SGPR: 6
; COMPUTE_PGM_RSRC2:TRAP_HANDLER: 0
; COMPUTE_PGM_RSRC2:TGID_X_EN: 1
; COMPUTE_PGM_RSRC2:TGID_Y_EN: 1
; COMPUTE_PGM_RSRC2:TGID_Z_EN: 1
; COMPUTE_PGM_RSRC2:TIDIG_COMP_CNT: 0
	.section	.text._ZN2at6native12_GLOBAL__N_112gatherMedianIdjLi3EEEvNS_4cuda6detail10TensorInfoIT_T0_EENS5_IlS7_EENS5_IKS6_S7_EES7_S7_S7_b,"axG",@progbits,_ZN2at6native12_GLOBAL__N_112gatherMedianIdjLi3EEEvNS_4cuda6detail10TensorInfoIT_T0_EENS5_IlS7_EENS5_IKS6_S7_EES7_S7_S7_b,comdat
	.globl	_ZN2at6native12_GLOBAL__N_112gatherMedianIdjLi3EEEvNS_4cuda6detail10TensorInfoIT_T0_EENS5_IlS7_EENS5_IKS6_S7_EES7_S7_S7_b ; -- Begin function _ZN2at6native12_GLOBAL__N_112gatherMedianIdjLi3EEEvNS_4cuda6detail10TensorInfoIT_T0_EENS5_IlS7_EENS5_IKS6_S7_EES7_S7_S7_b
	.p2align	8
	.type	_ZN2at6native12_GLOBAL__N_112gatherMedianIdjLi3EEEvNS_4cuda6detail10TensorInfoIT_T0_EENS5_IlS7_EENS5_IKS6_S7_EES7_S7_S7_b,@function
_ZN2at6native12_GLOBAL__N_112gatherMedianIdjLi3EEEvNS_4cuda6detail10TensorInfoIT_T0_EENS5_IlS7_EENS5_IKS6_S7_EES7_S7_S7_b: ; @_ZN2at6native12_GLOBAL__N_112gatherMedianIdjLi3EEEvNS_4cuda6detail10TensorInfoIT_T0_EENS5_IlS7_EENS5_IKS6_S7_EES7_S7_S7_b
; %bb.0:
	s_load_dwordx2 s[12:13], s[4:5], 0x298
	s_load_dwordx4 s[24:27], s[4:5], 0x288
	s_add_u32 s10, s4, 0x298
	s_addc_u32 s11, s5, 0
	s_waitcnt lgkmcnt(0)
	s_mul_i32 s0, s13, s8
	s_add_i32 s0, s0, s7
	s_mul_i32 s0, s0, s12
	s_add_i32 s16, s0, s6
	s_cmp_ge_u32 s16, s25
	s_cbranch_scc1 .LBB114_253
; %bb.1:
	s_load_dwordx2 s[28:29], s[4:5], 0xc
	s_load_dwordx2 s[0:1], s[4:5], 0x0
	s_load_dwordx2 s[14:15], s[4:5], 0x1bc
	s_load_dwordx2 s[8:9], s[4:5], 0x1b0
	s_load_dwordx4 s[20:23], s[4:5], 0x144
                                        ; implicit-def: $vgpr47 : SGPR spill to VGPR lane
	s_load_dwordx2 s[18:19], s[4:5], 0xd8
	s_load_dwordx4 s[36:39], s[4:5], 0x6c
	s_waitcnt lgkmcnt(0)
	v_cvt_f32_u32_e32 v1, s29
	v_writelane_b32 v47, s0, 0
	v_writelane_b32 v47, s1, 1
	;; [unrolled: 1-line block ×3, first 2 shown]
	v_rcp_iflag_f32_e32 v1, v1
	v_cvt_f32_u32_e32 v2, s28
	v_writelane_b32 v47, s21, 3
	v_writelane_b32 v47, s22, 4
	v_mul_f32_e32 v1, 0x4f7ffffe, v1
	v_cvt_u32_f32_e32 v1, v1
	s_load_dwordx4 s[0:3], s[4:5], 0x21c
	v_writelane_b32 v47, s23, 5
	s_load_dwordx2 s[20:21], s[4:5], 0xe4
	v_rcp_iflag_f32_e32 v2, v2
                                        ; kill: killed $sgpr4 killed $sgpr5
	s_sub_i32 s4, 0, s29
	v_readfirstlane_b32 s5, v1
	s_mul_i32 s4, s4, s5
	s_mul_hi_u32 s4, s5, s4
	s_add_i32 s5, s5, s4
	v_mul_f32_e32 v1, 0x4f7ffffe, v2
	s_waitcnt lgkmcnt(0)
	v_cvt_f32_u32_e32 v2, s21
	s_mul_hi_u32 s4, s16, s5
	s_mul_i32 s5, s4, s29
	v_writelane_b32 v47, s18, 6
	s_sub_i32 s5, s16, s5
	v_writelane_b32 v47, s19, 7
	s_add_i32 s7, s4, 1
	s_sub_i32 s13, s5, s29
	v_cvt_u32_f32_e32 v1, v1
	v_rcp_iflag_f32_e32 v2, v2
	v_writelane_b32 v47, s36, 8
	s_cmp_ge_u32 s5, s29
	v_writelane_b32 v47, s37, 9
	s_cselect_b32 s4, s7, s4
	v_writelane_b32 v47, s38, 10
	s_cselect_b32 s5, s13, s5
	s_add_i32 s7, s4, 1
	v_writelane_b32 v47, s39, 11
	s_cmp_ge_u32 s5, s29
	v_readfirstlane_b32 s5, v1
	v_mul_f32_e32 v1, 0x4f7ffffe, v2
	s_cselect_b32 s7, s7, s4
	v_writelane_b32 v47, s28, 12
	s_sub_i32 s4, 0, s28
	v_cvt_u32_f32_e32 v1, v1
	s_mul_i32 s4, s4, s5
	s_mul_hi_u32 s4, s5, s4
	v_writelane_b32 v47, s29, 13
	s_add_i32 s5, s5, s4
	v_writelane_b32 v47, s7, 14
	s_mul_hi_u32 s4, s7, s5
	v_readfirstlane_b32 s5, v1
	v_cvt_f32_u32_e32 v1, s20
	v_writelane_b32 v47, s4, 15
	s_sub_i32 s4, 0, s21
	s_mul_i32 s4, s4, s5
	s_mul_hi_u32 s4, s5, s4
	s_add_i32 s5, s5, s4
	v_rcp_iflag_f32_e32 v1, v1
	s_mul_hi_u32 s4, s16, s5
	v_cvt_f32_u32_e32 v2, s15
	s_mul_i32 s5, s4, s21
	s_sub_i32 s5, s16, s5
	s_add_i32 s7, s4, 1
	s_sub_i32 s13, s5, s21
	v_mul_f32_e32 v1, 0x4f7ffffe, v1
	s_cmp_ge_u32 s5, s21
	v_cvt_u32_f32_e32 v1, v1
	v_rcp_iflag_f32_e32 v2, v2
	s_cselect_b32 s4, s7, s4
	s_cselect_b32 s5, s13, s5
	s_add_i32 s7, s4, 1
	s_cmp_ge_u32 s5, s21
	s_cselect_b32 s7, s7, s4
	v_writelane_b32 v47, s20, 16
	s_sub_i32 s4, 0, s20
	v_readfirstlane_b32 s5, v1
	v_mul_f32_e32 v1, 0x4f7ffffe, v2
	s_mul_i32 s4, s4, s5
	v_cvt_u32_f32_e32 v1, v1
	s_mul_hi_u32 s4, s5, s4
	v_writelane_b32 v47, s21, 17
	s_add_i32 s5, s5, s4
	v_writelane_b32 v47, s7, 18
	s_mul_hi_u32 s4, s7, s5
	v_writelane_b32 v47, s4, 19
	s_sub_i32 s4, 0, s15
	v_readfirstlane_b32 s5, v1
	s_mul_i32 s4, s4, s5
	s_mul_hi_u32 s4, s5, s4
	v_cvt_f32_u32_e32 v1, s14
	s_add_i32 s5, s5, s4
	s_mul_hi_u32 s4, s16, s5
	s_mul_i32 s5, s4, s15
	s_sub_i32 s5, s16, s5
	v_rcp_iflag_f32_e32 v1, v1
	s_add_i32 s7, s4, 1
	s_sub_i32 s13, s5, s15
	s_cmp_ge_u32 s5, s15
	s_cselect_b32 s4, s7, s4
	s_cselect_b32 s5, s13, s5
	s_add_i32 s7, s4, 1
	v_mul_f32_e32 v1, 0x4f7ffffe, v1
	s_cmp_ge_u32 s5, s15
	v_cvt_u32_f32_e32 v1, v1
	s_cselect_b32 s4, s7, s4
	s_mul_i32 s5, s4, s15
	s_sub_i32 s5, s16, s5
	s_mul_i32 s5, s5, s2
	s_sub_i32 s2, 0, s14
	v_readfirstlane_b32 s7, v1
	s_mul_i32 s2, s2, s7
	s_mul_hi_u32 s2, s7, s2
	s_add_i32 s7, s7, s2
	s_mul_hi_u32 s2, s4, s7
	s_mul_i32 s7, s2, s14
	s_sub_i32 s7, s4, s7
	s_add_i32 s13, s2, 1
	s_sub_i32 s15, s7, s14
	s_cmp_ge_u32 s7, s14
	s_cselect_b32 s2, s13, s2
	s_cselect_b32 s7, s15, s7
	s_add_i32 s13, s2, 1
	s_cmp_ge_u32 s7, s14
	s_cselect_b32 s2, s13, s2
	s_mul_i32 s7, s2, s14
	s_sub_i32 s4, s4, s7
	s_mul_i32 s1, s4, s1
	s_add_i32 s1, s1, s5
	s_mul_i32 s2, s2, s0
	s_mov_b32 s3, 0
	s_add_i32 s2, s1, s2
	s_lshl_b64 s[0:1], s[2:3], 3
	s_add_u32 s36, s8, s0
	s_addc_u32 s38, s9, s1
	v_mov_b32_e32 v3, 0
	v_writelane_b32 v47, s16, 20
	v_cmp_gt_u32_e64 s[0:1], s24, v0
	s_mov_b64 s[2:3], exec
	v_writelane_b32 v47, s0, 21
	v_writelane_b32 v47, s1, 22
	s_and_b64 s[0:1], s[2:3], s[0:1]
	s_mov_b64 exec, s[0:1]
	s_cbranch_execz .LBB114_5
; %bb.2:
	s_load_dword s0, s[10:11], 0xc
	v_mul_lo_u32 v1, v0, s26
	v_mov_b32_e32 v2, 0
	s_mov_b64 s[4:5], 0
	v_mov_b32_e32 v4, s38
	s_waitcnt lgkmcnt(0)
	s_and_b32 s0, s0, 0xffff
	s_mul_i32 s1, s26, s0
	v_mov_b32_e32 v3, v2
	v_mov_b32_e32 v5, v0
.LBB114_3:                              ; =>This Inner Loop Header: Depth=1
	v_lshlrev_b64 v[6:7], 3, v[1:2]
	v_add_u32_e32 v5, s0, v5
	v_add_co_u32_e32 v6, vcc, s36, v6
	v_addc_co_u32_e32 v7, vcc, v4, v7, vcc
	global_load_dwordx2 v[6:7], v[6:7], off
	v_cmp_le_u32_e32 vcc, s24, v5
	s_or_b64 s[4:5], vcc, s[4:5]
	v_add_u32_e32 v1, s1, v1
	s_waitcnt vmcnt(0)
	v_cmp_u_f64_e32 vcc, v[6:7], v[6:7]
	v_addc_co_u32_e32 v3, vcc, 0, v3, vcc
	s_andn2_b64 exec, exec, s[4:5]
	s_cbranch_execnz .LBB114_3
; %bb.4:
	s_or_b64 exec, exec, s[4:5]
.LBB114_5:
	s_or_b64 exec, exec, s[2:3]
	v_cmp_eq_u32_e64 s[2:3], 0, v0
	s_and_saveexec_b64 s[4:5], s[2:3]
; %bb.6:
	v_mov_b32_e32 v1, 0
	v_mov_b32_e32 v2, v1
	ds_write_b64 v1, v[1:2] offset:4096
; %bb.7:
	s_or_b64 exec, exec, s[4:5]
	v_cmp_ne_u32_e32 vcc, 0, v3
	s_waitcnt lgkmcnt(0)
	s_barrier
	s_and_saveexec_b64 s[4:5], vcc
	s_cbranch_execz .LBB114_12
; %bb.8:
	s_mov_b64 s[14:15], exec
	v_mov_b32_e32 v1, 0
	s_mov_b64 s[8:9], 0
.LBB114_9:                              ; =>This Inner Loop Header: Depth=1
	s_ff1_i32_b64 s0, s[14:15]
	v_readlane_b32 s7, v3, s0
	v_readlane_b32 s1, v1, s0
	s_add_u32 s8, s8, s7
	s_addc_u32 s9, s9, s1
	s_lshl_b64 s[0:1], 1, s0
	s_andn2_b64 s[14:15], s[14:15], s[0:1]
	s_cmp_lg_u64 s[14:15], 0
	s_cbranch_scc1 .LBB114_9
; %bb.10:
	v_mbcnt_lo_u32_b32 v1, exec_lo, 0
	v_mbcnt_hi_u32_b32 v1, exec_hi, v1
	v_cmp_eq_u32_e32 vcc, 0, v1
	s_and_saveexec_b64 s[0:1], vcc
	s_xor_b64 s[0:1], exec, s[0:1]
; %bb.11:
	v_mov_b32_e32 v1, s8
	v_mov_b32_e32 v3, 0
	;; [unrolled: 1-line block ×3, first 2 shown]
	ds_add_u64 v3, v[1:2] offset:4096
.LBB114_12:
	s_or_b64 exec, exec, s[4:5]
	v_mov_b32_e32 v1, 0
	s_waitcnt lgkmcnt(0)
	s_barrier
	ds_read_b64 v[1:2], v1 offset:4096
	s_bitcmp1_b32 s27, 0
	s_cselect_b64 s[8:9], -1, 0
	s_mov_b32 s7, s24
	s_waitcnt lgkmcnt(0)
	v_readfirstlane_b32 s4, v1
	v_readfirstlane_b32 s5, v2
	v_cmp_lt_i64_e64 s[0:1], s[4:5], 1
	s_or_b64 s[0:1], s[8:9], s[0:1]
	s_andn2_b64 vcc, exec, s[0:1]
	s_cbranch_vccnz .LBB114_14
; %bb.13:
	s_not_b64 s[0:1], s[4:5]
	s_add_u32 s0, s0, s24
	s_addc_u32 s1, s1, 0
	s_lshr_b32 s4, s1, 31
	s_add_u32 s0, s0, s4
	s_addc_u32 s1, s1, 0
	s_lshr_b64 s[0:1], s[0:1], 1
	s_add_i32 s7, s0, 1
.LBB114_14:
	s_and_saveexec_b64 s[4:5], s[2:3]
	s_cbranch_execz .LBB114_16
; %bb.15:
	v_mov_b32_e32 v1, 0
	v_mov_b32_e32 v2, s24
	ds_write_b32 v1, v1 offset:4112
	ds_write_b64 v1, v[1:2] offset:4104
.LBB114_16:
	s_or_b64 exec, exec, s[4:5]
	v_mul_lo_u32 v11, s26, v0
	v_mov_b32_e32 v13, 0
	v_mbcnt_lo_u32_b32 v1, -1, 0
	v_mov_b32_e32 v12, v13
	s_waitcnt lgkmcnt(0)
	s_barrier
	s_load_dword s0, s[10:11], 0xc
	v_mbcnt_hi_u32_b32 v27, -1, v1
	v_lshlrev_b64 v[1:2], 3, v[11:12]
	v_cmp_gt_u32_e32 vcc, 64, v0
	v_cmp_gt_i32_e64 s[8:9], 4, v27
	s_and_b64 s[46:47], vcc, s[8:9]
	v_mov_b32_e32 v3, s38
	v_add_co_u32_e32 v14, vcc, s36, v1
	v_addc_co_u32_e32 v15, vcc, v3, v2, vcc
	v_lshlrev_b64 v[1:2], v27, -1
	s_waitcnt lgkmcnt(0)
	s_and_b32 s27, s0, 0xffff
	v_not_b32_e32 v32, v1
	v_lshrrev_b32_e32 v1, 2, v0
	s_lshl_b32 s25, s27, 2
	s_add_i32 s39, s27, -1
	v_and_b32_e32 v1, 0xf0, v1
	s_bfe_u32 s0, s0, 0xa0006
	s_add_i32 s1, s39, s24
	v_or_b32_e32 v33, 0xc00, v1
	v_cvt_f32_u32_e32 v1, s25
	s_cmpk_gt_u32 s24, 0x180
	s_cselect_b64 s[48:49], -1, 0
	s_cmp_gt_u32 s27, 63
	s_cselect_b64 s[50:51], -1, 0
	s_cmp_lt_u32 s6, s12
	s_cselect_b32 s6, 12, 18
	v_rcp_iflag_f32_e32 v1, v1
	s_add_u32 s8, s10, s6
	s_addc_u32 s9, s11, 0
	v_writelane_b32 v47, s8, 23
	s_add_i32 s6, s0, -1
	v_writelane_b32 v47, s9, 24
	s_bfe_u32 s8, s27, 0x30006
	s_and_b32 s6, s6, 0xffff
	v_mul_f32_e32 v1, 0x4f7ffffe, v1
	s_cmp_gt_u32 s6, 6
	v_cvt_u32_f32_e32 v1, v1
	s_cselect_b64 s[10:11], -1, 0
	v_writelane_b32 v47, s10, 25
	s_and_b32 s52, s0, 0x3f8
	v_writelane_b32 v47, s11, 26
	s_cmp_lg_u32 s8, 0
	v_writelane_b32 v47, s8, 27
	s_cselect_b64 s[8:9], -1, 0
	s_sub_i32 s0, 0, s25
	v_readfirstlane_b32 s6, v1
	v_cvt_f32_u32_e32 v1, s27
	s_mul_i32 s0, s0, s6
	s_mul_hi_u32 s0, s6, s0
	s_add_i32 s53, s6, s0
	s_mul_hi_u32 s0, s24, s53
	v_rcp_iflag_f32_e32 v4, v1
	s_mul_i32 s0, s0, s25
	s_sub_i32 s0, s24, s0
	s_sub_i32 s6, s0, s25
	s_cmp_ge_u32 s0, s25
	v_mul_f32_e32 v4, 0x4f7ffffe, v4
	s_cselect_b32 s0, s6, s0
	v_cvt_u32_f32_e32 v4, v4
	s_sub_i32 s6, s0, s25
	s_cmp_ge_u32 s0, s25
	s_cselect_b32 s0, s6, s0
	s_sub_i32 s40, s24, s0
	s_sub_i32 s6, 0, s27
	v_readfirstlane_b32 s12, v4
	v_add_u32_e32 v34, s40, v0
	s_mul_i32 s6, s6, s12
	v_mul_lo_u32 v12, v34, s26
	s_mul_hi_u32 s6, s12, s6
	s_add_i32 s54, s12, s6
	s_mul_hi_u32 s6, s1, s54
	s_mul_i32 s6, s6, s27
	v_not_b32_e32 v31, v2
	v_lshlrev_b64 v[1:2], 3, v[12:13]
	s_sub_i32 s6, s1, s6
	v_lshlrev_b32_e32 v26, 2, v0
	s_sub_i32 s12, s6, s27
	v_add_co_u32_e32 v16, vcc, s36, v1
	s_cmp_ge_u32 s6, s27
	v_mul_lo_u32 v1, s26, v26
	s_cselect_b32 s6, s12, s6
	s_sub_i32 s12, s6, s27
	s_cmp_ge_u32 s6, s27
	s_cselect_b32 s6, s12, s6
	v_add_u32_e32 v35, s26, v1
	v_or_b32_e32 v1, 2, v26
	s_sub_i32 s55, s1, s6
	v_mul_lo_u32 v36, s26, v1
	v_or_b32_e32 v1, 3, v26
	s_add_i32 s1, s27, s24
	v_mul_lo_u32 v37, s26, v1
	v_add_u32_e32 v1, s1, v0
	v_subrev_u32_e32 v1, s0, v1
	v_mul_lo_u32 v39, s26, v1
	v_mov_b32_e32 v5, s38
	v_lshlrev_b32_e32 v28, 3, v0
	v_lshlrev_b32_e32 v3, 2, v27
	v_writelane_b32 v47, s8, 28
	v_addc_co_u32_e32 v17, vcc, v5, v2, vcc
	s_mul_i32 s37, s26, s27
	v_mov_b32_e32 v18, 0
	v_mov_b32_e32 v20, 0
	;; [unrolled: 1-line block ×3, first 2 shown]
	s_mov_b32 s41, 0
	v_cmp_eq_u32_e64 s[4:5], 0, v27
	v_cmp_gt_u32_e64 s[20:21], 2, v0
	v_add_u32_e32 v29, 0xc00, v28
	v_and_b32_e32 v30, 0x100, v3
	v_writelane_b32 v47, s9, 29
	v_cmp_gt_u32_e64 s[8:9], s40, v26
	v_cmp_gt_u32_e64 s[10:11], s24, v34
	;; [unrolled: 1-line block ×3, first 2 shown]
	s_lshl_b32 s56, s37, 2
	v_lshlrev_b32_e32 v38, 2, v11
	v_lshlrev_b32_e32 v40, 5, v0
	s_lshl_b32 s57, s27, 5
	s_lshl_b32 s44, s27, 3
	v_or_b32_e32 v41, 0xc00, v3
	s_mov_b32 s45, 62
	s_mov_b64 s[58:59], 0
	v_mov_b32_e32 v42, s7
	v_mov_b32_e32 v19, 0
	;; [unrolled: 1-line block ×5, first 2 shown]
                                        ; implicit-def: $sgpr60_sgpr61
                                        ; implicit-def: $sgpr64_sgpr65
                                        ; implicit-def: $sgpr62_sgpr63
                                        ; implicit-def: $sgpr68_sgpr69
                                        ; implicit-def: $sgpr70_sgpr71
                                        ; implicit-def: $sgpr66_sgpr67
	s_branch .LBB114_20
.LBB114_17:                             ;   in Loop: Header=BB114_20 Depth=1
	s_or_b64 exec, exec, s[28:29]
	s_and_b64 s[18:19], s[18:19], exec
	s_andn2_b64 s[72:73], s[72:73], exec
	s_andn2_b64 s[22:23], s[22:23], exec
	s_orn2_b64 s[16:17], s[16:17], exec
.LBB114_18:                             ;   in Loop: Header=BB114_20 Depth=1
	s_or_b64 exec, exec, s[6:7]
	s_andn2_b64 s[6:7], s[66:67], exec
	s_and_b64 s[18:19], s[18:19], exec
	s_or_b64 s[66:67], s[6:7], s[18:19]
	s_andn2_b64 s[6:7], s[70:71], exec
	s_and_b64 s[18:19], s[72:73], exec
	s_or_b64 s[70:71], s[6:7], s[18:19]
	;; [unrolled: 3-line block ×3, first 2 shown]
	s_orn2_b64 s[16:17], s[16:17], exec
.LBB114_19:                             ;   in Loop: Header=BB114_20 Depth=1
	s_or_b64 exec, exec, s[14:15]
	s_and_b64 s[6:7], exec, s[16:17]
	s_or_b64 s[58:59], s[6:7], s[58:59]
	s_andn2_b64 s[6:7], s[62:63], exec
	s_and_b64 s[14:15], s[66:67], exec
	s_or_b64 s[62:63], s[6:7], s[14:15]
	s_andn2_b64 s[6:7], s[64:65], exec
	s_and_b64 s[14:15], s[70:71], exec
	;; [unrolled: 3-line block ×3, first 2 shown]
	s_or_b64 s[60:61], s[6:7], s[14:15]
	s_mov_b32 s41, s1
	s_mov_b32 s45, s0
	v_mov_b32_e32 v42, v8
	s_andn2_b64 exec, exec, s[58:59]
	s_cbranch_execz .LBB114_249
.LBB114_20:                             ; =>This Loop Header: Depth=1
                                        ;     Child Loop BB114_26 Depth 2
                                        ;     Child Loop BB114_39 Depth 2
	;; [unrolled: 1-line block ×16, first 2 shown]
	ds_read_b64 v[3:4], v13 offset:4104
	s_waitcnt lgkmcnt(0)
	v_readfirstlane_b32 s30, v3
	s_cmp_lg_u32 s30, 0
	s_cbranch_scc1 .LBB114_47
; %bb.21:                               ;   in Loop: Header=BB114_20 Depth=1
	s_and_b64 vcc, exec, s[48:49]
	s_cbranch_vccz .LBB114_34
; %bb.22:                               ;   in Loop: Header=BB114_20 Depth=1
	s_movk_i32 s0, 0x181
	v_cmp_gt_u32_e32 vcc, s0, v4
	s_mov_b64 s[16:17], 0
	s_mov_b64 s[6:7], 0
	s_cbranch_vccz .LBB114_35
; %bb.23:                               ;   in Loop: Header=BB114_20 Depth=1
	s_mov_b64 s[18:19], exec
	v_readlane_b32 s0, v47, 21
	v_readlane_b32 s1, v47, 22
	s_and_b64 s[0:1], s[18:19], s[0:1]
	s_mov_b64 exec, s[0:1]
	s_cbranch_execz .LBB114_134
; %bb.24:                               ;   in Loop: Header=BB114_20 Depth=1
	v_readlane_b32 s0, v47, 23
	v_readlane_b32 s1, v47, 24
	s_nop 4
	global_load_ushort v1, v13, s[0:1]
	global_load_dwordx2 v[3:4], v[14:15], off
	s_mov_b64 s[22:23], 0
	v_mov_b32_e32 v10, v0
	s_waitcnt vmcnt(1)
	v_add_u32_e32 v7, v0, v1
	v_mul_lo_u32 v12, s26, v7
	v_mul_lo_u32 v9, s26, v1
	s_branch .LBB114_26
.LBB114_25:                             ;   in Loop: Header=BB114_26 Depth=2
	s_or_b64 exec, exec, s[6:7]
	v_mov_b32_e32 v3, v7
	v_add_u32_e32 v12, v12, v9
	v_mov_b32_e32 v4, v8
	s_andn2_b64 exec, exec, s[22:23]
	s_cbranch_execz .LBB114_134
.LBB114_26:                             ;   Parent Loop BB114_20 Depth=1
                                        ; =>  This Inner Loop Header: Depth=2
	v_add_u32_e32 v10, v10, v1
	v_mov_b32_e32 v7, 0
	v_cmp_gt_u32_e64 s[6:7], s24, v10
	v_mov_b32_e32 v8, 0
	v_cmp_le_u32_e32 vcc, s24, v10
	s_and_saveexec_b64 s[14:15], s[6:7]
	s_cbranch_execz .LBB114_28
; %bb.27:                               ;   in Loop: Header=BB114_26 Depth=2
	v_lshlrev_b64 v[7:8], 3, v[12:13]
	s_waitcnt lgkmcnt(0)
	v_mov_b32_e32 v22, s38
	v_add_co_u32_e64 v7, s[6:7], s36, v7
	v_addc_co_u32_e64 v8, s[6:7], v22, v8, s[6:7]
	global_load_dwordx2 v[7:8], v[7:8], off
.LBB114_28:                             ;   in Loop: Header=BB114_26 Depth=2
	s_or_b64 exec, exec, s[14:15]
	s_waitcnt vmcnt(0)
	v_cmp_o_f64_e64 s[6:7], v[3:4], v[3:4]
	s_waitcnt lgkmcnt(0)
	v_ashrrev_i32_e32 v22, 31, v4
	v_or_b32_e32 v23, 0x80000000, v22
	v_xor_b32_e32 v23, v23, v4
	v_xor_b32_e32 v22, v22, v3
	v_cndmask_b32_e64 v23, -1, v23, s[6:7]
	v_cndmask_b32_e64 v22, -1, v22, s[6:7]
	v_and_b32_e32 v23, v23, v21
	v_and_b32_e32 v22, v22, v20
	v_cmp_eq_u64_e64 s[14:15], v[22:23], v[18:19]
	v_mov_b32_e32 v22, 0
	s_cmp_lg_u64 s[14:15], 0
	s_cselect_b64 s[0:1], -1, 0
	s_and_b64 s[0:1], s[4:5], s[0:1]
	s_and_saveexec_b64 s[28:29], s[0:1]
	s_cbranch_execz .LBB114_32
; %bb.29:                               ;   in Loop: Header=BB114_26 Depth=2
	s_mov_b64 s[34:35], exec
	v_mbcnt_lo_u32_b32 v22, s34, 0
	v_mbcnt_hi_u32_b32 v22, s35, v22
	s_bcnt1_i32_b64 s0, s[14:15]
	v_cmp_eq_u32_e64 s[6:7], 0, v22
                                        ; implicit-def: $vgpr23
	s_and_saveexec_b64 s[30:31], s[6:7]
; %bb.30:                               ;   in Loop: Header=BB114_26 Depth=2
	s_bcnt1_i32_b64 s1, s[34:35]
	s_mul_i32 s1, s0, s1
	v_mov_b32_e32 v23, s1
	ds_add_rtn_u32 v23, v13, v23 offset:4112
; %bb.31:                               ;   in Loop: Header=BB114_26 Depth=2
	s_or_b64 exec, exec, s[30:31]
	s_waitcnt lgkmcnt(0)
	v_readfirstlane_b32 s1, v23
	v_mov_b32_e32 v23, s1
	v_mad_u32_u24 v22, s0, v22, v23
.LBB114_32:                             ;   in Loop: Header=BB114_26 Depth=2
	s_or_b64 exec, exec, s[28:29]
	ds_bpermute_b32 v22, v30, v22
	s_and_b64 s[0:1], exec, vcc
	s_or_b64 s[22:23], s[0:1], s[22:23]
	s_and_saveexec_b64 s[6:7], s[14:15]
	s_cbranch_execz .LBB114_25
; %bb.33:                               ;   in Loop: Header=BB114_26 Depth=2
	v_and_b32_e32 v24, s14, v32
	v_and_b32_e32 v23, s15, v31
	v_bcnt_u32_b32 v24, v24, 0
	v_bcnt_u32_b32 v23, v23, v24
	v_lshlrev_b32_e32 v23, 3, v23
	s_waitcnt lgkmcnt(0)
	v_lshl_add_u32 v22, v22, 3, v23
	ds_write_b64 v22, v[3:4]
	s_branch .LBB114_25
.LBB114_34:                             ;   in Loop: Header=BB114_20 Depth=1
	s_mov_b64 s[16:17], -1
	s_mov_b64 s[6:7], 0
.LBB114_35:                             ;   in Loop: Header=BB114_20 Depth=1
	s_and_b64 vcc, exec, s[16:17]
	s_cbranch_vccz .LBB114_45
.LBB114_36:                             ;   in Loop: Header=BB114_20 Depth=1
	s_mov_b64 s[6:7], exec
	v_readlane_b32 s0, v47, 21
	v_readlane_b32 s1, v47, 22
	s_and_b64 s[0:1], s[6:7], s[0:1]
	s_mov_b64 exec, s[0:1]
	s_cbranch_execz .LBB114_42
; %bb.37:                               ;   in Loop: Header=BB114_20 Depth=1
	v_readlane_b32 s0, v47, 23
	v_readlane_b32 s1, v47, 24
	s_nop 4
	global_load_ushort v1, v13, s[0:1]
	global_load_dwordx2 v[3:4], v[14:15], off
	v_mov_b32_e32 v9, v0
	s_waitcnt vmcnt(1)
	v_add_u32_e32 v7, v0, v1
	v_cmp_gt_u32_e32 vcc, s24, v7
	s_and_saveexec_b64 s[14:15], vcc
	s_cbranch_execz .LBB114_41
; %bb.38:                               ;   in Loop: Header=BB114_20 Depth=1
	v_mul_lo_u32 v12, s26, v7
	v_mul_lo_u32 v22, s26, v1
	v_lshlrev_b32_e32 v10, 3, v1
	s_mov_b64 s[16:17], 0
	v_mov_b32_e32 v23, v28
	v_mov_b32_e32 v9, v0
.LBB114_39:                             ;   Parent Loop BB114_20 Depth=1
                                        ; =>  This Inner Loop Header: Depth=2
	v_lshlrev_b64 v[7:8], 3, v[12:13]
	v_mov_b32_e32 v24, s38
	v_add_co_u32_e32 v7, vcc, s36, v7
	v_addc_co_u32_e32 v8, vcc, v24, v8, vcc
	global_load_dwordx2 v[7:8], v[7:8], off
	v_add_u32_e32 v9, v9, v1
	s_waitcnt vmcnt(1)
	ds_write_b64 v23, v[3:4]
	v_add_u32_e32 v3, v1, v9
	v_cmp_le_u32_e32 vcc, s24, v3
	v_add_u32_e32 v23, v23, v10
	v_add_u32_e32 v12, v12, v22
	s_or_b64 s[16:17], vcc, s[16:17]
	s_waitcnt vmcnt(0)
	v_mov_b32_e32 v3, v7
	v_mov_b32_e32 v4, v8
	s_andn2_b64 exec, exec, s[16:17]
	s_cbranch_execnz .LBB114_39
; %bb.40:                               ;   in Loop: Header=BB114_20 Depth=1
	s_or_b64 exec, exec, s[16:17]
	v_mov_b32_e32 v3, v7
	v_mov_b32_e32 v4, v8
.LBB114_41:                             ;   in Loop: Header=BB114_20 Depth=1
	s_or_b64 exec, exec, s[14:15]
	v_lshlrev_b32_e32 v1, 3, v9
	s_waitcnt vmcnt(0)
	ds_write_b64 v1, v[3:4]
.LBB114_42:                             ;   in Loop: Header=BB114_20 Depth=1
	s_or_b64 exec, exec, s[6:7]
	s_waitcnt lgkmcnt(0)
	s_barrier
	s_and_saveexec_b64 s[6:7], s[2:3]
; %bb.43:                               ;   in Loop: Header=BB114_20 Depth=1
	v_mov_b32_e32 v1, s24
	ds_write_b32 v13, v1 offset:4104
; %bb.44:                               ;   in Loop: Header=BB114_20 Depth=1
	s_or_b64 exec, exec, s[6:7]
	s_mov_b64 s[6:7], -1
	s_waitcnt lgkmcnt(0)
	s_barrier
.LBB114_45:                             ;   in Loop: Header=BB114_20 Depth=1
	s_mov_b32 s30, 0
	s_and_b64 vcc, exec, s[6:7]
	s_cbranch_vccz .LBB114_47
; %bb.46:                               ;   in Loop: Header=BB114_20 Depth=1
	ds_read_b32 v1, v13 offset:4104
	s_waitcnt lgkmcnt(0)
	v_readfirstlane_b32 s30, v1
.LBB114_47:                             ;   in Loop: Header=BB114_20 Depth=1
	s_cmp_lt_i32 s30, 1
	s_mov_b64 s[6:7], -1
                                        ; implicit-def: $vgpr7
	s_cbranch_scc1 .LBB114_57
; %bb.48:                               ;   in Loop: Header=BB114_20 Depth=1
	s_and_b64 vcc, exec, s[6:7]
	s_cbranch_vccnz .LBB114_68
.LBB114_49:                             ;   in Loop: Header=BB114_20 Depth=1
	s_lshl_b32 s0, s41, 6
	s_and_saveexec_b64 s[6:7], s[4:5]
.LBB114_50:                             ;   in Loop: Header=BB114_20 Depth=1
	v_lshl_add_u32 v1, s0, 2, v33
	ds_write_b128 v1, v[7:10]
.LBB114_51:                             ;   in Loop: Header=BB114_20 Depth=1
	s_or_b64 exec, exec, s[6:7]
	s_waitcnt lgkmcnt(0)
	s_barrier
	s_and_saveexec_b64 s[6:7], s[46:47]
	s_cbranch_execz .LBB114_82
; %bb.52:                               ;   in Loop: Header=BB114_20 Depth=1
	s_andn2_b64 vcc, exec, s[50:51]
	v_mov_b32_e32 v1, 0
	s_cbranch_vccnz .LBB114_81
; %bb.53:                               ;   in Loop: Header=BB114_20 Depth=1
	v_readlane_b32 s14, v47, 25
	v_readlane_b32 s15, v47, 26
	s_andn2_b64 vcc, exec, s[14:15]
	s_cbranch_vccnz .LBB114_77
; %bb.54:                               ;   in Loop: Header=BB114_20 Depth=1
	v_lshl_add_u32 v3, s41, 8, v41
	s_mov_b32 s1, 0
	v_mov_b32_e32 v1, 0
.LBB114_55:                             ;   Parent Loop BB114_20 Depth=1
                                        ; =>  This Inner Loop Header: Depth=2
	ds_read2_b32 v[7:8], v3 offset1:4
	ds_read2_b32 v[9:10], v3 offset0:8 offset1:12
	ds_read2_b32 v[22:23], v3 offset0:16 offset1:20
	;; [unrolled: 1-line block ×3, first 2 shown]
	s_add_i32 s1, s1, 8
	s_waitcnt lgkmcnt(3)
	v_add3_u32 v1, v7, v1, v8
	s_waitcnt lgkmcnt(2)
	v_add3_u32 v1, v9, v1, v10
	;; [unrolled: 2-line block ×3, first 2 shown]
	v_add_u32_e32 v3, 0x80, v3
	s_cmp_eq_u32 s52, s1
	s_waitcnt lgkmcnt(0)
	v_add3_u32 v1, v24, v1, v25
	s_cbranch_scc0 .LBB114_55
; %bb.56:                               ;   in Loop: Header=BB114_20 Depth=1
	s_mov_b32 s1, s52
	s_branch .LBB114_78
.LBB114_57:                             ;   in Loop: Header=BB114_20 Depth=1
	v_mov_b32_e32 v7, 0
	v_mov_b32_e32 v8, 0
	;; [unrolled: 1-line block ×4, first 2 shown]
	s_and_saveexec_b64 s[22:23], s[8:9]
	s_cbranch_execz .LBB114_61
; %bb.58:                               ;   in Loop: Header=BB114_20 Depth=1
	s_mov_b32 s28, 0
	s_mov_b64 s[72:73], 0
	s_mov_b32 s29, 0
	s_mov_b32 s31, 0
	;; [unrolled: 1-line block ×4, first 2 shown]
	v_mov_b32_e32 v1, v26
.LBB114_59:                             ;   Parent Loop BB114_20 Depth=1
                                        ; =>  This Inner Loop Header: Depth=2
	v_add_u32_e32 v12, s28, v38
	v_lshlrev_b64 v[3:4], 3, v[12:13]
	v_mov_b32_e32 v24, s38
	v_add_co_u32_e32 v3, vcc, s36, v3
	v_addc_co_u32_e32 v4, vcc, v24, v4, vcc
	global_load_dwordx2 v[3:4], v[3:4], off
	v_add_u32_e32 v12, s28, v35
	v_lshlrev_b64 v[7:8], 3, v[12:13]
	v_add_u32_e32 v12, s28, v36
	v_add_co_u32_e32 v7, vcc, s36, v7
	v_addc_co_u32_e32 v8, vcc, v24, v8, vcc
	global_load_dwordx2 v[7:8], v[7:8], off
	v_lshlrev_b64 v[9:10], 3, v[12:13]
	v_add_u32_e32 v12, s28, v37
	v_add_co_u32_e32 v9, vcc, s36, v9
	v_addc_co_u32_e32 v10, vcc, v24, v10, vcc
	global_load_dwordx2 v[9:10], v[9:10], off
	;; [unrolled: 5-line block ×3, first 2 shown]
	s_add_i32 s28, s28, s56
	s_waitcnt vmcnt(3)
	v_cmp_o_f64_e32 vcc, v[3:4], v[3:4]
	v_ashrrev_i32_e32 v12, 31, v4
	v_or_b32_e32 v24, 0x80000000, v12
	v_xor_b32_e32 v4, v24, v4
	v_xor_b32_e32 v3, v12, v3
	s_waitcnt vmcnt(2)
	v_ashrrev_i32_e32 v12, 31, v8
	v_cndmask_b32_e32 v4, -1, v4, vcc
	v_cndmask_b32_e32 v3, -1, v3, vcc
	v_cmp_o_f64_e32 vcc, v[7:8], v[7:8]
	v_or_b32_e32 v24, 0x80000000, v12
	v_xor_b32_e32 v8, v24, v8
	v_xor_b32_e32 v7, v12, v7
	v_cndmask_b32_e32 v25, -1, v8, vcc
	v_cndmask_b32_e32 v24, -1, v7, vcc
	s_waitcnt vmcnt(1)
	v_cmp_o_f64_e32 vcc, v[9:10], v[9:10]
	v_ashrrev_i32_e32 v7, 31, v10
	v_or_b32_e32 v8, 0x80000000, v7
	v_xor_b32_e32 v8, v8, v10
	v_xor_b32_e32 v7, v7, v9
	v_cndmask_b32_e32 v10, -1, v8, vcc
	v_cndmask_b32_e32 v9, -1, v7, vcc
	s_waitcnt vmcnt(0)
	v_cmp_o_f64_e32 vcc, v[22:23], v[22:23]
	v_ashrrev_i32_e32 v7, 31, v23
	v_or_b32_e32 v8, 0x80000000, v7
	v_xor_b32_e32 v8, v8, v23
	v_xor_b32_e32 v7, v7, v22
	v_and_b32_e32 v23, v4, v21
	v_and_b32_e32 v22, v3, v20
	v_lshrrev_b64 v[3:4], s45, v[3:4]
	v_cndmask_b32_e32 v8, -1, v8, vcc
	v_and_b32_e32 v12, 3, v3
	v_lshrrev_b64 v[3:4], s45, v[24:25]
	v_cndmask_b32_e32 v7, -1, v7, vcc
	v_cmp_eq_u64_e32 vcc, v[22:23], v[18:19]
	v_and_b32_e32 v23, v25, v21
	v_and_b32_e32 v22, v24, v20
	v_cmp_eq_u64_e64 s[6:7], 0, v[12:13]
	v_cmp_eq_u64_e64 s[14:15], v[22:23], v[18:19]
	v_and_b32_e32 v23, v10, v21
	v_and_b32_e32 v22, v9, v20
	;; [unrolled: 1-line block ×3, first 2 shown]
	v_mov_b32_e32 v4, v13
	v_lshrrev_b64 v[9:10], s45, v[9:10]
	s_and_b64 s[0:1], vcc, s[6:7]
	v_cmp_eq_u64_e64 s[6:7], 0, v[3:4]
	v_cmp_eq_u64_e64 s[16:17], v[22:23], v[18:19]
	v_and_b32_e32 v23, v8, v21
	v_and_b32_e32 v22, v7, v20
	;; [unrolled: 1-line block ×3, first 2 shown]
	v_mov_b32_e32 v10, v13
	v_lshrrev_b64 v[7:8], s45, v[7:8]
	s_and_b64 s[42:43], s[14:15], s[6:7]
	v_cmp_eq_u64_e64 s[6:7], 0, v[9:10]
	v_and_b32_e32 v7, 3, v7
	v_mov_b32_e32 v8, v13
	v_cmp_eq_u64_e64 s[18:19], v[22:23], v[18:19]
	s_and_b64 s[74:75], s[16:17], s[6:7]
	v_cmp_eq_u64_e64 s[6:7], 0, v[7:8]
	v_cndmask_b32_e64 v22, 0, 1, s[0:1]
	s_and_b64 s[76:77], s[18:19], s[6:7]
	v_cmp_ne_u32_e64 s[6:7], 0, v22
	v_cndmask_b32_e64 v22, 0, 1, s[42:43]
	s_bcnt1_i32_b64 s0, s[6:7]
	v_cmp_ne_u32_e64 s[6:7], 0, v22
	v_cndmask_b32_e64 v22, 0, 1, s[74:75]
	s_bcnt1_i32_b64 s1, s[6:7]
	v_cmp_ne_u32_e64 s[6:7], 0, v22
	v_cndmask_b32_e64 v22, 0, 1, s[76:77]
	s_add_i32 s0, s34, s0
	s_bcnt1_i32_b64 s35, s[6:7]
	v_cmp_ne_u32_e64 s[6:7], 0, v22
	s_add_i32 s0, s0, s1
	s_bcnt1_i32_b64 s6, s[6:7]
	s_add_i32 s0, s0, s35
	s_add_i32 s34, s0, s6
	v_cmp_eq_u64_e64 s[6:7], 1, v[12:13]
	s_and_b64 s[0:1], vcc, s[6:7]
	v_cmp_eq_u64_e64 s[6:7], 1, v[3:4]
	v_cndmask_b32_e64 v22, 0, 1, s[0:1]
	s_and_b64 s[42:43], s[14:15], s[6:7]
	v_cmp_eq_u64_e64 s[6:7], 1, v[9:10]
	s_and_b64 s[74:75], s[16:17], s[6:7]
	v_cmp_eq_u64_e64 s[6:7], 1, v[7:8]
	s_and_b64 s[76:77], s[18:19], s[6:7]
	v_cmp_ne_u32_e64 s[6:7], 0, v22
	v_cndmask_b32_e64 v22, 0, 1, s[42:43]
	s_bcnt1_i32_b64 s0, s[6:7]
	v_cmp_ne_u32_e64 s[6:7], 0, v22
	v_cndmask_b32_e64 v22, 0, 1, s[74:75]
	s_bcnt1_i32_b64 s1, s[6:7]
	v_cmp_ne_u32_e64 s[6:7], 0, v22
	v_cndmask_b32_e64 v22, 0, 1, s[76:77]
	s_add_i32 s0, s33, s0
	s_bcnt1_i32_b64 s35, s[6:7]
	v_cmp_ne_u32_e64 s[6:7], 0, v22
	s_add_i32 s0, s0, s1
	s_bcnt1_i32_b64 s6, s[6:7]
	s_add_i32 s0, s0, s35
	s_add_i32 s33, s0, s6
	v_cmp_eq_u64_e64 s[6:7], 2, v[12:13]
	s_and_b64 s[0:1], vcc, s[6:7]
	v_cmp_eq_u64_e64 s[6:7], 2, v[3:4]
	v_cndmask_b32_e64 v22, 0, 1, s[0:1]
	s_and_b64 s[42:43], s[14:15], s[6:7]
	v_cmp_eq_u64_e64 s[6:7], 2, v[9:10]
	s_and_b64 s[74:75], s[16:17], s[6:7]
	v_cmp_eq_u64_e64 s[6:7], 2, v[7:8]
	s_and_b64 s[76:77], s[18:19], s[6:7]
	v_cmp_ne_u32_e64 s[6:7], 0, v22
	v_cndmask_b32_e64 v22, 0, 1, s[42:43]
	s_bcnt1_i32_b64 s0, s[6:7]
	v_cmp_ne_u32_e64 s[6:7], 0, v22
	v_cndmask_b32_e64 v22, 0, 1, s[74:75]
	s_bcnt1_i32_b64 s1, s[6:7]
	v_cmp_ne_u32_e64 s[6:7], 0, v22
	v_cndmask_b32_e64 v22, 0, 1, s[76:77]
	s_add_i32 s0, s31, s0
	s_bcnt1_i32_b64 s35, s[6:7]
	v_cmp_ne_u32_e64 s[6:7], 0, v22
	s_add_i32 s0, s0, s1
	s_bcnt1_i32_b64 s6, s[6:7]
	s_add_i32 s0, s0, s35
	s_add_i32 s31, s0, s6
	v_cmp_eq_u64_e64 s[6:7], 3, v[12:13]
	s_and_b64 s[0:1], vcc, s[6:7]
	v_cmp_eq_u64_e32 vcc, 3, v[3:4]
	v_cndmask_b32_e64 v3, 0, 1, s[0:1]
	s_and_b64 s[6:7], s[14:15], vcc
	v_cmp_eq_u64_e32 vcc, 3, v[9:10]
	v_mov_b32_e32 v9, s31
	s_and_b64 s[14:15], s[16:17], vcc
	v_cmp_eq_u64_e32 vcc, 3, v[7:8]
	v_mov_b32_e32 v7, s34
	s_and_b64 s[16:17], s[18:19], vcc
	v_cmp_ne_u32_e32 vcc, 0, v3
	v_cndmask_b32_e64 v3, 0, 1, s[6:7]
	s_bcnt1_i32_b64 s0, vcc
	v_cmp_ne_u32_e32 vcc, 0, v3
	v_cndmask_b32_e64 v3, 0, 1, s[14:15]
	s_bcnt1_i32_b64 s1, vcc
	v_cmp_ne_u32_e32 vcc, 0, v3
	v_cndmask_b32_e64 v3, 0, 1, s[16:17]
	s_add_i32 s0, s29, s0
	s_bcnt1_i32_b64 s6, vcc
	v_cmp_ne_u32_e32 vcc, 0, v3
	s_add_i32 s0, s0, s1
	s_bcnt1_i32_b64 s7, vcc
	s_add_i32 s0, s0, s6
	s_add_i32 s29, s0, s7
	v_cmp_le_u32_e32 vcc, s40, v1
	s_or_b64 s[72:73], vcc, s[72:73]
	v_mov_b32_e32 v8, s33
	v_mov_b32_e32 v10, s29
	s_andn2_b64 exec, exec, s[72:73]
	s_cbranch_execnz .LBB114_59
; %bb.60:                               ;   in Loop: Header=BB114_20 Depth=1
	s_or_b64 exec, exec, s[72:73]
.LBB114_61:                             ;   in Loop: Header=BB114_20 Depth=1
	s_or_b64 exec, exec, s[22:23]
	s_and_saveexec_b64 s[14:15], s[10:11]
	s_cbranch_execz .LBB114_67
; %bb.62:                               ;   in Loop: Header=BB114_20 Depth=1
	global_load_dwordx2 v[24:25], v[16:17], off
	s_mov_b64 s[16:17], 0
	v_mov_b32_e32 v3, v39
	v_mov_b32_e32 v1, v34
	s_branch .LBB114_64
.LBB114_63:                             ;   in Loop: Header=BB114_64 Depth=2
	s_or_b64 exec, exec, s[18:19]
	s_waitcnt vmcnt(0)
	v_cmp_o_f64_e64 s[6:7], v[24:25], v[24:25]
	v_ashrrev_i32_e32 v4, 31, v25
	v_or_b32_e32 v12, 0x80000000, v4
	v_xor_b32_e32 v12, v12, v25
	v_xor_b32_e32 v4, v4, v24
	s_and_b64 s[0:1], exec, vcc
	s_or_b64 s[16:17], s[0:1], s[16:17]
	v_add_u32_e32 v3, s37, v3
	v_cndmask_b32_e64 v25, -1, v12, s[6:7]
	v_cndmask_b32_e64 v24, -1, v4, s[6:7]
	v_and_b32_e32 v44, v25, v21
	v_and_b32_e32 v43, v24, v20
	v_lshrrev_b64 v[24:25], s45, v[24:25]
	v_cmp_eq_u64_e32 vcc, v[43:44], v[18:19]
	v_and_b32_e32 v12, 3, v24
	v_cmp_eq_u64_e64 s[6:7], 0, v[12:13]
	v_mov_b32_e32 v25, v23
	s_and_b64 s[0:1], vcc, s[6:7]
	v_cndmask_b32_e64 v4, 0, 1, s[0:1]
	v_cmp_ne_u32_e64 s[6:7], 0, v4
	s_bcnt1_i32_b64 s0, s[6:7]
	v_cmp_eq_u64_e64 s[6:7], 1, v[12:13]
	v_add_u32_e32 v7, s0, v7
	s_and_b64 s[0:1], vcc, s[6:7]
	v_cndmask_b32_e64 v4, 0, 1, s[0:1]
	v_cmp_ne_u32_e64 s[6:7], 0, v4
	s_bcnt1_i32_b64 s0, s[6:7]
	v_cmp_eq_u64_e64 s[6:7], 2, v[12:13]
	v_add_u32_e32 v8, s0, v8
	;; [unrolled: 6-line block ×3, first 2 shown]
	s_and_b64 s[0:1], vcc, s[6:7]
	v_cndmask_b32_e64 v4, 0, 1, s[0:1]
	v_cmp_ne_u32_e32 vcc, 0, v4
	s_bcnt1_i32_b64 s0, vcc
	v_add_u32_e32 v10, s0, v10
	v_mov_b32_e32 v24, v22
	s_andn2_b64 exec, exec, s[16:17]
	s_cbranch_execz .LBB114_66
.LBB114_64:                             ;   Parent Loop BB114_20 Depth=1
                                        ; =>  This Inner Loop Header: Depth=2
	v_add_u32_e32 v1, s27, v1
	v_mov_b32_e32 v22, 0
	v_cmp_gt_u32_e64 s[6:7], s24, v1
	v_mov_b32_e32 v23, 0
	v_cmp_le_u32_e32 vcc, s24, v1
	s_and_saveexec_b64 s[18:19], s[6:7]
	s_cbranch_execz .LBB114_63
; %bb.65:                               ;   in Loop: Header=BB114_64 Depth=2
	v_mov_b32_e32 v4, v13
	v_lshlrev_b64 v[22:23], 3, v[3:4]
	v_mov_b32_e32 v4, s38
	v_add_co_u32_e64 v22, s[6:7], s36, v22
	v_addc_co_u32_e64 v23, s[6:7], v4, v23, s[6:7]
	global_load_dwordx2 v[22:23], v[22:23], off
	s_branch .LBB114_63
.LBB114_66:                             ;   in Loop: Header=BB114_20 Depth=1
	s_or_b64 exec, exec, s[16:17]
.LBB114_67:                             ;   in Loop: Header=BB114_20 Depth=1
	s_or_b64 exec, exec, s[14:15]
	s_branch .LBB114_49
.LBB114_68:                             ;   in Loop: Header=BB114_20 Depth=1
	s_mul_hi_u32 s0, s30, s53
	s_mul_i32 s0, s0, s25
	s_sub_i32 s0, s30, s0
	s_sub_i32 s1, s0, s25
	s_cmp_ge_u32 s0, s25
	s_cselect_b32 s0, s1, s0
	s_sub_i32 s1, s0, s25
	s_cmp_ge_u32 s0, s25
	s_cselect_b32 s0, s1, s0
	s_sub_i32 s28, s30, s0
	v_cmp_gt_u32_e32 vcc, s28, v26
	v_mov_b32_e32 v7, 0
	v_mov_b32_e32 v8, 0
	;; [unrolled: 1-line block ×4, first 2 shown]
	s_and_saveexec_b64 s[22:23], vcc
	s_cbranch_execz .LBB114_72
; %bb.69:                               ;   in Loop: Header=BB114_20 Depth=1
	s_mov_b32 s29, 0
	s_mov_b64 s[72:73], 0
	v_mov_b32_e32 v1, v40
	s_mov_b32 s31, 0
	s_mov_b32 s33, 0
	s_mov_b32 s34, 0
	v_mov_b32_e32 v22, v26
.LBB114_70:                             ;   Parent Loop BB114_20 Depth=1
                                        ; =>  This Inner Loop Header: Depth=2
	ds_read_b128 v[7:10], v1
	ds_read_b128 v[43:46], v1 offset:16
	v_add_u32_e32 v22, s25, v22
	v_add_u32_e32 v1, s57, v1
	s_waitcnt lgkmcnt(1)
	v_cmp_o_f64_e32 vcc, v[7:8], v[7:8]
	v_ashrrev_i32_e32 v3, 31, v8
	v_or_b32_e32 v4, 0x80000000, v3
	v_xor_b32_e32 v4, v4, v8
	v_xor_b32_e32 v3, v3, v7
	v_ashrrev_i32_e32 v7, 31, v10
	v_or_b32_e32 v8, 0x80000000, v7
	v_xor_b32_e32 v8, v8, v10
	v_cndmask_b32_e32 v4, -1, v4, vcc
	v_cndmask_b32_e32 v3, -1, v3, vcc
	v_cmp_o_f64_e32 vcc, v[9:10], v[9:10]
	v_xor_b32_e32 v7, v7, v9
	v_cndmask_b32_e32 v24, -1, v8, vcc
	v_cndmask_b32_e32 v23, -1, v7, vcc
	s_waitcnt lgkmcnt(0)
	v_cmp_o_f64_e32 vcc, v[43:44], v[43:44]
	v_ashrrev_i32_e32 v7, 31, v44
	v_or_b32_e32 v8, 0x80000000, v7
	v_xor_b32_e32 v8, v8, v44
	v_xor_b32_e32 v7, v7, v43
	v_and_b32_e32 v44, v4, v21
	v_and_b32_e32 v43, v3, v20
	v_lshrrev_b64 v[3:4], s45, v[3:4]
	v_cndmask_b32_e32 v10, -1, v8, vcc
	v_cndmask_b32_e32 v9, -1, v7, vcc
	v_cmp_o_f64_e32 vcc, v[45:46], v[45:46]
	v_ashrrev_i32_e32 v7, 31, v46
	v_or_b32_e32 v8, 0x80000000, v7
	v_xor_b32_e32 v8, v8, v46
	v_xor_b32_e32 v7, v7, v45
	v_and_b32_e32 v12, 3, v3
	v_lshrrev_b64 v[3:4], s45, v[23:24]
	v_cmp_eq_u64_e64 s[6:7], 0, v[12:13]
	v_cndmask_b32_e32 v8, -1, v8, vcc
	v_cndmask_b32_e32 v7, -1, v7, vcc
	v_cmp_eq_u64_e32 vcc, v[43:44], v[18:19]
	v_and_b32_e32 v44, v24, v21
	v_and_b32_e32 v43, v23, v20
	v_cmp_eq_u64_e64 s[14:15], v[43:44], v[18:19]
	v_and_b32_e32 v44, v10, v21
	v_and_b32_e32 v43, v9, v20
	;; [unrolled: 1-line block ×3, first 2 shown]
	v_mov_b32_e32 v4, v13
	v_lshrrev_b64 v[9:10], s45, v[9:10]
	s_and_b64 s[0:1], vcc, s[6:7]
	v_cmp_eq_u64_e64 s[6:7], 0, v[3:4]
	v_cmp_eq_u64_e64 s[16:17], v[43:44], v[18:19]
	v_and_b32_e32 v44, v8, v21
	v_and_b32_e32 v43, v7, v20
	;; [unrolled: 1-line block ×3, first 2 shown]
	v_mov_b32_e32 v10, v13
	v_lshrrev_b64 v[7:8], s45, v[7:8]
	s_and_b64 s[42:43], s[14:15], s[6:7]
	v_cmp_eq_u64_e64 s[6:7], 0, v[9:10]
	v_and_b32_e32 v7, 3, v7
	v_mov_b32_e32 v8, v13
	v_cmp_eq_u64_e64 s[18:19], v[43:44], v[18:19]
	s_and_b64 s[74:75], s[16:17], s[6:7]
	v_cmp_eq_u64_e64 s[6:7], 0, v[7:8]
	v_cndmask_b32_e64 v23, 0, 1, s[0:1]
	s_and_b64 s[76:77], s[18:19], s[6:7]
	v_cmp_ne_u32_e64 s[6:7], 0, v23
	v_cndmask_b32_e64 v23, 0, 1, s[42:43]
	s_bcnt1_i32_b64 s0, s[6:7]
	v_cmp_ne_u32_e64 s[6:7], 0, v23
	v_cndmask_b32_e64 v23, 0, 1, s[74:75]
	s_bcnt1_i32_b64 s1, s[6:7]
	v_cmp_ne_u32_e64 s[6:7], 0, v23
	v_cndmask_b32_e64 v23, 0, 1, s[76:77]
	s_add_i32 s0, s34, s0
	s_bcnt1_i32_b64 s35, s[6:7]
	v_cmp_ne_u32_e64 s[6:7], 0, v23
	s_add_i32 s0, s0, s1
	s_bcnt1_i32_b64 s6, s[6:7]
	s_add_i32 s0, s0, s35
	s_add_i32 s34, s0, s6
	v_cmp_eq_u64_e64 s[6:7], 1, v[12:13]
	s_and_b64 s[0:1], vcc, s[6:7]
	v_cmp_eq_u64_e64 s[6:7], 1, v[3:4]
	v_cndmask_b32_e64 v23, 0, 1, s[0:1]
	s_and_b64 s[42:43], s[14:15], s[6:7]
	v_cmp_eq_u64_e64 s[6:7], 1, v[9:10]
	s_and_b64 s[74:75], s[16:17], s[6:7]
	v_cmp_eq_u64_e64 s[6:7], 1, v[7:8]
	s_and_b64 s[76:77], s[18:19], s[6:7]
	v_cmp_ne_u32_e64 s[6:7], 0, v23
	v_cndmask_b32_e64 v23, 0, 1, s[42:43]
	s_bcnt1_i32_b64 s0, s[6:7]
	v_cmp_ne_u32_e64 s[6:7], 0, v23
	v_cndmask_b32_e64 v23, 0, 1, s[74:75]
	s_bcnt1_i32_b64 s1, s[6:7]
	v_cmp_ne_u32_e64 s[6:7], 0, v23
	v_cndmask_b32_e64 v23, 0, 1, s[76:77]
	s_add_i32 s0, s33, s0
	s_bcnt1_i32_b64 s35, s[6:7]
	v_cmp_ne_u32_e64 s[6:7], 0, v23
	s_add_i32 s0, s0, s1
	s_bcnt1_i32_b64 s6, s[6:7]
	s_add_i32 s0, s0, s35
	s_add_i32 s33, s0, s6
	v_cmp_eq_u64_e64 s[6:7], 2, v[12:13]
	s_and_b64 s[0:1], vcc, s[6:7]
	v_cmp_eq_u64_e64 s[6:7], 2, v[3:4]
	v_cndmask_b32_e64 v23, 0, 1, s[0:1]
	s_and_b64 s[42:43], s[14:15], s[6:7]
	v_cmp_eq_u64_e64 s[6:7], 2, v[9:10]
	s_and_b64 s[74:75], s[16:17], s[6:7]
	v_cmp_eq_u64_e64 s[6:7], 2, v[7:8]
	s_and_b64 s[76:77], s[18:19], s[6:7]
	v_cmp_ne_u32_e64 s[6:7], 0, v23
	v_cndmask_b32_e64 v23, 0, 1, s[42:43]
	s_bcnt1_i32_b64 s0, s[6:7]
	v_cmp_ne_u32_e64 s[6:7], 0, v23
	v_cndmask_b32_e64 v23, 0, 1, s[74:75]
	s_bcnt1_i32_b64 s1, s[6:7]
	v_cmp_ne_u32_e64 s[6:7], 0, v23
	v_cndmask_b32_e64 v23, 0, 1, s[76:77]
	s_add_i32 s0, s31, s0
	s_bcnt1_i32_b64 s35, s[6:7]
	v_cmp_ne_u32_e64 s[6:7], 0, v23
	s_add_i32 s0, s0, s1
	s_bcnt1_i32_b64 s6, s[6:7]
	s_add_i32 s0, s0, s35
	s_add_i32 s31, s0, s6
	v_cmp_eq_u64_e64 s[6:7], 3, v[12:13]
	s_and_b64 s[0:1], vcc, s[6:7]
	v_cmp_eq_u64_e32 vcc, 3, v[3:4]
	v_cndmask_b32_e64 v3, 0, 1, s[0:1]
	s_and_b64 s[6:7], s[14:15], vcc
	v_cmp_eq_u64_e32 vcc, 3, v[9:10]
	v_mov_b32_e32 v9, s31
	s_and_b64 s[14:15], s[16:17], vcc
	v_cmp_eq_u64_e32 vcc, 3, v[7:8]
	v_mov_b32_e32 v7, s34
	s_and_b64 s[16:17], s[18:19], vcc
	v_cmp_ne_u32_e32 vcc, 0, v3
	v_cndmask_b32_e64 v3, 0, 1, s[6:7]
	s_bcnt1_i32_b64 s0, vcc
	v_cmp_ne_u32_e32 vcc, 0, v3
	v_cndmask_b32_e64 v3, 0, 1, s[14:15]
	s_bcnt1_i32_b64 s1, vcc
	v_cmp_ne_u32_e32 vcc, 0, v3
	v_cndmask_b32_e64 v3, 0, 1, s[16:17]
	s_add_i32 s0, s29, s0
	s_bcnt1_i32_b64 s6, vcc
	v_cmp_ne_u32_e32 vcc, 0, v3
	s_add_i32 s0, s0, s1
	s_bcnt1_i32_b64 s7, vcc
	s_add_i32 s0, s0, s6
	s_add_i32 s29, s0, s7
	v_cmp_le_u32_e32 vcc, s28, v22
	s_or_b64 s[72:73], vcc, s[72:73]
	v_mov_b32_e32 v8, s33
	v_mov_b32_e32 v10, s29
	s_andn2_b64 exec, exec, s[72:73]
	s_cbranch_execnz .LBB114_70
; %bb.71:                               ;   in Loop: Header=BB114_20 Depth=1
	s_or_b64 exec, exec, s[72:73]
.LBB114_72:                             ;   in Loop: Header=BB114_20 Depth=1
	s_or_b64 exec, exec, s[22:23]
	v_add_u32_e32 v1, s28, v0
	v_cmp_gt_u32_e32 vcc, s30, v1
	s_and_saveexec_b64 s[34:35], vcc
	s_cbranch_execz .LBB114_76
; %bb.73:                               ;   in Loop: Header=BB114_20 Depth=1
	v_lshlrev_b32_e32 v3, 3, v1
	s_mov_b64 s[28:29], 0
.LBB114_74:                             ;   Parent Loop BB114_20 Depth=1
                                        ; =>  This Inner Loop Header: Depth=2
	ds_read_b64 v[22:23], v3
	v_add_u32_e32 v1, s27, v1
	v_cmp_le_u32_e32 vcc, s30, v1
	v_add_u32_e32 v3, s44, v3
	s_waitcnt lgkmcnt(0)
	v_cmp_o_f64_e64 s[6:7], v[22:23], v[22:23]
	v_ashrrev_i32_e32 v4, 31, v23
	v_or_b32_e32 v12, 0x80000000, v4
	v_xor_b32_e32 v4, v4, v22
	v_xor_b32_e32 v12, v12, v23
	v_cndmask_b32_e64 v23, -1, v12, s[6:7]
	v_cndmask_b32_e64 v22, -1, v4, s[6:7]
	v_and_b32_e32 v25, v23, v21
	v_and_b32_e32 v24, v22, v20
	v_lshrrev_b64 v[22:23], s45, v[22:23]
	v_cmp_eq_u64_e64 s[6:7], v[24:25], v[18:19]
	v_and_b32_e32 v12, 3, v22
	v_cmp_eq_u64_e64 s[14:15], 0, v[12:13]
	v_cmp_eq_u64_e64 s[16:17], 1, v[12:13]
	;; [unrolled: 1-line block ×3, first 2 shown]
	s_and_b64 s[0:1], s[6:7], s[14:15]
	v_cmp_eq_u64_e64 s[22:23], 3, v[12:13]
	v_cndmask_b32_e64 v4, 0, 1, s[0:1]
	s_and_b64 s[0:1], s[6:7], s[16:17]
	v_cndmask_b32_e64 v12, 0, 1, s[0:1]
	s_and_b64 s[0:1], s[6:7], s[18:19]
	v_cndmask_b32_e64 v22, 0, 1, s[0:1]
	s_and_b64 s[0:1], s[6:7], s[22:23]
	v_cndmask_b32_e64 v23, 0, 1, s[0:1]
	v_cmp_ne_u32_e64 s[6:7], 0, v4
	v_cmp_ne_u32_e64 s[14:15], 0, v12
	;; [unrolled: 1-line block ×4, first 2 shown]
	s_bcnt1_i32_b64 s0, s[6:7]
	s_bcnt1_i32_b64 s1, s[14:15]
	;; [unrolled: 1-line block ×4, first 2 shown]
	v_add_u32_e32 v7, s0, v7
	v_add_u32_e32 v8, s1, v8
	;; [unrolled: 1-line block ×3, first 2 shown]
	s_or_b64 s[28:29], vcc, s[28:29]
	v_add_u32_e32 v10, s7, v10
	s_andn2_b64 exec, exec, s[28:29]
	s_cbranch_execnz .LBB114_74
; %bb.75:                               ;   in Loop: Header=BB114_20 Depth=1
	s_or_b64 exec, exec, s[28:29]
.LBB114_76:                             ;   in Loop: Header=BB114_20 Depth=1
	s_or_b64 exec, exec, s[34:35]
	s_lshl_b32 s0, s41, 6
	s_and_saveexec_b64 s[6:7], s[4:5]
	s_cbranch_execnz .LBB114_50
	s_branch .LBB114_51
.LBB114_77:                             ;   in Loop: Header=BB114_20 Depth=1
	v_mov_b32_e32 v1, 0
	s_mov_b32 s1, 0
.LBB114_78:                             ;   in Loop: Header=BB114_20 Depth=1
	v_readlane_b32 s14, v47, 28
	v_readlane_b32 s15, v47, 29
	s_andn2_b64 vcc, exec, s[14:15]
	s_cbranch_vccnz .LBB114_81
; %bb.79:                               ;   in Loop: Header=BB114_20 Depth=1
	s_lshl_b32 s14, s41, 8
	s_lshl_b32 s1, s1, 4
	s_add_i32 s14, s14, s1
	v_add_u32_e32 v3, s14, v41
	v_readlane_b32 s1, v47, 27
.LBB114_80:                             ;   Parent Loop BB114_20 Depth=1
                                        ; =>  This Inner Loop Header: Depth=2
	ds_read_b32 v4, v3
	s_add_i32 s1, s1, -1
	v_add_u32_e32 v3, 16, v3
	s_cmp_lg_u32 s1, 0
	s_waitcnt lgkmcnt(0)
	v_add_u32_e32 v1, v4, v1
	s_cbranch_scc1 .LBB114_80
.LBB114_81:                             ;   in Loop: Header=BB114_20 Depth=1
	v_add_lshl_u32 v3, s0, v27, 2
	ds_write_b32 v3, v1 offset:3072
.LBB114_82:                             ;   in Loop: Header=BB114_20 Depth=1
	s_or_b64 exec, exec, s[6:7]
	s_lshl_b32 s0, s0, 2
	v_mov_b32_e32 v1, s0
	s_waitcnt lgkmcnt(0)
	s_barrier
	ds_read_b128 v[7:10], v1 offset:3072
	s_lshl_b64 s[6:7], 3, s45
	s_not_b64 s[74:75], s[6:7]
	v_cmp_eq_u32_e32 vcc, 1, v42
	s_mov_b64 s[16:17], -1
	s_waitcnt lgkmcnt(0)
	v_readfirstlane_b32 s80, v7
	s_cmp_eq_u32 s80, 1
	s_cselect_b64 s[0:1], -1, 0
	v_readfirstlane_b32 s84, v8
	v_readfirstlane_b32 s92, v9
	;; [unrolled: 1-line block ×3, first 2 shown]
	s_and_b64 s[18:19], s[0:1], vcc
	s_mov_b64 s[28:29], -1
                                        ; implicit-def: $sgpr72_sgpr73
                                        ; implicit-def: $sgpr22_sgpr23
	s_and_saveexec_b64 s[14:15], s[18:19]
	s_cbranch_execz .LBB114_110
; %bb.83:                               ;   in Loop: Header=BB114_20 Depth=1
	ds_read_b32 v1, v13 offset:4104
	s_waitcnt lgkmcnt(0)
	s_barrier
	v_readfirstlane_b32 s0, v1
	s_and_saveexec_b64 s[22:23], s[20:21]
; %bb.84:                               ;   in Loop: Header=BB114_20 Depth=1
	v_mov_b32_e32 v12, v13
	ds_write_b64 v29, v[12:13]
; %bb.85:                               ;   in Loop: Header=BB114_20 Depth=1
	s_or_b64 exec, exec, s[22:23]
	v_and_b32_e32 v19, s75, v19
	v_and_b32_e32 v18, s74, v18
	v_or_b32_e32 v21, s7, v21
	v_or_b32_e32 v20, s6, v20
	s_mov_b64 s[22:23], -1
	s_mov_b64 s[72:73], 0
	s_cmp_eq_u32 s0, 0
	s_mov_b64 s[76:77], 0
	s_mov_b64 s[78:79], -1
	s_waitcnt lgkmcnt(0)
	s_barrier
                                        ; implicit-def: $vgpr5_vgpr6
	s_cbranch_scc1 .LBB114_97
; %bb.86:                               ;   in Loop: Header=BB114_20 Depth=1
	s_add_i32 s1, s0, s39
	s_mul_hi_u32 s28, s1, s54
	s_mul_i32 s28, s28, s27
	s_sub_i32 s28, s1, s28
	s_sub_i32 s29, s28, s27
	s_cmp_ge_u32 s28, s27
	s_cselect_b32 s28, s29, s28
	s_sub_i32 s29, s28, s27
	s_cmp_ge_u32 s28, s27
	s_cselect_b32 s28, s29, s28
	s_sub_i32 s1, s1, s28
	v_cmp_gt_u32_e32 vcc, s1, v0
	s_mov_b64 s[78:79], 0
                                        ; implicit-def: $vgpr5_vgpr6
	s_and_saveexec_b64 s[28:29], vcc
	s_cbranch_execz .LBB114_96
; %bb.87:                               ;   in Loop: Header=BB114_20 Depth=1
	s_mov_b64 s[30:31], 0
	v_mov_b32_e32 v7, v28
	v_mov_b32_e32 v8, v0
                                        ; implicit-def: $sgpr34_sgpr35
	s_branch .LBB114_91
.LBB114_88:                             ;   in Loop: Header=BB114_91 Depth=2
	s_or_b64 exec, exec, s[42:43]
	s_waitcnt lgkmcnt(0)
	s_barrier
	ds_read_b128 v[3:6], v13 offset:3072
	s_waitcnt lgkmcnt(0)
	s_barrier
	v_cmp_neq_f64_e32 vcc, 0, v[3:4]
	s_cbranch_vccnz .LBB114_94
; %bb.89:                               ;   in Loop: Header=BB114_91 Depth=2
	v_add_u32_e32 v8, s27, v8
	v_cmp_le_u32_e32 vcc, s1, v8
	v_add_u32_e32 v7, s44, v7
	s_mov_b64 s[42:43], 0
	s_orn2_b64 s[76:77], vcc, exec
.LBB114_90:                             ;   in Loop: Header=BB114_91 Depth=2
	s_and_b64 s[76:77], exec, s[76:77]
	s_or_b64 s[30:31], s[76:77], s[30:31]
	s_andn2_b64 s[34:35], s[34:35], exec
	s_and_b64 s[42:43], s[42:43], exec
	s_or_b64 s[34:35], s[34:35], s[42:43]
	s_andn2_b64 exec, exec, s[30:31]
	s_cbranch_execz .LBB114_95
.LBB114_91:                             ;   Parent Loop BB114_20 Depth=1
                                        ; =>  This Inner Loop Header: Depth=2
	v_cmp_gt_u32_e32 vcc, s0, v8
	s_and_saveexec_b64 s[42:43], vcc
	s_cbranch_execz .LBB114_88
; %bb.92:                               ;   in Loop: Header=BB114_91 Depth=2
	ds_read_b64 v[3:4], v7
	s_waitcnt lgkmcnt(0)
	v_cmp_o_f64_e32 vcc, v[3:4], v[3:4]
	v_ashrrev_i32_e32 v1, 31, v4
	v_or_b32_e32 v5, 0x80000000, v1
	v_xor_b32_e32 v5, v5, v4
	v_xor_b32_e32 v1, v1, v3
	v_cndmask_b32_e32 v5, -1, v5, vcc
	v_cndmask_b32_e32 v1, -1, v1, vcc
	v_and_b32_e32 v6, v5, v21
	v_and_b32_e32 v5, v1, v20
	v_cmp_eq_u64_e32 vcc, v[5:6], v[18:19]
	s_and_b64 exec, exec, vcc
	s_cbranch_execz .LBB114_88
; %bb.93:                               ;   in Loop: Header=BB114_91 Depth=2
	v_mov_b32_e32 v1, v13
	ds_write_b128 v13, v[1:4] offset:3072
	s_branch .LBB114_88
.LBB114_94:                             ;   in Loop: Header=BB114_91 Depth=2
	s_mov_b64 s[76:77], -1
                                        ; implicit-def: $vgpr8
                                        ; implicit-def: $vgpr7
	s_mov_b64 s[42:43], -1
	s_branch .LBB114_90
.LBB114_95:                             ;   in Loop: Header=BB114_20 Depth=1
	s_or_b64 exec, exec, s[30:31]
	s_and_b64 s[76:77], s[34:35], exec
.LBB114_96:                             ;   in Loop: Header=BB114_20 Depth=1
	s_or_b64 exec, exec, s[28:29]
.LBB114_97:                             ;   in Loop: Header=BB114_20 Depth=1
	s_and_b64 vcc, exec, s[78:79]
	s_cbranch_vccz .LBB114_109
; %bb.98:                               ;   in Loop: Header=BB114_20 Depth=1
                                        ; implicit-def: $vgpr5_vgpr6
	s_and_saveexec_b64 s[22:23], s[12:13]
	s_cbranch_execz .LBB114_108
; %bb.99:                               ;   in Loop: Header=BB114_20 Depth=1
	s_mov_b64 s[30:31], 0
	v_mov_b32_e32 v12, v11
	v_mov_b32_e32 v7, v0
                                        ; implicit-def: $sgpr28_sgpr29
	s_branch .LBB114_103
.LBB114_100:                            ;   in Loop: Header=BB114_103 Depth=2
	s_or_b64 exec, exec, s[34:35]
	s_waitcnt lgkmcnt(0)
	s_barrier
	ds_read_b128 v[3:6], v13 offset:3072
	s_waitcnt lgkmcnt(0)
	s_barrier
	v_cmp_neq_f64_e32 vcc, 0, v[3:4]
	s_cbranch_vccnz .LBB114_106
; %bb.101:                              ;   in Loop: Header=BB114_103 Depth=2
	v_add_u32_e32 v7, s27, v7
	v_cmp_le_u32_e32 vcc, s55, v7
	v_add_u32_e32 v12, s37, v12
	s_mov_b64 s[34:35], 0
	s_orn2_b64 s[42:43], vcc, exec
.LBB114_102:                            ;   in Loop: Header=BB114_103 Depth=2
	s_and_b64 s[0:1], exec, s[42:43]
	s_or_b64 s[30:31], s[0:1], s[30:31]
	s_andn2_b64 s[0:1], s[28:29], exec
	s_and_b64 s[28:29], s[34:35], exec
	s_or_b64 s[28:29], s[0:1], s[28:29]
	s_andn2_b64 exec, exec, s[30:31]
	s_cbranch_execz .LBB114_107
.LBB114_103:                            ;   Parent Loop BB114_20 Depth=1
                                        ; =>  This Inner Loop Header: Depth=2
	v_cmp_gt_u32_e32 vcc, s24, v7
	s_and_saveexec_b64 s[34:35], vcc
	s_cbranch_execz .LBB114_100
; %bb.104:                              ;   in Loop: Header=BB114_103 Depth=2
	v_lshlrev_b64 v[3:4], 3, v[12:13]
	v_mov_b32_e32 v1, s38
	v_add_co_u32_e32 v3, vcc, s36, v3
	v_addc_co_u32_e32 v4, vcc, v1, v4, vcc
	global_load_dwordx2 v[3:4], v[3:4], off
	s_waitcnt vmcnt(0)
	v_cmp_o_f64_e32 vcc, v[3:4], v[3:4]
	v_ashrrev_i32_e32 v1, 31, v4
	v_or_b32_e32 v5, 0x80000000, v1
	v_xor_b32_e32 v5, v5, v4
	v_xor_b32_e32 v1, v1, v3
	v_cndmask_b32_e32 v5, -1, v5, vcc
	v_cndmask_b32_e32 v1, -1, v1, vcc
	v_and_b32_e32 v6, v5, v21
	v_and_b32_e32 v5, v1, v20
	v_cmp_eq_u64_e32 vcc, v[5:6], v[18:19]
	s_and_b64 exec, exec, vcc
	s_cbranch_execz .LBB114_100
; %bb.105:                              ;   in Loop: Header=BB114_103 Depth=2
	v_mov_b32_e32 v1, v13
	ds_write_b128 v13, v[1:4] offset:3072
	s_branch .LBB114_100
.LBB114_106:                            ;   in Loop: Header=BB114_103 Depth=2
	s_mov_b64 s[42:43], -1
                                        ; implicit-def: $vgpr7
	s_mov_b64 s[34:35], -1
	s_branch .LBB114_102
.LBB114_107:                            ;   in Loop: Header=BB114_20 Depth=1
	s_or_b64 exec, exec, s[30:31]
	s_andn2_b64 s[0:1], s[76:77], exec
	s_and_b64 s[28:29], s[28:29], exec
	s_or_b64 s[76:77], s[0:1], s[28:29]
.LBB114_108:                            ;   in Loop: Header=BB114_20 Depth=1
	s_or_b64 exec, exec, s[22:23]
	s_mov_b64 s[22:23], 0
	s_mov_b64 s[72:73], -1
.LBB114_109:                            ;   in Loop: Header=BB114_20 Depth=1
	s_orn2_b64 s[28:29], s[76:77], exec
.LBB114_110:                            ;   in Loop: Header=BB114_20 Depth=1
	s_or_b64 exec, exec, s[14:15]
	s_andn2_b64 s[14:15], s[70:71], exec
	s_and_b64 s[30:31], s[72:73], exec
	s_or_b64 s[70:71], s[14:15], s[30:31]
	s_andn2_b64 s[14:15], s[68:69], exec
	s_and_b64 s[22:23], s[22:23], exec
	v_readfirstlane_b32 s0, v0
	v_readfirstlane_b32 s1, v0
	s_andn2_b64 s[66:67], s[66:67], exec
	s_or_b64 s[68:69], s[14:15], s[22:23]
                                        ; implicit-def: $vgpr8
	s_and_saveexec_b64 s[14:15], s[28:29]
	s_cbranch_execz .LBB114_19
; %bb.111:                              ;   in Loop: Header=BB114_20 Depth=1
	s_xor_b64 s[0:1], s[18:19], -1
	s_mov_b64 s[18:19], 0
	v_mov_b32_e32 v8, 1
	v_mov_b32_e32 v7, 1
	s_and_saveexec_b64 s[16:17], s[0:1]
	s_cbranch_execz .LBB114_120
; %bb.112:                              ;   in Loop: Header=BB114_20 Depth=1
	v_cmp_ge_u32_e32 vcc, s80, v42
	s_and_saveexec_b64 s[0:1], vcc
	s_xor_b64 s[18:19], exec, s[0:1]
	s_cbranch_execz .LBB114_117
; %bb.113:                              ;   in Loop: Header=BB114_20 Depth=1
	ds_read_b32 v1, v13 offset:4104
	v_and_b32_e32 v19, s75, v19
	v_and_b32_e32 v18, s74, v18
	v_or_b32_e32 v21, s7, v21
	v_or_b32_e32 v20, s6, v20
	s_waitcnt lgkmcnt(0)
	v_cmp_ne_u32_e32 vcc, 0, v1
	s_cbranch_vccnz .LBB114_117
; %bb.114:                              ;   in Loop: Header=BB114_20 Depth=1
	s_and_saveexec_b64 s[22:23], s[2:3]
; %bb.115:                              ;   in Loop: Header=BB114_20 Depth=1
	v_mov_b32_e32 v1, s80
	ds_write_b32 v13, v1 offset:4108
; %bb.116:                              ;   in Loop: Header=BB114_20 Depth=1
	s_or_b64 exec, exec, s[22:23]
	s_waitcnt lgkmcnt(0)
	s_barrier
.LBB114_117:                            ;   in Loop: Header=BB114_20 Depth=1
	s_or_saveexec_b64 s[18:19], s[18:19]
	s_mov_b64 s[22:23], 0
	v_mov_b32_e32 v7, 8
	s_xor_b64 exec, exec, s[18:19]
; %bb.118:                              ;   in Loop: Header=BB114_20 Depth=1
	s_mov_b64 s[22:23], exec
	v_subrev_u32_e32 v42, s80, v42
	v_mov_b32_e32 v7, 0
; %bb.119:                              ;   in Loop: Header=BB114_20 Depth=1
	s_or_b64 exec, exec, s[18:19]
	s_and_b64 s[18:19], s[22:23], exec
	v_mov_b32_e32 v8, v42
.LBB114_120:                            ;   in Loop: Header=BB114_20 Depth=1
	s_or_b64 exec, exec, s[16:17]
	s_mov_b64 s[16:17], -1
	s_mov_b64 s[28:29], -1
                                        ; implicit-def: $sgpr22_sgpr23
                                        ; implicit-def: $sgpr72_sgpr73
	s_and_saveexec_b64 s[0:1], s[18:19]
	s_xor_b64 s[18:19], exec, s[0:1]
	s_cbranch_execz .LBB114_246
; %bb.121:                              ;   in Loop: Header=BB114_20 Depth=1
	s_cmp_eq_u32 s84, 1
	s_cselect_b64 s[0:1], -1, 0
	v_cmp_eq_u32_e32 vcc, 1, v8
	s_and_b64 s[78:79], s[0:1], vcc
                                        ; implicit-def: $sgpr72_sgpr73
                                        ; implicit-def: $sgpr22_sgpr23
	s_and_saveexec_b64 s[76:77], s[78:79]
	s_cbranch_execz .LBB114_152
; %bb.122:                              ;   in Loop: Header=BB114_20 Depth=1
	ds_read_b32 v1, v13 offset:4104
	s_waitcnt lgkmcnt(0)
	s_barrier
	v_readfirstlane_b32 s85, v1
	s_and_saveexec_b64 s[22:23], s[20:21]
; %bb.123:                              ;   in Loop: Header=BB114_20 Depth=1
	v_mov_b32_e32 v12, v13
	ds_write_b64 v29, v[12:13]
; %bb.124:                              ;   in Loop: Header=BB114_20 Depth=1
	s_or_b64 exec, exec, s[22:23]
	s_lshl_b64 s[0:1], 1, s45
	v_and_b32_e32 v1, s75, v19
	v_and_b32_e32 v3, s74, v18
	v_or_b32_e32 v19, s1, v1
	v_or_b32_e32 v18, s0, v3
	;; [unrolled: 1-line block ×4, first 2 shown]
	s_mov_b64 s[22:23], -1
	s_mov_b64 s[72:73], 0
	s_cmp_eq_u32 s85, 0
	s_mov_b64 s[80:81], 0
	s_mov_b64 s[82:83], -1
	s_waitcnt lgkmcnt(0)
	s_barrier
                                        ; implicit-def: $vgpr5_vgpr6
	s_cbranch_scc1 .LBB114_139
; %bb.125:                              ;   in Loop: Header=BB114_20 Depth=1
	s_add_i32 s0, s85, s39
	s_mul_hi_u32 s1, s0, s54
	s_mul_i32 s1, s1, s27
	s_sub_i32 s1, s0, s1
	s_sub_i32 s28, s1, s27
	s_cmp_ge_u32 s1, s27
	s_cselect_b32 s1, s28, s1
	s_sub_i32 s28, s1, s27
	s_cmp_ge_u32 s1, s27
	s_cselect_b32 s1, s28, s1
	s_sub_i32 s0, s0, s1
	v_cmp_gt_u32_e32 vcc, s0, v0
	s_mov_b64 s[82:83], 0
                                        ; implicit-def: $vgpr5_vgpr6
	s_and_saveexec_b64 s[34:35], vcc
	s_cbranch_execz .LBB114_138
; %bb.126:                              ;   in Loop: Header=BB114_20 Depth=1
	s_mov_b64 s[28:29], 0
	v_mov_b32_e32 v9, v28
	v_mov_b32_e32 v10, v0
                                        ; implicit-def: $sgpr30_sgpr31
	s_branch .LBB114_130
.LBB114_127:                            ;   in Loop: Header=BB114_130 Depth=2
	s_or_b64 exec, exec, s[80:81]
	s_waitcnt lgkmcnt(0)
	s_barrier
	ds_read_b128 v[3:6], v13 offset:3072
	s_waitcnt lgkmcnt(0)
	s_barrier
	v_cmp_neq_f64_e32 vcc, 0, v[3:4]
	s_cbranch_vccnz .LBB114_133
; %bb.128:                              ;   in Loop: Header=BB114_130 Depth=2
	v_add_u32_e32 v10, s27, v10
	v_cmp_le_u32_e32 vcc, s0, v10
	v_add_u32_e32 v9, s44, v9
	s_mov_b64 s[42:43], 0
	s_orn2_b64 s[80:81], vcc, exec
.LBB114_129:                            ;   in Loop: Header=BB114_130 Depth=2
	s_and_b64 s[80:81], exec, s[80:81]
	s_or_b64 s[28:29], s[80:81], s[28:29]
	s_andn2_b64 s[30:31], s[30:31], exec
	s_and_b64 s[42:43], s[42:43], exec
	s_or_b64 s[30:31], s[30:31], s[42:43]
	s_andn2_b64 exec, exec, s[28:29]
	s_cbranch_execz .LBB114_137
.LBB114_130:                            ;   Parent Loop BB114_20 Depth=1
                                        ; =>  This Inner Loop Header: Depth=2
	v_cmp_gt_u32_e32 vcc, s85, v10
	s_and_saveexec_b64 s[80:81], vcc
	s_cbranch_execz .LBB114_127
; %bb.131:                              ;   in Loop: Header=BB114_130 Depth=2
	ds_read_b64 v[3:4], v9
	s_waitcnt lgkmcnt(0)
	v_cmp_o_f64_e32 vcc, v[3:4], v[3:4]
	v_ashrrev_i32_e32 v1, 31, v4
	v_or_b32_e32 v5, 0x80000000, v1
	v_xor_b32_e32 v5, v5, v4
	v_xor_b32_e32 v1, v1, v3
	v_cndmask_b32_e32 v5, -1, v5, vcc
	v_cndmask_b32_e32 v1, -1, v1, vcc
	v_and_b32_e32 v6, v5, v21
	v_and_b32_e32 v5, v1, v20
	v_cmp_eq_u64_e32 vcc, v[5:6], v[18:19]
	s_and_b64 exec, exec, vcc
	s_cbranch_execz .LBB114_127
; %bb.132:                              ;   in Loop: Header=BB114_130 Depth=2
	v_mov_b32_e32 v1, v13
	ds_write_b128 v13, v[1:4] offset:3072
	s_branch .LBB114_127
.LBB114_133:                            ;   in Loop: Header=BB114_130 Depth=2
	s_mov_b64 s[80:81], -1
                                        ; implicit-def: $vgpr10
                                        ; implicit-def: $vgpr9
	s_mov_b64 s[42:43], -1
	s_branch .LBB114_129
.LBB114_134:                            ;   in Loop: Header=BB114_20 Depth=1
	s_or_b64 exec, exec, s[18:19]
	s_waitcnt lgkmcnt(0)
	s_barrier
	s_and_saveexec_b64 s[6:7], s[2:3]
	s_cbranch_execz .LBB114_136
; %bb.135:                              ;   in Loop: Header=BB114_20 Depth=1
	ds_read_b32 v1, v13 offset:4112
	s_waitcnt lgkmcnt(0)
	ds_write_b32 v13, v1 offset:4104
.LBB114_136:                            ;   in Loop: Header=BB114_20 Depth=1
	s_or_b64 exec, exec, s[6:7]
	s_waitcnt lgkmcnt(0)
	s_barrier
	s_mov_b64 s[6:7], -1
	s_and_b64 vcc, exec, s[16:17]
	s_cbranch_vccnz .LBB114_36
	s_branch .LBB114_45
.LBB114_137:                            ;   in Loop: Header=BB114_20 Depth=1
	s_or_b64 exec, exec, s[28:29]
	s_and_b64 s[80:81], s[30:31], exec
.LBB114_138:                            ;   in Loop: Header=BB114_20 Depth=1
	s_or_b64 exec, exec, s[34:35]
.LBB114_139:                            ;   in Loop: Header=BB114_20 Depth=1
	s_and_b64 vcc, exec, s[82:83]
	s_cbranch_vccz .LBB114_151
; %bb.140:                              ;   in Loop: Header=BB114_20 Depth=1
                                        ; implicit-def: $vgpr5_vgpr6
	s_and_saveexec_b64 s[22:23], s[12:13]
	s_cbranch_execz .LBB114_150
; %bb.141:                              ;   in Loop: Header=BB114_20 Depth=1
	s_mov_b64 s[28:29], 0
	v_mov_b32_e32 v12, v11
	v_mov_b32_e32 v9, v0
                                        ; implicit-def: $sgpr30_sgpr31
	s_branch .LBB114_145
.LBB114_142:                            ;   in Loop: Header=BB114_145 Depth=2
	s_or_b64 exec, exec, s[34:35]
	s_waitcnt lgkmcnt(0)
	s_barrier
	ds_read_b128 v[3:6], v13 offset:3072
	s_waitcnt lgkmcnt(0)
	s_barrier
	v_cmp_eq_f64_e32 vcc, 0, v[3:4]
	s_cbranch_vccz .LBB114_148
; %bb.143:                              ;   in Loop: Header=BB114_145 Depth=2
	v_add_u32_e32 v9, s27, v9
	v_cmp_le_u32_e32 vcc, s55, v9
	v_add_u32_e32 v12, s37, v12
	s_mov_b64 s[34:35], 0
	s_orn2_b64 s[42:43], vcc, exec
.LBB114_144:                            ;   in Loop: Header=BB114_145 Depth=2
	s_and_b64 s[0:1], exec, s[42:43]
	s_or_b64 s[28:29], s[0:1], s[28:29]
	s_andn2_b64 s[0:1], s[30:31], exec
	s_and_b64 s[30:31], s[34:35], exec
	s_or_b64 s[30:31], s[0:1], s[30:31]
	s_andn2_b64 exec, exec, s[28:29]
	s_cbranch_execz .LBB114_149
.LBB114_145:                            ;   Parent Loop BB114_20 Depth=1
                                        ; =>  This Inner Loop Header: Depth=2
	v_cmp_gt_u32_e32 vcc, s24, v9
	s_and_saveexec_b64 s[34:35], vcc
	s_cbranch_execz .LBB114_142
; %bb.146:                              ;   in Loop: Header=BB114_145 Depth=2
	v_lshlrev_b64 v[3:4], 3, v[12:13]
	v_mov_b32_e32 v1, s38
	v_add_co_u32_e32 v3, vcc, s36, v3
	v_addc_co_u32_e32 v4, vcc, v1, v4, vcc
	global_load_dwordx2 v[3:4], v[3:4], off
	s_waitcnt vmcnt(0)
	v_cmp_o_f64_e32 vcc, v[3:4], v[3:4]
	v_ashrrev_i32_e32 v1, 31, v4
	v_or_b32_e32 v5, 0x80000000, v1
	v_xor_b32_e32 v5, v5, v4
	v_xor_b32_e32 v1, v1, v3
	v_cndmask_b32_e32 v5, -1, v5, vcc
	v_cndmask_b32_e32 v1, -1, v1, vcc
	v_and_b32_e32 v6, v5, v21
	v_and_b32_e32 v5, v1, v20
	v_cmp_eq_u64_e32 vcc, v[5:6], v[18:19]
	s_and_b64 exec, exec, vcc
	s_cbranch_execz .LBB114_142
; %bb.147:                              ;   in Loop: Header=BB114_145 Depth=2
	v_mov_b32_e32 v1, v13
	ds_write_b128 v13, v[1:4] offset:3072
	s_branch .LBB114_142
.LBB114_148:                            ;   in Loop: Header=BB114_145 Depth=2
	s_mov_b64 s[42:43], -1
                                        ; implicit-def: $vgpr9
	s_mov_b64 s[34:35], -1
	s_branch .LBB114_144
.LBB114_149:                            ;   in Loop: Header=BB114_20 Depth=1
	s_or_b64 exec, exec, s[28:29]
	s_andn2_b64 s[0:1], s[80:81], exec
	s_and_b64 s[28:29], s[30:31], exec
	s_or_b64 s[80:81], s[0:1], s[28:29]
.LBB114_150:                            ;   in Loop: Header=BB114_20 Depth=1
	s_or_b64 exec, exec, s[22:23]
	s_mov_b64 s[22:23], 0
	s_mov_b64 s[72:73], -1
.LBB114_151:                            ;   in Loop: Header=BB114_20 Depth=1
	s_orn2_b64 s[28:29], s[80:81], exec
.LBB114_152:                            ;   in Loop: Header=BB114_20 Depth=1
	s_or_b64 exec, exec, s[76:77]
	s_mov_b64 s[30:31], 0
	s_and_saveexec_b64 s[76:77], s[28:29]
	s_cbranch_execz .LBB114_245
; %bb.153:                              ;   in Loop: Header=BB114_20 Depth=1
	s_xor_b64 s[0:1], s[78:79], -1
	v_mov_b32_e32 v9, 1
	v_mov_b32_e32 v7, 1
	s_and_saveexec_b64 s[78:79], s[0:1]
	s_cbranch_execz .LBB114_162
; %bb.154:                              ;   in Loop: Header=BB114_20 Depth=1
	v_cmp_ge_u32_e32 vcc, s84, v8
	s_and_saveexec_b64 s[0:1], vcc
	s_xor_b64 s[28:29], exec, s[0:1]
	s_cbranch_execz .LBB114_159
; %bb.155:                              ;   in Loop: Header=BB114_20 Depth=1
	s_lshl_b64 s[0:1], 1, s45
	v_and_b32_e32 v1, s75, v19
	v_or_b32_e32 v19, s1, v1
	ds_read_b32 v1, v13 offset:4104
	v_and_b32_e32 v3, s74, v18
	v_or_b32_e32 v18, s0, v3
	v_or_b32_e32 v21, s7, v21
	;; [unrolled: 1-line block ×3, first 2 shown]
	s_waitcnt lgkmcnt(0)
	v_cmp_ne_u32_e32 vcc, 0, v1
	s_cbranch_vccnz .LBB114_159
; %bb.156:                              ;   in Loop: Header=BB114_20 Depth=1
	s_and_saveexec_b64 s[30:31], s[2:3]
; %bb.157:                              ;   in Loop: Header=BB114_20 Depth=1
	v_mov_b32_e32 v1, s84
	ds_write_b32 v13, v1 offset:4108
; %bb.158:                              ;   in Loop: Header=BB114_20 Depth=1
	s_or_b64 exec, exec, s[30:31]
	s_waitcnt lgkmcnt(0)
	s_barrier
.LBB114_159:                            ;   in Loop: Header=BB114_20 Depth=1
	s_or_saveexec_b64 s[28:29], s[28:29]
	s_mov_b64 s[30:31], 0
	v_mov_b32_e32 v7, 8
	s_xor_b64 exec, exec, s[28:29]
; %bb.160:                              ;   in Loop: Header=BB114_20 Depth=1
	v_subrev_u32_e32 v8, s84, v8
	v_mov_b32_e32 v7, 0
	s_mov_b64 s[30:31], exec
; %bb.161:                              ;   in Loop: Header=BB114_20 Depth=1
	s_or_b64 exec, exec, s[28:29]
	s_and_b64 s[30:31], s[30:31], exec
	v_mov_b32_e32 v9, v8
.LBB114_162:                            ;   in Loop: Header=BB114_20 Depth=1
	s_or_b64 exec, exec, s[78:79]
	s_mov_b64 s[28:29], -1
                                        ; implicit-def: $sgpr80_sgpr81
                                        ; implicit-def: $sgpr82_sgpr83
	s_and_saveexec_b64 s[78:79], s[30:31]
	s_cbranch_execz .LBB114_244
; %bb.163:                              ;   in Loop: Header=BB114_20 Depth=1
	s_cmp_eq_u32 s92, 1
	s_cselect_b64 s[0:1], -1, 0
	v_cmp_eq_u32_e32 vcc, 1, v9
	s_and_b64 s[86:87], s[0:1], vcc
                                        ; implicit-def: $sgpr82_sgpr83
                                        ; implicit-def: $sgpr80_sgpr81
	s_and_saveexec_b64 s[84:85], s[86:87]
	s_cbranch_execz .LBB114_191
; %bb.164:                              ;   in Loop: Header=BB114_20 Depth=1
	ds_read_b32 v1, v13 offset:4104
	s_waitcnt lgkmcnt(0)
	s_barrier
	v_readfirstlane_b32 s93, v1
	s_and_saveexec_b64 s[28:29], s[20:21]
; %bb.165:                              ;   in Loop: Header=BB114_20 Depth=1
	v_mov_b32_e32 v12, v13
	ds_write_b64 v29, v[12:13]
; %bb.166:                              ;   in Loop: Header=BB114_20 Depth=1
	s_or_b64 exec, exec, s[28:29]
	s_lshl_b64 s[0:1], 2, s45
	v_and_b32_e32 v1, s75, v19
	v_and_b32_e32 v3, s74, v18
	v_or_b32_e32 v19, s1, v1
	v_or_b32_e32 v18, s0, v3
	;; [unrolled: 1-line block ×4, first 2 shown]
	s_mov_b64 s[80:81], -1
	s_mov_b64 s[82:83], 0
	s_cmp_eq_u32 s93, 0
	s_mov_b64 s[88:89], 0
	s_mov_b64 s[90:91], -1
	s_waitcnt lgkmcnt(0)
	s_barrier
                                        ; implicit-def: $vgpr5_vgpr6
	s_cbranch_scc1 .LBB114_178
; %bb.167:                              ;   in Loop: Header=BB114_20 Depth=1
	s_add_i32 s0, s93, s39
	s_mul_hi_u32 s1, s0, s54
	s_mul_i32 s1, s1, s27
	s_sub_i32 s1, s0, s1
	s_sub_i32 s28, s1, s27
	s_cmp_ge_u32 s1, s27
	s_cselect_b32 s1, s28, s1
	s_sub_i32 s28, s1, s27
	s_cmp_ge_u32 s1, s27
	s_cselect_b32 s1, s28, s1
	s_sub_i32 s0, s0, s1
	v_cmp_gt_u32_e32 vcc, s0, v0
	s_mov_b64 s[90:91], 0
                                        ; implicit-def: $vgpr5_vgpr6
	s_and_saveexec_b64 s[34:35], vcc
	s_cbranch_execz .LBB114_177
; %bb.168:                              ;   in Loop: Header=BB114_20 Depth=1
	s_mov_b64 s[28:29], 0
	v_mov_b32_e32 v8, v28
	v_mov_b32_e32 v10, v0
                                        ; implicit-def: $sgpr30_sgpr31
	s_branch .LBB114_172
.LBB114_169:                            ;   in Loop: Header=BB114_172 Depth=2
	s_or_b64 exec, exec, s[88:89]
	s_waitcnt lgkmcnt(0)
	s_barrier
	ds_read_b128 v[3:6], v13 offset:3072
	s_waitcnt lgkmcnt(0)
	s_barrier
	v_cmp_neq_f64_e32 vcc, 0, v[3:4]
	s_cbranch_vccnz .LBB114_175
; %bb.170:                              ;   in Loop: Header=BB114_172 Depth=2
	v_add_u32_e32 v10, s27, v10
	v_cmp_le_u32_e32 vcc, s0, v10
	v_add_u32_e32 v8, s44, v8
	s_mov_b64 s[42:43], 0
	s_orn2_b64 s[88:89], vcc, exec
.LBB114_171:                            ;   in Loop: Header=BB114_172 Depth=2
	s_and_b64 s[88:89], exec, s[88:89]
	s_or_b64 s[28:29], s[88:89], s[28:29]
	s_andn2_b64 s[30:31], s[30:31], exec
	s_and_b64 s[42:43], s[42:43], exec
	s_or_b64 s[30:31], s[30:31], s[42:43]
	s_andn2_b64 exec, exec, s[28:29]
	s_cbranch_execz .LBB114_176
.LBB114_172:                            ;   Parent Loop BB114_20 Depth=1
                                        ; =>  This Inner Loop Header: Depth=2
	v_cmp_gt_u32_e32 vcc, s93, v10
	s_and_saveexec_b64 s[88:89], vcc
	s_cbranch_execz .LBB114_169
; %bb.173:                              ;   in Loop: Header=BB114_172 Depth=2
	ds_read_b64 v[3:4], v8
	s_waitcnt lgkmcnt(0)
	v_cmp_o_f64_e32 vcc, v[3:4], v[3:4]
	v_ashrrev_i32_e32 v1, 31, v4
	v_or_b32_e32 v5, 0x80000000, v1
	v_xor_b32_e32 v5, v5, v4
	v_xor_b32_e32 v1, v1, v3
	v_cndmask_b32_e32 v5, -1, v5, vcc
	v_cndmask_b32_e32 v1, -1, v1, vcc
	v_and_b32_e32 v6, v5, v21
	v_and_b32_e32 v5, v1, v20
	v_cmp_eq_u64_e32 vcc, v[5:6], v[18:19]
	s_and_b64 exec, exec, vcc
	s_cbranch_execz .LBB114_169
; %bb.174:                              ;   in Loop: Header=BB114_172 Depth=2
	v_mov_b32_e32 v1, v13
	ds_write_b128 v13, v[1:4] offset:3072
	s_branch .LBB114_169
.LBB114_175:                            ;   in Loop: Header=BB114_172 Depth=2
	s_mov_b64 s[88:89], -1
                                        ; implicit-def: $vgpr10
                                        ; implicit-def: $vgpr8
	s_mov_b64 s[42:43], -1
	s_branch .LBB114_171
.LBB114_176:                            ;   in Loop: Header=BB114_20 Depth=1
	s_or_b64 exec, exec, s[28:29]
	s_and_b64 s[88:89], s[30:31], exec
.LBB114_177:                            ;   in Loop: Header=BB114_20 Depth=1
	s_or_b64 exec, exec, s[34:35]
.LBB114_178:                            ;   in Loop: Header=BB114_20 Depth=1
	s_and_b64 vcc, exec, s[90:91]
	s_cbranch_vccz .LBB114_190
; %bb.179:                              ;   in Loop: Header=BB114_20 Depth=1
                                        ; implicit-def: $vgpr5_vgpr6
	s_and_saveexec_b64 s[34:35], s[12:13]
	s_cbranch_execz .LBB114_189
; %bb.180:                              ;   in Loop: Header=BB114_20 Depth=1
	s_mov_b64 s[28:29], 0
	v_mov_b32_e32 v12, v11
	v_mov_b32_e32 v8, v0
                                        ; implicit-def: $sgpr30_sgpr31
	s_branch .LBB114_184
.LBB114_181:                            ;   in Loop: Header=BB114_184 Depth=2
	s_or_b64 exec, exec, s[80:81]
	s_waitcnt lgkmcnt(0)
	s_barrier
	ds_read_b128 v[3:6], v13 offset:3072
	s_waitcnt lgkmcnt(0)
	s_barrier
	v_cmp_eq_f64_e32 vcc, 0, v[3:4]
	s_cbranch_vccz .LBB114_187
; %bb.182:                              ;   in Loop: Header=BB114_184 Depth=2
	v_add_u32_e32 v8, s27, v8
	v_cmp_le_u32_e32 vcc, s55, v8
	v_add_u32_e32 v12, s37, v12
	s_mov_b64 s[42:43], 0
	s_orn2_b64 s[80:81], vcc, exec
.LBB114_183:                            ;   in Loop: Header=BB114_184 Depth=2
	s_and_b64 s[0:1], exec, s[80:81]
	s_or_b64 s[28:29], s[0:1], s[28:29]
	s_andn2_b64 s[0:1], s[30:31], exec
	s_and_b64 s[30:31], s[42:43], exec
	s_or_b64 s[30:31], s[0:1], s[30:31]
	s_andn2_b64 exec, exec, s[28:29]
	s_cbranch_execz .LBB114_188
.LBB114_184:                            ;   Parent Loop BB114_20 Depth=1
                                        ; =>  This Inner Loop Header: Depth=2
	v_cmp_gt_u32_e32 vcc, s24, v8
	s_and_saveexec_b64 s[80:81], vcc
	s_cbranch_execz .LBB114_181
; %bb.185:                              ;   in Loop: Header=BB114_184 Depth=2
	v_lshlrev_b64 v[3:4], 3, v[12:13]
	v_mov_b32_e32 v1, s38
	v_add_co_u32_e32 v3, vcc, s36, v3
	v_addc_co_u32_e32 v4, vcc, v1, v4, vcc
	global_load_dwordx2 v[3:4], v[3:4], off
	s_waitcnt vmcnt(0)
	v_cmp_o_f64_e32 vcc, v[3:4], v[3:4]
	v_ashrrev_i32_e32 v1, 31, v4
	v_or_b32_e32 v5, 0x80000000, v1
	v_xor_b32_e32 v5, v5, v4
	v_xor_b32_e32 v1, v1, v3
	v_cndmask_b32_e32 v5, -1, v5, vcc
	v_cndmask_b32_e32 v1, -1, v1, vcc
	v_and_b32_e32 v6, v5, v21
	v_and_b32_e32 v5, v1, v20
	v_cmp_eq_u64_e32 vcc, v[5:6], v[18:19]
	s_and_b64 exec, exec, vcc
	s_cbranch_execz .LBB114_181
; %bb.186:                              ;   in Loop: Header=BB114_184 Depth=2
	v_mov_b32_e32 v1, v13
	ds_write_b128 v13, v[1:4] offset:3072
	s_branch .LBB114_181
.LBB114_187:                            ;   in Loop: Header=BB114_184 Depth=2
	s_mov_b64 s[80:81], -1
                                        ; implicit-def: $vgpr8
	s_mov_b64 s[42:43], -1
	s_branch .LBB114_183
.LBB114_188:                            ;   in Loop: Header=BB114_20 Depth=1
	s_or_b64 exec, exec, s[28:29]
	s_andn2_b64 s[0:1], s[88:89], exec
	s_and_b64 s[28:29], s[30:31], exec
	s_or_b64 s[88:89], s[0:1], s[28:29]
.LBB114_189:                            ;   in Loop: Header=BB114_20 Depth=1
	s_or_b64 exec, exec, s[34:35]
	s_mov_b64 s[80:81], 0
	s_mov_b64 s[82:83], -1
.LBB114_190:                            ;   in Loop: Header=BB114_20 Depth=1
	s_orn2_b64 s[28:29], s[88:89], exec
.LBB114_191:                            ;   in Loop: Header=BB114_20 Depth=1
	s_or_b64 exec, exec, s[84:85]
	s_mov_b64 s[30:31], 0
	s_and_saveexec_b64 s[84:85], s[28:29]
	s_cbranch_execz .LBB114_243
; %bb.192:                              ;   in Loop: Header=BB114_20 Depth=1
	s_xor_b64 s[0:1], s[86:87], -1
	v_mov_b32_e32 v8, 1
	v_mov_b32_e32 v7, 1
	s_and_saveexec_b64 s[86:87], s[0:1]
	s_cbranch_execz .LBB114_201
; %bb.193:                              ;   in Loop: Header=BB114_20 Depth=1
	v_cmp_ge_u32_e32 vcc, s92, v9
	s_and_saveexec_b64 s[0:1], vcc
	s_xor_b64 s[28:29], exec, s[0:1]
	s_cbranch_execz .LBB114_198
; %bb.194:                              ;   in Loop: Header=BB114_20 Depth=1
	s_lshl_b64 s[0:1], 2, s45
	v_and_b32_e32 v1, s75, v19
	v_or_b32_e32 v19, s1, v1
	ds_read_b32 v1, v13 offset:4104
	v_and_b32_e32 v3, s74, v18
	v_or_b32_e32 v18, s0, v3
	v_or_b32_e32 v21, s7, v21
	;; [unrolled: 1-line block ×3, first 2 shown]
	s_waitcnt lgkmcnt(0)
	v_cmp_ne_u32_e32 vcc, 0, v1
	s_cbranch_vccnz .LBB114_198
; %bb.195:                              ;   in Loop: Header=BB114_20 Depth=1
	s_and_saveexec_b64 s[30:31], s[2:3]
; %bb.196:                              ;   in Loop: Header=BB114_20 Depth=1
	v_mov_b32_e32 v1, s92
	ds_write_b32 v13, v1 offset:4108
; %bb.197:                              ;   in Loop: Header=BB114_20 Depth=1
	s_or_b64 exec, exec, s[30:31]
	s_waitcnt lgkmcnt(0)
	s_barrier
.LBB114_198:                            ;   in Loop: Header=BB114_20 Depth=1
	s_or_saveexec_b64 s[28:29], s[28:29]
	s_mov_b64 s[30:31], 0
	v_mov_b32_e32 v7, 8
	s_xor_b64 exec, exec, s[28:29]
; %bb.199:                              ;   in Loop: Header=BB114_20 Depth=1
	v_subrev_u32_e32 v9, s92, v9
	v_mov_b32_e32 v7, 0
	s_mov_b64 s[30:31], exec
; %bb.200:                              ;   in Loop: Header=BB114_20 Depth=1
	s_or_b64 exec, exec, s[28:29]
	s_and_b64 s[30:31], s[30:31], exec
	v_mov_b32_e32 v8, v9
.LBB114_201:                            ;   in Loop: Header=BB114_20 Depth=1
	s_or_b64 exec, exec, s[86:87]
	s_mov_b64 s[28:29], -1
                                        ; implicit-def: $sgpr88_sgpr89
                                        ; implicit-def: $sgpr86_sgpr87
	s_and_saveexec_b64 s[74:75], s[30:31]
	s_cbranch_execz .LBB114_242
; %bb.202:                              ;   in Loop: Header=BB114_20 Depth=1
	s_cmp_eq_u32 s33, 1
	s_cselect_b64 s[0:1], -1, 0
	v_cmp_eq_u32_e32 vcc, 1, v8
	s_and_b64 s[90:91], s[0:1], vcc
                                        ; implicit-def: $sgpr88_sgpr89
                                        ; implicit-def: $sgpr86_sgpr87
	s_and_saveexec_b64 s[92:93], s[90:91]
	s_cbranch_execz .LBB114_230
; %bb.203:                              ;   in Loop: Header=BB114_20 Depth=1
	ds_read_b32 v1, v13 offset:4104
	s_waitcnt lgkmcnt(0)
	s_barrier
	v_readfirstlane_b32 s0, v1
	s_and_saveexec_b64 s[28:29], s[20:21]
; %bb.204:                              ;   in Loop: Header=BB114_20 Depth=1
	v_mov_b32_e32 v12, v13
	ds_write_b64 v29, v[12:13]
; %bb.205:                              ;   in Loop: Header=BB114_20 Depth=1
	s_or_b64 exec, exec, s[28:29]
	v_or_b32_e32 v19, s7, v19
	v_or_b32_e32 v18, s6, v18
	;; [unrolled: 1-line block ×4, first 2 shown]
	s_mov_b64 s[86:87], -1
	s_mov_b64 s[88:89], 0
	s_cmp_eq_u32 s0, 0
	s_mov_b64 s[94:95], 0
	s_mov_b64 s[34:35], -1
	s_waitcnt lgkmcnt(0)
	s_barrier
                                        ; implicit-def: $vgpr5_vgpr6
	s_cbranch_scc1 .LBB114_217
; %bb.206:                              ;   in Loop: Header=BB114_20 Depth=1
	s_add_i32 s1, s0, s39
	s_mul_hi_u32 s28, s1, s54
	s_mul_i32 s28, s28, s27
	s_sub_i32 s28, s1, s28
	s_sub_i32 s29, s28, s27
	s_cmp_ge_u32 s28, s27
	s_cselect_b32 s28, s29, s28
	s_sub_i32 s29, s28, s27
	s_cmp_ge_u32 s28, s27
	s_cselect_b32 s28, s29, s28
	s_sub_i32 s1, s1, s28
	v_cmp_gt_u32_e32 vcc, s1, v0
	s_mov_b64 s[34:35], 0
                                        ; implicit-def: $vgpr5_vgpr6
	s_and_saveexec_b64 s[28:29], vcc
	s_cbranch_execz .LBB114_216
; %bb.207:                              ;   in Loop: Header=BB114_20 Depth=1
	s_mov_b64 s[30:31], 0
	v_mov_b32_e32 v9, v28
	v_mov_b32_e32 v10, v0
                                        ; implicit-def: $sgpr94_sgpr95
	s_branch .LBB114_211
.LBB114_208:                            ;   in Loop: Header=BB114_211 Depth=2
	s_or_b64 exec, exec, s[42:43]
	s_waitcnt lgkmcnt(0)
	s_barrier
	ds_read_b128 v[3:6], v13 offset:3072
	s_waitcnt lgkmcnt(0)
	s_barrier
	v_cmp_neq_f64_e32 vcc, 0, v[3:4]
	s_cbranch_vccnz .LBB114_214
; %bb.209:                              ;   in Loop: Header=BB114_211 Depth=2
	v_add_u32_e32 v10, s27, v10
	v_cmp_le_u32_e32 vcc, s1, v10
	v_add_u32_e32 v9, s44, v9
	s_mov_b64 s[42:43], 0
	s_orn2_b64 vcc, vcc, exec
.LBB114_210:                            ;   in Loop: Header=BB114_211 Depth=2
	s_and_b64 vcc, exec, vcc
	s_or_b64 s[30:31], vcc, s[30:31]
	s_andn2_b64 s[94:95], s[94:95], exec
	s_and_b64 s[42:43], s[42:43], exec
	s_or_b64 s[94:95], s[94:95], s[42:43]
	s_andn2_b64 exec, exec, s[30:31]
	s_cbranch_execz .LBB114_215
.LBB114_211:                            ;   Parent Loop BB114_20 Depth=1
                                        ; =>  This Inner Loop Header: Depth=2
	v_cmp_gt_u32_e32 vcc, s0, v10
	s_and_saveexec_b64 s[42:43], vcc
	s_cbranch_execz .LBB114_208
; %bb.212:                              ;   in Loop: Header=BB114_211 Depth=2
	ds_read_b64 v[3:4], v9
	s_waitcnt lgkmcnt(0)
	v_cmp_o_f64_e32 vcc, v[3:4], v[3:4]
	v_ashrrev_i32_e32 v1, 31, v4
	v_or_b32_e32 v5, 0x80000000, v1
	v_xor_b32_e32 v5, v5, v4
	v_xor_b32_e32 v1, v1, v3
	v_cndmask_b32_e32 v5, -1, v5, vcc
	v_cndmask_b32_e32 v1, -1, v1, vcc
	v_and_b32_e32 v6, v5, v21
	v_and_b32_e32 v5, v1, v20
	v_cmp_eq_u64_e32 vcc, v[5:6], v[18:19]
	s_and_b64 exec, exec, vcc
	s_cbranch_execz .LBB114_208
; %bb.213:                              ;   in Loop: Header=BB114_211 Depth=2
	v_mov_b32_e32 v1, v13
	ds_write_b128 v13, v[1:4] offset:3072
	s_branch .LBB114_208
.LBB114_214:                            ;   in Loop: Header=BB114_211 Depth=2
	s_mov_b64 vcc, -1
                                        ; implicit-def: $vgpr10
                                        ; implicit-def: $vgpr9
	s_mov_b64 s[42:43], -1
	s_branch .LBB114_210
.LBB114_215:                            ;   in Loop: Header=BB114_20 Depth=1
	s_or_b64 exec, exec, s[30:31]
	s_and_b64 s[94:95], s[94:95], exec
.LBB114_216:                            ;   in Loop: Header=BB114_20 Depth=1
	s_or_b64 exec, exec, s[28:29]
.LBB114_217:                            ;   in Loop: Header=BB114_20 Depth=1
	s_and_b64 vcc, exec, s[34:35]
	s_cbranch_vccz .LBB114_229
; %bb.218:                              ;   in Loop: Header=BB114_20 Depth=1
                                        ; implicit-def: $vgpr5_vgpr6
	s_and_saveexec_b64 s[34:35], s[12:13]
	s_cbranch_execz .LBB114_228
; %bb.219:                              ;   in Loop: Header=BB114_20 Depth=1
	s_mov_b64 s[28:29], 0
	v_mov_b32_e32 v12, v11
	v_mov_b32_e32 v9, v0
                                        ; implicit-def: $sgpr30_sgpr31
	s_branch .LBB114_223
.LBB114_220:                            ;   in Loop: Header=BB114_223 Depth=2
	s_or_b64 exec, exec, s[86:87]
	s_waitcnt lgkmcnt(0)
	s_barrier
	ds_read_b128 v[3:6], v13 offset:3072
	s_waitcnt lgkmcnt(0)
	s_barrier
	v_cmp_eq_f64_e32 vcc, 0, v[3:4]
	s_cbranch_vccz .LBB114_226
; %bb.221:                              ;   in Loop: Header=BB114_223 Depth=2
	v_add_u32_e32 v9, s27, v9
	v_cmp_le_u32_e32 vcc, s55, v9
	v_add_u32_e32 v12, s37, v12
	s_mov_b64 s[42:43], 0
	s_orn2_b64 s[86:87], vcc, exec
.LBB114_222:                            ;   in Loop: Header=BB114_223 Depth=2
	s_and_b64 s[0:1], exec, s[86:87]
	s_or_b64 s[28:29], s[0:1], s[28:29]
	s_andn2_b64 s[0:1], s[30:31], exec
	s_and_b64 s[30:31], s[42:43], exec
	s_or_b64 s[30:31], s[0:1], s[30:31]
	s_andn2_b64 exec, exec, s[28:29]
	s_cbranch_execz .LBB114_227
.LBB114_223:                            ;   Parent Loop BB114_20 Depth=1
                                        ; =>  This Inner Loop Header: Depth=2
	v_cmp_gt_u32_e32 vcc, s24, v9
	s_and_saveexec_b64 s[86:87], vcc
	s_cbranch_execz .LBB114_220
; %bb.224:                              ;   in Loop: Header=BB114_223 Depth=2
	v_lshlrev_b64 v[3:4], 3, v[12:13]
	v_mov_b32_e32 v1, s38
	v_add_co_u32_e32 v3, vcc, s36, v3
	v_addc_co_u32_e32 v4, vcc, v1, v4, vcc
	global_load_dwordx2 v[3:4], v[3:4], off
	s_waitcnt vmcnt(0)
	v_cmp_o_f64_e32 vcc, v[3:4], v[3:4]
	v_ashrrev_i32_e32 v1, 31, v4
	v_or_b32_e32 v5, 0x80000000, v1
	v_xor_b32_e32 v5, v5, v4
	v_xor_b32_e32 v1, v1, v3
	v_cndmask_b32_e32 v5, -1, v5, vcc
	v_cndmask_b32_e32 v1, -1, v1, vcc
	v_and_b32_e32 v6, v5, v21
	v_and_b32_e32 v5, v1, v20
	v_cmp_eq_u64_e32 vcc, v[5:6], v[18:19]
	s_and_b64 exec, exec, vcc
	s_cbranch_execz .LBB114_220
; %bb.225:                              ;   in Loop: Header=BB114_223 Depth=2
	v_mov_b32_e32 v1, v13
	ds_write_b128 v13, v[1:4] offset:3072
	s_branch .LBB114_220
.LBB114_226:                            ;   in Loop: Header=BB114_223 Depth=2
	s_mov_b64 s[86:87], -1
                                        ; implicit-def: $vgpr9
	s_mov_b64 s[42:43], -1
	s_branch .LBB114_222
.LBB114_227:                            ;   in Loop: Header=BB114_20 Depth=1
	s_or_b64 exec, exec, s[28:29]
	s_andn2_b64 s[0:1], s[94:95], exec
	s_and_b64 s[28:29], s[30:31], exec
	s_or_b64 s[94:95], s[0:1], s[28:29]
.LBB114_228:                            ;   in Loop: Header=BB114_20 Depth=1
	s_or_b64 exec, exec, s[34:35]
	s_mov_b64 s[86:87], 0
	s_mov_b64 s[88:89], -1
.LBB114_229:                            ;   in Loop: Header=BB114_20 Depth=1
	s_orn2_b64 s[28:29], s[94:95], exec
.LBB114_230:                            ;   in Loop: Header=BB114_20 Depth=1
	s_or_b64 exec, exec, s[92:93]
	s_mov_b64 s[30:31], 0
	s_and_saveexec_b64 s[92:93], s[28:29]
	s_cbranch_execz .LBB114_241
; %bb.231:                              ;   in Loop: Header=BB114_20 Depth=1
	s_xor_b64 s[0:1], s[90:91], -1
	v_mov_b32_e32 v7, 1
	v_mov_b32_e32 v1, 1
	s_and_saveexec_b64 s[28:29], s[0:1]
	s_cbranch_execz .LBB114_240
; %bb.232:                              ;   in Loop: Header=BB114_20 Depth=1
	v_cmp_ge_u32_e32 vcc, s33, v8
	s_and_saveexec_b64 s[0:1], vcc
	s_xor_b64 s[30:31], exec, s[0:1]
	s_cbranch_execz .LBB114_237
; %bb.233:                              ;   in Loop: Header=BB114_20 Depth=1
	ds_read_b32 v1, v13 offset:4104
	v_or_b32_e32 v19, s7, v19
	v_or_b32_e32 v18, s6, v18
	;; [unrolled: 1-line block ×4, first 2 shown]
	s_waitcnt lgkmcnt(0)
	v_cmp_ne_u32_e32 vcc, 0, v1
	s_cbranch_vccnz .LBB114_237
; %bb.234:                              ;   in Loop: Header=BB114_20 Depth=1
	s_and_saveexec_b64 s[6:7], s[2:3]
; %bb.235:                              ;   in Loop: Header=BB114_20 Depth=1
	v_mov_b32_e32 v1, s33
	ds_write_b32 v13, v1 offset:4108
; %bb.236:                              ;   in Loop: Header=BB114_20 Depth=1
	s_or_b64 exec, exec, s[6:7]
	s_waitcnt lgkmcnt(0)
	s_barrier
.LBB114_237:                            ;   in Loop: Header=BB114_20 Depth=1
	s_andn2_saveexec_b64 s[6:7], s[30:31]
; %bb.238:                              ;   in Loop: Header=BB114_20 Depth=1
	v_subrev_u32_e32 v8, s33, v8
; %bb.239:                              ;   in Loop: Header=BB114_20 Depth=1
	s_or_b64 exec, exec, s[6:7]
	v_mov_b32_e32 v7, 8
	v_mov_b32_e32 v1, v8
.LBB114_240:                            ;   in Loop: Header=BB114_20 Depth=1
	s_or_b64 exec, exec, s[28:29]
	s_mov_b64 s[30:31], exec
	v_mov_b32_e32 v8, v1
.LBB114_241:                            ;   in Loop: Header=BB114_20 Depth=1
	s_or_b64 exec, exec, s[92:93]
	s_orn2_b64 s[28:29], s[30:31], exec
.LBB114_242:                            ;   in Loop: Header=BB114_20 Depth=1
	s_or_b64 exec, exec, s[74:75]
	s_andn2_b64 s[0:1], s[82:83], exec
	s_and_b64 s[6:7], s[88:89], exec
	s_or_b64 s[82:83], s[0:1], s[6:7]
	s_andn2_b64 s[0:1], s[80:81], exec
	s_and_b64 s[6:7], s[86:87], exec
	s_or_b64 s[80:81], s[0:1], s[6:7]
	s_and_b64 s[30:31], s[28:29], exec
	v_mov_b32_e32 v9, v8
.LBB114_243:                            ;   in Loop: Header=BB114_20 Depth=1
	s_or_b64 exec, exec, s[84:85]
	s_orn2_b64 s[28:29], s[30:31], exec
.LBB114_244:                            ;   in Loop: Header=BB114_20 Depth=1
	s_or_b64 exec, exec, s[78:79]
	s_andn2_b64 s[0:1], s[72:73], exec
	s_and_b64 s[6:7], s[82:83], exec
	s_or_b64 s[72:73], s[0:1], s[6:7]
	s_andn2_b64 s[0:1], s[22:23], exec
	s_and_b64 s[6:7], s[80:81], exec
	s_or_b64 s[22:23], s[0:1], s[6:7]
	s_and_b64 s[30:31], s[28:29], exec
	v_mov_b32_e32 v8, v9
.LBB114_245:                            ;   in Loop: Header=BB114_20 Depth=1
	s_or_b64 exec, exec, s[76:77]
	s_orn2_b64 s[28:29], s[30:31], exec
.LBB114_246:                            ;   in Loop: Header=BB114_20 Depth=1
	s_or_b64 exec, exec, s[18:19]
	s_mov_b64 s[18:19], 0
                                        ; implicit-def: $sgpr0
                                        ; implicit-def: $sgpr1
	s_and_saveexec_b64 s[6:7], s[28:29]
	s_xor_b64 s[6:7], exec, s[6:7]
	s_cbranch_execz .LBB114_18
; %bb.247:                              ;   in Loop: Header=BB114_20 Depth=1
	v_and_b32_e32 v1, 7, v7
	v_cmp_eq_u32_e32 vcc, 0, v1
	s_mov_b64 s[16:17], -1
	s_mov_b64 s[18:19], -1
                                        ; implicit-def: $sgpr0
                                        ; implicit-def: $sgpr1
	s_and_saveexec_b64 s[28:29], vcc
	s_cbranch_execz .LBB114_17
; %bb.248:                              ;   in Loop: Header=BB114_20 Depth=1
	s_xor_b32 s1, s41, 1
	s_add_i32 s0, s45, -2
	s_cmp_eq_u32 s45, 0
	s_cselect_b64 s[16:17], -1, 0
	s_xor_b64 s[18:19], exec, -1
	s_orn2_b64 s[16:17], s[16:17], exec
	s_branch .LBB114_17
.LBB114_249:
	s_or_b64 exec, exec, s[58:59]
	s_xor_b64 s[8:9], s[64:65], -1
	s_xor_b64 s[0:1], s[60:61], -1
	;; [unrolled: 1-line block ×3, first 2 shown]
	s_mov_b64 s[4:5], 0
	s_and_saveexec_b64 s[2:3], s[0:1]
	s_xor_b64 s[2:3], exec, s[2:3]
	s_cbranch_execnz .LBB114_254
; %bb.250:
	s_andn2_saveexec_b64 s[0:1], s[2:3]
	s_cbranch_execnz .LBB114_267
.LBB114_251:
	s_or_b64 exec, exec, s[0:1]
	s_and_saveexec_b64 s[0:1], s[4:5]
.LBB114_252:
	; divergent unreachable
.LBB114_253:
	s_endpgm
.LBB114_254:
	s_and_saveexec_b64 s[0:1], s[8:9]
	s_xor_b64 s[4:5], exec, s[0:1]
	s_cbranch_execz .LBB114_265
; %bb.255:
	s_and_saveexec_b64 s[0:1], s[6:7]
	s_xor_b64 s[6:7], exec, s[0:1]
; %bb.256:
	v_lshrrev_b32_e32 v1, 31, v19
	v_add_co_u32_e32 v1, vcc, -1, v1
	v_addc_co_u32_e64 v2, s[0:1], 0, -1, vcc
	v_or_b32_e32 v2, 0x80000000, v2
	v_xor_b32_e32 v6, v2, v19
	v_xor_b32_e32 v5, v1, v18
; %bb.257:
	s_or_b64 exec, exec, s[6:7]
	v_readlane_b32 s8, v47, 12
	v_readlane_b32 s9, v47, 13
	;; [unrolled: 1-line block ×3, first 2 shown]
	s_mul_i32 s0, s10, s9
	v_readlane_b32 s1, v47, 20
	v_readlane_b32 s9, v47, 15
	s_sub_i32 s0, s1, s0
	s_mul_i32 s1, s9, s8
	s_sub_i32 s1, s10, s1
	s_add_i32 s6, s9, 1
	s_sub_i32 s7, s1, s8
	s_cmp_ge_u32 s1, s8
	s_cselect_b32 s6, s6, s9
	s_cselect_b32 s1, s7, s1
	s_add_i32 s7, s6, 1
	s_cmp_ge_u32 s1, s8
	s_cselect_b32 s1, s7, s6
	v_readlane_b32 s12, v47, 8
	s_mul_i32 s6, s1, s8
	v_readlane_b32 s13, v47, 9
	v_readlane_b32 s14, v47, 10
	s_sub_i32 s6, s10, s6
	s_mul_i32 s0, s0, s14
	s_mul_i32 s6, s6, s13
	s_add_i32 s0, s6, s0
	s_mul_i32 s1, s1, s12
	s_add_i32 s0, s0, s1
	s_mov_b32 s1, 0
	s_lshl_b64 s[0:1], s[0:1], 3
	v_readlane_b32 s6, v47, 0
	v_readlane_b32 s7, v47, 1
	s_add_u32 s0, s6, s0
	s_addc_u32 s1, s7, s1
	v_mov_b32_e32 v12, 0
	v_readlane_b32 s15, v47, 11
	global_store_dwordx2 v12, v[5:6], s[0:1]
	s_mov_b64 s[6:7], exec
	v_readlane_b32 s0, v47, 21
	v_readlane_b32 s1, v47, 22
	s_and_b64 s[0:1], s[6:7], s[0:1]
	s_mov_b64 exec, s[0:1]
	s_cbranch_execz .LBB114_264
; %bb.258:
	v_cmp_u_f64_e32 vcc, v[5:6], v[5:6]
	s_mov_b64 s[8:9], 0
	v_mov_b32_e32 v2, s38
                                        ; implicit-def: $sgpr10_sgpr11
                                        ; implicit-def: $sgpr16_sgpr17
                                        ; implicit-def: $sgpr14_sgpr15
	s_xor_b64 s[12:13], vcc, -1
	s_branch .LBB114_260
.LBB114_259:                            ;   in Loop: Header=BB114_260 Depth=1
	s_or_b64 exec, exec, s[0:1]
	s_and_b64 s[0:1], exec, s[16:17]
	s_or_b64 s[8:9], s[0:1], s[8:9]
	s_andn2_b64 s[0:1], s[10:11], exec
	s_and_b64 s[10:11], s[14:15], exec
	s_or_b64 s[10:11], s[0:1], s[10:11]
	s_andn2_b64 exec, exec, s[8:9]
	s_cbranch_execz .LBB114_262
.LBB114_260:                            ; =>This Inner Loop Header: Depth=1
	v_lshlrev_b64 v[3:4], 3, v[11:12]
	v_mov_b32_e32 v1, v0
	v_add_co_u32_e32 v3, vcc, s36, v3
	v_addc_co_u32_e32 v4, vcc, v2, v4, vcc
	global_load_dwordx2 v[3:4], v[3:4], off
	s_or_b64 s[14:15], s[14:15], exec
	s_or_b64 s[16:17], s[16:17], exec
                                        ; implicit-def: $vgpr0
	s_waitcnt vmcnt(0)
	v_cmp_o_f64_e32 vcc, v[3:4], v[3:4]
	v_cmp_neq_f64_e64 s[0:1], v[3:4], v[5:6]
	s_or_b64 s[18:19], vcc, s[12:13]
	s_and_b64 s[18:19], s[0:1], s[18:19]
	s_and_saveexec_b64 s[0:1], s[18:19]
	s_cbranch_execz .LBB114_259
; %bb.261:                              ;   in Loop: Header=BB114_260 Depth=1
	v_add_u32_e32 v0, s27, v1
	v_cmp_le_u32_e32 vcc, s24, v0
	s_andn2_b64 s[16:17], s[16:17], exec
	s_and_b64 s[18:19], vcc, exec
	v_add_u32_e32 v11, s37, v11
	s_andn2_b64 s[14:15], s[14:15], exec
	s_or_b64 s[16:17], s[16:17], s[18:19]
	s_branch .LBB114_259
.LBB114_262:
	s_or_b64 exec, exec, s[8:9]
	s_and_saveexec_b64 s[0:1], s[10:11]
	s_xor_b64 s[0:1], exec, s[0:1]
	s_cbranch_execz .LBB114_264
; %bb.263:
	v_readlane_b32 s8, v47, 2
	v_readlane_b32 s16, v47, 16
	;; [unrolled: 1-line block ×6, first 2 shown]
	s_mov_b32 s14, s10
	s_mul_i32 s0, s15, s17
	v_readlane_b32 s1, v47, 20
	s_mov_b64 s[12:13], s[8:9]
	v_readlane_b32 s10, v47, 19
	s_sub_i32 s0, s1, s0
	s_mul_i32 s1, s10, s16
	s_sub_i32 s1, s15, s1
	s_add_i32 s8, s10, 1
	s_sub_i32 s9, s1, s16
	s_cmp_ge_u32 s1, s16
	s_cselect_b32 s8, s8, s10
	s_cselect_b32 s1, s9, s1
	s_add_i32 s9, s8, 1
	s_cmp_ge_u32 s1, s16
	s_cselect_b32 s1, s9, s8
	s_mul_i32 s8, s1, s16
	s_sub_i32 s8, s15, s8
	s_mul_i32 s0, s0, s14
	s_mul_i32 s8, s8, s13
	s_add_i32 s0, s8, s0
	s_mul_i32 s1, s1, s12
	s_add_i32 s0, s0, s1
	s_mov_b32 s1, 0
	s_lshl_b64 s[0:1], s[0:1], 3
	v_readlane_b32 s8, v47, 6
	v_readlane_b32 s9, v47, 7
	s_add_u32 s0, s8, s0
	s_addc_u32 s1, s9, s1
	v_mov_b32_e32 v2, 0
	v_readlane_b32 s11, v47, 5
	global_store_dwordx2 v2, v[1:2], s[0:1]
.LBB114_264:
	s_or_b64 exec, exec, s[6:7]
.LBB114_265:
	s_or_saveexec_b64 s[0:1], s[4:5]
	s_mov_b64 s[4:5], 0
	s_xor_b64 exec, exec, s[0:1]
	s_cbranch_execnz .LBB114_268
.LBB114_266:
	s_or_b64 exec, exec, s[0:1]
	s_and_b64 s[4:5], s[4:5], exec
	s_andn2_saveexec_b64 s[0:1], s[2:3]
	s_cbranch_execz .LBB114_251
.LBB114_267:
	s_or_b64 s[4:5], s[4:5], exec
	s_trap 2
	s_or_b64 exec, exec, s[0:1]
	s_and_saveexec_b64 s[0:1], s[4:5]
	s_cbranch_execnz .LBB114_252
	s_branch .LBB114_253
.LBB114_268:
	s_mov_b64 s[4:5], exec
	s_trap 2
	s_branch .LBB114_266
	.section	.rodata,"a",@progbits
	.p2align	6, 0x0
	.amdhsa_kernel _ZN2at6native12_GLOBAL__N_112gatherMedianIdjLi3EEEvNS_4cuda6detail10TensorInfoIT_T0_EENS5_IlS7_EENS5_IKS6_S7_EES7_S7_S7_b
		.amdhsa_group_segment_fixed_size 4120
		.amdhsa_private_segment_fixed_size 0
		.amdhsa_kernarg_size 920
		.amdhsa_user_sgpr_count 6
		.amdhsa_user_sgpr_private_segment_buffer 1
		.amdhsa_user_sgpr_dispatch_ptr 0
		.amdhsa_user_sgpr_queue_ptr 0
		.amdhsa_user_sgpr_kernarg_segment_ptr 1
		.amdhsa_user_sgpr_dispatch_id 0
		.amdhsa_user_sgpr_flat_scratch_init 0
		.amdhsa_user_sgpr_private_segment_size 0
		.amdhsa_uses_dynamic_stack 0
		.amdhsa_system_sgpr_private_segment_wavefront_offset 0
		.amdhsa_system_sgpr_workgroup_id_x 1
		.amdhsa_system_sgpr_workgroup_id_y 1
		.amdhsa_system_sgpr_workgroup_id_z 1
		.amdhsa_system_sgpr_workgroup_info 0
		.amdhsa_system_vgpr_workitem_id 0
		.amdhsa_next_free_vgpr 48
		.amdhsa_next_free_sgpr 96
		.amdhsa_reserve_vcc 1
		.amdhsa_reserve_flat_scratch 0
		.amdhsa_float_round_mode_32 0
		.amdhsa_float_round_mode_16_64 0
		.amdhsa_float_denorm_mode_32 3
		.amdhsa_float_denorm_mode_16_64 3
		.amdhsa_dx10_clamp 1
		.amdhsa_ieee_mode 1
		.amdhsa_fp16_overflow 0
		.amdhsa_exception_fp_ieee_invalid_op 0
		.amdhsa_exception_fp_denorm_src 0
		.amdhsa_exception_fp_ieee_div_zero 0
		.amdhsa_exception_fp_ieee_overflow 0
		.amdhsa_exception_fp_ieee_underflow 0
		.amdhsa_exception_fp_ieee_inexact 0
		.amdhsa_exception_int_div_zero 0
	.end_amdhsa_kernel
	.section	.text._ZN2at6native12_GLOBAL__N_112gatherMedianIdjLi3EEEvNS_4cuda6detail10TensorInfoIT_T0_EENS5_IlS7_EENS5_IKS6_S7_EES7_S7_S7_b,"axG",@progbits,_ZN2at6native12_GLOBAL__N_112gatherMedianIdjLi3EEEvNS_4cuda6detail10TensorInfoIT_T0_EENS5_IlS7_EENS5_IKS6_S7_EES7_S7_S7_b,comdat
.Lfunc_end114:
	.size	_ZN2at6native12_GLOBAL__N_112gatherMedianIdjLi3EEEvNS_4cuda6detail10TensorInfoIT_T0_EENS5_IlS7_EENS5_IKS6_S7_EES7_S7_S7_b, .Lfunc_end114-_ZN2at6native12_GLOBAL__N_112gatherMedianIdjLi3EEEvNS_4cuda6detail10TensorInfoIT_T0_EENS5_IlS7_EENS5_IKS6_S7_EES7_S7_S7_b
                                        ; -- End function
	.set _ZN2at6native12_GLOBAL__N_112gatherMedianIdjLi3EEEvNS_4cuda6detail10TensorInfoIT_T0_EENS5_IlS7_EENS5_IKS6_S7_EES7_S7_S7_b.num_vgpr, 48
	.set _ZN2at6native12_GLOBAL__N_112gatherMedianIdjLi3EEEvNS_4cuda6detail10TensorInfoIT_T0_EENS5_IlS7_EENS5_IKS6_S7_EES7_S7_S7_b.num_agpr, 0
	.set _ZN2at6native12_GLOBAL__N_112gatherMedianIdjLi3EEEvNS_4cuda6detail10TensorInfoIT_T0_EENS5_IlS7_EENS5_IKS6_S7_EES7_S7_S7_b.numbered_sgpr, 96
	.set _ZN2at6native12_GLOBAL__N_112gatherMedianIdjLi3EEEvNS_4cuda6detail10TensorInfoIT_T0_EENS5_IlS7_EENS5_IKS6_S7_EES7_S7_S7_b.num_named_barrier, 0
	.set _ZN2at6native12_GLOBAL__N_112gatherMedianIdjLi3EEEvNS_4cuda6detail10TensorInfoIT_T0_EENS5_IlS7_EENS5_IKS6_S7_EES7_S7_S7_b.private_seg_size, 0
	.set _ZN2at6native12_GLOBAL__N_112gatherMedianIdjLi3EEEvNS_4cuda6detail10TensorInfoIT_T0_EENS5_IlS7_EENS5_IKS6_S7_EES7_S7_S7_b.uses_vcc, 1
	.set _ZN2at6native12_GLOBAL__N_112gatherMedianIdjLi3EEEvNS_4cuda6detail10TensorInfoIT_T0_EENS5_IlS7_EENS5_IKS6_S7_EES7_S7_S7_b.uses_flat_scratch, 0
	.set _ZN2at6native12_GLOBAL__N_112gatherMedianIdjLi3EEEvNS_4cuda6detail10TensorInfoIT_T0_EENS5_IlS7_EENS5_IKS6_S7_EES7_S7_S7_b.has_dyn_sized_stack, 0
	.set _ZN2at6native12_GLOBAL__N_112gatherMedianIdjLi3EEEvNS_4cuda6detail10TensorInfoIT_T0_EENS5_IlS7_EENS5_IKS6_S7_EES7_S7_S7_b.has_recursion, 0
	.set _ZN2at6native12_GLOBAL__N_112gatherMedianIdjLi3EEEvNS_4cuda6detail10TensorInfoIT_T0_EENS5_IlS7_EENS5_IKS6_S7_EES7_S7_S7_b.has_indirect_call, 0
	.section	.AMDGPU.csdata,"",@progbits
; Kernel info:
; codeLenInByte = 10340
; TotalNumSgprs: 100
; NumVgprs: 48
; ScratchSize: 0
; MemoryBound: 0
; FloatMode: 240
; IeeeMode: 1
; LDSByteSize: 4120 bytes/workgroup (compile time only)
; SGPRBlocks: 12
; VGPRBlocks: 11
; NumSGPRsForWavesPerEU: 100
; NumVGPRsForWavesPerEU: 48
; Occupancy: 5
; WaveLimiterHint : 1
; COMPUTE_PGM_RSRC2:SCRATCH_EN: 0
; COMPUTE_PGM_RSRC2:USER_SGPR: 6
; COMPUTE_PGM_RSRC2:TRAP_HANDLER: 0
; COMPUTE_PGM_RSRC2:TGID_X_EN: 1
; COMPUTE_PGM_RSRC2:TGID_Y_EN: 1
; COMPUTE_PGM_RSRC2:TGID_Z_EN: 1
; COMPUTE_PGM_RSRC2:TIDIG_COMP_CNT: 0
	.section	.text._ZN2at6native12_GLOBAL__N_112gatherMedianIdjLin1EEEvNS_4cuda6detail10TensorInfoIT_T0_EENS5_IlS7_EENS5_IKS6_S7_EES7_S7_S7_b,"axG",@progbits,_ZN2at6native12_GLOBAL__N_112gatherMedianIdjLin1EEEvNS_4cuda6detail10TensorInfoIT_T0_EENS5_IlS7_EENS5_IKS6_S7_EES7_S7_S7_b,comdat
	.globl	_ZN2at6native12_GLOBAL__N_112gatherMedianIdjLin1EEEvNS_4cuda6detail10TensorInfoIT_T0_EENS5_IlS7_EENS5_IKS6_S7_EES7_S7_S7_b ; -- Begin function _ZN2at6native12_GLOBAL__N_112gatherMedianIdjLin1EEEvNS_4cuda6detail10TensorInfoIT_T0_EENS5_IlS7_EENS5_IKS6_S7_EES7_S7_S7_b
	.p2align	8
	.type	_ZN2at6native12_GLOBAL__N_112gatherMedianIdjLin1EEEvNS_4cuda6detail10TensorInfoIT_T0_EENS5_IlS7_EENS5_IKS6_S7_EES7_S7_S7_b,@function
_ZN2at6native12_GLOBAL__N_112gatherMedianIdjLin1EEEvNS_4cuda6detail10TensorInfoIT_T0_EENS5_IlS7_EENS5_IKS6_S7_EES7_S7_S7_b: ; @_ZN2at6native12_GLOBAL__N_112gatherMedianIdjLin1EEEvNS_4cuda6detail10TensorInfoIT_T0_EENS5_IlS7_EENS5_IKS6_S7_EES7_S7_S7_b
; %bb.0:
	s_load_dwordx2 s[12:13], s[4:5], 0x298
	s_load_dwordx4 s[24:27], s[4:5], 0x288
	s_add_u32 s10, s4, 0x298
	s_addc_u32 s11, s5, 0
	s_waitcnt lgkmcnt(0)
	s_mul_i32 s0, s13, s8
	s_add_i32 s0, s0, s7
	s_mul_i32 s0, s0, s12
	s_add_i32 s7, s0, s6
	s_cmp_ge_u32 s7, s25
	s_cbranch_scc1 .LBB115_262
; %bb.1:
	s_load_dword s0, s[4:5], 0xd0
	s_mov_b32 s29, 0
	s_mov_b32 s25, s7
	s_waitcnt lgkmcnt(0)
	s_cmp_lt_i32 s0, 2
	s_cbranch_scc1 .LBB115_4
; %bb.2:
	s_add_i32 s28, s0, -1
	s_add_i32 s2, s0, 1
	s_lshl_b64 s[0:1], s[28:29], 2
	s_add_u32 s0, s4, s0
	s_addc_u32 s1, s5, s1
	s_add_u32 s0, s0, 8
	s_addc_u32 s1, s1, 0
	s_mov_b32 s25, s7
.LBB115_3:                              ; =>This Inner Loop Header: Depth=1
	s_load_dword s3, s[0:1], 0x0
	s_load_dword s9, s[0:1], 0x64
	s_mov_b32 s8, s25
	s_waitcnt lgkmcnt(0)
	v_cvt_f32_u32_e32 v1, s3
	s_sub_i32 s13, 0, s3
	v_rcp_iflag_f32_e32 v1, v1
	v_mul_f32_e32 v1, 0x4f7ffffe, v1
	v_cvt_u32_f32_e32 v1, v1
	v_readfirstlane_b32 s14, v1
	s_mul_i32 s13, s13, s14
	s_mul_hi_u32 s13, s14, s13
	s_add_i32 s14, s14, s13
	s_mul_hi_u32 s13, s25, s14
	s_mul_i32 s14, s13, s3
	s_sub_i32 s14, s25, s14
	s_add_i32 s15, s13, 1
	s_sub_i32 s16, s14, s3
	s_cmp_ge_u32 s14, s3
	s_cselect_b32 s13, s15, s13
	s_cselect_b32 s14, s16, s14
	s_add_i32 s15, s13, 1
	s_cmp_ge_u32 s14, s3
	s_cselect_b32 s25, s15, s13
	s_mul_i32 s3, s25, s3
	s_sub_i32 s3, s8, s3
	s_mul_i32 s3, s9, s3
	s_add_i32 s2, s2, -1
	s_add_i32 s29, s3, s29
	s_add_u32 s0, s0, -4
	s_addc_u32 s1, s1, -1
	s_cmp_gt_u32 s2, 2
	s_cbranch_scc1 .LBB115_3
.LBB115_4:
	s_load_dword s2, s[4:5], 0x1a8
	s_add_u32 s0, s4, 0xd8
	s_addc_u32 s1, s5, 0
	s_mov_b32 s31, 0
	s_mov_b32 s28, s7
	s_waitcnt lgkmcnt(0)
	s_cmp_lt_i32 s2, 2
	s_cbranch_scc1 .LBB115_7
; %bb.5:
	s_add_i32 s30, s2, -1
	s_add_i32 s8, s2, 1
	s_lshl_b64 s[2:3], s[30:31], 2
	s_add_u32 s2, s0, s2
	s_addc_u32 s3, s1, s3
	s_add_u32 s2, s2, 8
	s_addc_u32 s3, s3, 0
	s_mov_b32 s28, s7
.LBB115_6:                              ; =>This Inner Loop Header: Depth=1
	s_load_dword s9, s[2:3], 0x0
	s_load_dword s14, s[2:3], 0x64
	s_mov_b32 s13, s28
	s_waitcnt lgkmcnt(0)
	v_cvt_f32_u32_e32 v1, s9
	s_sub_i32 s15, 0, s9
	v_rcp_iflag_f32_e32 v1, v1
	v_mul_f32_e32 v1, 0x4f7ffffe, v1
	v_cvt_u32_f32_e32 v1, v1
	v_readfirstlane_b32 s16, v1
	s_mul_i32 s15, s15, s16
	s_mul_hi_u32 s15, s16, s15
	s_add_i32 s16, s16, s15
	s_mul_hi_u32 s15, s28, s16
	s_mul_i32 s16, s15, s9
	s_sub_i32 s16, s28, s16
	s_add_i32 s17, s15, 1
	s_sub_i32 s18, s16, s9
	s_cmp_ge_u32 s16, s9
	s_cselect_b32 s15, s17, s15
	s_cselect_b32 s16, s18, s16
	s_add_i32 s17, s15, 1
	s_cmp_ge_u32 s16, s9
	s_cselect_b32 s28, s17, s15
	s_mul_i32 s9, s28, s9
	s_sub_i32 s9, s13, s9
	s_mul_i32 s9, s14, s9
	s_add_i32 s8, s8, -1
	s_add_i32 s31, s9, s31
	s_add_u32 s2, s2, -4
	s_addc_u32 s3, s3, -1
	s_cmp_gt_u32 s8, 2
	s_cbranch_scc1 .LBB115_6
.LBB115_7:
	s_load_dword s94, s[4:5], 0x6c
	s_load_dword s2, s[4:5], 0x280
	s_add_u32 s8, s4, 0x1b0
	s_addc_u32 s9, s5, 0
	s_mov_b32 s3, 0
	s_waitcnt lgkmcnt(0)
	s_cmp_lt_i32 s2, 2
	s_cbranch_scc1 .LBB115_10
; %bb.8:
	s_add_i32 s13, s2, 1
	s_add_i32 s2, s2, -1
	s_lshl_b64 s[14:15], s[2:3], 2
	s_add_u32 s2, s8, s14
	s_addc_u32 s9, s9, s15
	s_add_u32 s8, s2, 8
	s_addc_u32 s9, s9, 0
.LBB115_9:                              ; =>This Inner Loop Header: Depth=1
	s_load_dword s2, s[8:9], 0x0
	s_load_dword s15, s[8:9], 0x64
	s_mov_b32 s14, s7
	s_waitcnt lgkmcnt(0)
	v_cvt_f32_u32_e32 v1, s2
	s_sub_i32 s7, 0, s2
	v_rcp_iflag_f32_e32 v1, v1
	v_mul_f32_e32 v1, 0x4f7ffffe, v1
	v_cvt_u32_f32_e32 v1, v1
	v_readfirstlane_b32 s16, v1
	s_mul_i32 s7, s7, s16
	s_mul_hi_u32 s7, s16, s7
	s_add_i32 s16, s16, s7
	s_mul_hi_u32 s7, s14, s16
	s_mul_i32 s16, s7, s2
	s_sub_i32 s16, s14, s16
	s_add_i32 s17, s7, 1
	s_sub_i32 s18, s16, s2
	s_cmp_ge_u32 s16, s2
	s_cselect_b32 s7, s17, s7
	s_cselect_b32 s16, s18, s16
	s_add_i32 s17, s7, 1
	s_cmp_ge_u32 s16, s2
	s_cselect_b32 s7, s17, s7
	s_mul_i32 s2, s7, s2
	s_sub_i32 s2, s14, s2
	s_mul_i32 s2, s15, s2
	s_add_i32 s13, s13, -1
	s_add_i32 s3, s2, s3
	s_add_u32 s8, s8, -4
	s_addc_u32 s9, s9, -1
	s_cmp_gt_u32 s13, 2
	s_cbranch_scc1 .LBB115_9
.LBB115_10:
	s_load_dword s95, s[0:1], 0x6c
	s_load_dword s2, s[4:5], 0x21c
	s_nop 0
	s_load_dwordx2 s[0:1], s[4:5], 0x0
                                        ; implicit-def: $vgpr47 : SGPR spill to VGPR lane
                                        ; kill: killed $sgpr4 killed $sgpr5
	v_mov_b32_e32 v3, 0
	s_waitcnt lgkmcnt(0)
	s_mul_i32 s2, s2, s7
	v_writelane_b32 v47, s0, 0
	v_writelane_b32 v47, s1, 1
	s_load_dwordx2 s[0:1], s[4:5], 0xd8
	s_waitcnt lgkmcnt(0)
	v_writelane_b32 v47, s0, 2
	v_writelane_b32 v47, s1, 3
	s_load_dwordx2 s[0:1], s[4:5], 0x1b0
	s_mov_b32 s5, 0
	s_add_i32 s4, s2, s3
	s_lshl_b64 s[2:3], s[4:5], 3
	s_waitcnt lgkmcnt(0)
	s_add_u32 s33, s0, s2
	s_addc_u32 s34, s1, s3
	v_cmp_gt_u32_e64 s[0:1], s24, v0
	s_mov_b64 s[2:3], exec
	v_writelane_b32 v47, s0, 4
	v_writelane_b32 v47, s1, 5
	s_and_b64 s[0:1], s[2:3], s[0:1]
	s_mov_b64 exec, s[0:1]
	s_cbranch_execz .LBB115_14
; %bb.11:
	s_load_dword s0, s[10:11], 0xc
	v_mul_lo_u32 v1, v0, s26
	v_mov_b32_e32 v2, 0
	s_mov_b64 s[4:5], 0
	v_mov_b32_e32 v4, s34
	s_waitcnt lgkmcnt(0)
	s_and_b32 s0, s0, 0xffff
	s_mul_i32 s1, s26, s0
	v_mov_b32_e32 v3, v2
	v_mov_b32_e32 v5, v0
.LBB115_12:                             ; =>This Inner Loop Header: Depth=1
	v_lshlrev_b64 v[6:7], 3, v[1:2]
	v_add_u32_e32 v5, s0, v5
	v_add_co_u32_e32 v6, vcc, s33, v6
	v_addc_co_u32_e32 v7, vcc, v4, v7, vcc
	global_load_dwordx2 v[6:7], v[6:7], off
	v_cmp_le_u32_e32 vcc, s24, v5
	s_or_b64 s[4:5], vcc, s[4:5]
	v_add_u32_e32 v1, s1, v1
	s_waitcnt vmcnt(0)
	v_cmp_u_f64_e32 vcc, v[6:7], v[6:7]
	v_addc_co_u32_e32 v3, vcc, 0, v3, vcc
	s_andn2_b64 exec, exec, s[4:5]
	s_cbranch_execnz .LBB115_12
; %bb.13:
	s_or_b64 exec, exec, s[4:5]
.LBB115_14:
	s_or_b64 exec, exec, s[2:3]
	v_cmp_eq_u32_e64 s[2:3], 0, v0
	s_and_saveexec_b64 s[4:5], s[2:3]
; %bb.15:
	v_mov_b32_e32 v1, 0
	v_mov_b32_e32 v2, v1
	ds_write_b64 v1, v[1:2] offset:4096
; %bb.16:
	s_or_b64 exec, exec, s[4:5]
	v_cmp_ne_u32_e32 vcc, 0, v3
	s_waitcnt lgkmcnt(0)
	s_barrier
	s_and_saveexec_b64 s[4:5], vcc
	s_cbranch_execz .LBB115_21
; %bb.17:
	s_mov_b64 s[14:15], exec
	v_mov_b32_e32 v1, 0
	s_mov_b64 s[8:9], 0
.LBB115_18:                             ; =>This Inner Loop Header: Depth=1
	s_ff1_i32_b64 s0, s[14:15]
	v_readlane_b32 s7, v3, s0
	v_readlane_b32 s1, v1, s0
	s_add_u32 s8, s8, s7
	s_addc_u32 s9, s9, s1
	s_lshl_b64 s[0:1], 1, s0
	s_andn2_b64 s[14:15], s[14:15], s[0:1]
	s_cmp_lg_u64 s[14:15], 0
	s_cbranch_scc1 .LBB115_18
; %bb.19:
	v_mbcnt_lo_u32_b32 v1, exec_lo, 0
	v_mbcnt_hi_u32_b32 v1, exec_hi, v1
	v_cmp_eq_u32_e32 vcc, 0, v1
	s_and_saveexec_b64 s[0:1], vcc
	s_xor_b64 s[0:1], exec, s[0:1]
; %bb.20:
	v_mov_b32_e32 v1, s8
	v_mov_b32_e32 v3, 0
	;; [unrolled: 1-line block ×3, first 2 shown]
	ds_add_u64 v3, v[1:2] offset:4096
.LBB115_21:
	s_or_b64 exec, exec, s[4:5]
	v_mov_b32_e32 v1, 0
	s_waitcnt lgkmcnt(0)
	s_barrier
	ds_read_b64 v[1:2], v1 offset:4096
	s_bitcmp1_b32 s27, 0
	s_cselect_b64 s[8:9], -1, 0
	s_mov_b32 s7, s24
	s_waitcnt lgkmcnt(0)
	v_readfirstlane_b32 s4, v1
	v_readfirstlane_b32 s5, v2
	v_cmp_lt_i64_e64 s[0:1], s[4:5], 1
	s_or_b64 s[0:1], s[8:9], s[0:1]
	s_andn2_b64 vcc, exec, s[0:1]
	s_cbranch_vccnz .LBB115_23
; %bb.22:
	s_not_b64 s[0:1], s[4:5]
	s_add_u32 s0, s0, s24
	s_addc_u32 s1, s1, 0
	s_lshr_b32 s4, s1, 31
	s_add_u32 s0, s0, s4
	s_addc_u32 s1, s1, 0
	s_lshr_b64 s[0:1], s[0:1], 1
	s_add_i32 s7, s0, 1
.LBB115_23:
	s_and_saveexec_b64 s[4:5], s[2:3]
	s_cbranch_execz .LBB115_25
; %bb.24:
	v_mov_b32_e32 v1, 0
	v_mov_b32_e32 v2, s24
	ds_write_b32 v1, v1 offset:4112
	ds_write_b64 v1, v[1:2] offset:4104
.LBB115_25:
	s_or_b64 exec, exec, s[4:5]
	v_mul_lo_u32 v11, s26, v0
	v_mov_b32_e32 v13, 0
	v_mbcnt_lo_u32_b32 v1, -1, 0
	v_mov_b32_e32 v12, v13
	s_waitcnt lgkmcnt(0)
	s_barrier
	s_load_dword s0, s[10:11], 0xc
	v_mbcnt_hi_u32_b32 v27, -1, v1
	v_lshlrev_b64 v[1:2], 3, v[11:12]
	v_cmp_gt_u32_e32 vcc, 64, v0
	v_cmp_gt_i32_e64 s[8:9], 4, v27
	s_and_b64 s[38:39], vcc, s[8:9]
	v_mov_b32_e32 v3, s34
	v_add_co_u32_e32 v14, vcc, s33, v1
	v_addc_co_u32_e32 v15, vcc, v3, v2, vcc
	v_lshlrev_b64 v[1:2], v27, -1
	s_waitcnt lgkmcnt(0)
	s_and_b32 s27, s0, 0xffff
	v_not_b32_e32 v32, v1
	v_lshrrev_b32_e32 v1, 2, v0
	s_lshl_b32 s30, s27, 2
	s_add_i32 s36, s27, -1
	v_and_b32_e32 v1, 0xf0, v1
	s_bfe_u32 s0, s0, 0xa0006
	s_add_i32 s1, s36, s24
	v_or_b32_e32 v33, 0xc00, v1
	v_cvt_f32_u32_e32 v1, s30
	s_cmpk_gt_u32 s24, 0x180
	s_cselect_b64 s[8:9], -1, 0
	s_cmp_gt_u32 s27, 63
	s_cselect_b64 s[42:43], -1, 0
	s_cmp_lt_u32 s6, s12
	v_writelane_b32 v47, s8, 6
	s_cselect_b32 s6, 12, 18
	v_rcp_iflag_f32_e32 v1, v1
	v_writelane_b32 v47, s9, 7
	s_add_u32 s8, s10, s6
	s_addc_u32 s9, s11, 0
	v_writelane_b32 v47, s8, 8
	s_add_i32 s6, s0, -1
	v_writelane_b32 v47, s9, 9
	s_bfe_u32 s8, s27, 0x30006
	s_and_b32 s6, s6, 0xffff
	v_mul_f32_e32 v1, 0x4f7ffffe, v1
	s_cmp_gt_u32 s6, 6
	v_cvt_u32_f32_e32 v1, v1
	s_cselect_b64 s[10:11], -1, 0
	v_writelane_b32 v47, s10, 10
	s_and_b32 s37, s0, 0x3f8
	v_writelane_b32 v47, s11, 11
	s_cmp_lg_u32 s8, 0
	v_writelane_b32 v47, s8, 12
	s_cselect_b64 s[8:9], -1, 0
	s_sub_i32 s0, 0, s30
	v_readfirstlane_b32 s6, v1
	v_cvt_f32_u32_e32 v1, s27
	s_mul_i32 s0, s0, s6
	s_mul_hi_u32 s0, s6, s0
	s_add_i32 s44, s6, s0
	s_mul_hi_u32 s0, s24, s44
	v_rcp_iflag_f32_e32 v4, v1
	s_mul_i32 s0, s0, s30
	s_sub_i32 s0, s24, s0
	s_sub_i32 s6, s0, s30
	s_cmp_ge_u32 s0, s30
	v_mul_f32_e32 v4, 0x4f7ffffe, v4
	s_cselect_b32 s0, s6, s0
	v_cvt_u32_f32_e32 v4, v4
	s_sub_i32 s6, s0, s30
	s_cmp_ge_u32 s0, s30
	s_cselect_b32 s0, s6, s0
	s_sub_i32 s45, s24, s0
	s_sub_i32 s6, 0, s27
	v_readfirstlane_b32 s12, v4
	v_add_u32_e32 v34, s45, v0
	s_mul_i32 s6, s6, s12
	v_mul_lo_u32 v12, v34, s26
	s_mul_hi_u32 s6, s12, s6
	s_add_i32 s47, s12, s6
	s_mul_hi_u32 s6, s1, s47
	s_mul_i32 s6, s6, s27
	v_not_b32_e32 v31, v2
	v_lshlrev_b64 v[1:2], 3, v[12:13]
	s_sub_i32 s6, s1, s6
	v_lshlrev_b32_e32 v26, 2, v0
	s_sub_i32 s12, s6, s27
	v_add_co_u32_e32 v16, vcc, s33, v1
	s_cmp_ge_u32 s6, s27
	v_mul_lo_u32 v1, s26, v26
	s_cselect_b32 s6, s12, s6
	s_sub_i32 s12, s6, s27
	s_cmp_ge_u32 s6, s27
	s_cselect_b32 s6, s12, s6
	v_add_u32_e32 v35, s26, v1
	v_or_b32_e32 v1, 2, v26
	s_sub_i32 s48, s1, s6
	v_mul_lo_u32 v36, s26, v1
	v_or_b32_e32 v1, 3, v26
	s_add_i32 s1, s27, s24
	v_mul_lo_u32 v37, s26, v1
	v_add_u32_e32 v1, s1, v0
	v_subrev_u32_e32 v1, s0, v1
	v_writelane_b32 v47, s8, 13
	v_mul_lo_u32 v39, s26, v1
	v_writelane_b32 v47, s9, 14
	v_mov_b32_e32 v5, s34
	v_cmp_gt_u32_e64 s[12:13], s48, v0
	v_lshlrev_b32_e32 v28, 3, v0
	v_lshlrev_b32_e32 v3, 2, v27
	v_addc_co_u32_e32 v17, vcc, v5, v2, vcc
	v_writelane_b32 v47, s12, 15
	s_mul_i32 s35, s26, s27
	v_mov_b32_e32 v18, 0
	v_mov_b32_e32 v20, 0
	v_mov_b32_e32 v5, 0
	s_mov_b32 s46, 0
	v_cmp_eq_u32_e64 s[4:5], 0, v27
	v_cmp_gt_u32_e64 s[20:21], 2, v0
	v_add_u32_e32 v29, 0xc00, v28
	v_and_b32_e32 v30, 0x100, v3
	v_cmp_gt_u32_e64 s[8:9], s45, v26
	v_cmp_gt_u32_e64 s[10:11], s24, v34
	v_writelane_b32 v47, s13, 16
	s_lshl_b32 s49, s35, 2
	v_lshlrev_b32_e32 v38, 2, v11
	v_lshlrev_b32_e32 v40, 5, v0
	s_lshl_b32 s0, s27, 5
	s_lshl_b32 s1, s27, 3
	v_or_b32_e32 v41, 0xc00, v3
	s_mov_b32 s12, 62
	s_mov_b64 s[50:51], 0
	v_mov_b32_e32 v42, s7
	v_mov_b32_e32 v19, 0
	;; [unrolled: 1-line block ×5, first 2 shown]
                                        ; implicit-def: $sgpr52_sgpr53
                                        ; implicit-def: $sgpr56_sgpr57
                                        ; implicit-def: $sgpr54_sgpr55
                                        ; implicit-def: $sgpr60_sgpr61
                                        ; implicit-def: $sgpr62_sgpr63
                                        ; implicit-def: $sgpr58_sgpr59
	s_branch .LBB115_29
.LBB115_26:                             ;   in Loop: Header=BB115_29 Depth=1
	s_or_b64 exec, exec, s[66:67]
	s_and_b64 s[18:19], s[18:19], exec
	s_andn2_b64 s[64:65], s[64:65], exec
	s_andn2_b64 s[22:23], s[22:23], exec
	s_orn2_b64 s[16:17], s[16:17], exec
.LBB115_27:                             ;   in Loop: Header=BB115_29 Depth=1
	s_or_b64 exec, exec, s[6:7]
	s_andn2_b64 s[6:7], s[58:59], exec
	s_and_b64 s[12:13], s[18:19], exec
	s_or_b64 s[58:59], s[6:7], s[12:13]
	s_andn2_b64 s[6:7], s[62:63], exec
	s_and_b64 s[12:13], s[64:65], exec
	s_or_b64 s[62:63], s[6:7], s[12:13]
	;; [unrolled: 3-line block ×3, first 2 shown]
	s_orn2_b64 s[16:17], s[16:17], exec
.LBB115_28:                             ;   in Loop: Header=BB115_29 Depth=1
	s_or_b64 exec, exec, s[14:15]
	s_and_b64 s[6:7], exec, s[16:17]
	s_or_b64 s[50:51], s[6:7], s[50:51]
	s_andn2_b64 s[6:7], s[54:55], exec
	s_and_b64 s[12:13], s[58:59], exec
	s_or_b64 s[54:55], s[6:7], s[12:13]
	s_andn2_b64 s[6:7], s[56:57], exec
	s_and_b64 s[12:13], s[62:63], exec
	;; [unrolled: 3-line block ×3, first 2 shown]
	s_or_b64 s[52:53], s[6:7], s[12:13]
	s_mov_b32 s46, s41
	s_mov_b32 s12, s40
	v_mov_b32_e32 v42, v8
	s_andn2_b64 exec, exec, s[50:51]
	s_cbranch_execz .LBB115_258
.LBB115_29:                             ; =>This Loop Header: Depth=1
                                        ;     Child Loop BB115_35 Depth 2
                                        ;     Child Loop BB115_48 Depth 2
	;; [unrolled: 1-line block ×16, first 2 shown]
	ds_read_b64 v[3:4], v13 offset:4104
	s_waitcnt lgkmcnt(0)
	v_readfirstlane_b32 s13, v3
	s_cmp_lg_u32 s13, 0
	s_cbranch_scc1 .LBB115_56
; %bb.30:                               ;   in Loop: Header=BB115_29 Depth=1
	v_readlane_b32 s6, v47, 6
	v_readlane_b32 s7, v47, 7
	s_and_b64 vcc, exec, s[6:7]
	s_cbranch_vccz .LBB115_43
; %bb.31:                               ;   in Loop: Header=BB115_29 Depth=1
	s_movk_i32 s6, 0x181
	v_cmp_gt_u32_e32 vcc, s6, v4
	s_mov_b64 s[16:17], 0
	s_mov_b64 s[6:7], 0
	s_cbranch_vccz .LBB115_44
; %bb.32:                               ;   in Loop: Header=BB115_29 Depth=1
	s_mov_b64 s[18:19], exec
	v_readlane_b32 s6, v47, 4
	v_readlane_b32 s7, v47, 5
	s_and_b64 s[6:7], s[18:19], s[6:7]
	s_mov_b64 exec, s[6:7]
	s_cbranch_execz .LBB115_143
; %bb.33:                               ;   in Loop: Header=BB115_29 Depth=1
	v_readlane_b32 s6, v47, 8
	v_readlane_b32 s7, v47, 9
	s_nop 4
	global_load_ushort v1, v13, s[6:7]
	global_load_dwordx2 v[3:4], v[14:15], off
	s_mov_b64 s[22:23], 0
	v_mov_b32_e32 v10, v0
	s_waitcnt vmcnt(1)
	v_add_u32_e32 v7, v0, v1
	v_mul_lo_u32 v12, s26, v7
	v_mul_lo_u32 v9, s26, v1
	s_branch .LBB115_35
.LBB115_34:                             ;   in Loop: Header=BB115_35 Depth=2
	s_or_b64 exec, exec, s[6:7]
	v_mov_b32_e32 v3, v7
	v_add_u32_e32 v12, v12, v9
	v_mov_b32_e32 v4, v8
	s_andn2_b64 exec, exec, s[22:23]
	s_cbranch_execz .LBB115_143
.LBB115_35:                             ;   Parent Loop BB115_29 Depth=1
                                        ; =>  This Inner Loop Header: Depth=2
	v_add_u32_e32 v10, v10, v1
	v_mov_b32_e32 v7, 0
	v_cmp_gt_u32_e64 s[6:7], s24, v10
	v_mov_b32_e32 v8, 0
	v_cmp_le_u32_e32 vcc, s24, v10
	s_and_saveexec_b64 s[14:15], s[6:7]
	s_cbranch_execz .LBB115_37
; %bb.36:                               ;   in Loop: Header=BB115_35 Depth=2
	v_lshlrev_b64 v[7:8], 3, v[12:13]
	s_waitcnt lgkmcnt(0)
	v_mov_b32_e32 v22, s34
	v_add_co_u32_e64 v7, s[6:7], s33, v7
	v_addc_co_u32_e64 v8, s[6:7], v22, v8, s[6:7]
	global_load_dwordx2 v[7:8], v[7:8], off
.LBB115_37:                             ;   in Loop: Header=BB115_35 Depth=2
	s_or_b64 exec, exec, s[14:15]
	s_waitcnt vmcnt(0)
	v_cmp_o_f64_e64 s[6:7], v[3:4], v[3:4]
	s_waitcnt lgkmcnt(0)
	v_ashrrev_i32_e32 v22, 31, v4
	v_or_b32_e32 v23, 0x80000000, v22
	v_xor_b32_e32 v23, v23, v4
	v_xor_b32_e32 v22, v22, v3
	v_cndmask_b32_e64 v23, -1, v23, s[6:7]
	v_cndmask_b32_e64 v22, -1, v22, s[6:7]
	v_and_b32_e32 v23, v23, v21
	v_and_b32_e32 v22, v22, v20
	v_cmp_eq_u64_e64 s[14:15], v[22:23], v[18:19]
	v_mov_b32_e32 v22, 0
	s_cmp_lg_u64 s[14:15], 0
	s_cselect_b64 s[6:7], -1, 0
	s_and_b64 s[6:7], s[4:5], s[6:7]
	s_and_saveexec_b64 s[64:65], s[6:7]
	s_cbranch_execz .LBB115_41
; %bb.38:                               ;   in Loop: Header=BB115_35 Depth=2
	s_mov_b64 s[68:69], exec
	v_mbcnt_lo_u32_b32 v22, s68, 0
	v_mbcnt_hi_u32_b32 v22, s69, v22
	s_bcnt1_i32_b64 s13, s[14:15]
	v_cmp_eq_u32_e64 s[6:7], 0, v22
                                        ; implicit-def: $vgpr23
	s_and_saveexec_b64 s[66:67], s[6:7]
; %bb.39:                               ;   in Loop: Header=BB115_35 Depth=2
	s_bcnt1_i32_b64 s6, s[68:69]
	s_mul_i32 s6, s13, s6
	v_mov_b32_e32 v23, s6
	ds_add_rtn_u32 v23, v13, v23 offset:4112
; %bb.40:                               ;   in Loop: Header=BB115_35 Depth=2
	s_or_b64 exec, exec, s[66:67]
	s_waitcnt lgkmcnt(0)
	v_readfirstlane_b32 s6, v23
	v_mov_b32_e32 v23, s6
	v_mad_u32_u24 v22, s13, v22, v23
.LBB115_41:                             ;   in Loop: Header=BB115_35 Depth=2
	s_or_b64 exec, exec, s[64:65]
	ds_bpermute_b32 v22, v30, v22
	s_and_b64 s[6:7], exec, vcc
	s_or_b64 s[22:23], s[6:7], s[22:23]
	s_and_saveexec_b64 s[6:7], s[14:15]
	s_cbranch_execz .LBB115_34
; %bb.42:                               ;   in Loop: Header=BB115_35 Depth=2
	v_and_b32_e32 v24, s14, v32
	v_and_b32_e32 v23, s15, v31
	v_bcnt_u32_b32 v24, v24, 0
	v_bcnt_u32_b32 v23, v23, v24
	v_lshlrev_b32_e32 v23, 3, v23
	s_waitcnt lgkmcnt(0)
	v_lshl_add_u32 v22, v22, 3, v23
	ds_write_b64 v22, v[3:4]
	s_branch .LBB115_34
.LBB115_43:                             ;   in Loop: Header=BB115_29 Depth=1
	s_mov_b64 s[16:17], -1
	s_mov_b64 s[6:7], 0
.LBB115_44:                             ;   in Loop: Header=BB115_29 Depth=1
	s_and_b64 vcc, exec, s[16:17]
	s_cbranch_vccz .LBB115_54
.LBB115_45:                             ;   in Loop: Header=BB115_29 Depth=1
	s_mov_b64 s[6:7], exec
	v_readlane_b32 s14, v47, 4
	v_readlane_b32 s15, v47, 5
	s_and_b64 s[14:15], s[6:7], s[14:15]
	s_mov_b64 exec, s[14:15]
	s_cbranch_execz .LBB115_51
; %bb.46:                               ;   in Loop: Header=BB115_29 Depth=1
	v_readlane_b32 s14, v47, 8
	v_readlane_b32 s15, v47, 9
	s_nop 4
	global_load_ushort v1, v13, s[14:15]
	global_load_dwordx2 v[3:4], v[14:15], off
	v_mov_b32_e32 v9, v0
	s_waitcnt vmcnt(1)
	v_add_u32_e32 v7, v0, v1
	v_cmp_gt_u32_e32 vcc, s24, v7
	s_and_saveexec_b64 s[14:15], vcc
	s_cbranch_execz .LBB115_50
; %bb.47:                               ;   in Loop: Header=BB115_29 Depth=1
	v_mul_lo_u32 v12, s26, v7
	v_mul_lo_u32 v22, s26, v1
	v_lshlrev_b32_e32 v10, 3, v1
	s_mov_b64 s[16:17], 0
	v_mov_b32_e32 v23, v28
	v_mov_b32_e32 v9, v0
.LBB115_48:                             ;   Parent Loop BB115_29 Depth=1
                                        ; =>  This Inner Loop Header: Depth=2
	v_lshlrev_b64 v[7:8], 3, v[12:13]
	v_mov_b32_e32 v24, s34
	v_add_co_u32_e32 v7, vcc, s33, v7
	v_addc_co_u32_e32 v8, vcc, v24, v8, vcc
	global_load_dwordx2 v[7:8], v[7:8], off
	v_add_u32_e32 v9, v9, v1
	s_waitcnt vmcnt(1)
	ds_write_b64 v23, v[3:4]
	v_add_u32_e32 v3, v1, v9
	v_cmp_le_u32_e32 vcc, s24, v3
	v_add_u32_e32 v23, v23, v10
	v_add_u32_e32 v12, v12, v22
	s_or_b64 s[16:17], vcc, s[16:17]
	s_waitcnt vmcnt(0)
	v_mov_b32_e32 v3, v7
	v_mov_b32_e32 v4, v8
	s_andn2_b64 exec, exec, s[16:17]
	s_cbranch_execnz .LBB115_48
; %bb.49:                               ;   in Loop: Header=BB115_29 Depth=1
	s_or_b64 exec, exec, s[16:17]
	v_mov_b32_e32 v3, v7
	v_mov_b32_e32 v4, v8
.LBB115_50:                             ;   in Loop: Header=BB115_29 Depth=1
	s_or_b64 exec, exec, s[14:15]
	v_lshlrev_b32_e32 v1, 3, v9
	s_waitcnt vmcnt(0)
	ds_write_b64 v1, v[3:4]
.LBB115_51:                             ;   in Loop: Header=BB115_29 Depth=1
	s_or_b64 exec, exec, s[6:7]
	s_waitcnt lgkmcnt(0)
	s_barrier
	s_and_saveexec_b64 s[6:7], s[2:3]
; %bb.52:                               ;   in Loop: Header=BB115_29 Depth=1
	v_mov_b32_e32 v1, s24
	ds_write_b32 v13, v1 offset:4104
; %bb.53:                               ;   in Loop: Header=BB115_29 Depth=1
	s_or_b64 exec, exec, s[6:7]
	s_mov_b64 s[6:7], -1
	s_waitcnt lgkmcnt(0)
	s_barrier
.LBB115_54:                             ;   in Loop: Header=BB115_29 Depth=1
	s_mov_b32 s13, 0
	s_and_b64 vcc, exec, s[6:7]
	s_cbranch_vccz .LBB115_56
; %bb.55:                               ;   in Loop: Header=BB115_29 Depth=1
	ds_read_b32 v1, v13 offset:4104
	s_waitcnt lgkmcnt(0)
	v_readfirstlane_b32 s13, v1
.LBB115_56:                             ;   in Loop: Header=BB115_29 Depth=1
	s_cmp_lt_i32 s13, 1
	s_mov_b64 s[6:7], -1
                                        ; implicit-def: $vgpr7
	s_cbranch_scc1 .LBB115_66
; %bb.57:                               ;   in Loop: Header=BB115_29 Depth=1
	s_and_b64 vcc, exec, s[6:7]
	s_cbranch_vccnz .LBB115_77
.LBB115_58:                             ;   in Loop: Header=BB115_29 Depth=1
	s_lshl_b32 s13, s46, 6
	s_and_saveexec_b64 s[6:7], s[4:5]
.LBB115_59:                             ;   in Loop: Header=BB115_29 Depth=1
	v_lshl_add_u32 v1, s13, 2, v33
	ds_write_b128 v1, v[7:10]
.LBB115_60:                             ;   in Loop: Header=BB115_29 Depth=1
	s_or_b64 exec, exec, s[6:7]
	s_waitcnt lgkmcnt(0)
	s_barrier
	s_and_saveexec_b64 s[6:7], s[38:39]
	s_cbranch_execz .LBB115_91
; %bb.61:                               ;   in Loop: Header=BB115_29 Depth=1
	s_andn2_b64 vcc, exec, s[42:43]
	v_mov_b32_e32 v1, 0
	s_cbranch_vccnz .LBB115_90
; %bb.62:                               ;   in Loop: Header=BB115_29 Depth=1
	v_readlane_b32 s14, v47, 10
	v_readlane_b32 s15, v47, 11
	s_andn2_b64 vcc, exec, s[14:15]
	s_cbranch_vccnz .LBB115_86
; %bb.63:                               ;   in Loop: Header=BB115_29 Depth=1
	v_lshl_add_u32 v3, s46, 8, v41
	s_mov_b32 s14, 0
	v_mov_b32_e32 v1, 0
.LBB115_64:                             ;   Parent Loop BB115_29 Depth=1
                                        ; =>  This Inner Loop Header: Depth=2
	ds_read2_b32 v[7:8], v3 offset1:4
	ds_read2_b32 v[9:10], v3 offset0:8 offset1:12
	ds_read2_b32 v[22:23], v3 offset0:16 offset1:20
	;; [unrolled: 1-line block ×3, first 2 shown]
	s_add_i32 s14, s14, 8
	s_waitcnt lgkmcnt(3)
	v_add3_u32 v1, v7, v1, v8
	s_waitcnt lgkmcnt(2)
	v_add3_u32 v1, v9, v1, v10
	;; [unrolled: 2-line block ×3, first 2 shown]
	v_add_u32_e32 v3, 0x80, v3
	s_cmp_eq_u32 s37, s14
	s_waitcnt lgkmcnt(0)
	v_add3_u32 v1, v24, v1, v25
	s_cbranch_scc0 .LBB115_64
; %bb.65:                               ;   in Loop: Header=BB115_29 Depth=1
	s_mov_b32 s14, s37
	s_branch .LBB115_87
.LBB115_66:                             ;   in Loop: Header=BB115_29 Depth=1
	v_mov_b32_e32 v7, 0
	v_mov_b32_e32 v8, 0
	;; [unrolled: 1-line block ×4, first 2 shown]
	s_and_saveexec_b64 s[22:23], s[8:9]
	s_cbranch_execz .LBB115_70
; %bb.67:                               ;   in Loop: Header=BB115_29 Depth=1
	s_mov_b32 s66, 0
	s_mov_b64 s[64:65], 0
	s_mov_b32 s67, 0
	s_mov_b32 s68, 0
	;; [unrolled: 1-line block ×4, first 2 shown]
	v_mov_b32_e32 v1, v26
.LBB115_68:                             ;   Parent Loop BB115_29 Depth=1
                                        ; =>  This Inner Loop Header: Depth=2
	v_add_u32_e32 v12, s66, v38
	v_lshlrev_b64 v[3:4], 3, v[12:13]
	v_mov_b32_e32 v24, s34
	v_add_co_u32_e32 v3, vcc, s33, v3
	v_addc_co_u32_e32 v4, vcc, v24, v4, vcc
	global_load_dwordx2 v[3:4], v[3:4], off
	v_add_u32_e32 v12, s66, v35
	v_lshlrev_b64 v[7:8], 3, v[12:13]
	v_add_u32_e32 v12, s66, v36
	v_add_co_u32_e32 v7, vcc, s33, v7
	v_addc_co_u32_e32 v8, vcc, v24, v8, vcc
	global_load_dwordx2 v[7:8], v[7:8], off
	v_lshlrev_b64 v[9:10], 3, v[12:13]
	v_add_u32_e32 v12, s66, v37
	v_add_co_u32_e32 v9, vcc, s33, v9
	v_addc_co_u32_e32 v10, vcc, v24, v10, vcc
	global_load_dwordx2 v[9:10], v[9:10], off
	;; [unrolled: 5-line block ×3, first 2 shown]
	s_add_i32 s66, s66, s49
	s_waitcnt vmcnt(3)
	v_cmp_o_f64_e32 vcc, v[3:4], v[3:4]
	v_ashrrev_i32_e32 v12, 31, v4
	v_or_b32_e32 v24, 0x80000000, v12
	v_xor_b32_e32 v4, v24, v4
	v_xor_b32_e32 v3, v12, v3
	s_waitcnt vmcnt(2)
	v_ashrrev_i32_e32 v12, 31, v8
	v_cndmask_b32_e32 v4, -1, v4, vcc
	v_cndmask_b32_e32 v3, -1, v3, vcc
	v_cmp_o_f64_e32 vcc, v[7:8], v[7:8]
	v_or_b32_e32 v24, 0x80000000, v12
	v_xor_b32_e32 v8, v24, v8
	v_xor_b32_e32 v7, v12, v7
	v_cndmask_b32_e32 v25, -1, v8, vcc
	v_cndmask_b32_e32 v24, -1, v7, vcc
	s_waitcnt vmcnt(1)
	v_cmp_o_f64_e32 vcc, v[9:10], v[9:10]
	v_ashrrev_i32_e32 v7, 31, v10
	v_or_b32_e32 v8, 0x80000000, v7
	v_xor_b32_e32 v8, v8, v10
	v_xor_b32_e32 v7, v7, v9
	v_cndmask_b32_e32 v10, -1, v8, vcc
	v_cndmask_b32_e32 v9, -1, v7, vcc
	s_waitcnt vmcnt(0)
	v_cmp_o_f64_e32 vcc, v[22:23], v[22:23]
	v_ashrrev_i32_e32 v7, 31, v23
	v_or_b32_e32 v8, 0x80000000, v7
	v_xor_b32_e32 v8, v8, v23
	v_xor_b32_e32 v7, v7, v22
	v_and_b32_e32 v23, v4, v21
	v_and_b32_e32 v22, v3, v20
	v_lshrrev_b64 v[3:4], s12, v[3:4]
	v_cndmask_b32_e32 v8, -1, v8, vcc
	v_and_b32_e32 v12, 3, v3
	v_lshrrev_b64 v[3:4], s12, v[24:25]
	v_cndmask_b32_e32 v7, -1, v7, vcc
	v_cmp_eq_u64_e32 vcc, v[22:23], v[18:19]
	v_and_b32_e32 v23, v25, v21
	v_and_b32_e32 v22, v24, v20
	v_cmp_eq_u64_e64 s[6:7], 0, v[12:13]
	v_cmp_eq_u64_e64 s[14:15], v[22:23], v[18:19]
	v_and_b32_e32 v23, v10, v21
	v_and_b32_e32 v22, v9, v20
	;; [unrolled: 1-line block ×3, first 2 shown]
	v_mov_b32_e32 v4, v13
	v_lshrrev_b64 v[9:10], s12, v[9:10]
	s_and_b64 s[40:41], vcc, s[6:7]
	v_cmp_eq_u64_e64 s[6:7], 0, v[3:4]
	v_cmp_eq_u64_e64 s[16:17], v[22:23], v[18:19]
	v_and_b32_e32 v23, v8, v21
	v_and_b32_e32 v22, v7, v20
	;; [unrolled: 1-line block ×3, first 2 shown]
	v_mov_b32_e32 v10, v13
	v_lshrrev_b64 v[7:8], s12, v[7:8]
	s_and_b64 s[72:73], s[14:15], s[6:7]
	v_cmp_eq_u64_e64 s[6:7], 0, v[9:10]
	v_and_b32_e32 v7, 3, v7
	v_mov_b32_e32 v8, v13
	v_cmp_eq_u64_e64 s[18:19], v[22:23], v[18:19]
	s_and_b64 s[74:75], s[16:17], s[6:7]
	v_cmp_eq_u64_e64 s[6:7], 0, v[7:8]
	v_cndmask_b32_e64 v22, 0, 1, s[40:41]
	s_and_b64 s[76:77], s[18:19], s[6:7]
	v_cmp_ne_u32_e64 s[6:7], 0, v22
	v_cndmask_b32_e64 v22, 0, 1, s[72:73]
	s_bcnt1_i32_b64 s40, s[6:7]
	v_cmp_ne_u32_e64 s[6:7], 0, v22
	v_cndmask_b32_e64 v22, 0, 1, s[74:75]
	s_bcnt1_i32_b64 s41, s[6:7]
	;; [unrolled: 3-line block ×3, first 2 shown]
	v_cmp_ne_u32_e64 s[6:7], 0, v22
	s_bcnt1_i32_b64 s6, s[6:7]
	s_add_i32 s7, s70, s40
	s_add_i32 s7, s7, s41
	;; [unrolled: 1-line block ×4, first 2 shown]
	v_cmp_eq_u64_e64 s[6:7], 1, v[12:13]
	s_and_b64 s[40:41], vcc, s[6:7]
	v_cmp_eq_u64_e64 s[6:7], 1, v[3:4]
	v_cndmask_b32_e64 v22, 0, 1, s[40:41]
	s_and_b64 s[72:73], s[14:15], s[6:7]
	v_cmp_eq_u64_e64 s[6:7], 1, v[9:10]
	s_and_b64 s[74:75], s[16:17], s[6:7]
	v_cmp_eq_u64_e64 s[6:7], 1, v[7:8]
	s_and_b64 s[76:77], s[18:19], s[6:7]
	v_cmp_ne_u32_e64 s[6:7], 0, v22
	v_cndmask_b32_e64 v22, 0, 1, s[72:73]
	s_bcnt1_i32_b64 s40, s[6:7]
	v_cmp_ne_u32_e64 s[6:7], 0, v22
	v_cndmask_b32_e64 v22, 0, 1, s[74:75]
	s_bcnt1_i32_b64 s41, s[6:7]
	;; [unrolled: 3-line block ×3, first 2 shown]
	v_cmp_ne_u32_e64 s[6:7], 0, v22
	s_bcnt1_i32_b64 s6, s[6:7]
	s_add_i32 s7, s69, s40
	s_add_i32 s7, s7, s41
	;; [unrolled: 1-line block ×4, first 2 shown]
	v_cmp_eq_u64_e64 s[6:7], 2, v[12:13]
	s_and_b64 s[40:41], vcc, s[6:7]
	v_cmp_eq_u64_e64 s[6:7], 2, v[3:4]
	v_cndmask_b32_e64 v22, 0, 1, s[40:41]
	s_and_b64 s[72:73], s[14:15], s[6:7]
	v_cmp_eq_u64_e64 s[6:7], 2, v[9:10]
	s_and_b64 s[74:75], s[16:17], s[6:7]
	v_cmp_eq_u64_e64 s[6:7], 2, v[7:8]
	s_and_b64 s[76:77], s[18:19], s[6:7]
	v_cmp_ne_u32_e64 s[6:7], 0, v22
	v_cndmask_b32_e64 v22, 0, 1, s[72:73]
	s_bcnt1_i32_b64 s40, s[6:7]
	v_cmp_ne_u32_e64 s[6:7], 0, v22
	v_cndmask_b32_e64 v22, 0, 1, s[74:75]
	s_bcnt1_i32_b64 s41, s[6:7]
	;; [unrolled: 3-line block ×3, first 2 shown]
	v_cmp_ne_u32_e64 s[6:7], 0, v22
	s_bcnt1_i32_b64 s6, s[6:7]
	s_add_i32 s7, s68, s40
	s_add_i32 s7, s7, s41
	;; [unrolled: 1-line block ×4, first 2 shown]
	v_cmp_eq_u64_e64 s[6:7], 3, v[12:13]
	s_and_b64 s[6:7], vcc, s[6:7]
	v_cmp_eq_u64_e32 vcc, 3, v[3:4]
	v_cndmask_b32_e64 v3, 0, 1, s[6:7]
	s_and_b64 s[14:15], s[14:15], vcc
	v_cmp_eq_u64_e32 vcc, 3, v[9:10]
	v_mov_b32_e32 v9, s68
	s_and_b64 s[16:17], s[16:17], vcc
	v_cmp_eq_u64_e32 vcc, 3, v[7:8]
	v_mov_b32_e32 v7, s70
	s_and_b64 s[18:19], s[18:19], vcc
	v_cmp_ne_u32_e32 vcc, 0, v3
	v_cndmask_b32_e64 v3, 0, 1, s[14:15]
	s_bcnt1_i32_b64 s6, vcc
	v_cmp_ne_u32_e32 vcc, 0, v3
	v_cndmask_b32_e64 v3, 0, 1, s[16:17]
	s_bcnt1_i32_b64 s7, vcc
	v_cmp_ne_u32_e32 vcc, 0, v3
	v_cndmask_b32_e64 v3, 0, 1, s[18:19]
	s_add_i32 s6, s67, s6
	s_bcnt1_i32_b64 s14, vcc
	v_cmp_ne_u32_e32 vcc, 0, v3
	s_add_i32 s6, s6, s7
	s_bcnt1_i32_b64 s15, vcc
	s_add_i32 s6, s6, s14
	s_add_i32 s67, s6, s15
	v_cmp_le_u32_e32 vcc, s45, v1
	s_or_b64 s[64:65], vcc, s[64:65]
	v_mov_b32_e32 v8, s69
	v_mov_b32_e32 v10, s67
	s_andn2_b64 exec, exec, s[64:65]
	s_cbranch_execnz .LBB115_68
; %bb.69:                               ;   in Loop: Header=BB115_29 Depth=1
	s_or_b64 exec, exec, s[64:65]
.LBB115_70:                             ;   in Loop: Header=BB115_29 Depth=1
	s_or_b64 exec, exec, s[22:23]
	s_and_saveexec_b64 s[14:15], s[10:11]
	s_cbranch_execz .LBB115_76
; %bb.71:                               ;   in Loop: Header=BB115_29 Depth=1
	global_load_dwordx2 v[24:25], v[16:17], off
	s_mov_b64 s[16:17], 0
	v_mov_b32_e32 v3, v39
	v_mov_b32_e32 v1, v34
	s_branch .LBB115_73
.LBB115_72:                             ;   in Loop: Header=BB115_73 Depth=2
	s_or_b64 exec, exec, s[18:19]
	s_waitcnt vmcnt(0)
	v_cmp_o_f64_e64 s[6:7], v[24:25], v[24:25]
	v_ashrrev_i32_e32 v4, 31, v25
	v_or_b32_e32 v12, 0x80000000, v4
	v_xor_b32_e32 v12, v12, v25
	v_xor_b32_e32 v4, v4, v24
	s_and_b64 s[18:19], exec, vcc
	s_or_b64 s[16:17], s[18:19], s[16:17]
	v_add_u32_e32 v3, s35, v3
	v_cndmask_b32_e64 v25, -1, v12, s[6:7]
	v_cndmask_b32_e64 v24, -1, v4, s[6:7]
	v_and_b32_e32 v44, v25, v21
	v_and_b32_e32 v43, v24, v20
	v_lshrrev_b64 v[24:25], s12, v[24:25]
	v_cmp_eq_u64_e32 vcc, v[43:44], v[18:19]
	v_and_b32_e32 v12, 3, v24
	v_cmp_eq_u64_e64 s[6:7], 0, v[12:13]
	v_mov_b32_e32 v25, v23
	s_and_b64 s[6:7], vcc, s[6:7]
	v_cndmask_b32_e64 v4, 0, 1, s[6:7]
	v_cmp_ne_u32_e64 s[6:7], 0, v4
	s_bcnt1_i32_b64 s18, s[6:7]
	v_cmp_eq_u64_e64 s[6:7], 1, v[12:13]
	v_add_u32_e32 v7, s18, v7
	s_and_b64 s[6:7], vcc, s[6:7]
	v_cndmask_b32_e64 v4, 0, 1, s[6:7]
	v_cmp_ne_u32_e64 s[6:7], 0, v4
	s_bcnt1_i32_b64 s18, s[6:7]
	v_cmp_eq_u64_e64 s[6:7], 2, v[12:13]
	v_add_u32_e32 v8, s18, v8
	;; [unrolled: 6-line block ×3, first 2 shown]
	s_and_b64 s[6:7], vcc, s[6:7]
	v_cndmask_b32_e64 v4, 0, 1, s[6:7]
	v_cmp_ne_u32_e32 vcc, 0, v4
	s_bcnt1_i32_b64 s6, vcc
	v_add_u32_e32 v10, s6, v10
	v_mov_b32_e32 v24, v22
	s_andn2_b64 exec, exec, s[16:17]
	s_cbranch_execz .LBB115_75
.LBB115_73:                             ;   Parent Loop BB115_29 Depth=1
                                        ; =>  This Inner Loop Header: Depth=2
	v_add_u32_e32 v1, s27, v1
	v_mov_b32_e32 v22, 0
	v_cmp_gt_u32_e64 s[6:7], s24, v1
	v_mov_b32_e32 v23, 0
	v_cmp_le_u32_e32 vcc, s24, v1
	s_and_saveexec_b64 s[18:19], s[6:7]
	s_cbranch_execz .LBB115_72
; %bb.74:                               ;   in Loop: Header=BB115_73 Depth=2
	v_mov_b32_e32 v4, v13
	v_lshlrev_b64 v[22:23], 3, v[3:4]
	v_mov_b32_e32 v4, s34
	v_add_co_u32_e64 v22, s[6:7], s33, v22
	v_addc_co_u32_e64 v23, s[6:7], v4, v23, s[6:7]
	global_load_dwordx2 v[22:23], v[22:23], off
	s_branch .LBB115_72
.LBB115_75:                             ;   in Loop: Header=BB115_29 Depth=1
	s_or_b64 exec, exec, s[16:17]
.LBB115_76:                             ;   in Loop: Header=BB115_29 Depth=1
	s_or_b64 exec, exec, s[14:15]
	s_branch .LBB115_58
.LBB115_77:                             ;   in Loop: Header=BB115_29 Depth=1
	s_mul_hi_u32 s6, s13, s44
	s_mul_i32 s6, s6, s30
	s_sub_i32 s6, s13, s6
	s_sub_i32 s7, s6, s30
	s_cmp_ge_u32 s6, s30
	s_cselect_b32 s6, s7, s6
	s_sub_i32 s7, s6, s30
	s_cmp_ge_u32 s6, s30
	s_cselect_b32 s6, s7, s6
	s_sub_i32 s66, s13, s6
	v_cmp_gt_u32_e32 vcc, s66, v26
	v_mov_b32_e32 v7, 0
	v_mov_b32_e32 v8, 0
	;; [unrolled: 1-line block ×4, first 2 shown]
	s_and_saveexec_b64 s[22:23], vcc
	s_cbranch_execz .LBB115_81
; %bb.78:                               ;   in Loop: Header=BB115_29 Depth=1
	s_mov_b32 s67, 0
	s_mov_b64 s[64:65], 0
	v_mov_b32_e32 v1, v40
	s_mov_b32 s68, 0
	s_mov_b32 s69, 0
	;; [unrolled: 1-line block ×3, first 2 shown]
	v_mov_b32_e32 v22, v26
.LBB115_79:                             ;   Parent Loop BB115_29 Depth=1
                                        ; =>  This Inner Loop Header: Depth=2
	ds_read_b128 v[7:10], v1
	ds_read_b128 v[43:46], v1 offset:16
	v_add_u32_e32 v22, s30, v22
	v_add_u32_e32 v1, s0, v1
	s_waitcnt lgkmcnt(1)
	v_cmp_o_f64_e32 vcc, v[7:8], v[7:8]
	v_ashrrev_i32_e32 v3, 31, v8
	v_or_b32_e32 v4, 0x80000000, v3
	v_xor_b32_e32 v4, v4, v8
	v_xor_b32_e32 v3, v3, v7
	v_ashrrev_i32_e32 v7, 31, v10
	v_or_b32_e32 v8, 0x80000000, v7
	v_xor_b32_e32 v8, v8, v10
	v_cndmask_b32_e32 v4, -1, v4, vcc
	v_cndmask_b32_e32 v3, -1, v3, vcc
	v_cmp_o_f64_e32 vcc, v[9:10], v[9:10]
	v_xor_b32_e32 v7, v7, v9
	v_cndmask_b32_e32 v24, -1, v8, vcc
	v_cndmask_b32_e32 v23, -1, v7, vcc
	s_waitcnt lgkmcnt(0)
	v_cmp_o_f64_e32 vcc, v[43:44], v[43:44]
	v_ashrrev_i32_e32 v7, 31, v44
	v_or_b32_e32 v8, 0x80000000, v7
	v_xor_b32_e32 v8, v8, v44
	v_xor_b32_e32 v7, v7, v43
	v_and_b32_e32 v44, v4, v21
	v_and_b32_e32 v43, v3, v20
	v_lshrrev_b64 v[3:4], s12, v[3:4]
	v_cndmask_b32_e32 v10, -1, v8, vcc
	v_cndmask_b32_e32 v9, -1, v7, vcc
	v_cmp_o_f64_e32 vcc, v[45:46], v[45:46]
	v_ashrrev_i32_e32 v7, 31, v46
	v_or_b32_e32 v8, 0x80000000, v7
	v_xor_b32_e32 v8, v8, v46
	v_xor_b32_e32 v7, v7, v45
	v_and_b32_e32 v12, 3, v3
	v_lshrrev_b64 v[3:4], s12, v[23:24]
	v_cmp_eq_u64_e64 s[6:7], 0, v[12:13]
	v_cndmask_b32_e32 v8, -1, v8, vcc
	v_cndmask_b32_e32 v7, -1, v7, vcc
	v_cmp_eq_u64_e32 vcc, v[43:44], v[18:19]
	v_and_b32_e32 v44, v24, v21
	v_and_b32_e32 v43, v23, v20
	v_cmp_eq_u64_e64 s[14:15], v[43:44], v[18:19]
	v_and_b32_e32 v44, v10, v21
	v_and_b32_e32 v43, v9, v20
	v_and_b32_e32 v3, 3, v3
	v_mov_b32_e32 v4, v13
	v_lshrrev_b64 v[9:10], s12, v[9:10]
	s_and_b64 s[40:41], vcc, s[6:7]
	v_cmp_eq_u64_e64 s[6:7], 0, v[3:4]
	v_cmp_eq_u64_e64 s[16:17], v[43:44], v[18:19]
	v_and_b32_e32 v44, v8, v21
	v_and_b32_e32 v43, v7, v20
	v_and_b32_e32 v9, 3, v9
	v_mov_b32_e32 v10, v13
	v_lshrrev_b64 v[7:8], s12, v[7:8]
	s_and_b64 s[72:73], s[14:15], s[6:7]
	v_cmp_eq_u64_e64 s[6:7], 0, v[9:10]
	v_and_b32_e32 v7, 3, v7
	v_mov_b32_e32 v8, v13
	v_cmp_eq_u64_e64 s[18:19], v[43:44], v[18:19]
	s_and_b64 s[74:75], s[16:17], s[6:7]
	v_cmp_eq_u64_e64 s[6:7], 0, v[7:8]
	v_cndmask_b32_e64 v23, 0, 1, s[40:41]
	s_and_b64 s[76:77], s[18:19], s[6:7]
	v_cmp_ne_u32_e64 s[6:7], 0, v23
	v_cndmask_b32_e64 v23, 0, 1, s[72:73]
	s_bcnt1_i32_b64 s40, s[6:7]
	v_cmp_ne_u32_e64 s[6:7], 0, v23
	v_cndmask_b32_e64 v23, 0, 1, s[74:75]
	s_bcnt1_i32_b64 s41, s[6:7]
	;; [unrolled: 3-line block ×3, first 2 shown]
	v_cmp_ne_u32_e64 s[6:7], 0, v23
	s_bcnt1_i32_b64 s6, s[6:7]
	s_add_i32 s7, s70, s40
	s_add_i32 s7, s7, s41
	;; [unrolled: 1-line block ×4, first 2 shown]
	v_cmp_eq_u64_e64 s[6:7], 1, v[12:13]
	s_and_b64 s[40:41], vcc, s[6:7]
	v_cmp_eq_u64_e64 s[6:7], 1, v[3:4]
	v_cndmask_b32_e64 v23, 0, 1, s[40:41]
	s_and_b64 s[72:73], s[14:15], s[6:7]
	v_cmp_eq_u64_e64 s[6:7], 1, v[9:10]
	s_and_b64 s[74:75], s[16:17], s[6:7]
	v_cmp_eq_u64_e64 s[6:7], 1, v[7:8]
	s_and_b64 s[76:77], s[18:19], s[6:7]
	v_cmp_ne_u32_e64 s[6:7], 0, v23
	v_cndmask_b32_e64 v23, 0, 1, s[72:73]
	s_bcnt1_i32_b64 s40, s[6:7]
	v_cmp_ne_u32_e64 s[6:7], 0, v23
	v_cndmask_b32_e64 v23, 0, 1, s[74:75]
	s_bcnt1_i32_b64 s41, s[6:7]
	;; [unrolled: 3-line block ×3, first 2 shown]
	v_cmp_ne_u32_e64 s[6:7], 0, v23
	s_bcnt1_i32_b64 s6, s[6:7]
	s_add_i32 s7, s69, s40
	s_add_i32 s7, s7, s41
	s_add_i32 s7, s7, s71
	s_add_i32 s69, s7, s6
	v_cmp_eq_u64_e64 s[6:7], 2, v[12:13]
	s_and_b64 s[40:41], vcc, s[6:7]
	v_cmp_eq_u64_e64 s[6:7], 2, v[3:4]
	v_cndmask_b32_e64 v23, 0, 1, s[40:41]
	s_and_b64 s[72:73], s[14:15], s[6:7]
	v_cmp_eq_u64_e64 s[6:7], 2, v[9:10]
	s_and_b64 s[74:75], s[16:17], s[6:7]
	v_cmp_eq_u64_e64 s[6:7], 2, v[7:8]
	s_and_b64 s[76:77], s[18:19], s[6:7]
	v_cmp_ne_u32_e64 s[6:7], 0, v23
	v_cndmask_b32_e64 v23, 0, 1, s[72:73]
	s_bcnt1_i32_b64 s40, s[6:7]
	v_cmp_ne_u32_e64 s[6:7], 0, v23
	v_cndmask_b32_e64 v23, 0, 1, s[74:75]
	s_bcnt1_i32_b64 s41, s[6:7]
	v_cmp_ne_u32_e64 s[6:7], 0, v23
	v_cndmask_b32_e64 v23, 0, 1, s[76:77]
	s_bcnt1_i32_b64 s71, s[6:7]
	v_cmp_ne_u32_e64 s[6:7], 0, v23
	s_bcnt1_i32_b64 s6, s[6:7]
	s_add_i32 s7, s68, s40
	s_add_i32 s7, s7, s41
	;; [unrolled: 1-line block ×4, first 2 shown]
	v_cmp_eq_u64_e64 s[6:7], 3, v[12:13]
	s_and_b64 s[6:7], vcc, s[6:7]
	v_cmp_eq_u64_e32 vcc, 3, v[3:4]
	v_cndmask_b32_e64 v3, 0, 1, s[6:7]
	s_and_b64 s[14:15], s[14:15], vcc
	v_cmp_eq_u64_e32 vcc, 3, v[9:10]
	v_mov_b32_e32 v9, s68
	s_and_b64 s[16:17], s[16:17], vcc
	v_cmp_eq_u64_e32 vcc, 3, v[7:8]
	v_mov_b32_e32 v7, s70
	s_and_b64 s[18:19], s[18:19], vcc
	v_cmp_ne_u32_e32 vcc, 0, v3
	v_cndmask_b32_e64 v3, 0, 1, s[14:15]
	s_bcnt1_i32_b64 s6, vcc
	v_cmp_ne_u32_e32 vcc, 0, v3
	v_cndmask_b32_e64 v3, 0, 1, s[16:17]
	s_bcnt1_i32_b64 s7, vcc
	v_cmp_ne_u32_e32 vcc, 0, v3
	v_cndmask_b32_e64 v3, 0, 1, s[18:19]
	s_add_i32 s6, s67, s6
	s_bcnt1_i32_b64 s14, vcc
	v_cmp_ne_u32_e32 vcc, 0, v3
	s_add_i32 s6, s6, s7
	s_bcnt1_i32_b64 s15, vcc
	s_add_i32 s6, s6, s14
	s_add_i32 s67, s6, s15
	v_cmp_le_u32_e32 vcc, s66, v22
	s_or_b64 s[64:65], vcc, s[64:65]
	v_mov_b32_e32 v8, s69
	v_mov_b32_e32 v10, s67
	s_andn2_b64 exec, exec, s[64:65]
	s_cbranch_execnz .LBB115_79
; %bb.80:                               ;   in Loop: Header=BB115_29 Depth=1
	s_or_b64 exec, exec, s[64:65]
.LBB115_81:                             ;   in Loop: Header=BB115_29 Depth=1
	s_or_b64 exec, exec, s[22:23]
	v_add_u32_e32 v1, s66, v0
	v_cmp_gt_u32_e32 vcc, s13, v1
	s_and_saveexec_b64 s[64:65], vcc
	s_cbranch_execz .LBB115_85
; %bb.82:                               ;   in Loop: Header=BB115_29 Depth=1
	v_lshlrev_b32_e32 v3, 3, v1
	s_mov_b64 s[66:67], 0
.LBB115_83:                             ;   Parent Loop BB115_29 Depth=1
                                        ; =>  This Inner Loop Header: Depth=2
	ds_read_b64 v[22:23], v3
	v_add_u32_e32 v1, s27, v1
	v_cmp_le_u32_e32 vcc, s13, v1
	v_add_u32_e32 v3, s1, v3
	s_waitcnt lgkmcnt(0)
	v_cmp_o_f64_e64 s[6:7], v[22:23], v[22:23]
	v_ashrrev_i32_e32 v4, 31, v23
	v_or_b32_e32 v12, 0x80000000, v4
	v_xor_b32_e32 v4, v4, v22
	v_xor_b32_e32 v12, v12, v23
	v_cndmask_b32_e64 v23, -1, v12, s[6:7]
	v_cndmask_b32_e64 v22, -1, v4, s[6:7]
	v_and_b32_e32 v25, v23, v21
	v_and_b32_e32 v24, v22, v20
	v_lshrrev_b64 v[22:23], s12, v[22:23]
	v_cmp_eq_u64_e64 s[6:7], v[24:25], v[18:19]
	v_and_b32_e32 v12, 3, v22
	v_cmp_eq_u64_e64 s[14:15], 0, v[12:13]
	v_cmp_eq_u64_e64 s[16:17], 1, v[12:13]
	;; [unrolled: 1-line block ×4, first 2 shown]
	s_and_b64 s[14:15], s[6:7], s[14:15]
	v_cndmask_b32_e64 v4, 0, 1, s[14:15]
	s_and_b64 s[14:15], s[6:7], s[16:17]
	v_cndmask_b32_e64 v12, 0, 1, s[14:15]
	s_and_b64 s[14:15], s[6:7], s[18:19]
	s_and_b64 s[6:7], s[6:7], s[22:23]
	v_cndmask_b32_e64 v22, 0, 1, s[14:15]
	v_cndmask_b32_e64 v23, 0, 1, s[6:7]
	v_cmp_ne_u32_e64 s[6:7], 0, v4
	v_cmp_ne_u32_e64 s[14:15], 0, v12
	;; [unrolled: 1-line block ×4, first 2 shown]
	s_bcnt1_i32_b64 s6, s[6:7]
	s_bcnt1_i32_b64 s7, s[14:15]
	;; [unrolled: 1-line block ×4, first 2 shown]
	v_add_u32_e32 v7, s6, v7
	v_add_u32_e32 v8, s7, v8
	;; [unrolled: 1-line block ×3, first 2 shown]
	s_or_b64 s[66:67], vcc, s[66:67]
	v_add_u32_e32 v10, s15, v10
	s_andn2_b64 exec, exec, s[66:67]
	s_cbranch_execnz .LBB115_83
; %bb.84:                               ;   in Loop: Header=BB115_29 Depth=1
	s_or_b64 exec, exec, s[66:67]
.LBB115_85:                             ;   in Loop: Header=BB115_29 Depth=1
	s_or_b64 exec, exec, s[64:65]
	s_lshl_b32 s13, s46, 6
	s_and_saveexec_b64 s[6:7], s[4:5]
	s_cbranch_execnz .LBB115_59
	s_branch .LBB115_60
.LBB115_86:                             ;   in Loop: Header=BB115_29 Depth=1
	v_mov_b32_e32 v1, 0
	s_mov_b32 s14, 0
.LBB115_87:                             ;   in Loop: Header=BB115_29 Depth=1
	v_readlane_b32 s16, v47, 13
	v_readlane_b32 s17, v47, 14
	s_andn2_b64 vcc, exec, s[16:17]
	s_cbranch_vccnz .LBB115_90
; %bb.88:                               ;   in Loop: Header=BB115_29 Depth=1
	s_lshl_b32 s15, s46, 8
	s_lshl_b32 s14, s14, 4
	s_add_i32 s15, s15, s14
	v_add_u32_e32 v3, s15, v41
	v_readlane_b32 s14, v47, 12
.LBB115_89:                             ;   Parent Loop BB115_29 Depth=1
                                        ; =>  This Inner Loop Header: Depth=2
	ds_read_b32 v4, v3
	s_add_i32 s14, s14, -1
	v_add_u32_e32 v3, 16, v3
	s_cmp_lg_u32 s14, 0
	s_waitcnt lgkmcnt(0)
	v_add_u32_e32 v1, v4, v1
	s_cbranch_scc1 .LBB115_89
.LBB115_90:                             ;   in Loop: Header=BB115_29 Depth=1
	v_add_lshl_u32 v3, s13, v27, 2
	ds_write_b32 v3, v1 offset:3072
.LBB115_91:                             ;   in Loop: Header=BB115_29 Depth=1
	s_or_b64 exec, exec, s[6:7]
	s_lshl_b32 s6, s13, 2
	v_mov_b32_e32 v1, s6
	s_waitcnt lgkmcnt(0)
	s_barrier
	ds_read_b128 v[7:10], v1 offset:3072
	s_lshl_b64 s[6:7], 3, s12
	s_not_b64 s[66:67], s[6:7]
	v_cmp_eq_u32_e32 vcc, 1, v42
	s_mov_b64 s[16:17], -1
	s_waitcnt lgkmcnt(0)
	v_readfirstlane_b32 s80, v7
	s_cmp_eq_u32 s80, 1
	s_cselect_b64 s[14:15], -1, 0
	v_readfirstlane_b32 s84, v8
	v_readfirstlane_b32 s92, v9
	;; [unrolled: 1-line block ×3, first 2 shown]
	s_and_b64 s[18:19], s[14:15], vcc
	s_mov_b64 s[68:69], -1
                                        ; implicit-def: $sgpr64_sgpr65
                                        ; implicit-def: $sgpr22_sgpr23
	s_and_saveexec_b64 s[14:15], s[18:19]
	s_cbranch_execz .LBB115_119
; %bb.92:                               ;   in Loop: Header=BB115_29 Depth=1
	ds_read_b32 v1, v13 offset:4104
	s_waitcnt lgkmcnt(0)
	s_barrier
	v_readfirstlane_b32 s40, v1
	s_and_saveexec_b64 s[22:23], s[20:21]
; %bb.93:                               ;   in Loop: Header=BB115_29 Depth=1
	v_mov_b32_e32 v12, v13
	ds_write_b64 v29, v[12:13]
; %bb.94:                               ;   in Loop: Header=BB115_29 Depth=1
	s_or_b64 exec, exec, s[22:23]
	v_and_b32_e32 v19, s67, v19
	v_and_b32_e32 v18, s66, v18
	v_or_b32_e32 v21, s7, v21
	v_or_b32_e32 v20, s6, v20
	s_mov_b64 s[22:23], -1
	s_mov_b64 s[64:65], 0
	s_cmp_eq_u32 s40, 0
	s_mov_b64 s[68:69], 0
	s_mov_b64 s[70:71], -1
	s_waitcnt lgkmcnt(0)
	s_barrier
                                        ; implicit-def: $vgpr5_vgpr6
	s_cbranch_scc1 .LBB115_106
; %bb.95:                               ;   in Loop: Header=BB115_29 Depth=1
	s_add_i32 s41, s40, s36
	s_mul_hi_u32 s68, s41, s47
	s_mul_i32 s68, s68, s27
	s_sub_i32 s68, s41, s68
	s_sub_i32 s69, s68, s27
	s_cmp_ge_u32 s68, s27
	s_cselect_b32 s68, s69, s68
	s_sub_i32 s69, s68, s27
	s_cmp_ge_u32 s68, s27
	s_cselect_b32 s68, s69, s68
	s_sub_i32 s41, s41, s68
	v_cmp_gt_u32_e32 vcc, s41, v0
	s_mov_b64 s[70:71], 0
	s_mov_b64 s[68:69], 0
                                        ; implicit-def: $vgpr5_vgpr6
	s_and_saveexec_b64 s[72:73], vcc
	s_cbranch_execz .LBB115_105
; %bb.96:                               ;   in Loop: Header=BB115_29 Depth=1
	v_mov_b32_e32 v7, v28
	v_mov_b32_e32 v8, v0
                                        ; implicit-def: $sgpr74_sgpr75
	s_branch .LBB115_100
.LBB115_97:                             ;   in Loop: Header=BB115_100 Depth=2
	s_or_b64 exec, exec, s[76:77]
	s_waitcnt lgkmcnt(0)
	s_barrier
	ds_read_b128 v[3:6], v13 offset:3072
	s_waitcnt lgkmcnt(0)
	s_barrier
	v_cmp_neq_f64_e32 vcc, 0, v[3:4]
	s_cbranch_vccnz .LBB115_103
; %bb.98:                               ;   in Loop: Header=BB115_100 Depth=2
	v_add_u32_e32 v8, s27, v8
	v_cmp_le_u32_e32 vcc, s41, v8
	v_add_u32_e32 v7, s1, v7
	s_mov_b64 s[76:77], 0
	s_orn2_b64 s[78:79], vcc, exec
.LBB115_99:                             ;   in Loop: Header=BB115_100 Depth=2
	s_and_b64 s[78:79], exec, s[78:79]
	s_or_b64 s[68:69], s[78:79], s[68:69]
	s_andn2_b64 s[74:75], s[74:75], exec
	s_and_b64 s[76:77], s[76:77], exec
	s_or_b64 s[74:75], s[74:75], s[76:77]
	s_andn2_b64 exec, exec, s[68:69]
	s_cbranch_execz .LBB115_104
.LBB115_100:                            ;   Parent Loop BB115_29 Depth=1
                                        ; =>  This Inner Loop Header: Depth=2
	v_cmp_gt_u32_e32 vcc, s40, v8
	s_and_saveexec_b64 s[76:77], vcc
	s_cbranch_execz .LBB115_97
; %bb.101:                              ;   in Loop: Header=BB115_100 Depth=2
	ds_read_b64 v[3:4], v7
	s_waitcnt lgkmcnt(0)
	v_cmp_o_f64_e32 vcc, v[3:4], v[3:4]
	v_ashrrev_i32_e32 v1, 31, v4
	v_or_b32_e32 v5, 0x80000000, v1
	v_xor_b32_e32 v5, v5, v4
	v_xor_b32_e32 v1, v1, v3
	v_cndmask_b32_e32 v5, -1, v5, vcc
	v_cndmask_b32_e32 v1, -1, v1, vcc
	v_and_b32_e32 v6, v5, v21
	v_and_b32_e32 v5, v1, v20
	v_cmp_eq_u64_e32 vcc, v[5:6], v[18:19]
	s_and_b64 exec, exec, vcc
	s_cbranch_execz .LBB115_97
; %bb.102:                              ;   in Loop: Header=BB115_100 Depth=2
	v_mov_b32_e32 v1, v13
	ds_write_b128 v13, v[1:4] offset:3072
	s_branch .LBB115_97
.LBB115_103:                            ;   in Loop: Header=BB115_100 Depth=2
	s_mov_b64 s[78:79], -1
                                        ; implicit-def: $vgpr8
                                        ; implicit-def: $vgpr7
	s_mov_b64 s[76:77], -1
	s_branch .LBB115_99
.LBB115_104:                            ;   in Loop: Header=BB115_29 Depth=1
	s_or_b64 exec, exec, s[68:69]
	s_and_b64 s[68:69], s[74:75], exec
.LBB115_105:                            ;   in Loop: Header=BB115_29 Depth=1
	s_or_b64 exec, exec, s[72:73]
.LBB115_106:                            ;   in Loop: Header=BB115_29 Depth=1
	s_and_b64 vcc, exec, s[70:71]
	s_cbranch_vccz .LBB115_118
; %bb.107:                              ;   in Loop: Header=BB115_29 Depth=1
                                        ; implicit-def: $vgpr5_vgpr6
	s_mov_b64 s[22:23], exec
	v_readlane_b32 s40, v47, 15
	v_readlane_b32 s41, v47, 16
	s_and_b64 s[40:41], s[22:23], s[40:41]
	s_mov_b64 exec, s[40:41]
	s_cbranch_execz .LBB115_117
; %bb.108:                              ;   in Loop: Header=BB115_29 Depth=1
	s_mov_b64 s[70:71], 0
	v_mov_b32_e32 v12, v11
	v_mov_b32_e32 v7, v0
                                        ; implicit-def: $sgpr64_sgpr65
	s_branch .LBB115_112
.LBB115_109:                            ;   in Loop: Header=BB115_112 Depth=2
	s_or_b64 exec, exec, s[72:73]
	s_waitcnt lgkmcnt(0)
	s_barrier
	ds_read_b128 v[3:6], v13 offset:3072
	s_waitcnt lgkmcnt(0)
	s_barrier
	v_cmp_neq_f64_e32 vcc, 0, v[3:4]
	s_cbranch_vccnz .LBB115_115
; %bb.110:                              ;   in Loop: Header=BB115_112 Depth=2
	v_add_u32_e32 v7, s27, v7
	v_cmp_le_u32_e32 vcc, s48, v7
	v_add_u32_e32 v12, s35, v12
	s_mov_b64 s[72:73], 0
	s_orn2_b64 s[74:75], vcc, exec
.LBB115_111:                            ;   in Loop: Header=BB115_112 Depth=2
	s_and_b64 s[40:41], exec, s[74:75]
	s_or_b64 s[70:71], s[40:41], s[70:71]
	s_andn2_b64 s[40:41], s[64:65], exec
	s_and_b64 s[64:65], s[72:73], exec
	s_or_b64 s[64:65], s[40:41], s[64:65]
	s_andn2_b64 exec, exec, s[70:71]
	s_cbranch_execz .LBB115_116
.LBB115_112:                            ;   Parent Loop BB115_29 Depth=1
                                        ; =>  This Inner Loop Header: Depth=2
	v_cmp_gt_u32_e32 vcc, s24, v7
	s_and_saveexec_b64 s[72:73], vcc
	s_cbranch_execz .LBB115_109
; %bb.113:                              ;   in Loop: Header=BB115_112 Depth=2
	v_lshlrev_b64 v[3:4], 3, v[12:13]
	v_mov_b32_e32 v1, s34
	v_add_co_u32_e32 v3, vcc, s33, v3
	v_addc_co_u32_e32 v4, vcc, v1, v4, vcc
	global_load_dwordx2 v[3:4], v[3:4], off
	s_waitcnt vmcnt(0)
	v_cmp_o_f64_e32 vcc, v[3:4], v[3:4]
	v_ashrrev_i32_e32 v1, 31, v4
	v_or_b32_e32 v5, 0x80000000, v1
	v_xor_b32_e32 v5, v5, v4
	v_xor_b32_e32 v1, v1, v3
	v_cndmask_b32_e32 v5, -1, v5, vcc
	v_cndmask_b32_e32 v1, -1, v1, vcc
	v_and_b32_e32 v6, v5, v21
	v_and_b32_e32 v5, v1, v20
	v_cmp_eq_u64_e32 vcc, v[5:6], v[18:19]
	s_and_b64 exec, exec, vcc
	s_cbranch_execz .LBB115_109
; %bb.114:                              ;   in Loop: Header=BB115_112 Depth=2
	v_mov_b32_e32 v1, v13
	ds_write_b128 v13, v[1:4] offset:3072
	s_branch .LBB115_109
.LBB115_115:                            ;   in Loop: Header=BB115_112 Depth=2
	s_mov_b64 s[74:75], -1
                                        ; implicit-def: $vgpr7
	s_mov_b64 s[72:73], -1
	s_branch .LBB115_111
.LBB115_116:                            ;   in Loop: Header=BB115_29 Depth=1
	s_or_b64 exec, exec, s[70:71]
	s_andn2_b64 s[40:41], s[68:69], exec
	s_and_b64 s[64:65], s[64:65], exec
	s_or_b64 s[68:69], s[40:41], s[64:65]
.LBB115_117:                            ;   in Loop: Header=BB115_29 Depth=1
	s_or_b64 exec, exec, s[22:23]
	s_mov_b64 s[22:23], 0
	s_mov_b64 s[64:65], -1
.LBB115_118:                            ;   in Loop: Header=BB115_29 Depth=1
	s_orn2_b64 s[68:69], s[68:69], exec
.LBB115_119:                            ;   in Loop: Header=BB115_29 Depth=1
	s_or_b64 exec, exec, s[14:15]
	s_andn2_b64 s[14:15], s[62:63], exec
	s_and_b64 s[62:63], s[64:65], exec
	s_or_b64 s[62:63], s[14:15], s[62:63]
	s_andn2_b64 s[14:15], s[60:61], exec
	s_and_b64 s[22:23], s[22:23], exec
	v_readfirstlane_b32 s40, v0
	v_readfirstlane_b32 s41, v0
	s_andn2_b64 s[58:59], s[58:59], exec
	s_or_b64 s[60:61], s[14:15], s[22:23]
                                        ; implicit-def: $vgpr8
	s_and_saveexec_b64 s[14:15], s[68:69]
	s_cbranch_execz .LBB115_28
; %bb.120:                              ;   in Loop: Header=BB115_29 Depth=1
	s_xor_b64 s[22:23], s[18:19], -1
	s_mov_b64 s[18:19], 0
	v_mov_b32_e32 v8, 1
	v_mov_b32_e32 v7, 1
	s_and_saveexec_b64 s[16:17], s[22:23]
	s_cbranch_execz .LBB115_129
; %bb.121:                              ;   in Loop: Header=BB115_29 Depth=1
	v_cmp_ge_u32_e32 vcc, s80, v42
	s_and_saveexec_b64 s[18:19], vcc
	s_xor_b64 s[18:19], exec, s[18:19]
	s_cbranch_execz .LBB115_126
; %bb.122:                              ;   in Loop: Header=BB115_29 Depth=1
	ds_read_b32 v1, v13 offset:4104
	v_and_b32_e32 v19, s67, v19
	v_and_b32_e32 v18, s66, v18
	v_or_b32_e32 v21, s7, v21
	v_or_b32_e32 v20, s6, v20
	s_waitcnt lgkmcnt(0)
	v_cmp_ne_u32_e32 vcc, 0, v1
	s_cbranch_vccnz .LBB115_126
; %bb.123:                              ;   in Loop: Header=BB115_29 Depth=1
	s_and_saveexec_b64 s[22:23], s[2:3]
; %bb.124:                              ;   in Loop: Header=BB115_29 Depth=1
	v_mov_b32_e32 v1, s80
	ds_write_b32 v13, v1 offset:4108
; %bb.125:                              ;   in Loop: Header=BB115_29 Depth=1
	s_or_b64 exec, exec, s[22:23]
	s_waitcnt lgkmcnt(0)
	s_barrier
.LBB115_126:                            ;   in Loop: Header=BB115_29 Depth=1
	s_or_saveexec_b64 s[18:19], s[18:19]
	s_mov_b64 s[22:23], 0
	v_mov_b32_e32 v7, 8
	s_xor_b64 exec, exec, s[18:19]
; %bb.127:                              ;   in Loop: Header=BB115_29 Depth=1
	s_mov_b64 s[22:23], exec
	v_subrev_u32_e32 v42, s80, v42
	v_mov_b32_e32 v7, 0
; %bb.128:                              ;   in Loop: Header=BB115_29 Depth=1
	s_or_b64 exec, exec, s[18:19]
	s_and_b64 s[18:19], s[22:23], exec
	v_mov_b32_e32 v8, v42
.LBB115_129:                            ;   in Loop: Header=BB115_29 Depth=1
	s_or_b64 exec, exec, s[16:17]
	s_mov_b64 s[16:17], -1
	s_mov_b64 s[68:69], -1
                                        ; implicit-def: $sgpr22_sgpr23
                                        ; implicit-def: $sgpr64_sgpr65
	s_and_saveexec_b64 s[40:41], s[18:19]
	s_xor_b64 s[18:19], exec, s[40:41]
	s_cbranch_execz .LBB115_255
; %bb.130:                              ;   in Loop: Header=BB115_29 Depth=1
	s_cmp_eq_u32 s84, 1
	s_cselect_b64 s[22:23], -1, 0
	v_cmp_eq_u32_e32 vcc, 1, v8
	s_and_b64 s[70:71], s[22:23], vcc
	s_mov_b64 s[72:73], -1
                                        ; implicit-def: $sgpr64_sgpr65
                                        ; implicit-def: $sgpr22_sgpr23
	s_and_saveexec_b64 s[68:69], s[70:71]
	s_cbranch_execz .LBB115_161
; %bb.131:                              ;   in Loop: Header=BB115_29 Depth=1
	ds_read_b32 v1, v13 offset:4104
	s_waitcnt lgkmcnt(0)
	s_barrier
	v_readfirstlane_b32 s85, v1
	s_and_saveexec_b64 s[22:23], s[20:21]
; %bb.132:                              ;   in Loop: Header=BB115_29 Depth=1
	v_mov_b32_e32 v12, v13
	ds_write_b64 v29, v[12:13]
; %bb.133:                              ;   in Loop: Header=BB115_29 Depth=1
	s_or_b64 exec, exec, s[22:23]
	s_lshl_b64 s[22:23], 1, s12
	v_and_b32_e32 v1, s67, v19
	v_and_b32_e32 v3, s66, v18
	v_or_b32_e32 v19, s23, v1
	v_or_b32_e32 v18, s22, v3
	;; [unrolled: 1-line block ×4, first 2 shown]
	s_mov_b64 s[22:23], -1
	s_mov_b64 s[64:65], 0
	s_cmp_eq_u32 s85, 0
	s_mov_b64 s[72:73], 0
	s_mov_b64 s[74:75], -1
	s_waitcnt lgkmcnt(0)
	s_barrier
                                        ; implicit-def: $vgpr5_vgpr6
	s_cbranch_scc1 .LBB115_148
; %bb.134:                              ;   in Loop: Header=BB115_29 Depth=1
	s_add_i32 s40, s85, s36
	s_mul_hi_u32 s41, s40, s47
	s_mul_i32 s41, s41, s27
	s_sub_i32 s41, s40, s41
	s_sub_i32 s72, s41, s27
	s_cmp_ge_u32 s41, s27
	s_cselect_b32 s41, s72, s41
	s_sub_i32 s72, s41, s27
	s_cmp_ge_u32 s41, s27
	s_cselect_b32 s41, s72, s41
	s_sub_i32 s40, s40, s41
	v_cmp_gt_u32_e32 vcc, s40, v0
	s_mov_b64 s[74:75], 0
	s_mov_b64 s[72:73], 0
                                        ; implicit-def: $vgpr5_vgpr6
	s_and_saveexec_b64 s[76:77], vcc
	s_cbranch_execz .LBB115_147
; %bb.135:                              ;   in Loop: Header=BB115_29 Depth=1
	v_mov_b32_e32 v9, v28
	v_mov_b32_e32 v10, v0
                                        ; implicit-def: $sgpr78_sgpr79
	s_branch .LBB115_139
.LBB115_136:                            ;   in Loop: Header=BB115_139 Depth=2
	s_or_b64 exec, exec, s[80:81]
	s_waitcnt lgkmcnt(0)
	s_barrier
	ds_read_b128 v[3:6], v13 offset:3072
	s_waitcnt lgkmcnt(0)
	s_barrier
	v_cmp_neq_f64_e32 vcc, 0, v[3:4]
	s_cbranch_vccnz .LBB115_142
; %bb.137:                              ;   in Loop: Header=BB115_139 Depth=2
	v_add_u32_e32 v10, s27, v10
	v_cmp_le_u32_e32 vcc, s40, v10
	v_add_u32_e32 v9, s1, v9
	s_mov_b64 s[80:81], 0
	s_orn2_b64 s[82:83], vcc, exec
.LBB115_138:                            ;   in Loop: Header=BB115_139 Depth=2
	s_and_b64 s[82:83], exec, s[82:83]
	s_or_b64 s[72:73], s[82:83], s[72:73]
	s_andn2_b64 s[78:79], s[78:79], exec
	s_and_b64 s[80:81], s[80:81], exec
	s_or_b64 s[78:79], s[78:79], s[80:81]
	s_andn2_b64 exec, exec, s[72:73]
	s_cbranch_execz .LBB115_146
.LBB115_139:                            ;   Parent Loop BB115_29 Depth=1
                                        ; =>  This Inner Loop Header: Depth=2
	v_cmp_gt_u32_e32 vcc, s85, v10
	s_and_saveexec_b64 s[80:81], vcc
	s_cbranch_execz .LBB115_136
; %bb.140:                              ;   in Loop: Header=BB115_139 Depth=2
	ds_read_b64 v[3:4], v9
	s_waitcnt lgkmcnt(0)
	v_cmp_o_f64_e32 vcc, v[3:4], v[3:4]
	v_ashrrev_i32_e32 v1, 31, v4
	v_or_b32_e32 v5, 0x80000000, v1
	v_xor_b32_e32 v5, v5, v4
	v_xor_b32_e32 v1, v1, v3
	v_cndmask_b32_e32 v5, -1, v5, vcc
	v_cndmask_b32_e32 v1, -1, v1, vcc
	v_and_b32_e32 v6, v5, v21
	v_and_b32_e32 v5, v1, v20
	v_cmp_eq_u64_e32 vcc, v[5:6], v[18:19]
	s_and_b64 exec, exec, vcc
	s_cbranch_execz .LBB115_136
; %bb.141:                              ;   in Loop: Header=BB115_139 Depth=2
	v_mov_b32_e32 v1, v13
	ds_write_b128 v13, v[1:4] offset:3072
	s_branch .LBB115_136
.LBB115_142:                            ;   in Loop: Header=BB115_139 Depth=2
	s_mov_b64 s[82:83], -1
                                        ; implicit-def: $vgpr10
                                        ; implicit-def: $vgpr9
	s_mov_b64 s[80:81], -1
	s_branch .LBB115_138
.LBB115_143:                            ;   in Loop: Header=BB115_29 Depth=1
	s_or_b64 exec, exec, s[18:19]
	s_waitcnt lgkmcnt(0)
	s_barrier
	s_and_saveexec_b64 s[6:7], s[2:3]
	s_cbranch_execz .LBB115_145
; %bb.144:                              ;   in Loop: Header=BB115_29 Depth=1
	ds_read_b32 v1, v13 offset:4112
	s_waitcnt lgkmcnt(0)
	ds_write_b32 v13, v1 offset:4104
.LBB115_145:                            ;   in Loop: Header=BB115_29 Depth=1
	s_or_b64 exec, exec, s[6:7]
	s_waitcnt lgkmcnt(0)
	s_barrier
	s_mov_b64 s[6:7], -1
	s_and_b64 vcc, exec, s[16:17]
	s_cbranch_vccnz .LBB115_45
	s_branch .LBB115_54
.LBB115_146:                            ;   in Loop: Header=BB115_29 Depth=1
	s_or_b64 exec, exec, s[72:73]
	s_and_b64 s[72:73], s[78:79], exec
.LBB115_147:                            ;   in Loop: Header=BB115_29 Depth=1
	s_or_b64 exec, exec, s[76:77]
.LBB115_148:                            ;   in Loop: Header=BB115_29 Depth=1
	s_and_b64 vcc, exec, s[74:75]
	s_cbranch_vccz .LBB115_160
; %bb.149:                              ;   in Loop: Header=BB115_29 Depth=1
                                        ; implicit-def: $vgpr5_vgpr6
	s_mov_b64 s[22:23], exec
	v_readlane_b32 s40, v47, 15
	v_readlane_b32 s41, v47, 16
	s_and_b64 s[40:41], s[22:23], s[40:41]
	s_mov_b64 exec, s[40:41]
	s_cbranch_execz .LBB115_159
; %bb.150:                              ;   in Loop: Header=BB115_29 Depth=1
	s_mov_b64 s[64:65], 0
	v_mov_b32_e32 v12, v11
	v_mov_b32_e32 v9, v0
                                        ; implicit-def: $sgpr74_sgpr75
	s_branch .LBB115_154
.LBB115_151:                            ;   in Loop: Header=BB115_154 Depth=2
	s_or_b64 exec, exec, s[76:77]
	s_waitcnt lgkmcnt(0)
	s_barrier
	ds_read_b128 v[3:6], v13 offset:3072
	s_waitcnt lgkmcnt(0)
	s_barrier
	v_cmp_eq_f64_e32 vcc, 0, v[3:4]
	s_cbranch_vccz .LBB115_157
; %bb.152:                              ;   in Loop: Header=BB115_154 Depth=2
	v_add_u32_e32 v9, s27, v9
	v_cmp_le_u32_e32 vcc, s48, v9
	v_add_u32_e32 v12, s35, v12
	s_mov_b64 s[76:77], 0
	s_orn2_b64 s[78:79], vcc, exec
.LBB115_153:                            ;   in Loop: Header=BB115_154 Depth=2
	s_and_b64 s[40:41], exec, s[78:79]
	s_or_b64 s[64:65], s[40:41], s[64:65]
	s_andn2_b64 s[40:41], s[74:75], exec
	s_and_b64 s[74:75], s[76:77], exec
	s_or_b64 s[74:75], s[40:41], s[74:75]
	s_andn2_b64 exec, exec, s[64:65]
	s_cbranch_execz .LBB115_158
.LBB115_154:                            ;   Parent Loop BB115_29 Depth=1
                                        ; =>  This Inner Loop Header: Depth=2
	v_cmp_gt_u32_e32 vcc, s24, v9
	s_and_saveexec_b64 s[76:77], vcc
	s_cbranch_execz .LBB115_151
; %bb.155:                              ;   in Loop: Header=BB115_154 Depth=2
	v_lshlrev_b64 v[3:4], 3, v[12:13]
	v_mov_b32_e32 v1, s34
	v_add_co_u32_e32 v3, vcc, s33, v3
	v_addc_co_u32_e32 v4, vcc, v1, v4, vcc
	global_load_dwordx2 v[3:4], v[3:4], off
	s_waitcnt vmcnt(0)
	v_cmp_o_f64_e32 vcc, v[3:4], v[3:4]
	v_ashrrev_i32_e32 v1, 31, v4
	v_or_b32_e32 v5, 0x80000000, v1
	v_xor_b32_e32 v5, v5, v4
	v_xor_b32_e32 v1, v1, v3
	v_cndmask_b32_e32 v5, -1, v5, vcc
	v_cndmask_b32_e32 v1, -1, v1, vcc
	v_and_b32_e32 v6, v5, v21
	v_and_b32_e32 v5, v1, v20
	v_cmp_eq_u64_e32 vcc, v[5:6], v[18:19]
	s_and_b64 exec, exec, vcc
	s_cbranch_execz .LBB115_151
; %bb.156:                              ;   in Loop: Header=BB115_154 Depth=2
	v_mov_b32_e32 v1, v13
	ds_write_b128 v13, v[1:4] offset:3072
	s_branch .LBB115_151
.LBB115_157:                            ;   in Loop: Header=BB115_154 Depth=2
	s_mov_b64 s[78:79], -1
                                        ; implicit-def: $vgpr9
	s_mov_b64 s[76:77], -1
	s_branch .LBB115_153
.LBB115_158:                            ;   in Loop: Header=BB115_29 Depth=1
	s_or_b64 exec, exec, s[64:65]
	s_andn2_b64 s[40:41], s[72:73], exec
	s_and_b64 s[64:65], s[74:75], exec
	s_or_b64 s[72:73], s[40:41], s[64:65]
.LBB115_159:                            ;   in Loop: Header=BB115_29 Depth=1
	s_or_b64 exec, exec, s[22:23]
	s_mov_b64 s[22:23], 0
	s_mov_b64 s[64:65], -1
.LBB115_160:                            ;   in Loop: Header=BB115_29 Depth=1
	s_orn2_b64 s[72:73], s[72:73], exec
.LBB115_161:                            ;   in Loop: Header=BB115_29 Depth=1
	s_or_b64 exec, exec, s[68:69]
	s_mov_b64 s[74:75], 0
	s_and_saveexec_b64 s[68:69], s[72:73]
	s_cbranch_execz .LBB115_254
; %bb.162:                              ;   in Loop: Header=BB115_29 Depth=1
	s_xor_b64 s[40:41], s[70:71], -1
	s_mov_b64 s[78:79], 0
	v_mov_b32_e32 v9, 1
	v_mov_b32_e32 v7, 1
	s_and_saveexec_b64 s[70:71], s[40:41]
	s_cbranch_execz .LBB115_171
; %bb.163:                              ;   in Loop: Header=BB115_29 Depth=1
	v_cmp_ge_u32_e32 vcc, s84, v8
	s_and_saveexec_b64 s[40:41], vcc
	s_xor_b64 s[72:73], exec, s[40:41]
	s_cbranch_execz .LBB115_168
; %bb.164:                              ;   in Loop: Header=BB115_29 Depth=1
	ds_read_b32 v3, v13 offset:4104
	s_lshl_b64 s[40:41], 1, s12
	v_and_b32_e32 v1, s67, v19
	v_and_b32_e32 v4, s66, v18
	v_or_b32_e32 v19, s41, v1
	s_waitcnt lgkmcnt(0)
	v_cmp_ne_u32_e32 vcc, 0, v3
	v_or_b32_e32 v18, s40, v4
	v_or_b32_e32 v21, s7, v21
	;; [unrolled: 1-line block ×3, first 2 shown]
	s_cbranch_vccnz .LBB115_168
; %bb.165:                              ;   in Loop: Header=BB115_29 Depth=1
	s_and_saveexec_b64 s[74:75], s[2:3]
; %bb.166:                              ;   in Loop: Header=BB115_29 Depth=1
	v_mov_b32_e32 v1, s84
	ds_write_b32 v13, v1 offset:4108
; %bb.167:                              ;   in Loop: Header=BB115_29 Depth=1
	s_or_b64 exec, exec, s[74:75]
	s_waitcnt lgkmcnt(0)
	s_barrier
.LBB115_168:                            ;   in Loop: Header=BB115_29 Depth=1
	s_or_saveexec_b64 s[72:73], s[72:73]
	s_mov_b64 s[74:75], 0
	v_mov_b32_e32 v7, 8
	s_xor_b64 exec, exec, s[72:73]
; %bb.169:                              ;   in Loop: Header=BB115_29 Depth=1
	s_mov_b64 s[74:75], exec
	v_subrev_u32_e32 v8, s84, v8
	v_mov_b32_e32 v7, 0
; %bb.170:                              ;   in Loop: Header=BB115_29 Depth=1
	s_or_b64 exec, exec, s[72:73]
	s_and_b64 s[78:79], s[74:75], exec
	v_mov_b32_e32 v9, v8
.LBB115_171:                            ;   in Loop: Header=BB115_29 Depth=1
	s_or_b64 exec, exec, s[70:71]
	s_mov_b64 s[76:77], -1
                                        ; implicit-def: $sgpr72_sgpr73
                                        ; implicit-def: $sgpr74_sgpr75
	s_and_saveexec_b64 s[70:71], s[78:79]
	s_cbranch_execz .LBB115_253
; %bb.172:                              ;   in Loop: Header=BB115_29 Depth=1
	s_cmp_eq_u32 s92, 1
	s_cselect_b64 s[40:41], -1, 0
	v_cmp_eq_u32_e32 vcc, 1, v9
	s_and_b64 s[78:79], s[40:41], vcc
	s_mov_b64 s[80:81], -1
                                        ; implicit-def: $sgpr74_sgpr75
                                        ; implicit-def: $sgpr72_sgpr73
	s_and_saveexec_b64 s[76:77], s[78:79]
	s_cbranch_execz .LBB115_200
; %bb.173:                              ;   in Loop: Header=BB115_29 Depth=1
	ds_read_b32 v1, v13 offset:4104
	s_waitcnt lgkmcnt(0)
	s_barrier
	v_readfirstlane_b32 s93, v1
	s_and_saveexec_b64 s[72:73], s[20:21]
; %bb.174:                              ;   in Loop: Header=BB115_29 Depth=1
	v_mov_b32_e32 v12, v13
	ds_write_b64 v29, v[12:13]
; %bb.175:                              ;   in Loop: Header=BB115_29 Depth=1
	s_or_b64 exec, exec, s[72:73]
	s_lshl_b64 s[40:41], 2, s12
	v_and_b32_e32 v1, s67, v19
	v_and_b32_e32 v3, s66, v18
	v_or_b32_e32 v19, s41, v1
	v_or_b32_e32 v18, s40, v3
	;; [unrolled: 1-line block ×4, first 2 shown]
	s_mov_b64 s[72:73], -1
	s_mov_b64 s[74:75], 0
	s_cmp_eq_u32 s93, 0
	s_mov_b64 s[80:81], 0
	s_mov_b64 s[82:83], -1
	s_waitcnt lgkmcnt(0)
	s_barrier
                                        ; implicit-def: $vgpr5_vgpr6
	s_cbranch_scc1 .LBB115_187
; %bb.176:                              ;   in Loop: Header=BB115_29 Depth=1
	s_add_i32 s40, s93, s36
	s_mul_hi_u32 s41, s40, s47
	s_mul_i32 s41, s41, s27
	s_sub_i32 s41, s40, s41
	s_sub_i32 s80, s41, s27
	s_cmp_ge_u32 s41, s27
	s_cselect_b32 s41, s80, s41
	s_sub_i32 s80, s41, s27
	s_cmp_ge_u32 s41, s27
	s_cselect_b32 s41, s80, s41
	s_sub_i32 s40, s40, s41
	v_cmp_gt_u32_e32 vcc, s40, v0
	s_mov_b64 s[82:83], 0
	s_mov_b64 s[80:81], 0
                                        ; implicit-def: $vgpr5_vgpr6
	s_and_saveexec_b64 s[84:85], vcc
	s_cbranch_execz .LBB115_186
; %bb.177:                              ;   in Loop: Header=BB115_29 Depth=1
	v_mov_b32_e32 v8, v28
	v_mov_b32_e32 v10, v0
                                        ; implicit-def: $sgpr86_sgpr87
	s_branch .LBB115_181
.LBB115_178:                            ;   in Loop: Header=BB115_181 Depth=2
	s_or_b64 exec, exec, s[88:89]
	s_waitcnt lgkmcnt(0)
	s_barrier
	ds_read_b128 v[3:6], v13 offset:3072
	s_waitcnt lgkmcnt(0)
	s_barrier
	v_cmp_neq_f64_e32 vcc, 0, v[3:4]
	s_cbranch_vccnz .LBB115_184
; %bb.179:                              ;   in Loop: Header=BB115_181 Depth=2
	v_add_u32_e32 v10, s27, v10
	v_cmp_le_u32_e32 vcc, s40, v10
	v_add_u32_e32 v8, s1, v8
	s_mov_b64 s[88:89], 0
	s_orn2_b64 s[90:91], vcc, exec
.LBB115_180:                            ;   in Loop: Header=BB115_181 Depth=2
	s_and_b64 s[90:91], exec, s[90:91]
	s_or_b64 s[80:81], s[90:91], s[80:81]
	s_andn2_b64 s[86:87], s[86:87], exec
	s_and_b64 s[88:89], s[88:89], exec
	s_or_b64 s[86:87], s[86:87], s[88:89]
	s_andn2_b64 exec, exec, s[80:81]
	s_cbranch_execz .LBB115_185
.LBB115_181:                            ;   Parent Loop BB115_29 Depth=1
                                        ; =>  This Inner Loop Header: Depth=2
	v_cmp_gt_u32_e32 vcc, s93, v10
	s_and_saveexec_b64 s[88:89], vcc
	s_cbranch_execz .LBB115_178
; %bb.182:                              ;   in Loop: Header=BB115_181 Depth=2
	ds_read_b64 v[3:4], v8
	s_waitcnt lgkmcnt(0)
	v_cmp_o_f64_e32 vcc, v[3:4], v[3:4]
	v_ashrrev_i32_e32 v1, 31, v4
	v_or_b32_e32 v5, 0x80000000, v1
	v_xor_b32_e32 v5, v5, v4
	v_xor_b32_e32 v1, v1, v3
	v_cndmask_b32_e32 v5, -1, v5, vcc
	v_cndmask_b32_e32 v1, -1, v1, vcc
	v_and_b32_e32 v6, v5, v21
	v_and_b32_e32 v5, v1, v20
	v_cmp_eq_u64_e32 vcc, v[5:6], v[18:19]
	s_and_b64 exec, exec, vcc
	s_cbranch_execz .LBB115_178
; %bb.183:                              ;   in Loop: Header=BB115_181 Depth=2
	v_mov_b32_e32 v1, v13
	ds_write_b128 v13, v[1:4] offset:3072
	s_branch .LBB115_178
.LBB115_184:                            ;   in Loop: Header=BB115_181 Depth=2
	s_mov_b64 s[90:91], -1
                                        ; implicit-def: $vgpr10
                                        ; implicit-def: $vgpr8
	s_mov_b64 s[88:89], -1
	s_branch .LBB115_180
.LBB115_185:                            ;   in Loop: Header=BB115_29 Depth=1
	s_or_b64 exec, exec, s[80:81]
	s_and_b64 s[80:81], s[86:87], exec
.LBB115_186:                            ;   in Loop: Header=BB115_29 Depth=1
	s_or_b64 exec, exec, s[84:85]
.LBB115_187:                            ;   in Loop: Header=BB115_29 Depth=1
	s_and_b64 vcc, exec, s[82:83]
	s_cbranch_vccz .LBB115_199
; %bb.188:                              ;   in Loop: Header=BB115_29 Depth=1
                                        ; implicit-def: $vgpr5_vgpr6
	s_mov_b64 s[72:73], exec
	v_readlane_b32 s40, v47, 15
	v_readlane_b32 s41, v47, 16
	s_and_b64 s[40:41], s[72:73], s[40:41]
	s_mov_b64 exec, s[40:41]
	s_cbranch_execz .LBB115_198
; %bb.189:                              ;   in Loop: Header=BB115_29 Depth=1
	s_mov_b64 s[74:75], 0
	v_mov_b32_e32 v12, v11
	v_mov_b32_e32 v8, v0
                                        ; implicit-def: $sgpr82_sgpr83
	s_branch .LBB115_193
.LBB115_190:                            ;   in Loop: Header=BB115_193 Depth=2
	s_or_b64 exec, exec, s[84:85]
	s_waitcnt lgkmcnt(0)
	s_barrier
	ds_read_b128 v[3:6], v13 offset:3072
	s_waitcnt lgkmcnt(0)
	s_barrier
	v_cmp_eq_f64_e32 vcc, 0, v[3:4]
	s_cbranch_vccz .LBB115_196
; %bb.191:                              ;   in Loop: Header=BB115_193 Depth=2
	v_add_u32_e32 v8, s27, v8
	v_cmp_le_u32_e32 vcc, s48, v8
	v_add_u32_e32 v12, s35, v12
	s_mov_b64 s[84:85], 0
	s_orn2_b64 s[86:87], vcc, exec
.LBB115_192:                            ;   in Loop: Header=BB115_193 Depth=2
	s_and_b64 s[40:41], exec, s[86:87]
	s_or_b64 s[74:75], s[40:41], s[74:75]
	s_andn2_b64 s[40:41], s[82:83], exec
	s_and_b64 s[82:83], s[84:85], exec
	s_or_b64 s[82:83], s[40:41], s[82:83]
	s_andn2_b64 exec, exec, s[74:75]
	s_cbranch_execz .LBB115_197
.LBB115_193:                            ;   Parent Loop BB115_29 Depth=1
                                        ; =>  This Inner Loop Header: Depth=2
	v_cmp_gt_u32_e32 vcc, s24, v8
	s_and_saveexec_b64 s[84:85], vcc
	s_cbranch_execz .LBB115_190
; %bb.194:                              ;   in Loop: Header=BB115_193 Depth=2
	v_lshlrev_b64 v[3:4], 3, v[12:13]
	v_mov_b32_e32 v1, s34
	v_add_co_u32_e32 v3, vcc, s33, v3
	v_addc_co_u32_e32 v4, vcc, v1, v4, vcc
	global_load_dwordx2 v[3:4], v[3:4], off
	s_waitcnt vmcnt(0)
	v_cmp_o_f64_e32 vcc, v[3:4], v[3:4]
	v_ashrrev_i32_e32 v1, 31, v4
	v_or_b32_e32 v5, 0x80000000, v1
	v_xor_b32_e32 v5, v5, v4
	v_xor_b32_e32 v1, v1, v3
	v_cndmask_b32_e32 v5, -1, v5, vcc
	v_cndmask_b32_e32 v1, -1, v1, vcc
	v_and_b32_e32 v6, v5, v21
	v_and_b32_e32 v5, v1, v20
	v_cmp_eq_u64_e32 vcc, v[5:6], v[18:19]
	s_and_b64 exec, exec, vcc
	s_cbranch_execz .LBB115_190
; %bb.195:                              ;   in Loop: Header=BB115_193 Depth=2
	v_mov_b32_e32 v1, v13
	ds_write_b128 v13, v[1:4] offset:3072
	s_branch .LBB115_190
.LBB115_196:                            ;   in Loop: Header=BB115_193 Depth=2
	s_mov_b64 s[86:87], -1
                                        ; implicit-def: $vgpr8
	s_mov_b64 s[84:85], -1
	s_branch .LBB115_192
.LBB115_197:                            ;   in Loop: Header=BB115_29 Depth=1
	s_or_b64 exec, exec, s[74:75]
	s_andn2_b64 s[40:41], s[80:81], exec
	s_and_b64 s[74:75], s[82:83], exec
	s_or_b64 s[80:81], s[40:41], s[74:75]
.LBB115_198:                            ;   in Loop: Header=BB115_29 Depth=1
	s_or_b64 exec, exec, s[72:73]
	s_mov_b64 s[72:73], 0
	s_mov_b64 s[74:75], -1
.LBB115_199:                            ;   in Loop: Header=BB115_29 Depth=1
	s_orn2_b64 s[80:81], s[80:81], exec
.LBB115_200:                            ;   in Loop: Header=BB115_29 Depth=1
	s_or_b64 exec, exec, s[76:77]
	s_mov_b64 s[82:83], 0
	s_and_saveexec_b64 s[76:77], s[80:81]
	s_cbranch_execz .LBB115_252
; %bb.201:                              ;   in Loop: Header=BB115_29 Depth=1
	s_xor_b64 s[40:41], s[78:79], -1
	s_mov_b64 s[84:85], 0
	v_mov_b32_e32 v8, 1
	v_mov_b32_e32 v7, 1
	s_and_saveexec_b64 s[78:79], s[40:41]
	s_cbranch_execz .LBB115_210
; %bb.202:                              ;   in Loop: Header=BB115_29 Depth=1
	v_cmp_ge_u32_e32 vcc, s92, v9
	s_and_saveexec_b64 s[40:41], vcc
	s_xor_b64 s[80:81], exec, s[40:41]
	s_cbranch_execz .LBB115_207
; %bb.203:                              ;   in Loop: Header=BB115_29 Depth=1
	ds_read_b32 v3, v13 offset:4104
	s_lshl_b64 s[40:41], 2, s12
	v_and_b32_e32 v1, s67, v19
	v_and_b32_e32 v4, s66, v18
	v_or_b32_e32 v19, s41, v1
	s_waitcnt lgkmcnt(0)
	v_cmp_ne_u32_e32 vcc, 0, v3
	v_or_b32_e32 v18, s40, v4
	v_or_b32_e32 v21, s7, v21
	;; [unrolled: 1-line block ×3, first 2 shown]
	s_cbranch_vccnz .LBB115_207
; %bb.204:                              ;   in Loop: Header=BB115_29 Depth=1
	s_and_saveexec_b64 s[66:67], s[2:3]
; %bb.205:                              ;   in Loop: Header=BB115_29 Depth=1
	v_mov_b32_e32 v1, s92
	ds_write_b32 v13, v1 offset:4108
; %bb.206:                              ;   in Loop: Header=BB115_29 Depth=1
	s_or_b64 exec, exec, s[66:67]
	s_waitcnt lgkmcnt(0)
	s_barrier
.LBB115_207:                            ;   in Loop: Header=BB115_29 Depth=1
	s_or_saveexec_b64 s[66:67], s[80:81]
	s_mov_b64 s[80:81], 0
	v_mov_b32_e32 v7, 8
	s_xor_b64 exec, exec, s[66:67]
; %bb.208:                              ;   in Loop: Header=BB115_29 Depth=1
	s_mov_b64 s[80:81], exec
	v_subrev_u32_e32 v9, s92, v9
	v_mov_b32_e32 v7, 0
; %bb.209:                              ;   in Loop: Header=BB115_29 Depth=1
	s_or_b64 exec, exec, s[66:67]
	s_and_b64 s[84:85], s[80:81], exec
	v_mov_b32_e32 v8, v9
.LBB115_210:                            ;   in Loop: Header=BB115_29 Depth=1
	s_or_b64 exec, exec, s[78:79]
	s_mov_b64 s[82:83], -1
                                        ; implicit-def: $sgpr80_sgpr81
                                        ; implicit-def: $sgpr78_sgpr79
	s_and_saveexec_b64 s[66:67], s[84:85]
	s_cbranch_execz .LBB115_251
; %bb.211:                              ;   in Loop: Header=BB115_29 Depth=1
	s_cmp_eq_u32 s13, 1
	s_cselect_b64 s[40:41], -1, 0
	v_cmp_eq_u32_e32 vcc, 1, v8
	s_and_b64 s[82:83], s[40:41], vcc
	s_mov_b64 s[86:87], -1
                                        ; implicit-def: $sgpr80_sgpr81
                                        ; implicit-def: $sgpr78_sgpr79
	s_and_saveexec_b64 s[84:85], s[82:83]
	s_cbranch_execz .LBB115_239
; %bb.212:                              ;   in Loop: Header=BB115_29 Depth=1
	ds_read_b32 v1, v13 offset:4104
	s_waitcnt lgkmcnt(0)
	s_barrier
	v_readfirstlane_b32 s40, v1
	s_and_saveexec_b64 s[78:79], s[20:21]
; %bb.213:                              ;   in Loop: Header=BB115_29 Depth=1
	v_mov_b32_e32 v12, v13
	ds_write_b64 v29, v[12:13]
; %bb.214:                              ;   in Loop: Header=BB115_29 Depth=1
	s_or_b64 exec, exec, s[78:79]
	v_or_b32_e32 v19, s7, v19
	v_or_b32_e32 v18, s6, v18
	;; [unrolled: 1-line block ×4, first 2 shown]
	s_mov_b64 s[78:79], -1
	s_mov_b64 s[80:81], 0
	s_cmp_eq_u32 s40, 0
	s_mov_b64 s[86:87], 0
	s_mov_b64 s[88:89], -1
	s_waitcnt lgkmcnt(0)
	s_barrier
                                        ; implicit-def: $vgpr5_vgpr6
	s_cbranch_scc1 .LBB115_226
; %bb.215:                              ;   in Loop: Header=BB115_29 Depth=1
	s_add_i32 s41, s40, s36
	s_mul_hi_u32 s86, s41, s47
	s_mul_i32 s86, s86, s27
	s_sub_i32 s86, s41, s86
	s_sub_i32 s87, s86, s27
	s_cmp_ge_u32 s86, s27
	s_cselect_b32 s86, s87, s86
	s_sub_i32 s87, s86, s27
	s_cmp_ge_u32 s86, s27
	s_cselect_b32 s86, s87, s86
	s_sub_i32 s41, s41, s86
	v_cmp_gt_u32_e32 vcc, s41, v0
	s_mov_b64 s[88:89], 0
	s_mov_b64 s[86:87], 0
                                        ; implicit-def: $vgpr5_vgpr6
	s_and_saveexec_b64 s[90:91], vcc
	s_cbranch_execz .LBB115_225
; %bb.216:                              ;   in Loop: Header=BB115_29 Depth=1
	v_writelane_b32 v47, s95, 17
	v_mov_b32_e32 v9, v28
	v_mov_b32_e32 v10, v0
	v_writelane_b32 v47, s94, 18
                                        ; implicit-def: $sgpr92_sgpr93
	s_branch .LBB115_220
.LBB115_217:                            ;   in Loop: Header=BB115_220 Depth=2
	s_or_b64 exec, exec, s[94:95]
	s_waitcnt lgkmcnt(0)
	s_barrier
	ds_read_b128 v[3:6], v13 offset:3072
	s_waitcnt lgkmcnt(0)
	s_barrier
	v_cmp_neq_f64_e32 vcc, 0, v[3:4]
	s_cbranch_vccnz .LBB115_223
; %bb.218:                              ;   in Loop: Header=BB115_220 Depth=2
	v_add_u32_e32 v10, s27, v10
	v_cmp_le_u32_e32 vcc, s41, v10
	v_add_u32_e32 v9, s1, v9
	s_mov_b64 s[94:95], 0
	s_orn2_b64 vcc, vcc, exec
.LBB115_219:                            ;   in Loop: Header=BB115_220 Depth=2
	s_and_b64 vcc, exec, vcc
	s_or_b64 s[86:87], vcc, s[86:87]
	s_andn2_b64 s[92:93], s[92:93], exec
	s_and_b64 s[94:95], s[94:95], exec
	s_or_b64 s[92:93], s[92:93], s[94:95]
	s_andn2_b64 exec, exec, s[86:87]
	s_cbranch_execz .LBB115_224
.LBB115_220:                            ;   Parent Loop BB115_29 Depth=1
                                        ; =>  This Inner Loop Header: Depth=2
	v_cmp_gt_u32_e32 vcc, s40, v10
	s_and_saveexec_b64 s[94:95], vcc
	s_cbranch_execz .LBB115_217
; %bb.221:                              ;   in Loop: Header=BB115_220 Depth=2
	ds_read_b64 v[3:4], v9
	s_waitcnt lgkmcnt(0)
	v_cmp_o_f64_e32 vcc, v[3:4], v[3:4]
	v_ashrrev_i32_e32 v1, 31, v4
	v_or_b32_e32 v5, 0x80000000, v1
	v_xor_b32_e32 v5, v5, v4
	v_xor_b32_e32 v1, v1, v3
	v_cndmask_b32_e32 v5, -1, v5, vcc
	v_cndmask_b32_e32 v1, -1, v1, vcc
	v_and_b32_e32 v6, v5, v21
	v_and_b32_e32 v5, v1, v20
	v_cmp_eq_u64_e32 vcc, v[5:6], v[18:19]
	s_and_b64 exec, exec, vcc
	s_cbranch_execz .LBB115_217
; %bb.222:                              ;   in Loop: Header=BB115_220 Depth=2
	v_mov_b32_e32 v1, v13
	ds_write_b128 v13, v[1:4] offset:3072
	s_branch .LBB115_217
.LBB115_223:                            ;   in Loop: Header=BB115_220 Depth=2
	s_mov_b64 vcc, -1
                                        ; implicit-def: $vgpr10
                                        ; implicit-def: $vgpr9
	s_mov_b64 s[94:95], -1
	s_branch .LBB115_219
.LBB115_224:                            ;   in Loop: Header=BB115_29 Depth=1
	s_or_b64 exec, exec, s[86:87]
	s_and_b64 s[86:87], s[92:93], exec
	v_readlane_b32 s94, v47, 18
	v_readlane_b32 s95, v47, 17
.LBB115_225:                            ;   in Loop: Header=BB115_29 Depth=1
	s_or_b64 exec, exec, s[90:91]
.LBB115_226:                            ;   in Loop: Header=BB115_29 Depth=1
	s_and_b64 vcc, exec, s[88:89]
	s_cbranch_vccz .LBB115_238
; %bb.227:                              ;   in Loop: Header=BB115_29 Depth=1
                                        ; implicit-def: $vgpr5_vgpr6
	s_mov_b64 s[78:79], exec
	v_readlane_b32 s40, v47, 15
	v_readlane_b32 s41, v47, 16
	s_and_b64 s[40:41], s[78:79], s[40:41]
	s_mov_b64 exec, s[40:41]
	s_cbranch_execz .LBB115_237
; %bb.228:                              ;   in Loop: Header=BB115_29 Depth=1
	s_mov_b64 s[80:81], 0
	v_mov_b32_e32 v12, v11
	v_mov_b32_e32 v9, v0
                                        ; implicit-def: $sgpr88_sgpr89
	s_branch .LBB115_232
.LBB115_229:                            ;   in Loop: Header=BB115_232 Depth=2
	s_or_b64 exec, exec, s[90:91]
	s_waitcnt lgkmcnt(0)
	s_barrier
	ds_read_b128 v[3:6], v13 offset:3072
	s_waitcnt lgkmcnt(0)
	s_barrier
	v_cmp_eq_f64_e32 vcc, 0, v[3:4]
	s_cbranch_vccz .LBB115_235
; %bb.230:                              ;   in Loop: Header=BB115_232 Depth=2
	v_add_u32_e32 v9, s27, v9
	v_cmp_le_u32_e32 vcc, s48, v9
	v_add_u32_e32 v12, s35, v12
	s_mov_b64 s[90:91], 0
	s_orn2_b64 s[92:93], vcc, exec
.LBB115_231:                            ;   in Loop: Header=BB115_232 Depth=2
	s_and_b64 s[40:41], exec, s[92:93]
	s_or_b64 s[80:81], s[40:41], s[80:81]
	s_andn2_b64 s[40:41], s[88:89], exec
	s_and_b64 s[88:89], s[90:91], exec
	s_or_b64 s[88:89], s[40:41], s[88:89]
	s_andn2_b64 exec, exec, s[80:81]
	s_cbranch_execz .LBB115_236
.LBB115_232:                            ;   Parent Loop BB115_29 Depth=1
                                        ; =>  This Inner Loop Header: Depth=2
	v_cmp_gt_u32_e32 vcc, s24, v9
	s_and_saveexec_b64 s[90:91], vcc
	s_cbranch_execz .LBB115_229
; %bb.233:                              ;   in Loop: Header=BB115_232 Depth=2
	v_lshlrev_b64 v[3:4], 3, v[12:13]
	v_mov_b32_e32 v1, s34
	v_add_co_u32_e32 v3, vcc, s33, v3
	v_addc_co_u32_e32 v4, vcc, v1, v4, vcc
	global_load_dwordx2 v[3:4], v[3:4], off
	s_waitcnt vmcnt(0)
	v_cmp_o_f64_e32 vcc, v[3:4], v[3:4]
	v_ashrrev_i32_e32 v1, 31, v4
	v_or_b32_e32 v5, 0x80000000, v1
	v_xor_b32_e32 v5, v5, v4
	v_xor_b32_e32 v1, v1, v3
	v_cndmask_b32_e32 v5, -1, v5, vcc
	v_cndmask_b32_e32 v1, -1, v1, vcc
	v_and_b32_e32 v6, v5, v21
	v_and_b32_e32 v5, v1, v20
	v_cmp_eq_u64_e32 vcc, v[5:6], v[18:19]
	s_and_b64 exec, exec, vcc
	s_cbranch_execz .LBB115_229
; %bb.234:                              ;   in Loop: Header=BB115_232 Depth=2
	v_mov_b32_e32 v1, v13
	ds_write_b128 v13, v[1:4] offset:3072
	s_branch .LBB115_229
.LBB115_235:                            ;   in Loop: Header=BB115_232 Depth=2
	s_mov_b64 s[92:93], -1
                                        ; implicit-def: $vgpr9
	s_mov_b64 s[90:91], -1
	s_branch .LBB115_231
.LBB115_236:                            ;   in Loop: Header=BB115_29 Depth=1
	s_or_b64 exec, exec, s[80:81]
	s_andn2_b64 s[40:41], s[86:87], exec
	s_and_b64 s[80:81], s[88:89], exec
	s_or_b64 s[86:87], s[40:41], s[80:81]
.LBB115_237:                            ;   in Loop: Header=BB115_29 Depth=1
	s_or_b64 exec, exec, s[78:79]
	s_mov_b64 s[78:79], 0
	s_mov_b64 s[80:81], -1
.LBB115_238:                            ;   in Loop: Header=BB115_29 Depth=1
	s_orn2_b64 s[86:87], s[86:87], exec
.LBB115_239:                            ;   in Loop: Header=BB115_29 Depth=1
	s_or_b64 exec, exec, s[84:85]
	s_mov_b64 s[88:89], 0
	s_and_saveexec_b64 s[84:85], s[86:87]
	s_cbranch_execz .LBB115_250
; %bb.240:                              ;   in Loop: Header=BB115_29 Depth=1
	s_xor_b64 s[40:41], s[82:83], -1
	v_mov_b32_e32 v7, 1
	v_mov_b32_e32 v1, 1
	s_and_saveexec_b64 s[82:83], s[40:41]
	s_cbranch_execz .LBB115_249
; %bb.241:                              ;   in Loop: Header=BB115_29 Depth=1
	v_cmp_ge_u32_e32 vcc, s13, v8
	s_and_saveexec_b64 s[40:41], vcc
	s_xor_b64 s[86:87], exec, s[40:41]
	s_cbranch_execz .LBB115_246
; %bb.242:                              ;   in Loop: Header=BB115_29 Depth=1
	ds_read_b32 v1, v13 offset:4104
	v_or_b32_e32 v19, s7, v19
	v_or_b32_e32 v18, s6, v18
	;; [unrolled: 1-line block ×4, first 2 shown]
	s_waitcnt lgkmcnt(0)
	v_cmp_ne_u32_e32 vcc, 0, v1
	s_cbranch_vccnz .LBB115_246
; %bb.243:                              ;   in Loop: Header=BB115_29 Depth=1
	s_and_saveexec_b64 s[6:7], s[2:3]
; %bb.244:                              ;   in Loop: Header=BB115_29 Depth=1
	v_mov_b32_e32 v1, s13
	ds_write_b32 v13, v1 offset:4108
; %bb.245:                              ;   in Loop: Header=BB115_29 Depth=1
	s_or_b64 exec, exec, s[6:7]
	s_waitcnt lgkmcnt(0)
	s_barrier
.LBB115_246:                            ;   in Loop: Header=BB115_29 Depth=1
	s_andn2_saveexec_b64 s[6:7], s[86:87]
; %bb.247:                              ;   in Loop: Header=BB115_29 Depth=1
	v_subrev_u32_e32 v8, s13, v8
; %bb.248:                              ;   in Loop: Header=BB115_29 Depth=1
	s_or_b64 exec, exec, s[6:7]
	v_mov_b32_e32 v7, 8
	v_mov_b32_e32 v1, v8
.LBB115_249:                            ;   in Loop: Header=BB115_29 Depth=1
	s_or_b64 exec, exec, s[82:83]
	s_mov_b64 s[88:89], exec
	v_mov_b32_e32 v8, v1
.LBB115_250:                            ;   in Loop: Header=BB115_29 Depth=1
	s_or_b64 exec, exec, s[84:85]
	s_orn2_b64 s[82:83], s[88:89], exec
.LBB115_251:                            ;   in Loop: Header=BB115_29 Depth=1
	s_or_b64 exec, exec, s[66:67]
	s_andn2_b64 s[6:7], s[74:75], exec
	s_and_b64 s[40:41], s[80:81], exec
	s_or_b64 s[74:75], s[6:7], s[40:41]
	s_andn2_b64 s[6:7], s[72:73], exec
	s_and_b64 s[40:41], s[78:79], exec
	s_or_b64 s[72:73], s[6:7], s[40:41]
	s_and_b64 s[82:83], s[82:83], exec
	v_mov_b32_e32 v9, v8
.LBB115_252:                            ;   in Loop: Header=BB115_29 Depth=1
	s_or_b64 exec, exec, s[76:77]
	s_orn2_b64 s[76:77], s[82:83], exec
.LBB115_253:                            ;   in Loop: Header=BB115_29 Depth=1
	s_or_b64 exec, exec, s[70:71]
	s_andn2_b64 s[6:7], s[64:65], exec
	s_and_b64 s[40:41], s[74:75], exec
	s_or_b64 s[64:65], s[6:7], s[40:41]
	s_andn2_b64 s[6:7], s[22:23], exec
	s_and_b64 s[22:23], s[72:73], exec
	s_or_b64 s[22:23], s[6:7], s[22:23]
	s_and_b64 s[74:75], s[76:77], exec
	v_mov_b32_e32 v8, v9
.LBB115_254:                            ;   in Loop: Header=BB115_29 Depth=1
	s_or_b64 exec, exec, s[68:69]
	s_orn2_b64 s[68:69], s[74:75], exec
.LBB115_255:                            ;   in Loop: Header=BB115_29 Depth=1
	s_or_b64 exec, exec, s[18:19]
	s_mov_b64 s[18:19], 0
                                        ; implicit-def: $sgpr40
                                        ; implicit-def: $sgpr41
	s_and_saveexec_b64 s[6:7], s[68:69]
	s_xor_b64 s[6:7], exec, s[6:7]
	s_cbranch_execz .LBB115_27
; %bb.256:                              ;   in Loop: Header=BB115_29 Depth=1
	v_and_b32_e32 v1, 7, v7
	v_cmp_eq_u32_e32 vcc, 0, v1
	s_mov_b64 s[16:17], -1
	s_mov_b64 s[18:19], -1
                                        ; implicit-def: $sgpr40
                                        ; implicit-def: $sgpr41
	s_and_saveexec_b64 s[66:67], vcc
	s_cbranch_execz .LBB115_26
; %bb.257:                              ;   in Loop: Header=BB115_29 Depth=1
	s_xor_b32 s41, s46, 1
	s_add_i32 s40, s12, -2
	s_cmp_eq_u32 s12, 0
	s_cselect_b64 s[12:13], -1, 0
	s_xor_b64 s[18:19], exec, -1
	s_orn2_b64 s[16:17], s[12:13], exec
	s_branch .LBB115_26
.LBB115_258:
	s_or_b64 exec, exec, s[50:51]
	s_xor_b64 s[8:9], s[56:57], -1
	s_xor_b64 s[0:1], s[52:53], -1
	s_xor_b64 s[6:7], s[54:55], -1
	s_mov_b64 s[4:5], 0
	s_and_saveexec_b64 s[2:3], s[0:1]
	s_xor_b64 s[2:3], exec, s[2:3]
	s_cbranch_execnz .LBB115_263
; %bb.259:
	s_andn2_saveexec_b64 s[0:1], s[2:3]
	s_cbranch_execnz .LBB115_276
.LBB115_260:
	s_or_b64 exec, exec, s[0:1]
	s_and_saveexec_b64 s[0:1], s[4:5]
.LBB115_261:
	; divergent unreachable
.LBB115_262:
	s_endpgm
.LBB115_263:
	s_and_saveexec_b64 s[0:1], s[8:9]
	s_xor_b64 s[4:5], exec, s[0:1]
	s_cbranch_execz .LBB115_274
; %bb.264:
	s_and_saveexec_b64 s[0:1], s[6:7]
	s_xor_b64 s[6:7], exec, s[0:1]
; %bb.265:
	v_lshrrev_b32_e32 v1, 31, v19
	v_add_co_u32_e32 v1, vcc, -1, v1
	v_addc_co_u32_e64 v2, s[0:1], 0, -1, vcc
	v_or_b32_e32 v2, 0x80000000, v2
	v_xor_b32_e32 v6, v2, v19
	v_xor_b32_e32 v5, v1, v18
; %bb.266:
	s_or_b64 exec, exec, s[6:7]
	s_mul_i32 s0, s94, s25
	s_add_i32 s0, s0, s29
	s_mov_b32 s1, 0
	s_lshl_b64 s[0:1], s[0:1], 3
	v_readlane_b32 s6, v47, 0
	v_readlane_b32 s7, v47, 1
	s_add_u32 s0, s6, s0
	s_addc_u32 s1, s7, s1
	v_mov_b32_e32 v12, 0
	global_store_dwordx2 v12, v[5:6], s[0:1]
	s_mov_b64 s[6:7], exec
	v_readlane_b32 s0, v47, 4
	v_readlane_b32 s1, v47, 5
	s_and_b64 s[0:1], s[6:7], s[0:1]
	s_mov_b64 exec, s[0:1]
	s_cbranch_execz .LBB115_273
; %bb.267:
	v_cmp_u_f64_e32 vcc, v[5:6], v[5:6]
	s_mov_b64 s[8:9], 0
	v_mov_b32_e32 v2, s34
                                        ; implicit-def: $sgpr10_sgpr11
                                        ; implicit-def: $sgpr16_sgpr17
                                        ; implicit-def: $sgpr14_sgpr15
	s_xor_b64 s[12:13], vcc, -1
	s_branch .LBB115_269
.LBB115_268:                            ;   in Loop: Header=BB115_269 Depth=1
	s_or_b64 exec, exec, s[0:1]
	s_and_b64 s[0:1], exec, s[16:17]
	s_or_b64 s[8:9], s[0:1], s[8:9]
	s_andn2_b64 s[0:1], s[10:11], exec
	s_and_b64 s[10:11], s[14:15], exec
	s_or_b64 s[10:11], s[0:1], s[10:11]
	s_andn2_b64 exec, exec, s[8:9]
	s_cbranch_execz .LBB115_271
.LBB115_269:                            ; =>This Inner Loop Header: Depth=1
	v_lshlrev_b64 v[3:4], 3, v[11:12]
	v_mov_b32_e32 v1, v0
	v_add_co_u32_e32 v3, vcc, s33, v3
	v_addc_co_u32_e32 v4, vcc, v2, v4, vcc
	global_load_dwordx2 v[3:4], v[3:4], off
	s_or_b64 s[14:15], s[14:15], exec
	s_or_b64 s[16:17], s[16:17], exec
                                        ; implicit-def: $vgpr0
	s_waitcnt vmcnt(0)
	v_cmp_o_f64_e32 vcc, v[3:4], v[3:4]
	v_cmp_neq_f64_e64 s[0:1], v[3:4], v[5:6]
	s_or_b64 s[18:19], vcc, s[12:13]
	s_and_b64 s[18:19], s[0:1], s[18:19]
	s_and_saveexec_b64 s[0:1], s[18:19]
	s_cbranch_execz .LBB115_268
; %bb.270:                              ;   in Loop: Header=BB115_269 Depth=1
	v_add_u32_e32 v0, s27, v1
	v_cmp_le_u32_e32 vcc, s24, v0
	s_andn2_b64 s[16:17], s[16:17], exec
	s_and_b64 s[18:19], vcc, exec
	v_add_u32_e32 v11, s35, v11
	s_andn2_b64 s[14:15], s[14:15], exec
	s_or_b64 s[16:17], s[16:17], s[18:19]
	s_branch .LBB115_268
.LBB115_271:
	s_or_b64 exec, exec, s[8:9]
	s_and_saveexec_b64 s[0:1], s[10:11]
	s_xor_b64 s[0:1], exec, s[0:1]
	s_cbranch_execz .LBB115_273
; %bb.272:
	s_mul_i32 s0, s95, s28
	s_add_i32 s0, s0, s31
	s_mov_b32 s1, 0
	s_lshl_b64 s[0:1], s[0:1], 3
	v_readlane_b32 s8, v47, 2
	v_readlane_b32 s9, v47, 3
	s_add_u32 s0, s8, s0
	s_addc_u32 s1, s9, s1
	v_mov_b32_e32 v2, 0
	global_store_dwordx2 v2, v[1:2], s[0:1]
.LBB115_273:
	s_or_b64 exec, exec, s[6:7]
.LBB115_274:
	s_or_saveexec_b64 s[0:1], s[4:5]
	s_mov_b64 s[4:5], 0
	s_xor_b64 exec, exec, s[0:1]
	s_cbranch_execnz .LBB115_277
.LBB115_275:
	s_or_b64 exec, exec, s[0:1]
	s_and_b64 s[4:5], s[4:5], exec
	s_andn2_saveexec_b64 s[0:1], s[2:3]
	s_cbranch_execz .LBB115_260
.LBB115_276:
	s_or_b64 s[4:5], s[4:5], exec
	s_trap 2
	s_or_b64 exec, exec, s[0:1]
	s_and_saveexec_b64 s[0:1], s[4:5]
	s_cbranch_execnz .LBB115_261
	s_branch .LBB115_262
.LBB115_277:
	s_mov_b64 s[4:5], exec
	s_trap 2
	s_branch .LBB115_275
	.section	.rodata,"a",@progbits
	.p2align	6, 0x0
	.amdhsa_kernel _ZN2at6native12_GLOBAL__N_112gatherMedianIdjLin1EEEvNS_4cuda6detail10TensorInfoIT_T0_EENS5_IlS7_EENS5_IKS6_S7_EES7_S7_S7_b
		.amdhsa_group_segment_fixed_size 4120
		.amdhsa_private_segment_fixed_size 0
		.amdhsa_kernarg_size 920
		.amdhsa_user_sgpr_count 6
		.amdhsa_user_sgpr_private_segment_buffer 1
		.amdhsa_user_sgpr_dispatch_ptr 0
		.amdhsa_user_sgpr_queue_ptr 0
		.amdhsa_user_sgpr_kernarg_segment_ptr 1
		.amdhsa_user_sgpr_dispatch_id 0
		.amdhsa_user_sgpr_flat_scratch_init 0
		.amdhsa_user_sgpr_private_segment_size 0
		.amdhsa_uses_dynamic_stack 0
		.amdhsa_system_sgpr_private_segment_wavefront_offset 0
		.amdhsa_system_sgpr_workgroup_id_x 1
		.amdhsa_system_sgpr_workgroup_id_y 1
		.amdhsa_system_sgpr_workgroup_id_z 1
		.amdhsa_system_sgpr_workgroup_info 0
		.amdhsa_system_vgpr_workitem_id 0
		.amdhsa_next_free_vgpr 48
		.amdhsa_next_free_sgpr 96
		.amdhsa_reserve_vcc 1
		.amdhsa_reserve_flat_scratch 0
		.amdhsa_float_round_mode_32 0
		.amdhsa_float_round_mode_16_64 0
		.amdhsa_float_denorm_mode_32 3
		.amdhsa_float_denorm_mode_16_64 3
		.amdhsa_dx10_clamp 1
		.amdhsa_ieee_mode 1
		.amdhsa_fp16_overflow 0
		.amdhsa_exception_fp_ieee_invalid_op 0
		.amdhsa_exception_fp_denorm_src 0
		.amdhsa_exception_fp_ieee_div_zero 0
		.amdhsa_exception_fp_ieee_overflow 0
		.amdhsa_exception_fp_ieee_underflow 0
		.amdhsa_exception_fp_ieee_inexact 0
		.amdhsa_exception_int_div_zero 0
	.end_amdhsa_kernel
	.section	.text._ZN2at6native12_GLOBAL__N_112gatherMedianIdjLin1EEEvNS_4cuda6detail10TensorInfoIT_T0_EENS5_IlS7_EENS5_IKS6_S7_EES7_S7_S7_b,"axG",@progbits,_ZN2at6native12_GLOBAL__N_112gatherMedianIdjLin1EEEvNS_4cuda6detail10TensorInfoIT_T0_EENS5_IlS7_EENS5_IKS6_S7_EES7_S7_S7_b,comdat
.Lfunc_end115:
	.size	_ZN2at6native12_GLOBAL__N_112gatherMedianIdjLin1EEEvNS_4cuda6detail10TensorInfoIT_T0_EENS5_IlS7_EENS5_IKS6_S7_EES7_S7_S7_b, .Lfunc_end115-_ZN2at6native12_GLOBAL__N_112gatherMedianIdjLin1EEEvNS_4cuda6detail10TensorInfoIT_T0_EENS5_IlS7_EENS5_IKS6_S7_EES7_S7_S7_b
                                        ; -- End function
	.set _ZN2at6native12_GLOBAL__N_112gatherMedianIdjLin1EEEvNS_4cuda6detail10TensorInfoIT_T0_EENS5_IlS7_EENS5_IKS6_S7_EES7_S7_S7_b.num_vgpr, 48
	.set _ZN2at6native12_GLOBAL__N_112gatherMedianIdjLin1EEEvNS_4cuda6detail10TensorInfoIT_T0_EENS5_IlS7_EENS5_IKS6_S7_EES7_S7_S7_b.num_agpr, 0
	.set _ZN2at6native12_GLOBAL__N_112gatherMedianIdjLin1EEEvNS_4cuda6detail10TensorInfoIT_T0_EENS5_IlS7_EENS5_IKS6_S7_EES7_S7_S7_b.numbered_sgpr, 96
	.set _ZN2at6native12_GLOBAL__N_112gatherMedianIdjLin1EEEvNS_4cuda6detail10TensorInfoIT_T0_EENS5_IlS7_EENS5_IKS6_S7_EES7_S7_S7_b.num_named_barrier, 0
	.set _ZN2at6native12_GLOBAL__N_112gatherMedianIdjLin1EEEvNS_4cuda6detail10TensorInfoIT_T0_EENS5_IlS7_EENS5_IKS6_S7_EES7_S7_S7_b.private_seg_size, 0
	.set _ZN2at6native12_GLOBAL__N_112gatherMedianIdjLin1EEEvNS_4cuda6detail10TensorInfoIT_T0_EENS5_IlS7_EENS5_IKS6_S7_EES7_S7_S7_b.uses_vcc, 1
	.set _ZN2at6native12_GLOBAL__N_112gatherMedianIdjLin1EEEvNS_4cuda6detail10TensorInfoIT_T0_EENS5_IlS7_EENS5_IKS6_S7_EES7_S7_S7_b.uses_flat_scratch, 0
	.set _ZN2at6native12_GLOBAL__N_112gatherMedianIdjLin1EEEvNS_4cuda6detail10TensorInfoIT_T0_EENS5_IlS7_EENS5_IKS6_S7_EES7_S7_S7_b.has_dyn_sized_stack, 0
	.set _ZN2at6native12_GLOBAL__N_112gatherMedianIdjLin1EEEvNS_4cuda6detail10TensorInfoIT_T0_EENS5_IlS7_EENS5_IKS6_S7_EES7_S7_S7_b.has_recursion, 0
	.set _ZN2at6native12_GLOBAL__N_112gatherMedianIdjLin1EEEvNS_4cuda6detail10TensorInfoIT_T0_EENS5_IlS7_EENS5_IKS6_S7_EES7_S7_S7_b.has_indirect_call, 0
	.section	.AMDGPU.csdata,"",@progbits
; Kernel info:
; codeLenInByte = 10272
; TotalNumSgprs: 100
; NumVgprs: 48
; ScratchSize: 0
; MemoryBound: 0
; FloatMode: 240
; IeeeMode: 1
; LDSByteSize: 4120 bytes/workgroup (compile time only)
; SGPRBlocks: 12
; VGPRBlocks: 11
; NumSGPRsForWavesPerEU: 100
; NumVGPRsForWavesPerEU: 48
; Occupancy: 5
; WaveLimiterHint : 1
; COMPUTE_PGM_RSRC2:SCRATCH_EN: 0
; COMPUTE_PGM_RSRC2:USER_SGPR: 6
; COMPUTE_PGM_RSRC2:TRAP_HANDLER: 0
; COMPUTE_PGM_RSRC2:TGID_X_EN: 1
; COMPUTE_PGM_RSRC2:TGID_Y_EN: 1
; COMPUTE_PGM_RSRC2:TGID_Z_EN: 1
; COMPUTE_PGM_RSRC2:TIDIG_COMP_CNT: 0
	.section	.text._ZN2at6native12_GLOBAL__N_112gatherMedianIdmLi1EEEvNS_4cuda6detail10TensorInfoIT_T0_EENS5_IlS7_EENS5_IKS6_S7_EES7_S7_S7_b,"axG",@progbits,_ZN2at6native12_GLOBAL__N_112gatherMedianIdmLi1EEEvNS_4cuda6detail10TensorInfoIT_T0_EENS5_IlS7_EENS5_IKS6_S7_EES7_S7_S7_b,comdat
	.globl	_ZN2at6native12_GLOBAL__N_112gatherMedianIdmLi1EEEvNS_4cuda6detail10TensorInfoIT_T0_EENS5_IlS7_EENS5_IKS6_S7_EES7_S7_S7_b ; -- Begin function _ZN2at6native12_GLOBAL__N_112gatherMedianIdmLi1EEEvNS_4cuda6detail10TensorInfoIT_T0_EENS5_IlS7_EENS5_IKS6_S7_EES7_S7_S7_b
	.p2align	8
	.type	_ZN2at6native12_GLOBAL__N_112gatherMedianIdmLi1EEEvNS_4cuda6detail10TensorInfoIT_T0_EENS5_IlS7_EENS5_IKS6_S7_EES7_S7_S7_b,@function
_ZN2at6native12_GLOBAL__N_112gatherMedianIdmLi1EEEvNS_4cuda6detail10TensorInfoIT_T0_EENS5_IlS7_EENS5_IKS6_S7_EES7_S7_S7_b: ; @_ZN2at6native12_GLOBAL__N_112gatherMedianIdmLi1EEEvNS_4cuda6detail10TensorInfoIT_T0_EENS5_IlS7_EENS5_IKS6_S7_EES7_S7_S7_b
; %bb.0:
	s_load_dwordx2 s[10:11], s[4:5], 0x500
	s_load_dwordx4 s[20:23], s[4:5], 0x4e0
	s_add_u32 s12, s4, 0x500
	s_addc_u32 s13, s5, 0
	s_mov_b32 s3, 0
	s_waitcnt lgkmcnt(0)
	s_mul_i32 s0, s11, s8
	s_add_i32 s0, s0, s7
	s_mul_i32 s0, s0, s10
	s_add_i32 s2, s0, s6
	v_mov_b32_e32 v1, s2
	v_mov_b32_e32 v2, s3
	v_cmp_le_u64_e32 vcc, s[22:23], v[1:2]
	s_cbranch_vccnz .LBB116_290
; %bb.1:
	s_load_dwordx2 s[34:35], s[4:5], 0x4f0
	s_load_dwordx2 s[0:1], s[4:5], 0x410
	;; [unrolled: 1-line block ×4, first 2 shown]
                                        ; implicit-def: $vgpr54 : SGPR spill to VGPR lane
	v_mov_b32_e32 v1, 0
	v_cmp_gt_u64_e64 s[16:17], s[20:21], v[0:1]
	s_waitcnt lgkmcnt(0)
	s_mul_i32 s1, s1, s2
	v_mov_b32_e32 v2, 0
	v_writelane_b32 v54, s14, 0
	v_writelane_b32 v54, s15, 1
	s_load_dwordx2 s[14:15], s[4:5], 0x1a0
	v_mov_b32_e32 v3, 0
	s_waitcnt lgkmcnt(0)
	v_writelane_b32 v54, s14, 2
	v_writelane_b32 v54, s15, 3
	s_load_dwordx2 s[14:15], s[4:5], 0xd0
	s_waitcnt lgkmcnt(0)
	v_writelane_b32 v54, s14, 4
	v_writelane_b32 v54, s15, 5
	s_load_dwordx2 s[14:15], s[4:5], 0x0
	s_waitcnt lgkmcnt(0)
	v_writelane_b32 v54, s14, 6
	v_writelane_b32 v54, s15, 7
	s_mov_b32 s14, s2
	s_mul_hi_u32 s2, s0, s2
	s_add_i32 s15, s2, s1
	s_mov_b32 s2, s14
	v_writelane_b32 v54, s2, 8
	v_writelane_b32 v54, s3, 9
	s_mul_i32 s14, s0, s14
	v_writelane_b32 v54, s16, 10
	v_writelane_b32 v54, s17, 11
	s_and_saveexec_b64 s[2:3], s[16:17]
	s_cbranch_execz .LBB116_5
; %bb.2:
	v_mad_u64_u32 v[2:3], s[0:1], s34, v0, 0
	s_load_dword s7, s[12:13], 0xc
	s_lshl_b64 s[16:17], s[14:15], 3
	v_mad_u64_u32 v[3:4], s[0:1], s35, v0, v[3:4]
	v_mov_b32_e32 v7, v1
	s_waitcnt lgkmcnt(0)
	s_and_b32 s0, s7, 0xffff
	s_add_u32 s1, s8, s16
	v_lshlrev_b64 v[2:3], 3, v[2:3]
	s_addc_u32 s7, s9, s17
	v_mov_b32_e32 v5, s7
	v_add_co_u32_e32 v4, vcc, s1, v2
	s_mul_i32 s1, s35, s0
	s_mul_hi_u32 s7, s34, s0
	s_add_i32 s17, s7, s1
	s_mul_i32 s16, s34, s0
	v_addc_co_u32_e32 v5, vcc, v5, v3, vcc
	s_lshl_b64 s[18:19], s[16:17], 3
	v_mov_b32_e32 v2, 0
	s_mov_b64 s[16:17], 0
	v_mov_b32_e32 v3, 0
	v_mov_b32_e32 v8, s19
	;; [unrolled: 1-line block ×3, first 2 shown]
.LBB116_3:                              ; =>This Inner Loop Header: Depth=1
	global_load_dwordx2 v[9:10], v[4:5], off
	v_add_co_u32_e32 v6, vcc, s0, v6
	v_addc_co_u32_e32 v7, vcc, 0, v7, vcc
	v_add_co_u32_e32 v4, vcc, s18, v4
	v_addc_co_u32_e32 v5, vcc, v5, v8, vcc
	v_cmp_le_u64_e32 vcc, s[20:21], v[6:7]
	s_or_b64 s[16:17], vcc, s[16:17]
	s_waitcnt vmcnt(0)
	v_cmp_u_f64_e32 vcc, v[9:10], v[9:10]
	v_cndmask_b32_e64 v9, 0, 1, vcc
	v_add_co_u32_e32 v2, vcc, v2, v9
	v_addc_co_u32_e32 v3, vcc, 0, v3, vcc
	s_andn2_b64 exec, exec, s[16:17]
	s_cbranch_execnz .LBB116_3
; %bb.4:
	s_or_b64 exec, exec, s[16:17]
.LBB116_5:
	s_or_b64 exec, exec, s[2:3]
	v_cmp_eq_u32_e64 s[2:3], 0, v0
	s_mov_b64 s[0:1], exec
	v_writelane_b32 v54, s2, 12
	v_writelane_b32 v54, s3, 13
	s_and_b64 s[2:3], s[0:1], s[2:3]
	s_mov_b64 exec, s[2:3]
; %bb.6:
	v_mov_b32_e32 v4, 0
	v_mov_b32_e32 v5, v4
	ds_write_b64 v4, v[4:5] offset:5136
; %bb.7:
	s_or_b64 exec, exec, s[0:1]
	v_cmp_ne_u64_e32 vcc, 0, v[2:3]
	s_mov_b64 s[18:19], 0
	s_waitcnt lgkmcnt(0)
	s_barrier
	s_and_saveexec_b64 s[16:17], vcc
	s_cbranch_execz .LBB116_12
; %bb.8:
	s_mov_b64 s[0:1], exec
.LBB116_9:                              ; =>This Inner Loop Header: Depth=1
	s_ff1_i32_b64 s2, s[0:1]
	v_readlane_b32 s7, v2, s2
	v_readlane_b32 s3, v3, s2
	s_add_u32 s18, s18, s7
	s_addc_u32 s19, s19, s3
	s_lshl_b64 s[2:3], 1, s2
	s_andn2_b64 s[0:1], s[0:1], s[2:3]
	s_cmp_lg_u64 s[0:1], 0
	s_cbranch_scc1 .LBB116_9
; %bb.10:
	v_mbcnt_lo_u32_b32 v2, exec_lo, 0
	v_mbcnt_hi_u32_b32 v2, exec_hi, v2
	v_cmp_eq_u32_e32 vcc, 0, v2
	s_and_saveexec_b64 s[0:1], vcc
	s_xor_b64 s[0:1], exec, s[0:1]
; %bb.11:
	v_mov_b32_e32 v2, s18
	v_mov_b32_e32 v4, 0
	;; [unrolled: 1-line block ×3, first 2 shown]
	ds_add_u64 v4, v[2:3] offset:5136
.LBB116_12:
	s_or_b64 exec, exec, s[16:17]
	v_mov_b32_e32 v2, 0
	s_load_dword s0, s[4:5], 0x4f8
	s_waitcnt lgkmcnt(0)
	s_barrier
	ds_read_b64 v[2:3], v2 offset:5136
	s_bitcmp1_b32 s0, 0
	s_cselect_b64 s[0:1], -1, 0
	v_mov_b32_e32 v33, s21
	v_mov_b32_e32 v32, s20
	s_waitcnt lgkmcnt(0)
	v_cmp_gt_i64_e32 vcc, 1, v[2:3]
	s_or_b64 s[0:1], s[0:1], vcc
	s_andn2_b64 vcc, exec, s[0:1]
	s_cbranch_vccnz .LBB116_14
; %bb.13:
	v_not_b32_e32 v2, v2
	v_not_b32_e32 v3, v3
	v_mov_b32_e32 v4, s21
	v_add_co_u32_e32 v2, vcc, s20, v2
	v_addc_co_u32_e32 v3, vcc, v4, v3, vcc
	v_lshrrev_b64 v[2:3], 1, v[2:3]
	v_add_co_u32_e32 v32, vcc, 1, v2
	v_addc_co_u32_e32 v33, vcc, 0, v3, vcc
.LBB116_14:
	s_mov_b64 s[0:1], exec
	v_readlane_b32 s2, v54, 12
	v_readlane_b32 s3, v54, 13
	s_and_b64 s[2:3], s[0:1], s[2:3]
	s_mov_b64 exec, s[2:3]
	s_cbranch_execz .LBB116_16
; %bb.15:
	v_mov_b32_e32 v2, 0
	v_mov_b32_e32 v4, s20
	;; [unrolled: 1-line block ×4, first 2 shown]
	ds_write_b32 v2, v2 offset:5144
	ds_write_b128 v2, v[2:5] offset:5120
.LBB116_16:
	s_or_b64 exec, exec, s[0:1]
	s_lshl_b64 s[0:1], s[14:15], 3
	s_add_u32 s38, s8, s0
	v_mbcnt_lo_u32_b32 v2, -1, 0
	s_addc_u32 s39, s9, s1
	v_mbcnt_hi_u32_b32 v38, -1, v2
	v_mad_u64_u32 v[2:3], s[0:1], s34, v0, 0
	s_waitcnt lgkmcnt(0)
	s_barrier
	v_mad_u64_u32 v[3:4], s[0:1], s35, v0, v[3:4]
	v_mov_b32_e32 v4, 0x180
	v_mov_b32_e32 v5, 0
	v_cmp_gt_u64_e64 s[0:1], s[20:21], v[4:5]
	v_lshlrev_b64 v[4:5], 3, v[2:3]
	v_writelane_b32 v54, s0, 14
	v_cmp_gt_u32_e32 vcc, 64, v0
	v_cmp_gt_i32_e64 s[8:9], 4, v38
	v_writelane_b32 v54, s1, 15
	s_load_dword s0, s[12:13], 0xc
	s_and_b64 s[42:43], vcc, s[8:9]
	v_mov_b32_e32 v6, s39
	v_add_co_u32_e32 v16, vcc, s38, v4
	v_addc_co_u32_e32 v17, vcc, v6, v5, vcc
	v_lshlrev_b32_e32 v6, 2, v38
	v_lshlrev_b64 v[4:5], v38, -1
	v_and_b32_e32 v41, 0x100, v6
	v_lshlrev_b32_e32 v6, 5, v0
	v_not_b32_e32 v42, v5
	v_or_b32_e32 v5, 24, v6
	s_waitcnt lgkmcnt(0)
	s_and_b32 s25, s0, 0xffff
	s_bfe_u32 s2, s0, 0xa0006
	v_mad_u64_u32 v[22:23], s[0:1], s34, v5, 0
	v_not_b32_e32 v43, v4
	s_cmp_gt_u32 s25, 63
	v_mov_b32_e32 v4, v23
	v_mad_u64_u32 v[4:5], s[0:1], s35, v5, v[4:5]
	v_or_b32_e32 v5, 16, v6
	v_mad_u64_u32 v[23:24], s[0:1], s34, v5, 0
	v_or_b32_e32 v6, 8, v6
	v_mad_u64_u32 v[25:26], s[0:1], s34, v6, 0
	s_cselect_b64 s[44:45], -1, 0
	s_add_u32 s3, s25, -1
	s_addc_u32 s24, 0, -1
	v_mov_b32_e32 v44, v4
	v_mov_b32_e32 v4, v24
	s_add_u32 s8, s3, s20
	v_mad_u64_u32 v[4:5], s[0:1], s35, v5, v[4:5]
	s_addc_u32 s47, s24, s21
	v_mov_b32_e32 v5, v26
	v_mad_u64_u32 v[5:6], s[0:1], s35, v6, v[5:6]
	s_cmp_lt_u32 s6, s10
	s_cselect_b32 s0, 12, 18
	s_add_u32 s48, s12, s0
	s_addc_u32 s49, s13, 0
	s_add_i32 s0, s2, -1
	s_bfe_u32 s1, s25, 0x30006
	s_and_b32 s0, s0, 0xffff
	s_cmp_gt_u32 s0, 6
	v_writelane_b32 v54, s3, 16
	s_cselect_b64 s[6:7], -1, 0
	v_writelane_b32 v54, s6, 17
	s_and_b32 s9, s2, 0x3f8
	v_writelane_b32 v54, s7, 18
	s_cmp_lg_u32 s1, 0
	v_writelane_b32 v54, s1, 19
	s_cselect_b64 s[0:1], -1, 0
	v_lshrrev_b32_e32 v6, 1, v0
	v_writelane_b32 v54, s0, 20
	v_and_b32_e32 v6, 0x1e0, v6
	v_writelane_b32 v54, s1, 21
	s_mul_i32 s0, s35, s25
	s_mul_hi_u32 s1, s34, s25
	v_lshlrev_b32_e32 v39, 3, v0
	v_mov_b32_e32 v21, 0
	v_or_b32_e32 v24, 0xc00, v6
	v_lshlrev_b64 v[28:29], 5, v[2:3]
	v_mov_b32_e32 v2, 0xc00
	s_add_i32 s1, s1, s0
	s_mul_i32 s0, s34, s25
	v_mov_b32_e32 v26, 0
	v_mov_b32_e32 v30, 0
	;; [unrolled: 1-line block ×3, first 2 shown]
	s_mov_b32 s41, 0
	v_cmp_eq_u32_e64 s[4:5], 0, v38
	v_cmp_gt_u32_e64 s[16:17], 2, v0
	v_add_u32_e32 v40, 0xc00, v39
	v_lshlrev_b32_e32 v18, 2, v0
	v_mov_b32_e32 v19, v21
	s_lshl_b64 s[54:55], s[34:35], 3
	s_lshl_b64 s[56:57], s[34:35], 5
	v_mov_b32_e32 v45, v4
	v_mov_b32_e32 v46, v5
	v_lshlrev_b32_e32 v47, 5, v0
	v_lshl_or_b32 v48, v38, 3, v2
	s_lshl_b32 s2, s25, 3
	s_lshl_b64 s[36:37], s[0:1], 3
	s_mov_b32 s3, 62
	s_mov_b64 s[58:59], 0
	s_mov_b32 s33, 0
	v_mov_b32_e32 v49, 0x4f800000
	v_mov_b32_e32 v27, 0
	;; [unrolled: 1-line block ×5, first 2 shown]
                                        ; implicit-def: $sgpr60_sgpr61
                                        ; implicit-def: $sgpr64_sgpr65
                                        ; implicit-def: $sgpr62_sgpr63
                                        ; implicit-def: $sgpr68_sgpr69
                                        ; implicit-def: $sgpr70_sgpr71
                                        ; implicit-def: $sgpr66_sgpr67
	s_branch .LBB116_20
.LBB116_17:                             ;   in Loop: Header=BB116_20 Depth=1
	s_or_b64 exec, exec, s[18:19]
	s_and_b64 s[0:1], s[0:1], exec
	s_andn2_b64 s[78:79], s[78:79], exec
	s_andn2_b64 s[6:7], s[6:7], exec
	s_orn2_b64 s[18:19], s[12:13], exec
.LBB116_18:                             ;   in Loop: Header=BB116_20 Depth=1
	s_or_b64 exec, exec, s[10:11]
	s_andn2_b64 s[10:11], s[66:67], exec
	s_and_b64 s[0:1], s[0:1], exec
	s_or_b64 s[66:67], s[10:11], s[0:1]
	s_andn2_b64 s[0:1], s[70:71], exec
	s_and_b64 s[10:11], s[78:79], exec
	s_or_b64 s[70:71], s[0:1], s[10:11]
	;; [unrolled: 3-line block ×3, first 2 shown]
	s_orn2_b64 s[6:7], s[18:19], exec
.LBB116_19:                             ;   in Loop: Header=BB116_20 Depth=1
	s_or_b64 exec, exec, s[14:15]
	s_and_b64 s[0:1], exec, s[6:7]
	s_or_b64 s[58:59], s[0:1], s[58:59]
	s_andn2_b64 s[0:1], s[62:63], exec
	s_and_b64 s[6:7], s[66:67], exec
	s_or_b64 s[62:63], s[0:1], s[6:7]
	s_andn2_b64 s[0:1], s[64:65], exec
	s_and_b64 s[6:7], s[70:71], exec
	s_or_b64 s[64:65], s[0:1], s[6:7]
	s_andn2_b64 s[0:1], s[60:61], exec
	s_and_b64 s[6:7], s[68:69], exec
	v_mov_b32_e32 v33, v13
	s_or_b64 s[60:61], s[0:1], s[6:7]
	v_mov_b32_e32 v32, v12
	s_andn2_b64 exec, exec, s[58:59]
	s_cbranch_execz .LBB116_286
.LBB116_20:                             ; =>This Loop Header: Depth=1
                                        ;     Child Loop BB116_26 Depth 2
                                        ;     Child Loop BB116_39 Depth 2
                                        ;     Child Loop BB116_73 Depth 2
                                        ;     Child Loop BB116_77 Depth 2
                                        ;     Child Loop BB116_62 Depth 2
                                        ;     Child Loop BB116_67 Depth 2
                                        ;     Child Loop BB116_55 Depth 2
                                        ;     Child Loop BB116_84 Depth 2
                                        ;     Child Loop BB116_98 Depth 2
                                        ;     Child Loop BB116_113 Depth 2
                                        ;     Child Loop BB116_143 Depth 2
                                        ;     Child Loop BB116_163 Depth 2
                                        ;     Child Loop BB116_194 Depth 2
                                        ;     Child Loop BB116_211 Depth 2
                                        ;     Child Loop BB116_241 Depth 2
                                        ;     Child Loop BB116_258 Depth 2
	ds_read_b128 v[8:11], v21 offset:5120
	s_waitcnt lgkmcnt(0)
	v_readfirstlane_b32 s19, v9
	v_readfirstlane_b32 s18, v8
	s_cmp_lg_u64 s[18:19], 0
	s_cbranch_scc1 .LBB116_47
; %bb.21:                               ;   in Loop: Header=BB116_20 Depth=1
	v_readlane_b32 s0, v54, 14
	v_readlane_b32 s1, v54, 15
	s_and_b64 vcc, exec, s[0:1]
	s_cbranch_vccz .LBB116_34
; %bb.22:                               ;   in Loop: Header=BB116_20 Depth=1
	s_mov_b64 s[0:1], 0x181
	v_cmp_gt_u64_e32 vcc, s[0:1], v[10:11]
	s_mov_b64 s[12:13], 0
	s_mov_b64 s[0:1], 0
	s_cbranch_vccz .LBB116_35
; %bb.23:                               ;   in Loop: Header=BB116_20 Depth=1
	s_mov_b64 s[14:15], exec
	v_readlane_b32 s0, v54, 10
	v_readlane_b32 s1, v54, 11
	s_and_b64 s[0:1], s[14:15], s[0:1]
	s_mov_b64 exec, s[0:1]
	s_cbranch_execz .LBB116_148
; %bb.24:                               ;   in Loop: Header=BB116_20 Depth=1
	global_load_ushort v2, v21, s[48:49]
	global_load_dwordx2 v[8:9], v[16:17], off
	v_mov_b32_e32 v4, s38
	v_mov_b32_e32 v5, s39
	s_mov_b64 s[18:19], 0
	s_waitcnt vmcnt(1)
	v_readfirstlane_b32 s0, v2
	s_and_b32 s6, 0xffff, s0
	v_add_u32_e32 v10, s6, v0
	v_mad_u64_u32 v[4:5], s[0:1], s54, v10, v[4:5]
	s_mul_i32 s7, s55, s6
	s_mul_i32 s28, s54, s6
	v_mad_u64_u32 v[10:11], s[0:1], s55, v10, v[5:6]
	s_mul_hi_u32 s0, s54, s6
	s_add_i32 s29, s0, s7
	v_mov_b32_e32 v5, v10
	v_mov_b32_e32 v11, v1
	v_mov_b32_e32 v10, v0
	s_branch .LBB116_26
.LBB116_25:                             ;   in Loop: Header=BB116_26 Depth=2
	s_or_b64 exec, exec, s[0:1]
	v_mov_b32_e32 v8, s29
	v_add_co_u32_e32 v4, vcc, s28, v4
	v_addc_co_u32_e32 v5, vcc, v5, v8, vcc
	v_mov_b32_e32 v8, v12
	v_mov_b32_e32 v9, v13
	s_andn2_b64 exec, exec, s[18:19]
	s_cbranch_execz .LBB116_148
.LBB116_26:                             ;   Parent Loop BB116_20 Depth=1
                                        ; =>  This Inner Loop Header: Depth=2
	v_add_co_u32_sdwa v10, vcc, v10, v2 dst_sel:DWORD dst_unused:UNUSED_PAD src0_sel:DWORD src1_sel:WORD_0
	v_addc_co_u32_e32 v11, vcc, 0, v11, vcc
	v_cmp_gt_u64_e64 s[6:7], s[20:21], v[10:11]
	v_cmp_le_u64_e32 vcc, s[20:21], v[10:11]
	v_mov_b32_e32 v12, 0
	v_mov_b32_e32 v13, 0
	s_and_saveexec_b64 s[0:1], s[6:7]
	s_cbranch_execz .LBB116_28
; %bb.27:                               ;   in Loop: Header=BB116_26 Depth=2
	global_load_dwordx2 v[12:13], v[4:5], off
.LBB116_28:                             ;   in Loop: Header=BB116_26 Depth=2
	s_or_b64 exec, exec, s[0:1]
	s_waitcnt vmcnt(0)
	v_cmp_o_f64_e64 s[6:7], v[8:9], v[8:9]
	s_waitcnt lgkmcnt(0)
	v_ashrrev_i32_e32 v14, 31, v9
	v_or_b32_e32 v15, 0x80000000, v14
	v_xor_b32_e32 v15, v15, v9
	v_xor_b32_e32 v14, v14, v8
	v_cndmask_b32_e64 v15, -1, v15, s[6:7]
	v_cndmask_b32_e64 v14, -1, v14, s[6:7]
	v_and_b32_e32 v15, v15, v31
	v_and_b32_e32 v14, v14, v30
	v_cmp_eq_u64_e64 s[10:11], v[14:15], v[26:27]
	v_mov_b32_e32 v14, 0
	s_cmp_lg_u64 s[10:11], 0
	s_cselect_b64 s[0:1], -1, 0
	s_and_b64 s[6:7], s[4:5], s[0:1]
	s_and_saveexec_b64 s[0:1], s[6:7]
	s_cbranch_execz .LBB116_32
; %bb.29:                               ;   in Loop: Header=BB116_26 Depth=2
	s_mov_b64 s[26:27], exec
	v_mbcnt_lo_u32_b32 v14, s26, 0
	v_mbcnt_hi_u32_b32 v14, s27, v14
	s_bcnt1_i32_b64 s30, s[10:11]
	v_cmp_eq_u32_e64 s[6:7], 0, v14
                                        ; implicit-def: $vgpr15
	s_and_saveexec_b64 s[22:23], s[6:7]
; %bb.30:                               ;   in Loop: Header=BB116_26 Depth=2
	s_bcnt1_i32_b64 s6, s[26:27]
	s_mul_i32 s6, s30, s6
	v_mov_b32_e32 v15, s6
	ds_add_rtn_u32 v15, v21, v15 offset:5144
; %bb.31:                               ;   in Loop: Header=BB116_26 Depth=2
	s_or_b64 exec, exec, s[22:23]
	s_waitcnt lgkmcnt(0)
	v_readfirstlane_b32 s6, v15
	v_mov_b32_e32 v15, s6
	v_mad_u32_u24 v14, s30, v14, v15
.LBB116_32:                             ;   in Loop: Header=BB116_26 Depth=2
	s_or_b64 exec, exec, s[0:1]
	ds_bpermute_b32 v14, v41, v14
	s_and_b64 s[0:1], exec, vcc
	s_or_b64 s[18:19], s[0:1], s[18:19]
	s_and_saveexec_b64 s[0:1], s[10:11]
	s_cbranch_execz .LBB116_25
; %bb.33:                               ;   in Loop: Header=BB116_26 Depth=2
	v_and_b32_e32 v20, s10, v43
	v_and_b32_e32 v15, s11, v42
	v_bcnt_u32_b32 v20, v20, 0
	v_bcnt_u32_b32 v15, v15, v20
	v_lshlrev_b32_e32 v15, 3, v15
	s_waitcnt lgkmcnt(0)
	v_lshl_add_u32 v14, v14, 3, v15
	ds_write_b64 v14, v[8:9]
	s_branch .LBB116_25
.LBB116_34:                             ;   in Loop: Header=BB116_20 Depth=1
	s_mov_b64 s[12:13], -1
	s_mov_b64 s[0:1], 0
.LBB116_35:                             ;   in Loop: Header=BB116_20 Depth=1
	s_and_b64 vcc, exec, s[12:13]
	s_cbranch_vccz .LBB116_45
.LBB116_36:                             ;   in Loop: Header=BB116_20 Depth=1
	s_mov_b64 s[10:11], exec
	v_readlane_b32 s0, v54, 10
	v_readlane_b32 s1, v54, 11
	s_and_b64 s[0:1], s[10:11], s[0:1]
	s_mov_b64 exec, s[0:1]
	s_cbranch_execz .LBB116_42
; %bb.37:                               ;   in Loop: Header=BB116_20 Depth=1
	global_load_ushort v2, v21, s[48:49]
	global_load_dwordx2 v[4:5], v[16:17], off
	s_waitcnt vmcnt(1)
	v_add_u32_sdwa v20, v2, v0 dst_sel:DWORD dst_unused:UNUSED_PAD src0_sel:WORD_0 src1_sel:DWORD
	v_cmp_gt_u64_e32 vcc, s[20:21], v[20:21]
	v_readfirstlane_b32 s0, v2
	v_mov_b32_e32 v2, v0
	s_and_saveexec_b64 s[12:13], vcc
	s_cbranch_execz .LBB116_41
; %bb.38:                               ;   in Loop: Header=BB116_20 Depth=1
	v_mov_b32_e32 v8, s38
	v_mov_b32_e32 v9, s39
	v_mad_u64_u32 v[8:9], s[6:7], s54, v20, v[8:9]
	s_and_b32 s0, s0, 0xffff
	s_mul_i32 s1, s55, s0
	v_mov_b32_e32 v2, v9
	v_mad_u64_u32 v[9:10], s[6:7], s55, v20, v[2:3]
	s_mul_hi_u32 s6, s54, s0
	v_mov_b32_e32 v12, v20
	v_mov_b32_e32 v15, v1
	s_add_i32 s1, s6, s1
	s_mul_i32 s18, s54, s0
	s_mov_b64 s[14:15], 0
	v_mov_b32_e32 v13, v21
	v_mov_b32_e32 v14, v0
.LBB116_39:                             ;   Parent Loop BB116_20 Depth=1
                                        ; =>  This Inner Loop Header: Depth=2
	global_load_dwordx2 v[10:11], v[8:9], off
	v_mov_b32_e32 v35, v13
	v_mov_b32_e32 v34, v12
	v_lshlrev_b32_e32 v2, 3, v14
	v_mov_b32_e32 v14, s1
	v_add_co_u32_e32 v8, vcc, s18, v8
	v_add_co_u32_e64 v12, s[6:7], s0, v34
	v_addc_co_u32_e64 v13, s[6:7], 0, v35, s[6:7]
	v_addc_co_u32_e32 v9, vcc, v9, v14, vcc
	v_cmp_le_u64_e32 vcc, s[20:21], v[12:13]
	s_waitcnt vmcnt(1)
	ds_write_b64 v2, v[4:5]
	v_mov_b32_e32 v14, v34
	s_or_b64 s[14:15], vcc, s[14:15]
	v_mov_b32_e32 v15, v35
	s_waitcnt vmcnt(0)
	v_mov_b32_e32 v4, v10
	v_mov_b32_e32 v5, v11
	s_andn2_b64 exec, exec, s[14:15]
	s_cbranch_execnz .LBB116_39
; %bb.40:                               ;   in Loop: Header=BB116_20 Depth=1
	s_or_b64 exec, exec, s[14:15]
	v_mov_b32_e32 v4, v10
	v_subrev_u32_e32 v2, s0, v12
	v_mov_b32_e32 v5, v11
.LBB116_41:                             ;   in Loop: Header=BB116_20 Depth=1
	s_or_b64 exec, exec, s[12:13]
	v_lshlrev_b32_e32 v2, 3, v2
	s_waitcnt vmcnt(0)
	ds_write_b64 v2, v[4:5]
.LBB116_42:                             ;   in Loop: Header=BB116_20 Depth=1
	s_or_b64 exec, exec, s[10:11]
	s_waitcnt lgkmcnt(0)
	s_barrier
	s_mov_b64 s[0:1], exec
	v_readlane_b32 s6, v54, 12
	v_readlane_b32 s7, v54, 13
	s_and_b64 s[6:7], s[0:1], s[6:7]
	s_mov_b64 exec, s[6:7]
; %bb.43:                               ;   in Loop: Header=BB116_20 Depth=1
	v_mov_b32_e32 v4, s20
	v_mov_b32_e32 v5, s21
	ds_write_b64 v21, v[4:5] offset:5120
; %bb.44:                               ;   in Loop: Header=BB116_20 Depth=1
	s_or_b64 exec, exec, s[0:1]
	s_mov_b64 s[0:1], -1
	s_waitcnt lgkmcnt(0)
	s_barrier
.LBB116_45:                             ;   in Loop: Header=BB116_20 Depth=1
	s_mov_b64 s[18:19], 0
	s_and_b64 vcc, exec, s[0:1]
	s_cbranch_vccz .LBB116_47
; %bb.46:                               ;   in Loop: Header=BB116_20 Depth=1
	ds_read_b64 v[4:5], v21 offset:5120
	s_waitcnt lgkmcnt(0)
	v_readfirstlane_b32 s18, v4
.LBB116_47:                             ;   in Loop: Header=BB116_20 Depth=1
	s_cmp_lt_i32 s18, 1
	s_mov_b64 s[0:1], -1
                                        ; implicit-def: $vgpr8_vgpr9
                                        ; implicit-def: $vgpr12_vgpr13
	s_cbranch_scc1 .LBB116_57
; %bb.48:                               ;   in Loop: Header=BB116_20 Depth=1
	s_and_b64 vcc, exec, s[0:1]
	s_cbranch_vccnz .LBB116_71
.LBB116_49:                             ;   in Loop: Header=BB116_20 Depth=1
	s_lshl_b32 s10, s33, 6
	s_and_saveexec_b64 s[0:1], s[4:5]
	s_cbranch_execz .LBB116_51
.LBB116_50:                             ;   in Loop: Header=BB116_20 Depth=1
	v_lshl_add_u32 v2, s10, 3, v24
	ds_write_b128 v2, v[8:11]
	ds_write_b128 v2, v[12:15] offset:16
.LBB116_51:                             ;   in Loop: Header=BB116_20 Depth=1
	s_or_b64 exec, exec, s[0:1]
	s_waitcnt lgkmcnt(0)
	s_barrier
	s_and_saveexec_b64 s[6:7], s[42:43]
	s_cbranch_execz .LBB116_86
; %bb.52:                               ;   in Loop: Header=BB116_20 Depth=1
	v_mov_b32_e32 v4, 0
	v_mov_b32_e32 v5, 0
	s_andn2_b64 vcc, exec, s[44:45]
	s_cbranch_vccnz .LBB116_85
; %bb.53:                               ;   in Loop: Header=BB116_20 Depth=1
	v_readlane_b32 s0, v54, 17
	v_readlane_b32 s1, v54, 18
	s_andn2_b64 vcc, exec, s[0:1]
	s_cbranch_vccnz .LBB116_81
; %bb.54:                               ;   in Loop: Header=BB116_20 Depth=1
	v_mov_b32_e32 v4, 0
	v_lshl_add_u32 v2, s33, 9, v48
	v_mov_b32_e32 v5, 0
	s_mov_b32 s0, 0
.LBB116_55:                             ;   Parent Loop BB116_20 Depth=1
                                        ; =>  This Inner Loop Header: Depth=2
	ds_read2_b64 v[8:11], v2 offset1:4
	ds_read2_b64 v[12:15], v2 offset0:8 offset1:12
	ds_read2_b64 v[34:37], v2 offset0:16 offset1:20
	;; [unrolled: 1-line block ×3, first 2 shown]
	s_add_i32 s0, s0, 8
	s_waitcnt lgkmcnt(3)
	v_add_co_u32_e32 v4, vcc, v8, v4
	v_addc_co_u32_e32 v5, vcc, v9, v5, vcc
	v_add_co_u32_e32 v4, vcc, v10, v4
	v_addc_co_u32_e32 v5, vcc, v11, v5, vcc
	s_waitcnt lgkmcnt(2)
	v_add_co_u32_e32 v4, vcc, v12, v4
	v_addc_co_u32_e32 v5, vcc, v13, v5, vcc
	v_add_co_u32_e32 v4, vcc, v14, v4
	v_addc_co_u32_e32 v5, vcc, v15, v5, vcc
	;; [unrolled: 5-line block ×3, first 2 shown]
	s_waitcnt lgkmcnt(0)
	v_add_co_u32_e32 v4, vcc, v50, v4
	v_addc_co_u32_e32 v5, vcc, v51, v5, vcc
	v_add_co_u32_e32 v4, vcc, v52, v4
	v_add_u32_e32 v2, 0x100, v2
	s_cmp_eq_u32 s9, s0
	v_addc_co_u32_e32 v5, vcc, v53, v5, vcc
	s_cbranch_scc0 .LBB116_55
; %bb.56:                               ;   in Loop: Header=BB116_20 Depth=1
	s_mov_b32 s0, s9
	s_branch .LBB116_82
.LBB116_57:                             ;   in Loop: Header=BB116_20 Depth=1
	global_load_ushort v2, v21, s[48:49]
	s_mov_b32 s0, s41
	s_waitcnt vmcnt(0)
	v_readfirstlane_b32 s1, v2
	s_and_b32 s19, s1, 0xffff
	s_lshl_b32 s22, s19, 2
	s_mov_b32 s1, s21
	s_cmp_lg_u64 s[0:1], 0
	s_cbranch_scc0 .LBB116_80
; %bb.58:                               ;   in Loop: Header=BB116_20 Depth=1
	v_cvt_f32_u32_e32 v2, s22
	s_sub_u32 s6, 0, s22
	s_subb_u32 s7, 0, 0
	v_mac_f32_e32 v2, 0, v49
	v_rcp_f32_e32 v2, v2
	v_mul_f32_e32 v2, 0x5f7ffffc, v2
	v_mul_f32_e32 v4, 0x2f800000, v2
	v_trunc_f32_e32 v4, v4
	v_mac_f32_e32 v2, 0xcf800000, v4
	v_cvt_u32_f32_e32 v4, v4
	v_cvt_u32_f32_e32 v2, v2
	v_readfirstlane_b32 s10, v4
	v_readfirstlane_b32 s0, v2
	s_mul_i32 s1, s6, s10
	s_mul_hi_u32 s12, s6, s0
	s_mul_i32 s11, s7, s0
	s_add_i32 s1, s12, s1
	s_mul_i32 s13, s6, s0
	s_add_i32 s1, s1, s11
	s_mul_hi_u32 s12, s0, s13
	s_mul_i32 s14, s0, s1
	s_mul_hi_u32 s11, s0, s1
	s_add_u32 s12, s12, s14
	s_addc_u32 s11, 0, s11
	s_mul_hi_u32 s15, s10, s13
	s_mul_i32 s13, s10, s13
	s_add_u32 s12, s12, s13
	s_mul_hi_u32 s14, s10, s1
	s_addc_u32 s11, s11, s15
	s_addc_u32 s12, s14, 0
	s_mul_i32 s1, s10, s1
	s_add_u32 s1, s11, s1
	s_addc_u32 s11, 0, s12
	s_add_u32 s12, s0, s1
	s_cselect_b64 s[0:1], -1, 0
	s_cmp_lg_u64 s[0:1], 0
	s_addc_u32 s10, s10, s11
	s_mul_i32 s0, s6, s10
	s_mul_hi_u32 s1, s6, s12
	s_add_i32 s0, s1, s0
	s_mul_i32 s7, s7, s12
	s_add_i32 s0, s0, s7
	s_mul_i32 s6, s6, s12
	s_mul_hi_u32 s7, s10, s6
	s_mul_i32 s11, s10, s6
	s_mul_i32 s14, s12, s0
	s_mul_hi_u32 s6, s12, s6
	s_mul_hi_u32 s13, s12, s0
	s_add_u32 s6, s6, s14
	s_addc_u32 s13, 0, s13
	s_add_u32 s6, s6, s11
	s_mul_hi_u32 s1, s10, s0
	s_addc_u32 s6, s13, s7
	s_addc_u32 s1, s1, 0
	s_mul_i32 s0, s10, s0
	s_add_u32 s0, s6, s0
	s_addc_u32 s6, 0, s1
	s_add_u32 s7, s12, s0
	s_cselect_b64 s[0:1], -1, 0
	s_cmp_lg_u64 s[0:1], 0
	s_addc_u32 s0, s10, s6
	s_mul_i32 s6, s20, s0
	s_mul_hi_u32 s10, s20, s7
	s_mul_hi_u32 s1, s20, s0
	s_add_u32 s6, s10, s6
	s_addc_u32 s1, 0, s1
	s_mul_hi_u32 s11, s21, s7
	s_mul_i32 s7, s21, s7
	s_add_u32 s6, s6, s7
	s_mul_hi_u32 s10, s21, s0
	s_addc_u32 s1, s1, s11
	s_addc_u32 s6, s10, 0
	s_mul_i32 s0, s21, s0
	s_add_u32 s0, s1, s0
	s_addc_u32 s1, 0, s6
	s_mul_i32 s1, s22, s1
	s_mul_hi_u32 s6, s22, s0
	s_add_i32 s6, s6, s1
	s_mul_i32 s0, s22, s0
	s_sub_u32 s7, s20, s0
	s_cselect_b64 s[0:1], -1, 0
	s_cmp_lg_u64 s[0:1], 0
	s_subb_u32 s6, s21, s6
	s_sub_u32 s10, s7, s22
	s_cselect_b64 s[0:1], -1, 0
	s_cmp_lg_u64 s[0:1], 0
	s_subb_u32 s11, s6, 0
	;; [unrolled: 4-line block ×3, first 2 shown]
	s_cmp_ge_u32 s10, s22
	s_cselect_b32 s1, -1, 0
	s_cmp_eq_u32 s11, 0
	s_cselect_b32 s1, s1, -1
	s_cmp_lg_u32 s1, 0
	s_cselect_b32 s0, s0, s11
	s_cselect_b32 s10, s12, s10
	s_cmp_ge_u32 s7, s22
	s_cselect_b32 s1, -1, 0
	s_cmp_eq_u32 s6, 0
	s_cselect_b32 s1, s1, -1
	s_cmp_lg_u32 s1, 0
	s_cselect_b32 s1, s0, s6
	s_cselect_b32 s0, s10, s7
	s_cbranch_execnz .LBB116_60
.LBB116_59:                             ;   in Loop: Header=BB116_20 Depth=1
	v_cvt_f32_u32_e32 v2, s22
	s_sub_i32 s0, 0, s22
	v_rcp_iflag_f32_e32 v2, v2
	v_mul_f32_e32 v2, 0x4f7ffffe, v2
	v_cvt_u32_f32_e32 v2, v2
	v_readfirstlane_b32 s1, v2
	s_mul_i32 s0, s0, s1
	s_mul_hi_u32 s0, s1, s0
	s_add_i32 s1, s1, s0
	s_mul_hi_u32 s0, s20, s1
	s_mul_i32 s0, s0, s22
	s_sub_i32 s0, s20, s0
	s_sub_i32 s1, s0, s22
	s_cmp_ge_u32 s0, s22
	s_cselect_b32 s0, s1, s0
	s_sub_i32 s1, s0, s22
	s_cmp_ge_u32 s0, s22
	s_cselect_b32 s40, s1, s0
	s_mov_b64 s[0:1], s[40:41]
.LBB116_60:                             ;   in Loop: Header=BB116_20 Depth=1
	s_sub_u32 s72, s20, s0
	s_subb_u32 s73, s21, s1
	v_cmp_gt_u64_e32 vcc, s[72:73], v[18:19]
	v_mov_b32_e32 v8, 0
	v_mov_b32_e32 v10, 0
	;; [unrolled: 1-line block ×8, first 2 shown]
	s_and_saveexec_b64 s[74:75], vcc
	s_cbranch_execz .LBB116_64
; %bb.61:                               ;   in Loop: Header=BB116_20 Depth=1
	s_mul_i32 s0, s57, s19
	s_mul_hi_u32 s1, s56, s19
	v_mov_b32_e32 v4, v18
	s_add_i32 s0, s1, s0
	s_mov_b64 s[76:77], 0
	s_mov_b64 s[78:79], s[38:39]
	;; [unrolled: 1-line block ×6, first 2 shown]
	v_mov_b32_e32 v5, v19
.LBB116_62:                             ;   Parent Loop BB116_20 Depth=1
                                        ; =>  This Inner Loop Header: Depth=2
	v_add_co_u32_e32 v8, vcc, s78, v28
	v_mov_b32_e32 v2, s79
	v_addc_co_u32_e32 v9, vcc, v2, v29, vcc
	global_load_dwordx2 v[8:9], v[8:9], off
	v_add_co_u32_e32 v10, vcc, s78, v25
	v_addc_co_u32_e32 v11, vcc, v2, v46, vcc
	global_load_dwordx2 v[10:11], v[10:11], off
	v_add_co_u32_e32 v12, vcc, s78, v23
	;; [unrolled: 3-line block ×3, first 2 shown]
	v_addc_co_u32_e32 v15, vcc, v2, v44, vcc
	global_load_dwordx2 v[14:15], v[14:15], off
	s_waitcnt vmcnt(3)
	v_cmp_o_f64_e32 vcc, v[8:9], v[8:9]
	v_ashrrev_i32_e32 v2, 31, v9
	v_or_b32_e32 v20, 0x80000000, v2
	v_xor_b32_e32 v9, v20, v9
	v_xor_b32_e32 v2, v2, v8
	v_cndmask_b32_e32 v9, -1, v9, vcc
	v_cndmask_b32_e32 v8, -1, v2, vcc
	s_waitcnt vmcnt(2)
	v_cmp_o_f64_e32 vcc, v[10:11], v[10:11]
	v_ashrrev_i32_e32 v2, 31, v11
	v_or_b32_e32 v20, 0x80000000, v2
	v_xor_b32_e32 v11, v20, v11
	v_xor_b32_e32 v2, v2, v10
	v_cndmask_b32_e32 v35, -1, v11, vcc
	v_cndmask_b32_e32 v34, -1, v2, vcc
	;; [unrolled: 8-line block ×3, first 2 shown]
	s_waitcnt vmcnt(0)
	v_cmp_o_f64_e32 vcc, v[14:15], v[14:15]
	v_ashrrev_i32_e32 v2, 31, v15
	v_or_b32_e32 v10, 0x80000000, v2
	v_xor_b32_e32 v10, v10, v15
	v_xor_b32_e32 v2, v2, v14
	v_and_b32_e32 v15, v9, v31
	v_and_b32_e32 v14, v8, v30
	v_lshrrev_b64 v[8:9], s3, v[8:9]
	v_cndmask_b32_e32 v11, -1, v10, vcc
	v_and_b32_e32 v20, 3, v8
	v_lshrrev_b64 v[8:9], s3, v[34:35]
	v_cndmask_b32_e32 v10, -1, v2, vcc
	v_cmp_eq_u64_e32 vcc, v[14:15], v[26:27]
	v_and_b32_e32 v15, v35, v31
	v_and_b32_e32 v14, v34, v30
	v_cmp_eq_u64_e64 s[6:7], 0, v[20:21]
	v_cmp_eq_u64_e64 s[10:11], v[14:15], v[26:27]
	v_and_b32_e32 v15, v13, v31
	v_and_b32_e32 v14, v12, v30
	;; [unrolled: 1-line block ×3, first 2 shown]
	v_mov_b32_e32 v9, v21
	v_lshrrev_b64 v[12:13], s3, v[12:13]
	s_and_b64 s[26:27], vcc, s[6:7]
	v_cmp_eq_u64_e64 s[6:7], 0, v[8:9]
	v_cmp_eq_u64_e64 s[12:13], v[14:15], v[26:27]
	v_and_b32_e32 v15, v11, v31
	v_and_b32_e32 v14, v10, v30
	;; [unrolled: 1-line block ×3, first 2 shown]
	v_mov_b32_e32 v13, v21
	v_lshrrev_b64 v[10:11], s3, v[10:11]
	s_and_b64 s[28:29], s[10:11], s[6:7]
	v_cmp_eq_u64_e64 s[6:7], 0, v[12:13]
	v_and_b32_e32 v10, 3, v10
	v_mov_b32_e32 v11, v21
	v_cmp_eq_u64_e64 s[14:15], v[14:15], v[26:27]
	s_and_b64 s[30:31], s[12:13], s[6:7]
	v_cmp_eq_u64_e64 s[6:7], 0, v[10:11]
	v_cndmask_b32_e64 v2, 0, 1, s[26:27]
	s_and_b64 s[50:51], s[14:15], s[6:7]
	v_cmp_ne_u32_e64 s[6:7], 0, v2
	v_cndmask_b32_e64 v2, 0, 1, s[28:29]
	s_bcnt1_i32_b64 s1, s[6:7]
	v_cmp_ne_u32_e64 s[6:7], 0, v2
	v_cndmask_b32_e64 v2, 0, 1, s[30:31]
	s_bcnt1_i32_b64 s23, s[6:7]
	;; [unrolled: 3-line block ×3, first 2 shown]
	v_cmp_ne_u32_e64 s[6:7], 0, v2
	s_bcnt1_i32_b64 s6, s[6:7]
	s_add_u32 s1, s1, s86
	s_addc_u32 s7, 0, s87
	s_add_u32 s1, s1, s23
	s_addc_u32 s7, s7, 0
	;; [unrolled: 2-line block ×4, first 2 shown]
	v_cmp_eq_u64_e64 s[6:7], 1, v[20:21]
	s_and_b64 s[26:27], vcc, s[6:7]
	v_cmp_eq_u64_e64 s[6:7], 1, v[8:9]
	v_cndmask_b32_e64 v2, 0, 1, s[26:27]
	s_and_b64 s[28:29], s[10:11], s[6:7]
	v_cmp_eq_u64_e64 s[6:7], 1, v[12:13]
	s_and_b64 s[30:31], s[12:13], s[6:7]
	v_cmp_eq_u64_e64 s[6:7], 1, v[10:11]
	s_and_b64 s[50:51], s[14:15], s[6:7]
	v_cmp_ne_u32_e64 s[6:7], 0, v2
	v_cndmask_b32_e64 v2, 0, 1, s[28:29]
	s_bcnt1_i32_b64 s1, s[6:7]
	v_cmp_ne_u32_e64 s[6:7], 0, v2
	v_cndmask_b32_e64 v2, 0, 1, s[30:31]
	s_bcnt1_i32_b64 s23, s[6:7]
	;; [unrolled: 3-line block ×3, first 2 shown]
	v_cmp_ne_u32_e64 s[6:7], 0, v2
	s_bcnt1_i32_b64 s6, s[6:7]
	s_add_u32 s1, s1, s84
	s_addc_u32 s7, 0, s85
	s_add_u32 s1, s1, s23
	s_addc_u32 s7, s7, 0
	;; [unrolled: 2-line block ×4, first 2 shown]
	v_cmp_eq_u64_e64 s[6:7], 2, v[20:21]
	s_and_b64 s[26:27], vcc, s[6:7]
	v_cmp_eq_u64_e64 s[6:7], 2, v[8:9]
	v_cndmask_b32_e64 v2, 0, 1, s[26:27]
	s_and_b64 s[28:29], s[10:11], s[6:7]
	v_cmp_eq_u64_e64 s[6:7], 2, v[12:13]
	s_and_b64 s[30:31], s[12:13], s[6:7]
	v_cmp_eq_u64_e64 s[6:7], 2, v[10:11]
	s_and_b64 s[50:51], s[14:15], s[6:7]
	v_cmp_ne_u32_e64 s[6:7], 0, v2
	v_cndmask_b32_e64 v2, 0, 1, s[28:29]
	s_bcnt1_i32_b64 s1, s[6:7]
	v_cmp_ne_u32_e64 s[6:7], 0, v2
	v_cndmask_b32_e64 v2, 0, 1, s[30:31]
	s_bcnt1_i32_b64 s23, s[6:7]
	;; [unrolled: 3-line block ×3, first 2 shown]
	v_cmp_ne_u32_e64 s[6:7], 0, v2
	s_bcnt1_i32_b64 s6, s[6:7]
	s_add_u32 s1, s1, s82
	s_addc_u32 s7, 0, s83
	s_add_u32 s1, s1, s23
	s_addc_u32 s7, s7, 0
	;; [unrolled: 2-line block ×4, first 2 shown]
	v_cmp_eq_u64_e64 s[6:7], 3, v[20:21]
	s_and_b64 s[6:7], vcc, s[6:7]
	v_cmp_eq_u64_e32 vcc, 3, v[8:9]
	v_cndmask_b32_e64 v2, 0, 1, s[6:7]
	s_and_b64 s[10:11], s[10:11], vcc
	v_cmp_eq_u64_e32 vcc, 3, v[12:13]
	v_mov_b32_e32 v8, s86
	s_and_b64 s[12:13], s[12:13], vcc
	v_cmp_eq_u64_e32 vcc, 3, v[10:11]
	v_mov_b32_e32 v10, s84
	s_and_b64 s[14:15], s[14:15], vcc
	v_cmp_ne_u32_e32 vcc, 0, v2
	v_cndmask_b32_e64 v2, 0, 1, s[10:11]
	s_bcnt1_i32_b64 s1, vcc
	v_cmp_ne_u32_e32 vcc, 0, v2
	v_cndmask_b32_e64 v2, 0, 1, s[12:13]
	s_bcnt1_i32_b64 s6, vcc
	;; [unrolled: 3-line block ×3, first 2 shown]
	v_cmp_ne_u32_e32 vcc, 0, v2
	s_bcnt1_i32_b64 s10, vcc
	s_add_u32 s1, s1, s80
	s_addc_u32 s11, 0, s81
	s_add_u32 s1, s1, s6
	s_addc_u32 s6, s11, 0
	;; [unrolled: 2-line block ×3, first 2 shown]
	s_add_u32 s80, s1, s10
	v_add_co_u32_e32 v4, vcc, s22, v4
	s_addc_u32 s81, s6, 0
	v_addc_co_u32_e32 v5, vcc, 0, v5, vcc
	s_mul_i32 s1, s56, s19
	s_add_u32 s78, s78, s1
	v_cmp_le_u64_e32 vcc, s[72:73], v[4:5]
	s_addc_u32 s79, s79, s0
	v_mov_b32_e32 v12, s82
	v_mov_b32_e32 v14, s80
	s_or_b64 s[76:77], vcc, s[76:77]
	v_mov_b32_e32 v9, s87
	v_mov_b32_e32 v11, s85
	;; [unrolled: 1-line block ×4, first 2 shown]
	s_andn2_b64 exec, exec, s[76:77]
	s_cbranch_execnz .LBB116_62
; %bb.63:                               ;   in Loop: Header=BB116_20 Depth=1
	s_or_b64 exec, exec, s[76:77]
.LBB116_64:                             ;   in Loop: Header=BB116_20 Depth=1
	s_or_b64 exec, exec, s[74:75]
	v_mov_b32_e32 v2, s73
	v_add_co_u32_e32 v4, vcc, s72, v0
	v_addc_co_u32_e32 v5, vcc, 0, v2, vcc
	v_cmp_gt_u64_e32 vcc, s[20:21], v[4:5]
	s_and_saveexec_b64 s[12:13], vcc
	s_cbranch_execz .LBB116_70
; %bb.65:                               ;   in Loop: Header=BB116_20 Depth=1
	v_mul_lo_u32 v2, v5, s34
	v_mul_lo_u32 v20, v4, s35
	v_mad_u64_u32 v[34:35], s[0:1], v4, s34, 0
	s_mov_b64 s[14:15], 0
	v_add3_u32 v35, v35, v20, v2
	v_lshlrev_b64 v[34:35], 3, v[34:35]
	v_mov_b32_e32 v2, s39
	v_add_co_u32_e32 v34, vcc, s38, v34
	v_addc_co_u32_e32 v35, vcc, v2, v35, vcc
	global_load_dwordx2 v[36:37], v[34:35], off
	s_branch .LBB116_67
.LBB116_66:                             ;   in Loop: Header=BB116_67 Depth=2
	s_or_b64 exec, exec, s[0:1]
	s_waitcnt vmcnt(0)
	v_cmp_o_f64_e64 s[6:7], v[36:37], v[36:37]
	v_ashrrev_i32_e32 v2, 31, v37
	v_or_b32_e32 v20, 0x80000000, v2
	v_xor_b32_e32 v20, v20, v37
	v_xor_b32_e32 v2, v2, v36
	s_and_b64 s[0:1], exec, vcc
	s_or_b64 s[14:15], s[0:1], s[14:15]
	v_cndmask_b32_e64 v37, -1, v20, s[6:7]
	v_cndmask_b32_e64 v36, -1, v2, s[6:7]
	v_and_b32_e32 v51, v37, v31
	v_and_b32_e32 v50, v36, v30
	v_lshrrev_b64 v[36:37], s3, v[36:37]
	v_cmp_eq_u64_e32 vcc, v[50:51], v[26:27]
	v_and_b32_e32 v20, 3, v36
	v_cmp_eq_u64_e64 s[6:7], 0, v[20:21]
	v_mov_b32_e32 v37, v35
	s_and_b64 s[0:1], vcc, s[6:7]
	v_cndmask_b32_e64 v2, 0, 1, s[0:1]
	v_cmp_ne_u32_e64 s[6:7], 0, v2
	s_bcnt1_i32_b64 s0, s[6:7]
	v_cmp_eq_u64_e64 s[6:7], 1, v[20:21]
	v_add_co_u32_e64 v8, s[10:11], s0, v8
	s_and_b64 s[0:1], vcc, s[6:7]
	v_cndmask_b32_e64 v2, 0, 1, s[0:1]
	v_cmp_ne_u32_e64 s[6:7], 0, v2
	s_bcnt1_i32_b64 s0, s[6:7]
	v_cmp_eq_u64_e64 s[6:7], 2, v[20:21]
	v_addc_co_u32_e64 v9, s[10:11], 0, v9, s[10:11]
	v_add_co_u32_e64 v10, s[10:11], s0, v10
	s_and_b64 s[0:1], vcc, s[6:7]
	v_cndmask_b32_e64 v2, 0, 1, s[0:1]
	v_cmp_ne_u32_e64 s[6:7], 0, v2
	s_bcnt1_i32_b64 s0, s[6:7]
	v_cmp_eq_u64_e64 s[6:7], 3, v[20:21]
	v_addc_co_u32_e64 v11, s[10:11], 0, v11, s[10:11]
	v_add_co_u32_e64 v12, s[10:11], s0, v12
	s_and_b64 s[0:1], vcc, s[6:7]
	v_cndmask_b32_e64 v2, 0, 1, s[0:1]
	v_cmp_ne_u32_e32 vcc, 0, v2
	s_bcnt1_i32_b64 s0, vcc
	v_add_co_u32_e32 v14, vcc, s0, v14
	v_addc_co_u32_e64 v13, s[10:11], 0, v13, s[10:11]
	v_addc_co_u32_e32 v15, vcc, 0, v15, vcc
	v_mov_b32_e32 v36, v34
	s_andn2_b64 exec, exec, s[14:15]
	s_cbranch_execz .LBB116_69
.LBB116_67:                             ;   Parent Loop BB116_20 Depth=1
                                        ; =>  This Inner Loop Header: Depth=2
	v_add_co_u32_e32 v4, vcc, s19, v4
	v_addc_co_u32_e32 v5, vcc, 0, v5, vcc
	v_cmp_gt_u64_e64 s[6:7], s[20:21], v[4:5]
	v_cmp_le_u64_e32 vcc, s[20:21], v[4:5]
	v_mov_b32_e32 v34, 0
	v_mov_b32_e32 v35, 0
	s_and_saveexec_b64 s[0:1], s[6:7]
	s_cbranch_execz .LBB116_66
; %bb.68:                               ;   in Loop: Header=BB116_67 Depth=2
	v_mul_lo_u32 v2, v5, s34
	v_mul_lo_u32 v20, v4, s35
	v_mad_u64_u32 v[34:35], s[6:7], v4, s34, 0
	v_add3_u32 v35, v35, v20, v2
	v_lshlrev_b64 v[34:35], 3, v[34:35]
	v_mov_b32_e32 v2, s39
	v_add_co_u32_e64 v34, s[6:7], s38, v34
	v_addc_co_u32_e64 v35, s[6:7], v2, v35, s[6:7]
	global_load_dwordx2 v[34:35], v[34:35], off
	s_branch .LBB116_66
.LBB116_69:                             ;   in Loop: Header=BB116_20 Depth=1
	s_or_b64 exec, exec, s[14:15]
.LBB116_70:                             ;   in Loop: Header=BB116_20 Depth=1
	s_or_b64 exec, exec, s[12:13]
	s_branch .LBB116_49
.LBB116_71:                             ;   in Loop: Header=BB116_20 Depth=1
	global_load_ushort v2, v21, s[48:49]
	v_mov_b32_e32 v8, 0
	v_mov_b32_e32 v10, 0
	;; [unrolled: 1-line block ×8, first 2 shown]
	s_waitcnt vmcnt(0)
	v_readfirstlane_b32 s0, v2
	s_and_b32 s0, 0xffff, s0
	s_lshl_b32 s1, s0, 2
	v_cvt_f32_u32_e32 v4, s1
	s_sub_i32 s6, 0, s1
	v_rcp_iflag_f32_e32 v4, v4
	v_mul_f32_e32 v4, 0x4f7ffffe, v4
	v_cvt_u32_f32_e32 v4, v4
	v_readfirstlane_b32 s7, v4
	s_mul_i32 s6, s6, s7
	s_mul_hi_u32 s6, s7, s6
	s_add_i32 s7, s7, s6
	s_mul_hi_u32 s6, s18, s7
	s_mul_i32 s7, s6, s1
	s_sub_i32 s7, s18, s7
	s_add_i32 s10, s6, 1
	s_sub_i32 s11, s7, s1
	s_cmp_ge_u32 s7, s1
	s_cselect_b32 s6, s10, s6
	s_cselect_b32 s7, s11, s7
	s_add_i32 s10, s6, 1
	s_cmp_ge_u32 s7, s1
	s_cselect_b32 s6, s10, s6
	s_mul_hi_u32 s73, s0, s6
	s_mul_i32 s72, s0, s6
	s_lshl_b64 s[74:75], s[72:73], 2
	v_cmp_gt_u64_e32 vcc, s[74:75], v[18:19]
	s_and_saveexec_b64 s[76:77], vcc
	s_cbranch_execz .LBB116_75
; %bb.72:                               ;   in Loop: Header=BB116_20 Depth=1
	v_mov_b32_e32 v4, v18
	s_lshl_b32 s19, s0, 5
	s_mov_b64 s[78:79], 0
	v_mov_b32_e32 v34, v47
	s_mov_b64 s[80:81], 0
	s_mov_b64 s[82:83], 0
	;; [unrolled: 1-line block ×4, first 2 shown]
	v_mov_b32_e32 v5, v19
.LBB116_73:                             ;   Parent Loop BB116_20 Depth=1
                                        ; =>  This Inner Loop Header: Depth=2
	ds_read_b128 v[8:11], v34
	ds_read_b128 v[12:15], v34 offset:16
	v_add_u32_e32 v34, s19, v34
	s_waitcnt lgkmcnt(1)
	v_cmp_o_f64_e32 vcc, v[8:9], v[8:9]
	v_ashrrev_i32_e32 v20, 31, v9
	v_or_b32_e32 v35, 0x80000000, v20
	v_xor_b32_e32 v9, v35, v9
	v_xor_b32_e32 v8, v20, v8
	v_ashrrev_i32_e32 v20, 31, v11
	v_or_b32_e32 v35, 0x80000000, v20
	v_cndmask_b32_e32 v9, -1, v9, vcc
	v_cndmask_b32_e32 v8, -1, v8, vcc
	v_cmp_o_f64_e32 vcc, v[10:11], v[10:11]
	v_xor_b32_e32 v11, v35, v11
	v_xor_b32_e32 v10, v20, v10
	v_cndmask_b32_e32 v36, -1, v11, vcc
	v_cndmask_b32_e32 v35, -1, v10, vcc
	s_waitcnt lgkmcnt(0)
	v_cmp_o_f64_e32 vcc, v[12:13], v[12:13]
	v_ashrrev_i32_e32 v10, 31, v13
	v_or_b32_e32 v11, 0x80000000, v10
	v_xor_b32_e32 v11, v11, v13
	v_xor_b32_e32 v10, v10, v12
	v_cndmask_b32_e32 v13, -1, v11, vcc
	v_cndmask_b32_e32 v12, -1, v10, vcc
	v_cmp_o_f64_e32 vcc, v[14:15], v[14:15]
	v_ashrrev_i32_e32 v10, 31, v15
	v_or_b32_e32 v11, 0x80000000, v10
	v_xor_b32_e32 v11, v11, v15
	v_xor_b32_e32 v10, v10, v14
	v_and_b32_e32 v15, v9, v31
	v_and_b32_e32 v14, v8, v30
	v_lshrrev_b64 v[8:9], s3, v[8:9]
	v_cndmask_b32_e32 v11, -1, v11, vcc
	v_and_b32_e32 v20, 3, v8
	v_lshrrev_b64 v[8:9], s3, v[35:36]
	v_cndmask_b32_e32 v10, -1, v10, vcc
	v_cmp_eq_u64_e32 vcc, v[14:15], v[26:27]
	v_and_b32_e32 v15, v36, v31
	v_and_b32_e32 v14, v35, v30
	v_cmp_eq_u64_e64 s[6:7], 0, v[20:21]
	v_cmp_eq_u64_e64 s[10:11], v[14:15], v[26:27]
	v_and_b32_e32 v15, v13, v31
	v_and_b32_e32 v14, v12, v30
	v_and_b32_e32 v8, 3, v8
	v_mov_b32_e32 v9, v21
	v_lshrrev_b64 v[12:13], s3, v[12:13]
	s_and_b64 s[22:23], vcc, s[6:7]
	v_cmp_eq_u64_e64 s[6:7], 0, v[8:9]
	v_cmp_eq_u64_e64 s[12:13], v[14:15], v[26:27]
	v_and_b32_e32 v15, v11, v31
	v_and_b32_e32 v14, v10, v30
	v_and_b32_e32 v12, 3, v12
	v_mov_b32_e32 v13, v21
	v_lshrrev_b64 v[10:11], s3, v[10:11]
	s_and_b64 s[26:27], s[10:11], s[6:7]
	v_cmp_eq_u64_e64 s[6:7], 0, v[12:13]
	v_and_b32_e32 v10, 3, v10
	v_mov_b32_e32 v11, v21
	v_cmp_eq_u64_e64 s[14:15], v[14:15], v[26:27]
	s_and_b64 s[28:29], s[12:13], s[6:7]
	v_cmp_eq_u64_e64 s[6:7], 0, v[10:11]
	v_cndmask_b32_e64 v14, 0, 1, s[22:23]
	s_and_b64 s[30:31], s[14:15], s[6:7]
	v_cmp_ne_u32_e64 s[6:7], 0, v14
	v_cndmask_b32_e64 v14, 0, 1, s[26:27]
	s_bcnt1_i32_b64 s22, s[6:7]
	v_cmp_ne_u32_e64 s[6:7], 0, v14
	v_cndmask_b32_e64 v14, 0, 1, s[28:29]
	s_bcnt1_i32_b64 s23, s[6:7]
	;; [unrolled: 3-line block ×3, first 2 shown]
	v_cmp_ne_u32_e64 s[6:7], 0, v14
	s_bcnt1_i32_b64 s6, s[6:7]
	s_add_u32 s7, s22, s86
	s_addc_u32 s22, 0, s87
	s_add_u32 s7, s7, s23
	s_addc_u32 s22, s22, 0
	;; [unrolled: 2-line block ×3, first 2 shown]
	s_add_u32 s86, s7, s6
	v_cmp_eq_u64_e64 s[6:7], 1, v[20:21]
	s_addc_u32 s87, s22, 0
	s_and_b64 s[22:23], vcc, s[6:7]
	v_cmp_eq_u64_e64 s[6:7], 1, v[8:9]
	v_cndmask_b32_e64 v14, 0, 1, s[22:23]
	s_and_b64 s[26:27], s[10:11], s[6:7]
	v_cmp_eq_u64_e64 s[6:7], 1, v[12:13]
	s_and_b64 s[28:29], s[12:13], s[6:7]
	v_cmp_eq_u64_e64 s[6:7], 1, v[10:11]
	s_and_b64 s[30:31], s[14:15], s[6:7]
	v_cmp_ne_u32_e64 s[6:7], 0, v14
	v_cndmask_b32_e64 v14, 0, 1, s[26:27]
	s_bcnt1_i32_b64 s22, s[6:7]
	v_cmp_ne_u32_e64 s[6:7], 0, v14
	v_cndmask_b32_e64 v14, 0, 1, s[28:29]
	s_bcnt1_i32_b64 s23, s[6:7]
	;; [unrolled: 3-line block ×3, first 2 shown]
	v_cmp_ne_u32_e64 s[6:7], 0, v14
	s_bcnt1_i32_b64 s6, s[6:7]
	s_add_u32 s7, s22, s84
	s_addc_u32 s22, 0, s85
	s_add_u32 s7, s7, s23
	s_addc_u32 s22, s22, 0
	;; [unrolled: 2-line block ×3, first 2 shown]
	s_add_u32 s84, s7, s6
	v_cmp_eq_u64_e64 s[6:7], 2, v[20:21]
	s_addc_u32 s85, s22, 0
	s_and_b64 s[22:23], vcc, s[6:7]
	v_cmp_eq_u64_e64 s[6:7], 2, v[8:9]
	v_cndmask_b32_e64 v14, 0, 1, s[22:23]
	s_and_b64 s[26:27], s[10:11], s[6:7]
	v_cmp_eq_u64_e64 s[6:7], 2, v[12:13]
	s_and_b64 s[28:29], s[12:13], s[6:7]
	v_cmp_eq_u64_e64 s[6:7], 2, v[10:11]
	s_and_b64 s[30:31], s[14:15], s[6:7]
	v_cmp_ne_u32_e64 s[6:7], 0, v14
	v_cndmask_b32_e64 v14, 0, 1, s[26:27]
	s_bcnt1_i32_b64 s22, s[6:7]
	v_cmp_ne_u32_e64 s[6:7], 0, v14
	v_cndmask_b32_e64 v14, 0, 1, s[28:29]
	s_bcnt1_i32_b64 s23, s[6:7]
	;; [unrolled: 3-line block ×3, first 2 shown]
	v_cmp_ne_u32_e64 s[6:7], 0, v14
	s_bcnt1_i32_b64 s6, s[6:7]
	s_add_u32 s7, s22, s82
	s_addc_u32 s22, 0, s83
	s_add_u32 s7, s7, s23
	s_addc_u32 s22, s22, 0
	;; [unrolled: 2-line block ×3, first 2 shown]
	s_add_u32 s82, s7, s6
	v_cmp_eq_u64_e64 s[6:7], 3, v[20:21]
	s_addc_u32 s83, s22, 0
	s_and_b64 s[6:7], vcc, s[6:7]
	v_cmp_eq_u64_e32 vcc, 3, v[8:9]
	v_cndmask_b32_e64 v8, 0, 1, s[6:7]
	s_and_b64 s[10:11], s[10:11], vcc
	v_cmp_eq_u64_e32 vcc, 3, v[12:13]
	v_mov_b32_e32 v12, s82
	s_and_b64 s[12:13], s[12:13], vcc
	v_cmp_eq_u64_e32 vcc, 3, v[10:11]
	v_mov_b32_e32 v10, s84
	s_and_b64 s[14:15], s[14:15], vcc
	v_cmp_ne_u32_e32 vcc, 0, v8
	v_cndmask_b32_e64 v8, 0, 1, s[10:11]
	s_bcnt1_i32_b64 s6, vcc
	v_cmp_ne_u32_e32 vcc, 0, v8
	v_cndmask_b32_e64 v8, 0, 1, s[12:13]
	s_bcnt1_i32_b64 s7, vcc
	;; [unrolled: 3-line block ×3, first 2 shown]
	v_cmp_ne_u32_e32 vcc, 0, v8
	s_bcnt1_i32_b64 s11, vcc
	s_add_u32 s6, s6, s80
	s_addc_u32 s12, 0, s81
	s_add_u32 s6, s6, s7
	s_addc_u32 s7, s12, 0
	s_add_u32 s6, s6, s10
	v_add_co_u32_e32 v4, vcc, s1, v4
	s_addc_u32 s7, s7, 0
	v_addc_co_u32_e32 v5, vcc, 0, v5, vcc
	s_add_u32 s80, s6, s11
	v_cmp_le_u64_e32 vcc, s[74:75], v[4:5]
	s_addc_u32 s81, s7, 0
	v_mov_b32_e32 v8, s86
	v_mov_b32_e32 v14, s80
	s_or_b64 s[78:79], vcc, s[78:79]
	v_mov_b32_e32 v9, s87
	v_mov_b32_e32 v11, s85
	;; [unrolled: 1-line block ×4, first 2 shown]
	s_andn2_b64 exec, exec, s[78:79]
	s_cbranch_execnz .LBB116_73
; %bb.74:                               ;   in Loop: Header=BB116_20 Depth=1
	s_or_b64 exec, exec, s[78:79]
.LBB116_75:                             ;   in Loop: Header=BB116_20 Depth=1
	s_or_b64 exec, exec, s[76:77]
	v_mov_b32_e32 v5, s75
	v_add_co_u32_e32 v4, vcc, s74, v0
	s_and_b32 s40, s18, 0x7fffffff
	v_addc_co_u32_e32 v5, vcc, 0, v5, vcc
	v_cmp_gt_u64_e32 vcc, s[40:41], v[4:5]
	s_and_saveexec_b64 s[22:23], vcc
	s_cbranch_execz .LBB116_79
; %bb.76:                               ;   in Loop: Header=BB116_20 Depth=1
	v_lshl_add_u32 v34, s72, 5, v39
	s_lshl_b32 s0, s0, 3
	s_mov_b64 s[26:27], 0
.LBB116_77:                             ;   Parent Loop BB116_20 Depth=1
                                        ; =>  This Inner Loop Header: Depth=2
	ds_read_b64 v[35:36], v34
	v_add_co_u32_sdwa v4, vcc, v4, v2 dst_sel:DWORD dst_unused:UNUSED_PAD src0_sel:DWORD src1_sel:WORD_0
	v_addc_co_u32_e32 v5, vcc, 0, v5, vcc
	s_waitcnt lgkmcnt(0)
	v_cmp_o_f64_e64 s[6:7], v[35:36], v[35:36]
	v_ashrrev_i32_e32 v20, 31, v36
	v_or_b32_e32 v37, 0x80000000, v20
	v_xor_b32_e32 v20, v20, v35
	v_xor_b32_e32 v37, v37, v36
	v_cmp_le_u64_e32 vcc, s[40:41], v[4:5]
	v_add_u32_e32 v34, s0, v34
	v_cndmask_b32_e64 v36, -1, v37, s[6:7]
	v_cndmask_b32_e64 v35, -1, v20, s[6:7]
	v_and_b32_e32 v51, v36, v31
	v_and_b32_e32 v50, v35, v30
	v_lshrrev_b64 v[35:36], s3, v[35:36]
	v_cmp_eq_u64_e64 s[6:7], v[50:51], v[26:27]
	v_and_b32_e32 v20, 3, v35
	v_cmp_eq_u64_e64 s[10:11], 0, v[20:21]
	v_cmp_eq_u64_e64 s[12:13], 1, v[20:21]
	;; [unrolled: 1-line block ×4, first 2 shown]
	s_and_b64 s[10:11], s[6:7], s[10:11]
	v_cndmask_b32_e64 v20, 0, 1, s[10:11]
	s_and_b64 s[10:11], s[6:7], s[12:13]
	v_cndmask_b32_e64 v35, 0, 1, s[10:11]
	s_and_b64 s[10:11], s[6:7], s[14:15]
	s_and_b64 s[6:7], s[6:7], s[18:19]
	v_cndmask_b32_e64 v37, 0, 1, s[6:7]
	v_cmp_ne_u32_e64 s[6:7], 0, v20
	s_bcnt1_i32_b64 s1, s[6:7]
	v_cndmask_b32_e64 v36, 0, 1, s[10:11]
	v_cmp_ne_u32_e64 s[10:11], 0, v35
	v_add_co_u32_e64 v8, s[6:7], s1, v8
	s_bcnt1_i32_b64 s10, s[10:11]
	v_addc_co_u32_e64 v9, s[6:7], 0, v9, s[6:7]
	v_cmp_ne_u32_e64 s[12:13], 0, v36
	v_cmp_ne_u32_e64 s[14:15], 0, v37
	v_add_co_u32_e64 v10, s[6:7], s10, v10
	s_bcnt1_i32_b64 s11, s[12:13]
	s_bcnt1_i32_b64 s12, s[14:15]
	v_addc_co_u32_e64 v11, s[6:7], 0, v11, s[6:7]
	v_add_co_u32_e64 v12, s[6:7], s11, v12
	s_or_b64 s[26:27], vcc, s[26:27]
	v_add_co_u32_e32 v14, vcc, s12, v14
	v_addc_co_u32_e64 v13, s[6:7], 0, v13, s[6:7]
	v_addc_co_u32_e32 v15, vcc, 0, v15, vcc
	s_andn2_b64 exec, exec, s[26:27]
	s_cbranch_execnz .LBB116_77
; %bb.78:                               ;   in Loop: Header=BB116_20 Depth=1
	s_or_b64 exec, exec, s[26:27]
.LBB116_79:                             ;   in Loop: Header=BB116_20 Depth=1
	s_or_b64 exec, exec, s[22:23]
	s_lshl_b32 s10, s33, 6
	s_and_saveexec_b64 s[0:1], s[4:5]
	s_cbranch_execnz .LBB116_50
	s_branch .LBB116_51
.LBB116_80:                             ;   in Loop: Header=BB116_20 Depth=1
                                        ; implicit-def: $sgpr0_sgpr1
	s_branch .LBB116_59
.LBB116_81:                             ;   in Loop: Header=BB116_20 Depth=1
	v_mov_b32_e32 v4, 0
	v_mov_b32_e32 v5, 0
	s_mov_b32 s0, 0
.LBB116_82:                             ;   in Loop: Header=BB116_20 Depth=1
	v_readlane_b32 s12, v54, 20
	v_readlane_b32 s13, v54, 21
	s_andn2_b64 vcc, exec, s[12:13]
	s_cbranch_vccnz .LBB116_85
; %bb.83:                               ;   in Loop: Header=BB116_20 Depth=1
	s_lshl_b32 s1, s33, 9
	s_lshl_b32 s0, s0, 5
	s_add_i32 s1, s1, s0
	v_add_u32_e32 v2, s1, v48
	v_readlane_b32 s0, v54, 19
.LBB116_84:                             ;   Parent Loop BB116_20 Depth=1
                                        ; =>  This Inner Loop Header: Depth=2
	ds_read_b64 v[8:9], v2
	s_add_i32 s0, s0, -1
	v_add_u32_e32 v2, 32, v2
	s_cmp_lg_u32 s0, 0
	s_waitcnt lgkmcnt(0)
	v_add_co_u32_e32 v4, vcc, v8, v4
	v_addc_co_u32_e32 v5, vcc, v9, v5, vcc
	s_cbranch_scc1 .LBB116_84
.LBB116_85:                             ;   in Loop: Header=BB116_20 Depth=1
	v_add_lshl_u32 v2, s10, v38, 3
	ds_write_b64 v2, v[4:5] offset:3072
.LBB116_86:                             ;   in Loop: Header=BB116_20 Depth=1
	s_or_b64 exec, exec, s[6:7]
	s_lshl_b32 s0, s10, 3
	v_mov_b32_e32 v2, s0
	s_waitcnt lgkmcnt(0)
	s_barrier
	ds_read_b128 v[12:15], v2 offset:3088
	ds_read_b128 v[8:11], v2 offset:3072
	v_cmp_eq_u64_e64 s[6:7], 1, v[32:33]
	s_lshl_b64 s[12:13], 3, s3
	s_not_b64 s[76:77], s[12:13]
	s_waitcnt lgkmcnt(1)
	v_readfirstlane_b32 s74, v12
	s_waitcnt lgkmcnt(0)
	v_cmp_eq_u64_e32 vcc, 1, v[8:9]
	v_readfirstlane_b32 s75, v13
	v_readfirstlane_b32 s10, v14
	;; [unrolled: 1-line block ×3, first 2 shown]
	s_and_b64 s[18:19], vcc, s[6:7]
	s_mov_b64 s[6:7], -1
	s_mov_b64 s[22:23], -1
                                        ; implicit-def: $sgpr78_sgpr79
                                        ; implicit-def: $sgpr72_sgpr73
	s_and_saveexec_b64 s[14:15], s[18:19]
	s_cbranch_execz .LBB116_120
; %bb.87:                               ;   in Loop: Header=BB116_20 Depth=1
	ds_read_b64 v[4:5], v21 offset:5120
	s_waitcnt lgkmcnt(0)
	s_barrier
	v_readfirstlane_b32 s26, v4
	v_readfirstlane_b32 s27, v5
	s_and_saveexec_b64 s[0:1], s[16:17]
; %bb.88:                               ;   in Loop: Header=BB116_20 Depth=1
	v_mov_b32_e32 v20, v21
	ds_write_b64 v40, v[20:21]
; %bb.89:                               ;   in Loop: Header=BB116_20 Depth=1
	s_or_b64 exec, exec, s[0:1]
	v_and_b32_e32 v27, s77, v27
	v_and_b32_e32 v26, s76, v26
	v_or_b32_e32 v31, s13, v31
	v_or_b32_e32 v30, s12, v30
	s_mov_b64 s[72:73], -1
	s_mov_b64 s[78:79], 0
	s_cmp_eq_u64 s[26:27], 0
	s_mov_b64 s[22:23], 0
	s_mov_b64 s[28:29], -1
	s_waitcnt lgkmcnt(0)
	s_barrier
                                        ; implicit-def: $vgpr6_vgpr7
	s_cbranch_scc1 .LBB116_104
; %bb.90:                               ;   in Loop: Header=BB116_20 Depth=1
	v_readlane_b32 s0, v54, 16
	s_add_u32 s30, s26, s0
	s_addc_u32 s23, s27, s24
	s_mov_b32 s22, s41
	s_cmp_lg_u64 s[22:23], 0
	s_cbranch_scc0 .LBB116_147
; %bb.91:                               ;   in Loop: Header=BB116_20 Depth=1
	v_cvt_f32_u32_e32 v2, s25
	s_sub_u32 s22, 0, s25
	s_subb_u32 s28, 0, 0
	v_mac_f32_e32 v2, 0, v49
	v_rcp_f32_e32 v2, v2
	v_mul_f32_e32 v2, 0x5f7ffffc, v2
	v_mul_f32_e32 v4, 0x2f800000, v2
	v_trunc_f32_e32 v4, v4
	v_mac_f32_e32 v2, 0xcf800000, v4
	v_cvt_u32_f32_e32 v4, v4
	v_cvt_u32_f32_e32 v2, v2
	v_readfirstlane_b32 s29, v4
	v_readfirstlane_b32 s0, v2
	s_mul_i32 s1, s22, s29
	s_mul_hi_u32 s40, s22, s0
	s_mul_i32 s31, s28, s0
	s_add_i32 s1, s40, s1
	s_mul_i32 s46, s22, s0
	s_add_i32 s1, s1, s31
	s_mul_hi_u32 s40, s0, s46
	s_mul_i32 s50, s0, s1
	s_mul_hi_u32 s31, s0, s1
	s_add_u32 s40, s40, s50
	s_addc_u32 s31, 0, s31
	s_mul_hi_u32 s51, s29, s46
	s_mul_i32 s46, s29, s46
	s_add_u32 s40, s40, s46
	s_mul_hi_u32 s50, s29, s1
	s_addc_u32 s31, s31, s51
	s_addc_u32 s40, s50, 0
	s_mul_i32 s1, s29, s1
	s_add_u32 s1, s31, s1
	s_addc_u32 s31, 0, s40
	s_add_u32 s40, s0, s1
	s_cselect_b64 s[0:1], -1, 0
	s_cmp_lg_u64 s[0:1], 0
	s_addc_u32 s29, s29, s31
	s_mul_i32 s0, s22, s29
	s_mul_hi_u32 s1, s22, s40
	s_add_i32 s0, s1, s0
	s_mul_i32 s28, s28, s40
	s_add_i32 s0, s0, s28
	s_mul_i32 s22, s22, s40
	s_mul_hi_u32 s28, s29, s22
	s_mul_i32 s31, s29, s22
	s_mul_i32 s50, s40, s0
	s_mul_hi_u32 s22, s40, s22
	s_mul_hi_u32 s46, s40, s0
	s_add_u32 s22, s22, s50
	s_addc_u32 s46, 0, s46
	s_add_u32 s22, s22, s31
	s_mul_hi_u32 s1, s29, s0
	s_addc_u32 s22, s46, s28
	s_addc_u32 s1, s1, 0
	s_mul_i32 s0, s29, s0
	s_add_u32 s0, s22, s0
	s_addc_u32 s22, 0, s1
	s_add_u32 s28, s40, s0
	s_cselect_b64 s[0:1], -1, 0
	s_cmp_lg_u64 s[0:1], 0
	s_addc_u32 s0, s29, s22
	s_mul_i32 s22, s30, s0
	s_mul_hi_u32 s29, s30, s28
	s_mul_hi_u32 s1, s30, s0
	s_add_u32 s22, s29, s22
	s_addc_u32 s1, 0, s1
	s_mul_hi_u32 s31, s23, s28
	s_mul_i32 s28, s23, s28
	s_add_u32 s22, s22, s28
	s_mul_hi_u32 s29, s23, s0
	s_addc_u32 s1, s1, s31
	s_addc_u32 s22, s29, 0
	s_mul_i32 s0, s23, s0
	s_add_u32 s0, s1, s0
	s_addc_u32 s1, 0, s22
	s_mul_i32 s1, s25, s1
	s_mul_hi_u32 s22, s25, s0
	s_add_i32 s22, s22, s1
	s_mul_i32 s0, s25, s0
	s_sub_u32 s28, s30, s0
	s_cselect_b64 s[0:1], -1, 0
	s_cmp_lg_u64 s[0:1], 0
	s_subb_u32 s22, s23, s22
	s_sub_u32 s29, s28, s25
	s_cselect_b64 s[0:1], -1, 0
	s_cmp_lg_u64 s[0:1], 0
	s_subb_u32 s31, s22, 0
	;; [unrolled: 4-line block ×3, first 2 shown]
	s_cmp_ge_u32 s29, s25
	s_cselect_b32 s1, -1, 0
	s_cmp_eq_u32 s31, 0
	s_cselect_b32 s1, s1, -1
	s_cmp_lg_u32 s1, 0
	s_cselect_b32 s0, s0, s31
	s_cselect_b32 s29, s40, s29
	s_cmp_ge_u32 s28, s25
	s_cselect_b32 s1, -1, 0
	s_cmp_eq_u32 s22, 0
	s_cselect_b32 s1, s1, -1
	s_cmp_lg_u32 s1, 0
	s_cselect_b32 s1, s0, s22
	s_cselect_b32 s0, s29, s28
	s_cbranch_execnz .LBB116_93
.LBB116_92:                             ;   in Loop: Header=BB116_20 Depth=1
	v_cvt_f32_u32_e32 v2, s25
	s_sub_i32 s0, 0, s25
	v_rcp_iflag_f32_e32 v2, v2
	v_mul_f32_e32 v2, 0x4f7ffffe, v2
	v_cvt_u32_f32_e32 v2, v2
	v_readfirstlane_b32 s1, v2
	s_mul_i32 s0, s0, s1
	s_mul_hi_u32 s0, s1, s0
	s_add_i32 s1, s1, s0
	s_mul_hi_u32 s0, s30, s1
	s_mul_i32 s0, s0, s25
	s_sub_i32 s0, s30, s0
	s_sub_i32 s1, s0, s25
	s_cmp_ge_u32 s0, s25
	s_cselect_b32 s0, s1, s0
	s_sub_i32 s1, s0, s25
	s_cmp_ge_u32 s0, s25
	s_cselect_b32 s40, s1, s0
	s_mov_b64 s[0:1], s[40:41]
.LBB116_93:                             ;   in Loop: Header=BB116_20 Depth=1
	s_sub_u32 s50, s30, s0
	s_subb_u32 s51, s23, s1
	v_cmp_gt_u64_e32 vcc, s[50:51], v[0:1]
	s_mov_b64 s[28:29], 0
	s_mov_b64 s[22:23], 0
                                        ; implicit-def: $vgpr6_vgpr7
	s_and_saveexec_b64 s[30:31], vcc
	s_cbranch_execz .LBB116_103
; %bb.94:                               ;   in Loop: Header=BB116_20 Depth=1
	v_mov_b32_e32 v13, v1
	v_mov_b32_e32 v14, v39
	;; [unrolled: 1-line block ×3, first 2 shown]
                                        ; implicit-def: $sgpr52_sgpr53
	s_branch .LBB116_98
.LBB116_95:                             ;   in Loop: Header=BB116_98 Depth=2
	s_or_b64 exec, exec, s[0:1]
	s_waitcnt lgkmcnt(0)
	s_barrier
	ds_read_b128 v[4:7], v21 offset:3072
	s_waitcnt lgkmcnt(0)
	s_barrier
	v_cmp_neq_f64_e32 vcc, 0, v[4:5]
	s_cbranch_vccnz .LBB116_101
; %bb.96:                               ;   in Loop: Header=BB116_98 Depth=2
	v_add_co_u32_e32 v12, vcc, s25, v12
	v_addc_co_u32_e32 v13, vcc, 0, v13, vcc
	v_cmp_le_u64_e32 vcc, s[50:51], v[12:13]
	v_add_u32_e32 v14, s2, v14
	s_mov_b64 s[0:1], 0
	s_orn2_b64 s[80:81], vcc, exec
.LBB116_97:                             ;   in Loop: Header=BB116_98 Depth=2
	s_and_b64 s[80:81], exec, s[80:81]
	s_or_b64 s[22:23], s[80:81], s[22:23]
	s_andn2_b64 s[52:53], s[52:53], exec
	s_and_b64 s[0:1], s[0:1], exec
	s_or_b64 s[52:53], s[52:53], s[0:1]
	s_andn2_b64 exec, exec, s[22:23]
	s_cbranch_execz .LBB116_102
.LBB116_98:                             ;   Parent Loop BB116_20 Depth=1
                                        ; =>  This Inner Loop Header: Depth=2
	v_cmp_gt_u64_e32 vcc, s[26:27], v[12:13]
	s_and_saveexec_b64 s[0:1], vcc
	s_cbranch_execz .LBB116_95
; %bb.99:                               ;   in Loop: Header=BB116_98 Depth=2
	ds_read_b64 v[4:5], v14
	s_waitcnt lgkmcnt(0)
	v_cmp_o_f64_e32 vcc, v[4:5], v[4:5]
	v_ashrrev_i32_e32 v2, 31, v5
	v_or_b32_e32 v6, 0x80000000, v2
	v_xor_b32_e32 v6, v6, v5
	v_xor_b32_e32 v2, v2, v4
	v_cndmask_b32_e32 v6, -1, v6, vcc
	v_cndmask_b32_e32 v2, -1, v2, vcc
	v_and_b32_e32 v7, v6, v31
	v_and_b32_e32 v6, v2, v30
	v_cmp_eq_u64_e32 vcc, v[6:7], v[26:27]
	s_and_b64 exec, exec, vcc
	s_cbranch_execz .LBB116_95
; %bb.100:                              ;   in Loop: Header=BB116_98 Depth=2
	v_mov_b32_e32 v2, v21
	ds_write_b128 v21, v[2:5] offset:3072
	s_branch .LBB116_95
.LBB116_101:                            ;   in Loop: Header=BB116_98 Depth=2
	s_mov_b64 s[80:81], -1
                                        ; implicit-def: $vgpr12_vgpr13
                                        ; implicit-def: $vgpr14
	s_mov_b64 s[0:1], -1
	s_branch .LBB116_97
.LBB116_102:                            ;   in Loop: Header=BB116_20 Depth=1
	s_or_b64 exec, exec, s[22:23]
	s_and_b64 s[22:23], s[52:53], exec
.LBB116_103:                            ;   in Loop: Header=BB116_20 Depth=1
	s_or_b64 exec, exec, s[30:31]
.LBB116_104:                            ;   in Loop: Header=BB116_20 Depth=1
	s_and_b64 vcc, exec, s[28:29]
	s_cbranch_vccz .LBB116_119
; %bb.105:                              ;   in Loop: Header=BB116_20 Depth=1
	s_mov_b32 s46, s41
	s_cmp_lg_u64 s[46:47], 0
	s_cbranch_scc0 .LBB116_151
; %bb.106:                              ;   in Loop: Header=BB116_20 Depth=1
	v_cvt_f32_u32_e32 v2, s25
	s_sub_u32 s26, 0, s25
	s_subb_u32 s27, 0, 0
	v_mac_f32_e32 v2, 0, v49
	v_rcp_f32_e32 v2, v2
	v_mul_f32_e32 v2, 0x5f7ffffc, v2
	v_mul_f32_e32 v4, 0x2f800000, v2
	v_trunc_f32_e32 v4, v4
	v_mac_f32_e32 v2, 0xcf800000, v4
	v_cvt_u32_f32_e32 v4, v4
	v_cvt_u32_f32_e32 v2, v2
	v_readfirstlane_b32 s28, v4
	v_readfirstlane_b32 s0, v2
	s_mul_i32 s1, s26, s28
	s_mul_hi_u32 s30, s26, s0
	s_mul_i32 s29, s27, s0
	s_add_i32 s1, s30, s1
	s_mul_i32 s31, s26, s0
	s_add_i32 s1, s1, s29
	s_mul_hi_u32 s30, s0, s31
	s_mul_i32 s40, s0, s1
	s_mul_hi_u32 s29, s0, s1
	s_add_u32 s30, s30, s40
	s_addc_u32 s29, 0, s29
	s_mul_hi_u32 s46, s28, s31
	s_mul_i32 s31, s28, s31
	s_add_u32 s30, s30, s31
	s_mul_hi_u32 s40, s28, s1
	s_addc_u32 s29, s29, s46
	s_addc_u32 s30, s40, 0
	s_mul_i32 s1, s28, s1
	s_add_u32 s1, s29, s1
	s_addc_u32 s29, 0, s30
	s_add_u32 s30, s0, s1
	s_cselect_b64 s[0:1], -1, 0
	s_cmp_lg_u64 s[0:1], 0
	s_addc_u32 s28, s28, s29
	s_mul_i32 s0, s26, s28
	s_mul_hi_u32 s1, s26, s30
	s_add_i32 s0, s1, s0
	s_mul_i32 s27, s27, s30
	s_add_i32 s0, s0, s27
	s_mul_i32 s26, s26, s30
	s_mul_hi_u32 s27, s28, s26
	s_mul_i32 s29, s28, s26
	s_mul_i32 s40, s30, s0
	s_mul_hi_u32 s26, s30, s26
	s_mul_hi_u32 s31, s30, s0
	s_add_u32 s26, s26, s40
	s_addc_u32 s31, 0, s31
	s_add_u32 s26, s26, s29
	s_mul_hi_u32 s1, s28, s0
	s_addc_u32 s26, s31, s27
	s_addc_u32 s1, s1, 0
	s_mul_i32 s0, s28, s0
	s_add_u32 s0, s26, s0
	s_addc_u32 s26, 0, s1
	s_add_u32 s27, s30, s0
	s_cselect_b64 s[0:1], -1, 0
	s_cmp_lg_u64 s[0:1], 0
	s_addc_u32 s0, s28, s26
	s_mul_i32 s26, s8, s0
	s_mul_hi_u32 s28, s8, s27
	s_mul_hi_u32 s1, s8, s0
	s_add_u32 s26, s28, s26
	s_addc_u32 s1, 0, s1
	s_mul_hi_u32 s29, s47, s27
	s_mul_i32 s27, s47, s27
	s_add_u32 s26, s26, s27
	s_mul_hi_u32 s28, s47, s0
	s_addc_u32 s1, s1, s29
	s_addc_u32 s26, s28, 0
	s_mul_i32 s0, s47, s0
	s_add_u32 s0, s1, s0
	s_addc_u32 s1, 0, s26
	s_mul_i32 s1, s25, s1
	s_mul_hi_u32 s26, s25, s0
	s_add_i32 s26, s26, s1
	s_mul_i32 s0, s25, s0
	s_sub_u32 s27, s8, s0
	s_cselect_b64 s[0:1], -1, 0
	s_cmp_lg_u64 s[0:1], 0
	s_subb_u32 s26, s47, s26
	s_sub_u32 s28, s27, s25
	s_cselect_b64 s[0:1], -1, 0
	s_cmp_lg_u64 s[0:1], 0
	s_subb_u32 s29, s26, 0
	;; [unrolled: 4-line block ×3, first 2 shown]
	s_cmp_ge_u32 s28, s25
	s_cselect_b32 s1, -1, 0
	s_cmp_eq_u32 s29, 0
	s_cselect_b32 s1, s1, -1
	s_cmp_lg_u32 s1, 0
	s_cselect_b32 s0, s0, s29
	s_cselect_b32 s28, s30, s28
	s_cmp_ge_u32 s27, s25
	s_cselect_b32 s1, -1, 0
	s_cmp_eq_u32 s26, 0
	s_cselect_b32 s1, s1, -1
	s_cmp_lg_u32 s1, 0
	s_cselect_b32 s1, s0, s26
	s_cselect_b32 s0, s28, s27
	s_cbranch_execnz .LBB116_108
.LBB116_107:                            ;   in Loop: Header=BB116_20 Depth=1
	v_cvt_f32_u32_e32 v2, s25
	s_sub_i32 s0, 0, s25
	v_rcp_iflag_f32_e32 v2, v2
	v_mul_f32_e32 v2, 0x4f7ffffe, v2
	v_cvt_u32_f32_e32 v2, v2
	v_readfirstlane_b32 s1, v2
	s_mul_i32 s0, s0, s1
	s_mul_hi_u32 s0, s1, s0
	s_add_i32 s1, s1, s0
	s_mul_hi_u32 s0, s8, s1
	s_mul_i32 s0, s0, s25
	s_sub_i32 s0, s8, s0
	s_sub_i32 s1, s0, s25
	s_cmp_ge_u32 s0, s25
	s_cselect_b32 s0, s1, s0
	s_sub_i32 s1, s0, s25
	s_cmp_ge_u32 s0, s25
	s_cselect_b32 s40, s1, s0
	s_mov_b64 s[0:1], s[40:41]
.LBB116_108:                            ;   in Loop: Header=BB116_20 Depth=1
	s_sub_u32 s28, s8, s0
	s_subb_u32 s29, s47, s1
	v_cmp_gt_u64_e32 vcc, s[28:29], v[0:1]
                                        ; implicit-def: $vgpr6_vgpr7
	s_and_saveexec_b64 s[26:27], vcc
	s_cbranch_execz .LBB116_118
; %bb.109:                              ;   in Loop: Header=BB116_20 Depth=1
	v_mov_b32_e32 v12, v16
	v_mov_b32_e32 v15, v1
	s_mov_b64 s[50:51], 0
	v_mov_b32_e32 v13, v17
	v_mov_b32_e32 v14, v0
                                        ; implicit-def: $sgpr30_sgpr31
	s_branch .LBB116_113
.LBB116_110:                            ;   in Loop: Header=BB116_113 Depth=2
	s_or_b64 exec, exec, s[0:1]
	s_waitcnt lgkmcnt(0)
	s_barrier
	ds_read_b128 v[4:7], v21 offset:3072
	s_waitcnt lgkmcnt(0)
	s_barrier
	v_cmp_neq_f64_e32 vcc, 0, v[4:5]
	s_cbranch_vccnz .LBB116_116
; %bb.111:                              ;   in Loop: Header=BB116_113 Depth=2
	v_add_co_u32_e32 v14, vcc, s25, v14
	v_addc_co_u32_e32 v15, vcc, 0, v15, vcc
	v_mov_b32_e32 v2, s37
	v_add_co_u32_e32 v12, vcc, s36, v12
	v_addc_co_u32_e32 v13, vcc, v13, v2, vcc
	v_cmp_le_u64_e32 vcc, s[28:29], v[14:15]
	s_mov_b64 s[0:1], 0
	s_orn2_b64 s[52:53], vcc, exec
.LBB116_112:                            ;   in Loop: Header=BB116_113 Depth=2
	s_and_b64 s[52:53], exec, s[52:53]
	s_or_b64 s[50:51], s[52:53], s[50:51]
	s_andn2_b64 s[30:31], s[30:31], exec
	s_and_b64 s[0:1], s[0:1], exec
	s_or_b64 s[30:31], s[30:31], s[0:1]
	s_andn2_b64 exec, exec, s[50:51]
	s_cbranch_execz .LBB116_117
.LBB116_113:                            ;   Parent Loop BB116_20 Depth=1
                                        ; =>  This Inner Loop Header: Depth=2
	v_cmp_gt_u64_e32 vcc, s[20:21], v[14:15]
	s_and_saveexec_b64 s[0:1], vcc
	s_cbranch_execz .LBB116_110
; %bb.114:                              ;   in Loop: Header=BB116_113 Depth=2
	global_load_dwordx2 v[4:5], v[12:13], off
	s_waitcnt vmcnt(0)
	v_cmp_o_f64_e32 vcc, v[4:5], v[4:5]
	v_ashrrev_i32_e32 v2, 31, v5
	v_or_b32_e32 v6, 0x80000000, v2
	v_xor_b32_e32 v6, v6, v5
	v_xor_b32_e32 v2, v2, v4
	v_cndmask_b32_e32 v6, -1, v6, vcc
	v_cndmask_b32_e32 v2, -1, v2, vcc
	v_and_b32_e32 v7, v6, v31
	v_and_b32_e32 v6, v2, v30
	v_cmp_eq_u64_e32 vcc, v[6:7], v[26:27]
	s_and_b64 exec, exec, vcc
	s_cbranch_execz .LBB116_110
; %bb.115:                              ;   in Loop: Header=BB116_113 Depth=2
	v_mov_b32_e32 v2, v21
	ds_write_b128 v21, v[2:5] offset:3072
	s_branch .LBB116_110
.LBB116_116:                            ;   in Loop: Header=BB116_113 Depth=2
	s_mov_b64 s[52:53], -1
                                        ; implicit-def: $vgpr14_vgpr15
                                        ; implicit-def: $vgpr12_vgpr13
	s_mov_b64 s[0:1], -1
	s_branch .LBB116_112
.LBB116_117:                            ;   in Loop: Header=BB116_20 Depth=1
	s_or_b64 exec, exec, s[50:51]
	s_andn2_b64 s[0:1], s[22:23], exec
	s_and_b64 s[22:23], s[30:31], exec
	s_or_b64 s[22:23], s[0:1], s[22:23]
.LBB116_118:                            ;   in Loop: Header=BB116_20 Depth=1
	s_or_b64 exec, exec, s[26:27]
	s_mov_b64 s[72:73], 0
	s_mov_b64 s[78:79], -1
.LBB116_119:                            ;   in Loop: Header=BB116_20 Depth=1
	s_orn2_b64 s[22:23], s[22:23], exec
.LBB116_120:                            ;   in Loop: Header=BB116_20 Depth=1
	s_or_b64 exec, exec, s[14:15]
	s_andn2_b64 s[0:1], s[70:71], exec
	s_and_b64 s[14:15], s[78:79], exec
	s_or_b64 s[70:71], s[0:1], s[14:15]
	s_andn2_b64 s[0:1], s[68:69], exec
	s_and_b64 s[14:15], s[72:73], exec
	s_andn2_b64 s[66:67], s[66:67], exec
	s_or_b64 s[68:69], s[0:1], s[14:15]
                                        ; implicit-def: $vgpr12_vgpr13
	s_and_saveexec_b64 s[14:15], s[22:23]
	s_cbranch_execz .LBB116_19
; %bb.121:                              ;   in Loop: Header=BB116_20 Depth=1
	v_mov_b32_e32 v12, 1
	s_xor_b64 s[18:19], s[18:19], -1
	v_mov_b32_e32 v34, 1
	v_mov_b32_e32 v13, 0
	s_mov_b64 s[0:1], 0
	s_and_saveexec_b64 s[6:7], s[18:19]
	s_cbranch_execz .LBB116_130
; %bb.122:                              ;   in Loop: Header=BB116_20 Depth=1
	v_cmp_le_u64_e32 vcc, v[32:33], v[8:9]
	s_and_saveexec_b64 s[0:1], vcc
	s_xor_b64 s[18:19], exec, s[0:1]
	s_cbranch_execz .LBB116_127
; %bb.123:                              ;   in Loop: Header=BB116_20 Depth=1
	ds_read_b64 v[4:5], v21 offset:5120
	v_and_b32_e32 v27, s77, v27
	v_and_b32_e32 v26, s76, v26
	v_or_b32_e32 v31, s13, v31
	v_or_b32_e32 v30, s12, v30
	s_waitcnt lgkmcnt(0)
	v_cmp_ne_u64_e32 vcc, 0, v[4:5]
	s_cbranch_vccnz .LBB116_127
; %bb.124:                              ;   in Loop: Header=BB116_20 Depth=1
	s_mov_b64 s[0:1], exec
	v_readlane_b32 s22, v54, 12
	v_readlane_b32 s23, v54, 13
	s_and_b64 s[22:23], s[0:1], s[22:23]
	s_mov_b64 exec, s[22:23]
; %bb.125:                              ;   in Loop: Header=BB116_20 Depth=1
	ds_write_b64 v21, v[8:9] offset:5128
; %bb.126:                              ;   in Loop: Header=BB116_20 Depth=1
	s_or_b64 exec, exec, s[0:1]
	s_waitcnt lgkmcnt(0)
	s_barrier
.LBB116_127:                            ;   in Loop: Header=BB116_20 Depth=1
	s_or_saveexec_b64 s[0:1], s[18:19]
	s_mov_b64 s[18:19], 0
	v_mov_b32_e32 v34, 8
	s_xor_b64 exec, exec, s[0:1]
; %bb.128:                              ;   in Loop: Header=BB116_20 Depth=1
	v_sub_co_u32_e32 v32, vcc, v32, v8
	s_mov_b64 s[18:19], exec
	v_subb_co_u32_e32 v33, vcc, v33, v9, vcc
	v_mov_b32_e32 v34, 0
; %bb.129:                              ;   in Loop: Header=BB116_20 Depth=1
	s_or_b64 exec, exec, s[0:1]
	v_mov_b32_e32 v12, v32
	s_and_b64 s[0:1], s[18:19], exec
	v_mov_b32_e32 v13, v33
.LBB116_130:                            ;   in Loop: Header=BB116_20 Depth=1
	s_or_b64 exec, exec, s[6:7]
	s_mov_b64 s[18:19], -1
	s_mov_b64 s[22:23], -1
                                        ; implicit-def: $sgpr6_sgpr7
                                        ; implicit-def: $sgpr78_sgpr79
	s_and_saveexec_b64 s[26:27], s[0:1]
	s_xor_b64 s[72:73], exec, s[26:27]
	s_cbranch_execz .LBB116_281
; %bb.131:                              ;   in Loop: Header=BB116_20 Depth=1
	v_cmp_eq_u64_e32 vcc, 1, v[10:11]
	v_cmp_eq_u64_e64 s[6:7], 1, v[12:13]
	s_mov_b64 s[0:1], -1
	s_and_b64 s[82:83], vcc, s[6:7]
                                        ; implicit-def: $sgpr78_sgpr79
                                        ; implicit-def: $sgpr6_sgpr7
	s_and_saveexec_b64 s[80:81], s[82:83]
	s_cbranch_execz .LBB116_170
; %bb.132:                              ;   in Loop: Header=BB116_20 Depth=1
	ds_read_b64 v[4:5], v21 offset:5120
	s_waitcnt lgkmcnt(0)
	s_barrier
	v_readfirstlane_b32 s84, v4
	v_readfirstlane_b32 s85, v5
	s_and_saveexec_b64 s[0:1], s[16:17]
; %bb.133:                              ;   in Loop: Header=BB116_20 Depth=1
	v_mov_b32_e32 v20, v21
	ds_write_b64 v40, v[20:21]
; %bb.134:                              ;   in Loop: Header=BB116_20 Depth=1
	s_or_b64 exec, exec, s[0:1]
	s_lshl_b64 s[0:1], 1, s3
	v_and_b32_e32 v2, s77, v27
	v_and_b32_e32 v4, s76, v26
	v_or_b32_e32 v27, s1, v2
	v_or_b32_e32 v26, s0, v4
	;; [unrolled: 1-line block ×4, first 2 shown]
	s_mov_b64 s[6:7], -1
	s_mov_b64 s[78:79], 0
	s_cmp_eq_u64 s[84:85], 0
	s_mov_b64 s[22:23], 0
	s_mov_b64 s[26:27], -1
	s_waitcnt lgkmcnt(0)
	s_barrier
                                        ; implicit-def: $vgpr6_vgpr7
	s_cbranch_scc1 .LBB116_154
; %bb.135:                              ;   in Loop: Header=BB116_20 Depth=1
	v_readlane_b32 s0, v54, 16
	s_add_u32 s28, s84, s0
	s_addc_u32 s23, s85, s24
	s_mov_b32 s22, s41
	s_cmp_lg_u64 s[22:23], 0
	s_cbranch_scc0 .LBB116_198
; %bb.136:                              ;   in Loop: Header=BB116_20 Depth=1
	v_cvt_f32_u32_e32 v2, s25
	s_sub_u32 s22, 0, s25
	s_subb_u32 s26, 0, 0
	v_mac_f32_e32 v2, 0, v49
	v_rcp_f32_e32 v2, v2
	v_mul_f32_e32 v2, 0x5f7ffffc, v2
	v_mul_f32_e32 v4, 0x2f800000, v2
	v_trunc_f32_e32 v4, v4
	v_mac_f32_e32 v2, 0xcf800000, v4
	v_cvt_u32_f32_e32 v4, v4
	v_cvt_u32_f32_e32 v2, v2
	v_readfirstlane_b32 s27, v4
	v_readfirstlane_b32 s0, v2
	s_mul_i32 s1, s22, s27
	s_mul_hi_u32 s30, s22, s0
	s_mul_i32 s29, s26, s0
	s_add_i32 s1, s30, s1
	s_mul_i32 s31, s22, s0
	s_add_i32 s1, s1, s29
	s_mul_hi_u32 s30, s0, s31
	s_mul_i32 s40, s0, s1
	s_mul_hi_u32 s29, s0, s1
	s_add_u32 s30, s30, s40
	s_addc_u32 s29, 0, s29
	s_mul_hi_u32 s46, s27, s31
	s_mul_i32 s31, s27, s31
	s_add_u32 s30, s30, s31
	s_mul_hi_u32 s40, s27, s1
	s_addc_u32 s29, s29, s46
	s_addc_u32 s30, s40, 0
	s_mul_i32 s1, s27, s1
	s_add_u32 s1, s29, s1
	s_addc_u32 s29, 0, s30
	s_add_u32 s30, s0, s1
	s_cselect_b64 s[0:1], -1, 0
	s_cmp_lg_u64 s[0:1], 0
	s_addc_u32 s27, s27, s29
	s_mul_i32 s0, s22, s27
	s_mul_hi_u32 s1, s22, s30
	s_add_i32 s0, s1, s0
	s_mul_i32 s26, s26, s30
	s_add_i32 s0, s0, s26
	s_mul_i32 s22, s22, s30
	s_mul_hi_u32 s26, s27, s22
	s_mul_i32 s29, s27, s22
	s_mul_i32 s40, s30, s0
	s_mul_hi_u32 s22, s30, s22
	s_mul_hi_u32 s31, s30, s0
	s_add_u32 s22, s22, s40
	s_addc_u32 s31, 0, s31
	s_add_u32 s22, s22, s29
	s_mul_hi_u32 s1, s27, s0
	s_addc_u32 s22, s31, s26
	s_addc_u32 s1, s1, 0
	s_mul_i32 s0, s27, s0
	s_add_u32 s0, s22, s0
	s_addc_u32 s22, 0, s1
	s_add_u32 s26, s30, s0
	s_cselect_b64 s[0:1], -1, 0
	s_cmp_lg_u64 s[0:1], 0
	s_addc_u32 s0, s27, s22
	s_mul_i32 s22, s28, s0
	s_mul_hi_u32 s27, s28, s26
	s_mul_hi_u32 s1, s28, s0
	s_add_u32 s22, s27, s22
	s_addc_u32 s1, 0, s1
	s_mul_hi_u32 s29, s23, s26
	s_mul_i32 s26, s23, s26
	s_add_u32 s22, s22, s26
	s_mul_hi_u32 s27, s23, s0
	s_addc_u32 s1, s1, s29
	s_addc_u32 s22, s27, 0
	s_mul_i32 s0, s23, s0
	s_add_u32 s0, s1, s0
	s_addc_u32 s1, 0, s22
	s_mul_i32 s1, s25, s1
	s_mul_hi_u32 s22, s25, s0
	s_add_i32 s22, s22, s1
	s_mul_i32 s0, s25, s0
	s_sub_u32 s26, s28, s0
	s_cselect_b64 s[0:1], -1, 0
	s_cmp_lg_u64 s[0:1], 0
	s_subb_u32 s22, s23, s22
	s_sub_u32 s27, s26, s25
	s_cselect_b64 s[0:1], -1, 0
	s_cmp_lg_u64 s[0:1], 0
	s_subb_u32 s29, s22, 0
	;; [unrolled: 4-line block ×3, first 2 shown]
	s_cmp_ge_u32 s27, s25
	s_cselect_b32 s1, -1, 0
	s_cmp_eq_u32 s29, 0
	s_cselect_b32 s1, s1, -1
	s_cmp_lg_u32 s1, 0
	s_cselect_b32 s0, s0, s29
	s_cselect_b32 s27, s30, s27
	s_cmp_ge_u32 s26, s25
	s_cselect_b32 s1, -1, 0
	s_cmp_eq_u32 s22, 0
	s_cselect_b32 s1, s1, -1
	s_cmp_lg_u32 s1, 0
	s_cselect_b32 s1, s0, s22
	s_cselect_b32 s0, s27, s26
	s_cbranch_execnz .LBB116_138
.LBB116_137:                            ;   in Loop: Header=BB116_20 Depth=1
	v_cvt_f32_u32_e32 v2, s25
	s_sub_i32 s0, 0, s25
	v_rcp_iflag_f32_e32 v2, v2
	v_mul_f32_e32 v2, 0x4f7ffffe, v2
	v_cvt_u32_f32_e32 v2, v2
	v_readfirstlane_b32 s1, v2
	s_mul_i32 s0, s0, s1
	s_mul_hi_u32 s0, s1, s0
	s_add_i32 s1, s1, s0
	s_mul_hi_u32 s0, s28, s1
	s_mul_i32 s0, s0, s25
	s_sub_i32 s0, s28, s0
	s_sub_i32 s1, s0, s25
	s_cmp_ge_u32 s0, s25
	s_cselect_b32 s0, s1, s0
	s_sub_i32 s1, s0, s25
	s_cmp_ge_u32 s0, s25
	s_cselect_b32 s40, s1, s0
	s_mov_b64 s[0:1], s[40:41]
.LBB116_138:                            ;   in Loop: Header=BB116_20 Depth=1
	s_sub_u32 s30, s28, s0
	s_subb_u32 s31, s23, s1
	v_cmp_gt_u64_e32 vcc, s[30:31], v[0:1]
	s_mov_b64 s[26:27], 0
	s_mov_b64 s[22:23], 0
                                        ; implicit-def: $vgpr6_vgpr7
	s_and_saveexec_b64 s[28:29], vcc
	s_cbranch_execz .LBB116_153
; %bb.139:                              ;   in Loop: Header=BB116_20 Depth=1
	v_mov_b32_e32 v9, v1
	v_mov_b32_e32 v14, v39
	;; [unrolled: 1-line block ×3, first 2 shown]
                                        ; implicit-def: $sgpr50_sgpr51
	s_branch .LBB116_143
.LBB116_140:                            ;   in Loop: Header=BB116_143 Depth=2
	s_or_b64 exec, exec, s[52:53]
	s_waitcnt lgkmcnt(0)
	s_barrier
	ds_read_b128 v[4:7], v21 offset:3072
	s_waitcnt lgkmcnt(0)
	s_barrier
	v_cmp_neq_f64_e32 vcc, 0, v[4:5]
	s_cbranch_vccnz .LBB116_146
; %bb.141:                              ;   in Loop: Header=BB116_143 Depth=2
	v_add_co_u32_e32 v8, vcc, s25, v8
	v_addc_co_u32_e32 v9, vcc, 0, v9, vcc
	v_cmp_le_u64_e32 vcc, s[30:31], v[8:9]
	v_add_u32_e32 v14, s2, v14
	s_mov_b64 s[0:1], 0
	s_orn2_b64 s[52:53], vcc, exec
.LBB116_142:                            ;   in Loop: Header=BB116_143 Depth=2
	s_and_b64 s[52:53], exec, s[52:53]
	s_or_b64 s[22:23], s[52:53], s[22:23]
	s_andn2_b64 s[50:51], s[50:51], exec
	s_and_b64 s[0:1], s[0:1], exec
	s_or_b64 s[50:51], s[50:51], s[0:1]
	s_andn2_b64 exec, exec, s[22:23]
	s_cbranch_execz .LBB116_152
.LBB116_143:                            ;   Parent Loop BB116_20 Depth=1
                                        ; =>  This Inner Loop Header: Depth=2
	v_cmp_gt_u64_e32 vcc, s[84:85], v[8:9]
	s_and_saveexec_b64 s[52:53], vcc
	s_cbranch_execz .LBB116_140
; %bb.144:                              ;   in Loop: Header=BB116_143 Depth=2
	ds_read_b64 v[4:5], v14
	s_waitcnt lgkmcnt(0)
	v_cmp_o_f64_e32 vcc, v[4:5], v[4:5]
	v_ashrrev_i32_e32 v2, 31, v5
	v_or_b32_e32 v6, 0x80000000, v2
	v_xor_b32_e32 v6, v6, v5
	v_xor_b32_e32 v2, v2, v4
	v_cndmask_b32_e32 v6, -1, v6, vcc
	v_cndmask_b32_e32 v2, -1, v2, vcc
	v_and_b32_e32 v7, v6, v31
	v_and_b32_e32 v6, v2, v30
	v_cmp_eq_u64_e32 vcc, v[6:7], v[26:27]
	s_and_b64 exec, exec, vcc
	s_cbranch_execz .LBB116_140
; %bb.145:                              ;   in Loop: Header=BB116_143 Depth=2
	v_mov_b32_e32 v2, v21
	ds_write_b128 v21, v[2:5] offset:3072
	s_branch .LBB116_140
.LBB116_146:                            ;   in Loop: Header=BB116_143 Depth=2
	s_mov_b64 s[52:53], -1
                                        ; implicit-def: $vgpr8_vgpr9
                                        ; implicit-def: $vgpr14
	s_mov_b64 s[0:1], -1
	s_branch .LBB116_142
.LBB116_147:                            ;   in Loop: Header=BB116_20 Depth=1
                                        ; implicit-def: $sgpr0_sgpr1
	s_andn2_b64 vcc, exec, s[28:29]
	s_cbranch_vccz .LBB116_92
	s_branch .LBB116_93
.LBB116_148:                            ;   in Loop: Header=BB116_20 Depth=1
	s_or_b64 exec, exec, s[14:15]
	s_waitcnt lgkmcnt(0)
	s_barrier
	s_mov_b64 s[0:1], exec
	v_readlane_b32 s6, v54, 12
	v_readlane_b32 s7, v54, 13
	s_and_b64 s[6:7], s[0:1], s[6:7]
	s_mov_b64 exec, s[6:7]
	s_cbranch_execz .LBB116_150
; %bb.149:                              ;   in Loop: Header=BB116_20 Depth=1
	ds_read_b32 v4, v21 offset:5144
	s_waitcnt lgkmcnt(0)
	v_ashrrev_i32_e32 v5, 31, v4
	ds_write_b64 v21, v[4:5] offset:5120
.LBB116_150:                            ;   in Loop: Header=BB116_20 Depth=1
	s_or_b64 exec, exec, s[0:1]
	s_waitcnt lgkmcnt(0)
	s_barrier
	s_mov_b64 s[0:1], -1
	s_and_b64 vcc, exec, s[12:13]
	s_cbranch_vccnz .LBB116_36
	s_branch .LBB116_45
.LBB116_151:                            ;   in Loop: Header=BB116_20 Depth=1
                                        ; implicit-def: $sgpr0_sgpr1
	s_branch .LBB116_107
.LBB116_152:                            ;   in Loop: Header=BB116_20 Depth=1
	s_or_b64 exec, exec, s[22:23]
	s_and_b64 s[22:23], s[50:51], exec
.LBB116_153:                            ;   in Loop: Header=BB116_20 Depth=1
	s_or_b64 exec, exec, s[28:29]
.LBB116_154:                            ;   in Loop: Header=BB116_20 Depth=1
	s_and_b64 vcc, exec, s[26:27]
	s_cbranch_vccz .LBB116_169
; %bb.155:                              ;   in Loop: Header=BB116_20 Depth=1
	s_mov_b32 s46, s41
	s_cmp_lg_u64 s[46:47], 0
	s_cbranch_scc0 .LBB116_199
; %bb.156:                              ;   in Loop: Header=BB116_20 Depth=1
	v_cvt_f32_u32_e32 v2, s25
	s_sub_u32 s6, 0, s25
	s_subb_u32 s7, 0, 0
	v_mac_f32_e32 v2, 0, v49
	v_rcp_f32_e32 v2, v2
	v_mul_f32_e32 v2, 0x5f7ffffc, v2
	v_mul_f32_e32 v4, 0x2f800000, v2
	v_trunc_f32_e32 v4, v4
	v_mac_f32_e32 v2, 0xcf800000, v4
	v_cvt_u32_f32_e32 v4, v4
	v_cvt_u32_f32_e32 v2, v2
	v_readfirstlane_b32 s26, v4
	v_readfirstlane_b32 s0, v2
	s_mul_i32 s1, s6, s26
	s_mul_hi_u32 s28, s6, s0
	s_mul_i32 s27, s7, s0
	s_add_i32 s1, s28, s1
	s_mul_i32 s29, s6, s0
	s_add_i32 s1, s1, s27
	s_mul_hi_u32 s28, s0, s29
	s_mul_i32 s30, s0, s1
	s_mul_hi_u32 s27, s0, s1
	s_add_u32 s28, s28, s30
	s_addc_u32 s27, 0, s27
	s_mul_hi_u32 s31, s26, s29
	s_mul_i32 s29, s26, s29
	s_add_u32 s28, s28, s29
	s_mul_hi_u32 s30, s26, s1
	s_addc_u32 s27, s27, s31
	s_addc_u32 s28, s30, 0
	s_mul_i32 s1, s26, s1
	s_add_u32 s1, s27, s1
	s_addc_u32 s27, 0, s28
	s_add_u32 s28, s0, s1
	s_cselect_b64 s[0:1], -1, 0
	s_cmp_lg_u64 s[0:1], 0
	s_addc_u32 s26, s26, s27
	s_mul_i32 s0, s6, s26
	s_mul_hi_u32 s1, s6, s28
	s_add_i32 s0, s1, s0
	s_mul_i32 s7, s7, s28
	s_add_i32 s0, s0, s7
	s_mul_i32 s6, s6, s28
	s_mul_hi_u32 s7, s26, s6
	s_mul_i32 s27, s26, s6
	s_mul_i32 s30, s28, s0
	s_mul_hi_u32 s6, s28, s6
	s_mul_hi_u32 s29, s28, s0
	s_add_u32 s6, s6, s30
	s_addc_u32 s29, 0, s29
	s_add_u32 s6, s6, s27
	s_mul_hi_u32 s1, s26, s0
	s_addc_u32 s6, s29, s7
	s_addc_u32 s1, s1, 0
	s_mul_i32 s0, s26, s0
	s_add_u32 s0, s6, s0
	s_addc_u32 s6, 0, s1
	s_add_u32 s7, s28, s0
	s_cselect_b64 s[0:1], -1, 0
	s_cmp_lg_u64 s[0:1], 0
	s_addc_u32 s0, s26, s6
	s_mul_i32 s6, s8, s0
	s_mul_hi_u32 s26, s8, s7
	s_mul_hi_u32 s1, s8, s0
	s_add_u32 s6, s26, s6
	s_addc_u32 s1, 0, s1
	s_mul_hi_u32 s27, s47, s7
	s_mul_i32 s7, s47, s7
	s_add_u32 s6, s6, s7
	s_mul_hi_u32 s26, s47, s0
	s_addc_u32 s1, s1, s27
	s_addc_u32 s6, s26, 0
	s_mul_i32 s0, s47, s0
	s_add_u32 s0, s1, s0
	s_addc_u32 s1, 0, s6
	s_mul_i32 s1, s25, s1
	s_mul_hi_u32 s6, s25, s0
	s_add_i32 s6, s6, s1
	s_mul_i32 s0, s25, s0
	s_sub_u32 s7, s8, s0
	s_cselect_b64 s[0:1], -1, 0
	s_cmp_lg_u64 s[0:1], 0
	s_subb_u32 s6, s47, s6
	s_sub_u32 s26, s7, s25
	s_cselect_b64 s[0:1], -1, 0
	s_cmp_lg_u64 s[0:1], 0
	s_subb_u32 s27, s6, 0
	;; [unrolled: 4-line block ×3, first 2 shown]
	s_cmp_ge_u32 s26, s25
	s_cselect_b32 s1, -1, 0
	s_cmp_eq_u32 s27, 0
	s_cselect_b32 s1, s1, -1
	s_cmp_lg_u32 s1, 0
	s_cselect_b32 s0, s0, s27
	s_cselect_b32 s26, s28, s26
	s_cmp_ge_u32 s7, s25
	s_cselect_b32 s1, -1, 0
	s_cmp_eq_u32 s6, 0
	s_cselect_b32 s1, s1, -1
	s_cmp_lg_u32 s1, 0
	s_cselect_b32 s1, s0, s6
	s_cselect_b32 s0, s26, s7
	s_cbranch_execnz .LBB116_158
.LBB116_157:                            ;   in Loop: Header=BB116_20 Depth=1
	v_cvt_f32_u32_e32 v2, s25
	s_sub_i32 s0, 0, s25
	v_rcp_iflag_f32_e32 v2, v2
	v_mul_f32_e32 v2, 0x4f7ffffe, v2
	v_cvt_u32_f32_e32 v2, v2
	v_readfirstlane_b32 s1, v2
	s_mul_i32 s0, s0, s1
	s_mul_hi_u32 s0, s1, s0
	s_add_i32 s1, s1, s0
	s_mul_hi_u32 s0, s8, s1
	s_mul_i32 s0, s0, s25
	s_sub_i32 s0, s8, s0
	s_sub_i32 s1, s0, s25
	s_cmp_ge_u32 s0, s25
	s_cselect_b32 s0, s1, s0
	s_sub_i32 s1, s0, s25
	s_cmp_ge_u32 s0, s25
	s_cselect_b32 s40, s1, s0
	s_mov_b64 s[0:1], s[40:41]
.LBB116_158:                            ;   in Loop: Header=BB116_20 Depth=1
	s_sub_u32 s26, s8, s0
	s_subb_u32 s27, s47, s1
	v_cmp_gt_u64_e32 vcc, s[26:27], v[0:1]
                                        ; implicit-def: $vgpr6_vgpr7
	s_and_saveexec_b64 s[6:7], vcc
	s_cbranch_execz .LBB116_168
; %bb.159:                              ;   in Loop: Header=BB116_20 Depth=1
	v_mov_b32_e32 v8, v16
	v_mov_b32_e32 v15, v1
	s_mov_b64 s[28:29], 0
	v_mov_b32_e32 v9, v17
	v_mov_b32_e32 v14, v0
                                        ; implicit-def: $sgpr30_sgpr31
	s_branch .LBB116_163
.LBB116_160:                            ;   in Loop: Header=BB116_163 Depth=2
	s_or_b64 exec, exec, s[0:1]
	s_waitcnt lgkmcnt(0)
	s_barrier
	ds_read_b128 v[4:7], v21 offset:3072
	s_waitcnt lgkmcnt(0)
	s_barrier
	v_cmp_eq_f64_e32 vcc, 0, v[4:5]
	s_cbranch_vccz .LBB116_166
; %bb.161:                              ;   in Loop: Header=BB116_163 Depth=2
	v_add_co_u32_e32 v14, vcc, s25, v14
	v_addc_co_u32_e32 v15, vcc, 0, v15, vcc
	v_mov_b32_e32 v2, s37
	v_add_co_u32_e32 v8, vcc, s36, v8
	v_addc_co_u32_e32 v9, vcc, v9, v2, vcc
	v_cmp_le_u64_e32 vcc, s[26:27], v[14:15]
	s_mov_b64 s[0:1], 0
	s_orn2_b64 s[50:51], vcc, exec
.LBB116_162:                            ;   in Loop: Header=BB116_163 Depth=2
	s_and_b64 s[50:51], exec, s[50:51]
	s_or_b64 s[28:29], s[50:51], s[28:29]
	s_andn2_b64 s[30:31], s[30:31], exec
	s_and_b64 s[0:1], s[0:1], exec
	s_or_b64 s[30:31], s[30:31], s[0:1]
	s_andn2_b64 exec, exec, s[28:29]
	s_cbranch_execz .LBB116_167
.LBB116_163:                            ;   Parent Loop BB116_20 Depth=1
                                        ; =>  This Inner Loop Header: Depth=2
	v_cmp_gt_u64_e32 vcc, s[20:21], v[14:15]
	s_and_saveexec_b64 s[0:1], vcc
	s_cbranch_execz .LBB116_160
; %bb.164:                              ;   in Loop: Header=BB116_163 Depth=2
	global_load_dwordx2 v[4:5], v[8:9], off
	s_waitcnt vmcnt(0)
	v_cmp_o_f64_e32 vcc, v[4:5], v[4:5]
	v_ashrrev_i32_e32 v2, 31, v5
	v_or_b32_e32 v6, 0x80000000, v2
	v_xor_b32_e32 v6, v6, v5
	v_xor_b32_e32 v2, v2, v4
	v_cndmask_b32_e32 v6, -1, v6, vcc
	v_cndmask_b32_e32 v2, -1, v2, vcc
	v_and_b32_e32 v7, v6, v31
	v_and_b32_e32 v6, v2, v30
	v_cmp_eq_u64_e32 vcc, v[6:7], v[26:27]
	s_and_b64 exec, exec, vcc
	s_cbranch_execz .LBB116_160
; %bb.165:                              ;   in Loop: Header=BB116_163 Depth=2
	v_mov_b32_e32 v2, v21
	ds_write_b128 v21, v[2:5] offset:3072
	s_branch .LBB116_160
.LBB116_166:                            ;   in Loop: Header=BB116_163 Depth=2
	s_mov_b64 s[50:51], -1
                                        ; implicit-def: $vgpr14_vgpr15
                                        ; implicit-def: $vgpr8_vgpr9
	s_mov_b64 s[0:1], -1
	s_branch .LBB116_162
.LBB116_167:                            ;   in Loop: Header=BB116_20 Depth=1
	s_or_b64 exec, exec, s[28:29]
	s_andn2_b64 s[0:1], s[22:23], exec
	s_and_b64 s[22:23], s[30:31], exec
	s_or_b64 s[22:23], s[0:1], s[22:23]
.LBB116_168:                            ;   in Loop: Header=BB116_20 Depth=1
	s_or_b64 exec, exec, s[6:7]
	s_mov_b64 s[6:7], 0
	s_mov_b64 s[78:79], -1
.LBB116_169:                            ;   in Loop: Header=BB116_20 Depth=1
	s_orn2_b64 s[0:1], s[22:23], exec
.LBB116_170:                            ;   in Loop: Header=BB116_20 Depth=1
	s_or_b64 exec, exec, s[80:81]
	s_mov_b64 s[22:23], 0
	s_and_saveexec_b64 s[80:81], s[0:1]
	s_cbranch_execz .LBB116_280
; %bb.171:                              ;   in Loop: Header=BB116_20 Depth=1
	v_mov_b32_e32 v8, 1
	s_xor_b64 s[26:27], s[82:83], -1
	v_mov_b32_e32 v34, 1
	v_mov_b32_e32 v9, 0
	s_mov_b64 s[0:1], 0
	s_and_saveexec_b64 s[22:23], s[26:27]
	s_cbranch_execz .LBB116_181
; %bb.172:                              ;   in Loop: Header=BB116_20 Depth=1
	v_cmp_le_u64_e32 vcc, v[12:13], v[10:11]
	s_and_saveexec_b64 s[0:1], vcc
	s_xor_b64 s[26:27], exec, s[0:1]
	s_cbranch_execz .LBB116_178
; %bb.173:                              ;   in Loop: Header=BB116_20 Depth=1
	ds_read_b64 v[4:5], v21 offset:5120
	s_lshl_b64 s[0:1], 1, s3
	v_and_b32_e32 v2, s77, v27
	v_and_b32_e32 v8, s76, v26
	v_or_b32_e32 v27, s1, v2
	s_waitcnt lgkmcnt(0)
	v_cmp_ne_u64_e32 vcc, 0, v[4:5]
	v_or_b32_e32 v26, s0, v8
	v_or_b32_e32 v31, s13, v31
	;; [unrolled: 1-line block ×3, first 2 shown]
	s_cbranch_vccnz .LBB116_177
; %bb.174:                              ;   in Loop: Header=BB116_20 Depth=1
	s_mov_b64 s[0:1], exec
	v_readlane_b32 s28, v54, 12
	v_readlane_b32 s29, v54, 13
	s_and_b64 s[28:29], s[0:1], s[28:29]
	s_mov_b64 exec, s[28:29]
; %bb.175:                              ;   in Loop: Header=BB116_20 Depth=1
	ds_write_b64 v21, v[10:11] offset:5128
; %bb.176:                              ;   in Loop: Header=BB116_20 Depth=1
	s_or_b64 exec, exec, s[0:1]
	s_waitcnt lgkmcnt(0)
	s_barrier
.LBB116_177:                            ;   in Loop: Header=BB116_20 Depth=1
                                        ; implicit-def: $vgpr8_vgpr9_vgpr10_vgpr11
.LBB116_178:                            ;   in Loop: Header=BB116_20 Depth=1
	s_or_saveexec_b64 s[0:1], s[26:27]
	s_mov_b64 s[26:27], 0
	v_mov_b32_e32 v34, 8
	s_xor_b64 exec, exec, s[0:1]
; %bb.179:                              ;   in Loop: Header=BB116_20 Depth=1
	v_sub_co_u32_e32 v12, vcc, v12, v10
	s_mov_b64 s[26:27], exec
	v_subb_co_u32_e32 v13, vcc, v13, v11, vcc
	v_mov_b32_e32 v34, 0
; %bb.180:                              ;   in Loop: Header=BB116_20 Depth=1
	s_or_b64 exec, exec, s[0:1]
	v_mov_b32_e32 v8, v12
	s_and_b64 s[0:1], s[26:27], exec
	v_mov_b32_e32 v9, v13
.LBB116_181:                            ;   in Loop: Header=BB116_20 Depth=1
	s_or_b64 exec, exec, s[22:23]
	s_mov_b64 s[22:23], -1
                                        ; implicit-def: $sgpr84_sgpr85
                                        ; implicit-def: $sgpr86_sgpr87
	s_and_saveexec_b64 s[82:83], s[0:1]
	s_cbranch_execz .LBB116_279
; %bb.182:                              ;   in Loop: Header=BB116_20 Depth=1
	s_cmp_eq_u64 s[74:75], 1
	v_cmp_eq_u64_e32 vcc, 1, v[8:9]
	s_cselect_b64 s[0:1], -1, 0
	s_and_b64 s[90:91], s[0:1], vcc
	s_mov_b64 s[0:1], -1
                                        ; implicit-def: $sgpr86_sgpr87
                                        ; implicit-def: $sgpr84_sgpr85
	s_and_saveexec_b64 s[88:89], s[90:91]
	s_cbranch_execz .LBB116_218
; %bb.183:                              ;   in Loop: Header=BB116_20 Depth=1
	ds_read_b64 v[4:5], v21 offset:5120
	s_waitcnt lgkmcnt(0)
	s_barrier
	v_readfirstlane_b32 s22, v4
	v_readfirstlane_b32 s23, v5
	s_and_saveexec_b64 s[0:1], s[16:17]
; %bb.184:                              ;   in Loop: Header=BB116_20 Depth=1
	v_mov_b32_e32 v20, v21
	ds_write_b64 v40, v[20:21]
; %bb.185:                              ;   in Loop: Header=BB116_20 Depth=1
	s_or_b64 exec, exec, s[0:1]
	s_lshl_b64 s[0:1], 2, s3
	v_and_b32_e32 v2, s77, v27
	v_and_b32_e32 v4, s76, v26
	v_or_b32_e32 v27, s1, v2
	v_or_b32_e32 v26, s0, v4
	;; [unrolled: 1-line block ×4, first 2 shown]
	s_mov_b64 s[84:85], -1
	s_mov_b64 s[86:87], 0
	s_cmp_eq_u64 s[22:23], 0
	s_mov_b64 s[92:93], 0
	s_mov_b64 s[26:27], -1
	s_waitcnt lgkmcnt(0)
	s_barrier
                                        ; implicit-def: $vgpr6_vgpr7
	s_cbranch_scc1 .LBB116_202
; %bb.186:                              ;   in Loop: Header=BB116_20 Depth=1
	v_readlane_b32 s0, v54, 16
	s_add_u32 s30, s22, s0
	s_addc_u32 s27, s23, s24
	s_mov_b32 s26, s41
	s_cmp_lg_u64 s[26:27], 0
	s_cbranch_scc0 .LBB116_245
; %bb.187:                              ;   in Loop: Header=BB116_20 Depth=1
	v_cvt_f32_u32_e32 v2, s25
	s_sub_u32 s26, 0, s25
	s_subb_u32 s28, 0, 0
	v_mac_f32_e32 v2, 0, v49
	v_rcp_f32_e32 v2, v2
	v_mul_f32_e32 v2, 0x5f7ffffc, v2
	v_mul_f32_e32 v4, 0x2f800000, v2
	v_trunc_f32_e32 v4, v4
	v_mac_f32_e32 v2, 0xcf800000, v4
	v_cvt_u32_f32_e32 v4, v4
	v_cvt_u32_f32_e32 v2, v2
	v_readfirstlane_b32 s29, v4
	v_readfirstlane_b32 s0, v2
	s_mul_i32 s1, s26, s29
	s_mul_hi_u32 s40, s26, s0
	s_mul_i32 s31, s28, s0
	s_add_i32 s1, s40, s1
	s_mul_i32 s46, s26, s0
	s_add_i32 s1, s1, s31
	s_mul_hi_u32 s40, s0, s46
	s_mul_i32 s50, s0, s1
	s_mul_hi_u32 s31, s0, s1
	s_add_u32 s40, s40, s50
	s_addc_u32 s31, 0, s31
	s_mul_hi_u32 s51, s29, s46
	s_mul_i32 s46, s29, s46
	s_add_u32 s40, s40, s46
	s_mul_hi_u32 s50, s29, s1
	s_addc_u32 s31, s31, s51
	s_addc_u32 s40, s50, 0
	s_mul_i32 s1, s29, s1
	s_add_u32 s1, s31, s1
	s_addc_u32 s31, 0, s40
	s_add_u32 s40, s0, s1
	s_cselect_b64 s[0:1], -1, 0
	s_cmp_lg_u64 s[0:1], 0
	s_addc_u32 s29, s29, s31
	s_mul_i32 s0, s26, s29
	s_mul_hi_u32 s1, s26, s40
	s_add_i32 s0, s1, s0
	s_mul_i32 s28, s28, s40
	s_add_i32 s0, s0, s28
	s_mul_i32 s26, s26, s40
	s_mul_hi_u32 s28, s29, s26
	s_mul_i32 s31, s29, s26
	s_mul_i32 s50, s40, s0
	s_mul_hi_u32 s26, s40, s26
	s_mul_hi_u32 s46, s40, s0
	s_add_u32 s26, s26, s50
	s_addc_u32 s46, 0, s46
	s_add_u32 s26, s26, s31
	s_mul_hi_u32 s1, s29, s0
	s_addc_u32 s26, s46, s28
	s_addc_u32 s1, s1, 0
	s_mul_i32 s0, s29, s0
	s_add_u32 s0, s26, s0
	s_addc_u32 s26, 0, s1
	s_add_u32 s28, s40, s0
	s_cselect_b64 s[0:1], -1, 0
	s_cmp_lg_u64 s[0:1], 0
	s_addc_u32 s0, s29, s26
	s_mul_i32 s26, s30, s0
	s_mul_hi_u32 s29, s30, s28
	s_mul_hi_u32 s1, s30, s0
	s_add_u32 s26, s29, s26
	s_addc_u32 s1, 0, s1
	s_mul_hi_u32 s31, s27, s28
	s_mul_i32 s28, s27, s28
	s_add_u32 s26, s26, s28
	s_mul_hi_u32 s29, s27, s0
	s_addc_u32 s1, s1, s31
	s_addc_u32 s26, s29, 0
	s_mul_i32 s0, s27, s0
	s_add_u32 s0, s1, s0
	s_addc_u32 s1, 0, s26
	s_mul_i32 s1, s25, s1
	s_mul_hi_u32 s26, s25, s0
	s_add_i32 s26, s26, s1
	s_mul_i32 s0, s25, s0
	s_sub_u32 s28, s30, s0
	s_cselect_b64 s[0:1], -1, 0
	s_cmp_lg_u64 s[0:1], 0
	s_subb_u32 s26, s27, s26
	s_sub_u32 s29, s28, s25
	s_cselect_b64 s[0:1], -1, 0
	s_cmp_lg_u64 s[0:1], 0
	s_subb_u32 s31, s26, 0
	;; [unrolled: 4-line block ×3, first 2 shown]
	s_cmp_ge_u32 s29, s25
	s_cselect_b32 s1, -1, 0
	s_cmp_eq_u32 s31, 0
	s_cselect_b32 s1, s1, -1
	s_cmp_lg_u32 s1, 0
	s_cselect_b32 s0, s0, s31
	s_cselect_b32 s29, s40, s29
	s_cmp_ge_u32 s28, s25
	s_cselect_b32 s1, -1, 0
	s_cmp_eq_u32 s26, 0
	s_cselect_b32 s1, s1, -1
	s_cmp_lg_u32 s1, 0
	s_cselect_b32 s1, s0, s26
	s_cselect_b32 s0, s29, s28
	s_cbranch_execnz .LBB116_189
.LBB116_188:                            ;   in Loop: Header=BB116_20 Depth=1
	v_cvt_f32_u32_e32 v2, s25
	s_sub_i32 s0, 0, s25
	v_rcp_iflag_f32_e32 v2, v2
	v_mul_f32_e32 v2, 0x4f7ffffe, v2
	v_cvt_u32_f32_e32 v2, v2
	v_readfirstlane_b32 s1, v2
	s_mul_i32 s0, s0, s1
	s_mul_hi_u32 s0, s1, s0
	s_add_i32 s1, s1, s0
	s_mul_hi_u32 s0, s30, s1
	s_mul_i32 s0, s0, s25
	s_sub_i32 s0, s30, s0
	s_sub_i32 s1, s0, s25
	s_cmp_ge_u32 s0, s25
	s_cselect_b32 s0, s1, s0
	s_sub_i32 s1, s0, s25
	s_cmp_ge_u32 s0, s25
	s_cselect_b32 s40, s1, s0
	s_mov_b64 s[0:1], s[40:41]
.LBB116_189:                            ;   in Loop: Header=BB116_20 Depth=1
	s_sub_u32 s30, s30, s0
	s_subb_u32 s31, s27, s1
	v_cmp_gt_u64_e32 vcc, s[30:31], v[0:1]
	s_mov_b64 s[26:27], 0
                                        ; implicit-def: $vgpr6_vgpr7
	s_and_saveexec_b64 s[28:29], vcc
	s_cbranch_execz .LBB116_201
; %bb.190:                              ;   in Loop: Header=BB116_20 Depth=1
	v_mov_b32_e32 v11, v1
	s_mov_b64 s[50:51], 0
	v_mov_b32_e32 v12, v39
	v_mov_b32_e32 v10, v0
                                        ; implicit-def: $sgpr92_sgpr93
	s_branch .LBB116_194
.LBB116_191:                            ;   in Loop: Header=BB116_194 Depth=2
	s_or_b64 exec, exec, s[52:53]
	s_waitcnt lgkmcnt(0)
	s_barrier
	ds_read_b128 v[4:7], v21 offset:3072
	s_waitcnt lgkmcnt(0)
	s_barrier
	v_cmp_neq_f64_e32 vcc, 0, v[4:5]
	s_cbranch_vccnz .LBB116_197
; %bb.192:                              ;   in Loop: Header=BB116_194 Depth=2
	v_add_co_u32_e32 v10, vcc, s25, v10
	v_addc_co_u32_e32 v11, vcc, 0, v11, vcc
	v_cmp_le_u64_e32 vcc, s[30:31], v[10:11]
	v_add_u32_e32 v12, s2, v12
	s_mov_b64 s[0:1], 0
	s_orn2_b64 s[52:53], vcc, exec
.LBB116_193:                            ;   in Loop: Header=BB116_194 Depth=2
	s_and_b64 s[52:53], exec, s[52:53]
	s_or_b64 s[50:51], s[52:53], s[50:51]
	s_andn2_b64 s[52:53], s[92:93], exec
	s_and_b64 s[0:1], s[0:1], exec
	s_or_b64 s[92:93], s[52:53], s[0:1]
	s_andn2_b64 exec, exec, s[50:51]
	s_cbranch_execz .LBB116_200
.LBB116_194:                            ;   Parent Loop BB116_20 Depth=1
                                        ; =>  This Inner Loop Header: Depth=2
	v_cmp_gt_u64_e32 vcc, s[22:23], v[10:11]
	s_and_saveexec_b64 s[52:53], vcc
	s_cbranch_execz .LBB116_191
; %bb.195:                              ;   in Loop: Header=BB116_194 Depth=2
	ds_read_b64 v[4:5], v12
	s_waitcnt lgkmcnt(0)
	v_cmp_o_f64_e32 vcc, v[4:5], v[4:5]
	v_ashrrev_i32_e32 v2, 31, v5
	v_or_b32_e32 v6, 0x80000000, v2
	v_xor_b32_e32 v6, v6, v5
	v_xor_b32_e32 v2, v2, v4
	v_cndmask_b32_e32 v6, -1, v6, vcc
	v_cndmask_b32_e32 v2, -1, v2, vcc
	v_and_b32_e32 v7, v6, v31
	v_and_b32_e32 v6, v2, v30
	v_cmp_eq_u64_e32 vcc, v[6:7], v[26:27]
	s_and_b64 exec, exec, vcc
	s_cbranch_execz .LBB116_191
; %bb.196:                              ;   in Loop: Header=BB116_194 Depth=2
	v_mov_b32_e32 v2, v21
	ds_write_b128 v21, v[2:5] offset:3072
	s_branch .LBB116_191
.LBB116_197:                            ;   in Loop: Header=BB116_194 Depth=2
	s_mov_b64 s[52:53], -1
                                        ; implicit-def: $vgpr10_vgpr11
                                        ; implicit-def: $vgpr12
	s_mov_b64 s[0:1], -1
	s_branch .LBB116_193
.LBB116_198:                            ;   in Loop: Header=BB116_20 Depth=1
                                        ; implicit-def: $sgpr0_sgpr1
	s_andn2_b64 vcc, exec, s[26:27]
	s_cbranch_vccz .LBB116_137
	s_branch .LBB116_138
.LBB116_199:                            ;   in Loop: Header=BB116_20 Depth=1
                                        ; implicit-def: $sgpr0_sgpr1
	s_branch .LBB116_157
.LBB116_200:                            ;   in Loop: Header=BB116_20 Depth=1
	s_or_b64 exec, exec, s[50:51]
	s_and_b64 s[92:93], s[92:93], exec
.LBB116_201:                            ;   in Loop: Header=BB116_20 Depth=1
	s_or_b64 exec, exec, s[28:29]
.LBB116_202:                            ;   in Loop: Header=BB116_20 Depth=1
	s_and_b64 vcc, exec, s[26:27]
	s_cbranch_vccz .LBB116_217
; %bb.203:                              ;   in Loop: Header=BB116_20 Depth=1
	s_mov_b32 s46, s41
	s_cmp_lg_u64 s[46:47], 0
	s_cbranch_scc0 .LBB116_246
; %bb.204:                              ;   in Loop: Header=BB116_20 Depth=1
	v_cvt_f32_u32_e32 v2, s25
	s_sub_u32 s22, 0, s25
	s_subb_u32 s23, 0, 0
	v_mac_f32_e32 v2, 0, v49
	v_rcp_f32_e32 v2, v2
	v_mul_f32_e32 v2, 0x5f7ffffc, v2
	v_mul_f32_e32 v4, 0x2f800000, v2
	v_trunc_f32_e32 v4, v4
	v_mac_f32_e32 v2, 0xcf800000, v4
	v_cvt_u32_f32_e32 v4, v4
	v_cvt_u32_f32_e32 v2, v2
	v_readfirstlane_b32 s26, v4
	v_readfirstlane_b32 s0, v2
	s_mul_i32 s1, s22, s26
	s_mul_hi_u32 s28, s22, s0
	s_mul_i32 s27, s23, s0
	s_add_i32 s1, s28, s1
	s_mul_i32 s29, s22, s0
	s_add_i32 s1, s1, s27
	s_mul_hi_u32 s28, s0, s29
	s_mul_i32 s30, s0, s1
	s_mul_hi_u32 s27, s0, s1
	s_add_u32 s28, s28, s30
	s_addc_u32 s27, 0, s27
	s_mul_hi_u32 s31, s26, s29
	s_mul_i32 s29, s26, s29
	s_add_u32 s28, s28, s29
	s_mul_hi_u32 s30, s26, s1
	s_addc_u32 s27, s27, s31
	s_addc_u32 s28, s30, 0
	s_mul_i32 s1, s26, s1
	s_add_u32 s1, s27, s1
	s_addc_u32 s27, 0, s28
	s_add_u32 s28, s0, s1
	s_cselect_b64 s[0:1], -1, 0
	s_cmp_lg_u64 s[0:1], 0
	s_addc_u32 s26, s26, s27
	s_mul_i32 s0, s22, s26
	s_mul_hi_u32 s1, s22, s28
	s_add_i32 s0, s1, s0
	s_mul_i32 s23, s23, s28
	s_add_i32 s0, s0, s23
	s_mul_i32 s22, s22, s28
	s_mul_hi_u32 s23, s26, s22
	s_mul_i32 s27, s26, s22
	s_mul_i32 s30, s28, s0
	s_mul_hi_u32 s22, s28, s22
	s_mul_hi_u32 s29, s28, s0
	s_add_u32 s22, s22, s30
	s_addc_u32 s29, 0, s29
	s_add_u32 s22, s22, s27
	s_mul_hi_u32 s1, s26, s0
	s_addc_u32 s22, s29, s23
	s_addc_u32 s1, s1, 0
	s_mul_i32 s0, s26, s0
	s_add_u32 s0, s22, s0
	s_addc_u32 s22, 0, s1
	s_add_u32 s23, s28, s0
	s_cselect_b64 s[0:1], -1, 0
	s_cmp_lg_u64 s[0:1], 0
	s_addc_u32 s0, s26, s22
	s_mul_i32 s22, s8, s0
	s_mul_hi_u32 s26, s8, s23
	s_mul_hi_u32 s1, s8, s0
	s_add_u32 s22, s26, s22
	s_addc_u32 s1, 0, s1
	s_mul_hi_u32 s27, s47, s23
	s_mul_i32 s23, s47, s23
	s_add_u32 s22, s22, s23
	s_mul_hi_u32 s26, s47, s0
	s_addc_u32 s1, s1, s27
	s_addc_u32 s22, s26, 0
	s_mul_i32 s0, s47, s0
	s_add_u32 s0, s1, s0
	s_addc_u32 s1, 0, s22
	s_mul_i32 s1, s25, s1
	s_mul_hi_u32 s22, s25, s0
	s_add_i32 s22, s22, s1
	s_mul_i32 s0, s25, s0
	s_sub_u32 s23, s8, s0
	s_cselect_b64 s[0:1], -1, 0
	s_cmp_lg_u64 s[0:1], 0
	s_subb_u32 s22, s47, s22
	s_sub_u32 s26, s23, s25
	s_cselect_b64 s[0:1], -1, 0
	s_cmp_lg_u64 s[0:1], 0
	s_subb_u32 s27, s22, 0
	;; [unrolled: 4-line block ×3, first 2 shown]
	s_cmp_ge_u32 s26, s25
	s_cselect_b32 s1, -1, 0
	s_cmp_eq_u32 s27, 0
	s_cselect_b32 s1, s1, -1
	s_cmp_lg_u32 s1, 0
	s_cselect_b32 s0, s0, s27
	s_cselect_b32 s26, s28, s26
	s_cmp_ge_u32 s23, s25
	s_cselect_b32 s1, -1, 0
	s_cmp_eq_u32 s22, 0
	s_cselect_b32 s1, s1, -1
	s_cmp_lg_u32 s1, 0
	s_cselect_b32 s1, s0, s22
	s_cselect_b32 s0, s26, s23
	s_cbranch_execnz .LBB116_206
.LBB116_205:                            ;   in Loop: Header=BB116_20 Depth=1
	v_cvt_f32_u32_e32 v2, s25
	s_sub_i32 s0, 0, s25
	v_rcp_iflag_f32_e32 v2, v2
	v_mul_f32_e32 v2, 0x4f7ffffe, v2
	v_cvt_u32_f32_e32 v2, v2
	v_readfirstlane_b32 s1, v2
	s_mul_i32 s0, s0, s1
	s_mul_hi_u32 s0, s1, s0
	s_add_i32 s1, s1, s0
	s_mul_hi_u32 s0, s8, s1
	s_mul_i32 s0, s0, s25
	s_sub_i32 s0, s8, s0
	s_sub_i32 s1, s0, s25
	s_cmp_ge_u32 s0, s25
	s_cselect_b32 s0, s1, s0
	s_sub_i32 s1, s0, s25
	s_cmp_ge_u32 s0, s25
	s_cselect_b32 s40, s1, s0
	s_mov_b64 s[0:1], s[40:41]
.LBB116_206:                            ;   in Loop: Header=BB116_20 Depth=1
	s_sub_u32 s26, s8, s0
	s_subb_u32 s27, s47, s1
	v_cmp_gt_u64_e32 vcc, s[26:27], v[0:1]
                                        ; implicit-def: $vgpr6_vgpr7
	s_and_saveexec_b64 s[22:23], vcc
	s_cbranch_execz .LBB116_216
; %bb.207:                              ;   in Loop: Header=BB116_20 Depth=1
	v_mov_b32_e32 v10, v16
	v_mov_b32_e32 v13, v1
	s_mov_b64 s[28:29], 0
	v_mov_b32_e32 v11, v17
	v_mov_b32_e32 v12, v0
                                        ; implicit-def: $sgpr30_sgpr31
	s_branch .LBB116_211
.LBB116_208:                            ;   in Loop: Header=BB116_211 Depth=2
	s_or_b64 exec, exec, s[50:51]
	s_waitcnt lgkmcnt(0)
	s_barrier
	ds_read_b128 v[4:7], v21 offset:3072
	s_waitcnt lgkmcnt(0)
	s_barrier
	v_cmp_eq_f64_e32 vcc, 0, v[4:5]
	s_cbranch_vccz .LBB116_214
; %bb.209:                              ;   in Loop: Header=BB116_211 Depth=2
	v_add_co_u32_e32 v12, vcc, s25, v12
	v_addc_co_u32_e32 v13, vcc, 0, v13, vcc
	v_mov_b32_e32 v2, s37
	v_add_co_u32_e32 v10, vcc, s36, v10
	v_addc_co_u32_e32 v11, vcc, v11, v2, vcc
	v_cmp_le_u64_e32 vcc, s[26:27], v[12:13]
	s_mov_b64 s[0:1], 0
	s_orn2_b64 s[50:51], vcc, exec
.LBB116_210:                            ;   in Loop: Header=BB116_211 Depth=2
	s_and_b64 s[50:51], exec, s[50:51]
	s_or_b64 s[28:29], s[50:51], s[28:29]
	s_andn2_b64 s[30:31], s[30:31], exec
	s_and_b64 s[0:1], s[0:1], exec
	s_or_b64 s[30:31], s[30:31], s[0:1]
	s_andn2_b64 exec, exec, s[28:29]
	s_cbranch_execz .LBB116_215
.LBB116_211:                            ;   Parent Loop BB116_20 Depth=1
                                        ; =>  This Inner Loop Header: Depth=2
	v_cmp_gt_u64_e32 vcc, s[20:21], v[12:13]
	s_and_saveexec_b64 s[50:51], vcc
	s_cbranch_execz .LBB116_208
; %bb.212:                              ;   in Loop: Header=BB116_211 Depth=2
	global_load_dwordx2 v[4:5], v[10:11], off
	s_waitcnt vmcnt(0)
	v_cmp_o_f64_e32 vcc, v[4:5], v[4:5]
	v_ashrrev_i32_e32 v2, 31, v5
	v_or_b32_e32 v6, 0x80000000, v2
	v_xor_b32_e32 v6, v6, v5
	v_xor_b32_e32 v2, v2, v4
	v_cndmask_b32_e32 v6, -1, v6, vcc
	v_cndmask_b32_e32 v2, -1, v2, vcc
	v_and_b32_e32 v7, v6, v31
	v_and_b32_e32 v6, v2, v30
	v_cmp_eq_u64_e32 vcc, v[6:7], v[26:27]
	s_and_b64 exec, exec, vcc
	s_cbranch_execz .LBB116_208
; %bb.213:                              ;   in Loop: Header=BB116_211 Depth=2
	v_mov_b32_e32 v2, v21
	ds_write_b128 v21, v[2:5] offset:3072
	s_branch .LBB116_208
.LBB116_214:                            ;   in Loop: Header=BB116_211 Depth=2
	s_mov_b64 s[50:51], -1
                                        ; implicit-def: $vgpr12_vgpr13
                                        ; implicit-def: $vgpr10_vgpr11
	s_mov_b64 s[0:1], -1
	s_branch .LBB116_210
.LBB116_215:                            ;   in Loop: Header=BB116_20 Depth=1
	s_or_b64 exec, exec, s[28:29]
	s_andn2_b64 s[0:1], s[92:93], exec
	s_and_b64 s[26:27], s[30:31], exec
	s_or_b64 s[92:93], s[0:1], s[26:27]
.LBB116_216:                            ;   in Loop: Header=BB116_20 Depth=1
	s_or_b64 exec, exec, s[22:23]
	s_mov_b64 s[84:85], 0
	s_mov_b64 s[86:87], -1
.LBB116_217:                            ;   in Loop: Header=BB116_20 Depth=1
	s_orn2_b64 s[0:1], s[92:93], exec
.LBB116_218:                            ;   in Loop: Header=BB116_20 Depth=1
	s_or_b64 exec, exec, s[88:89]
	s_mov_b64 s[22:23], 0
	s_and_saveexec_b64 s[88:89], s[0:1]
	s_cbranch_execz .LBB116_278
; %bb.219:                              ;   in Loop: Header=BB116_20 Depth=1
	v_mov_b32_e32 v10, 1
	s_xor_b64 s[26:27], s[90:91], -1
	v_mov_b32_e32 v34, 1
	v_mov_b32_e32 v11, 0
	s_mov_b64 s[0:1], 0
	s_and_saveexec_b64 s[22:23], s[26:27]
	s_cbranch_execz .LBB116_228
; %bb.220:                              ;   in Loop: Header=BB116_20 Depth=1
	v_cmp_ge_u64_e32 vcc, s[74:75], v[8:9]
	s_and_saveexec_b64 s[0:1], vcc
	s_xor_b64 s[26:27], exec, s[0:1]
	s_cbranch_execz .LBB116_225
; %bb.221:                              ;   in Loop: Header=BB116_20 Depth=1
	ds_read_b64 v[4:5], v21 offset:5120
	s_lshl_b64 s[0:1], 2, s3
	v_and_b32_e32 v2, s77, v27
	v_and_b32_e32 v10, s76, v26
	v_or_b32_e32 v27, s1, v2
	s_waitcnt lgkmcnt(0)
	v_cmp_ne_u64_e32 vcc, 0, v[4:5]
	v_or_b32_e32 v26, s0, v10
	v_or_b32_e32 v31, s13, v31
	;; [unrolled: 1-line block ×3, first 2 shown]
	s_cbranch_vccnz .LBB116_225
; %bb.222:                              ;   in Loop: Header=BB116_20 Depth=1
	s_mov_b64 s[0:1], exec
	v_readlane_b32 s28, v54, 12
	v_readlane_b32 s29, v54, 13
	s_and_b64 s[28:29], s[0:1], s[28:29]
	s_mov_b64 exec, s[28:29]
; %bb.223:                              ;   in Loop: Header=BB116_20 Depth=1
	v_mov_b32_e32 v4, s74
	v_mov_b32_e32 v5, s75
	ds_write_b64 v21, v[4:5] offset:5128
; %bb.224:                              ;   in Loop: Header=BB116_20 Depth=1
	s_or_b64 exec, exec, s[0:1]
	s_waitcnt lgkmcnt(0)
	s_barrier
.LBB116_225:                            ;   in Loop: Header=BB116_20 Depth=1
	s_or_saveexec_b64 s[0:1], s[26:27]
	s_mov_b64 s[26:27], 0
	v_mov_b32_e32 v34, 8
	s_xor_b64 exec, exec, s[0:1]
; %bb.226:                              ;   in Loop: Header=BB116_20 Depth=1
	v_mov_b32_e32 v2, s75
	v_subrev_co_u32_e32 v8, vcc, s74, v8
	s_mov_b64 s[26:27], exec
	v_subb_co_u32_e32 v9, vcc, v9, v2, vcc
	v_mov_b32_e32 v34, 0
; %bb.227:                              ;   in Loop: Header=BB116_20 Depth=1
	s_or_b64 exec, exec, s[0:1]
	v_mov_b32_e32 v11, v9
	s_and_b64 s[0:1], s[26:27], exec
	v_mov_b32_e32 v10, v8
.LBB116_228:                            ;   in Loop: Header=BB116_20 Depth=1
	s_or_b64 exec, exec, s[22:23]
	s_mov_b64 s[22:23], -1
                                        ; implicit-def: $sgpr94_sgpr95
                                        ; implicit-def: $sgpr92_sgpr93
	s_and_saveexec_b64 s[74:75], s[0:1]
	s_cbranch_execz .LBB116_277
; %bb.229:                              ;   in Loop: Header=BB116_20 Depth=1
	s_cmp_eq_u64 s[10:11], 1
	v_cmp_eq_u64_e32 vcc, 1, v[10:11]
	s_cselect_b64 s[0:1], -1, 0
	s_and_b64 s[76:77], s[0:1], vcc
	s_mov_b64 s[0:1], -1
                                        ; implicit-def: $sgpr94_sgpr95
                                        ; implicit-def: $sgpr92_sgpr93
	s_and_saveexec_b64 s[90:91], s[76:77]
	s_cbranch_execz .LBB116_265
; %bb.230:                              ;   in Loop: Header=BB116_20 Depth=1
	ds_read_b64 v[4:5], v21 offset:5120
	s_waitcnt lgkmcnt(0)
	s_barrier
	v_readfirstlane_b32 s26, v4
	v_readfirstlane_b32 s27, v5
	s_and_saveexec_b64 s[0:1], s[16:17]
; %bb.231:                              ;   in Loop: Header=BB116_20 Depth=1
	v_mov_b32_e32 v20, v21
	ds_write_b64 v40, v[20:21]
; %bb.232:                              ;   in Loop: Header=BB116_20 Depth=1
	s_or_b64 exec, exec, s[0:1]
	v_or_b32_e32 v27, s13, v27
	v_or_b32_e32 v26, s12, v26
	;; [unrolled: 1-line block ×4, first 2 shown]
	s_mov_b64 s[92:93], -1
	s_mov_b64 s[94:95], 0
	s_cmp_eq_u64 s[26:27], 0
	s_mov_b64 s[22:23], 0
	s_mov_b64 s[28:29], -1
	s_waitcnt lgkmcnt(0)
	s_barrier
                                        ; implicit-def: $vgpr6_vgpr7
	s_cbranch_scc1 .LBB116_249
; %bb.233:                              ;   in Loop: Header=BB116_20 Depth=1
	v_readlane_b32 s0, v54, 16
	s_add_u32 s30, s26, s0
	s_addc_u32 s23, s27, s24
	s_mov_b32 s22, s41
	s_cmp_lg_u64 s[22:23], 0
	s_cbranch_scc0 .LBB116_284
; %bb.234:                              ;   in Loop: Header=BB116_20 Depth=1
	v_cvt_f32_u32_e32 v2, s25
	s_sub_u32 s22, 0, s25
	s_subb_u32 s28, 0, 0
	v_mac_f32_e32 v2, 0, v49
	v_rcp_f32_e32 v2, v2
	v_mul_f32_e32 v2, 0x5f7ffffc, v2
	v_mul_f32_e32 v4, 0x2f800000, v2
	v_trunc_f32_e32 v4, v4
	v_mac_f32_e32 v2, 0xcf800000, v4
	v_cvt_u32_f32_e32 v4, v4
	v_cvt_u32_f32_e32 v2, v2
	v_readfirstlane_b32 s29, v4
	v_readfirstlane_b32 s0, v2
	s_mul_i32 s1, s22, s29
	s_mul_hi_u32 s40, s22, s0
	s_mul_i32 s31, s28, s0
	s_add_i32 s1, s40, s1
	s_mul_i32 s46, s22, s0
	s_add_i32 s1, s1, s31
	s_mul_hi_u32 s40, s0, s46
	s_mul_i32 s50, s0, s1
	s_mul_hi_u32 s31, s0, s1
	s_add_u32 s40, s40, s50
	s_addc_u32 s31, 0, s31
	s_mul_hi_u32 s51, s29, s46
	s_mul_i32 s46, s29, s46
	s_add_u32 s40, s40, s46
	s_mul_hi_u32 s50, s29, s1
	s_addc_u32 s31, s31, s51
	s_addc_u32 s40, s50, 0
	s_mul_i32 s1, s29, s1
	s_add_u32 s1, s31, s1
	s_addc_u32 s31, 0, s40
	s_add_u32 s40, s0, s1
	s_cselect_b64 s[0:1], -1, 0
	s_cmp_lg_u64 s[0:1], 0
	s_addc_u32 s29, s29, s31
	s_mul_i32 s0, s22, s29
	s_mul_hi_u32 s1, s22, s40
	s_add_i32 s0, s1, s0
	s_mul_i32 s28, s28, s40
	s_add_i32 s0, s0, s28
	s_mul_i32 s22, s22, s40
	s_mul_hi_u32 s28, s29, s22
	s_mul_i32 s31, s29, s22
	s_mul_i32 s50, s40, s0
	s_mul_hi_u32 s22, s40, s22
	s_mul_hi_u32 s46, s40, s0
	s_add_u32 s22, s22, s50
	s_addc_u32 s46, 0, s46
	s_add_u32 s22, s22, s31
	s_mul_hi_u32 s1, s29, s0
	s_addc_u32 s22, s46, s28
	s_addc_u32 s1, s1, 0
	s_mul_i32 s0, s29, s0
	s_add_u32 s0, s22, s0
	s_addc_u32 s22, 0, s1
	s_add_u32 s28, s40, s0
	s_cselect_b64 s[0:1], -1, 0
	s_cmp_lg_u64 s[0:1], 0
	s_addc_u32 s0, s29, s22
	s_mul_i32 s22, s30, s0
	s_mul_hi_u32 s29, s30, s28
	s_mul_hi_u32 s1, s30, s0
	s_add_u32 s22, s29, s22
	s_addc_u32 s1, 0, s1
	s_mul_hi_u32 s31, s23, s28
	s_mul_i32 s28, s23, s28
	s_add_u32 s22, s22, s28
	s_mul_hi_u32 s29, s23, s0
	s_addc_u32 s1, s1, s31
	s_addc_u32 s22, s29, 0
	s_mul_i32 s0, s23, s0
	s_add_u32 s0, s1, s0
	s_addc_u32 s1, 0, s22
	s_mul_i32 s1, s25, s1
	s_mul_hi_u32 s22, s25, s0
	s_add_i32 s22, s22, s1
	s_mul_i32 s0, s25, s0
	s_sub_u32 s28, s30, s0
	s_cselect_b64 s[0:1], -1, 0
	s_cmp_lg_u64 s[0:1], 0
	s_subb_u32 s22, s23, s22
	s_sub_u32 s29, s28, s25
	s_cselect_b64 s[0:1], -1, 0
	s_cmp_lg_u64 s[0:1], 0
	s_subb_u32 s31, s22, 0
	;; [unrolled: 4-line block ×3, first 2 shown]
	s_cmp_ge_u32 s29, s25
	s_cselect_b32 s1, -1, 0
	s_cmp_eq_u32 s31, 0
	s_cselect_b32 s1, s1, -1
	s_cmp_lg_u32 s1, 0
	s_cselect_b32 s0, s0, s31
	s_cselect_b32 s29, s40, s29
	s_cmp_ge_u32 s28, s25
	s_cselect_b32 s1, -1, 0
	s_cmp_eq_u32 s22, 0
	s_cselect_b32 s1, s1, -1
	s_cmp_lg_u32 s1, 0
	s_cselect_b32 s1, s0, s22
	s_cselect_b32 s0, s29, s28
	s_cbranch_execnz .LBB116_236
.LBB116_235:                            ;   in Loop: Header=BB116_20 Depth=1
	v_cvt_f32_u32_e32 v2, s25
	s_sub_i32 s0, 0, s25
	v_rcp_iflag_f32_e32 v2, v2
	v_mul_f32_e32 v2, 0x4f7ffffe, v2
	v_cvt_u32_f32_e32 v2, v2
	v_readfirstlane_b32 s1, v2
	s_mul_i32 s0, s0, s1
	s_mul_hi_u32 s0, s1, s0
	s_add_i32 s1, s1, s0
	s_mul_hi_u32 s0, s30, s1
	s_mul_i32 s0, s0, s25
	s_sub_i32 s0, s30, s0
	s_sub_i32 s1, s0, s25
	s_cmp_ge_u32 s0, s25
	s_cselect_b32 s0, s1, s0
	s_sub_i32 s1, s0, s25
	s_cmp_ge_u32 s0, s25
	s_cselect_b32 s40, s1, s0
	s_mov_b64 s[0:1], s[40:41]
.LBB116_236:                            ;   in Loop: Header=BB116_20 Depth=1
	s_sub_u32 s50, s30, s0
	s_subb_u32 s51, s23, s1
	v_cmp_gt_u64_e32 vcc, s[50:51], v[0:1]
	s_mov_b64 s[28:29], 0
	s_mov_b64 s[22:23], 0
                                        ; implicit-def: $vgpr6_vgpr7
	s_and_saveexec_b64 s[30:31], vcc
	s_cbranch_execz .LBB116_248
; %bb.237:                              ;   in Loop: Header=BB116_20 Depth=1
	v_mov_b32_e32 v9, v1
	v_mov_b32_e32 v12, v39
	;; [unrolled: 1-line block ×3, first 2 shown]
                                        ; implicit-def: $sgpr52_sgpr53
	s_branch .LBB116_241
.LBB116_238:                            ;   in Loop: Header=BB116_241 Depth=2
	s_or_b64 exec, exec, s[0:1]
	s_waitcnt lgkmcnt(0)
	s_barrier
	ds_read_b128 v[4:7], v21 offset:3072
	s_waitcnt lgkmcnt(0)
	s_barrier
	v_cmp_neq_f64_e32 vcc, 0, v[4:5]
	s_cbranch_vccnz .LBB116_244
; %bb.239:                              ;   in Loop: Header=BB116_241 Depth=2
	v_add_co_u32_e32 v8, vcc, s25, v8
	v_addc_co_u32_e32 v9, vcc, 0, v9, vcc
	v_cmp_le_u64_e32 vcc, s[50:51], v[8:9]
	v_add_u32_e32 v12, s2, v12
	s_mov_b64 s[0:1], 0
	s_orn2_b64 vcc, vcc, exec
.LBB116_240:                            ;   in Loop: Header=BB116_241 Depth=2
	s_and_b64 vcc, exec, vcc
	s_or_b64 s[22:23], vcc, s[22:23]
	s_andn2_b64 s[52:53], s[52:53], exec
	s_and_b64 s[0:1], s[0:1], exec
	s_or_b64 s[52:53], s[52:53], s[0:1]
	s_andn2_b64 exec, exec, s[22:23]
	s_cbranch_execz .LBB116_247
.LBB116_241:                            ;   Parent Loop BB116_20 Depth=1
                                        ; =>  This Inner Loop Header: Depth=2
	v_cmp_gt_u64_e32 vcc, s[26:27], v[8:9]
	s_and_saveexec_b64 s[0:1], vcc
	s_cbranch_execz .LBB116_238
; %bb.242:                              ;   in Loop: Header=BB116_241 Depth=2
	ds_read_b64 v[4:5], v12
	s_waitcnt lgkmcnt(0)
	v_cmp_o_f64_e32 vcc, v[4:5], v[4:5]
	v_ashrrev_i32_e32 v2, 31, v5
	v_or_b32_e32 v6, 0x80000000, v2
	v_xor_b32_e32 v6, v6, v5
	v_xor_b32_e32 v2, v2, v4
	v_cndmask_b32_e32 v6, -1, v6, vcc
	v_cndmask_b32_e32 v2, -1, v2, vcc
	v_and_b32_e32 v7, v6, v31
	v_and_b32_e32 v6, v2, v30
	v_cmp_eq_u64_e32 vcc, v[6:7], v[26:27]
	s_and_b64 exec, exec, vcc
	s_cbranch_execz .LBB116_238
; %bb.243:                              ;   in Loop: Header=BB116_241 Depth=2
	v_mov_b32_e32 v2, v21
	ds_write_b128 v21, v[2:5] offset:3072
	s_branch .LBB116_238
.LBB116_244:                            ;   in Loop: Header=BB116_241 Depth=2
	s_mov_b64 vcc, -1
                                        ; implicit-def: $vgpr8_vgpr9
                                        ; implicit-def: $vgpr12
	s_mov_b64 s[0:1], -1
	s_branch .LBB116_240
.LBB116_245:                            ;   in Loop: Header=BB116_20 Depth=1
                                        ; implicit-def: $sgpr0_sgpr1
	s_branch .LBB116_188
.LBB116_246:                            ;   in Loop: Header=BB116_20 Depth=1
                                        ; implicit-def: $sgpr0_sgpr1
	s_branch .LBB116_205
.LBB116_247:                            ;   in Loop: Header=BB116_20 Depth=1
	s_or_b64 exec, exec, s[22:23]
	s_and_b64 s[22:23], s[52:53], exec
.LBB116_248:                            ;   in Loop: Header=BB116_20 Depth=1
	s_or_b64 exec, exec, s[30:31]
.LBB116_249:                            ;   in Loop: Header=BB116_20 Depth=1
	s_and_b64 vcc, exec, s[28:29]
	s_cbranch_vccz .LBB116_264
; %bb.250:                              ;   in Loop: Header=BB116_20 Depth=1
	s_mov_b32 s46, s41
	s_cmp_lg_u64 s[46:47], 0
	s_cbranch_scc0 .LBB116_285
; %bb.251:                              ;   in Loop: Header=BB116_20 Depth=1
	v_cvt_f32_u32_e32 v2, s25
	s_sub_u32 s26, 0, s25
	s_subb_u32 s27, 0, 0
	v_mac_f32_e32 v2, 0, v49
	v_rcp_f32_e32 v2, v2
	v_mul_f32_e32 v2, 0x5f7ffffc, v2
	v_mul_f32_e32 v4, 0x2f800000, v2
	v_trunc_f32_e32 v4, v4
	v_mac_f32_e32 v2, 0xcf800000, v4
	v_cvt_u32_f32_e32 v4, v4
	v_cvt_u32_f32_e32 v2, v2
	v_readfirstlane_b32 s28, v4
	v_readfirstlane_b32 s0, v2
	s_mul_i32 s1, s26, s28
	s_mul_hi_u32 s30, s26, s0
	s_mul_i32 s29, s27, s0
	s_add_i32 s1, s30, s1
	s_mul_i32 s31, s26, s0
	s_add_i32 s1, s1, s29
	s_mul_hi_u32 s30, s0, s31
	s_mul_i32 s40, s0, s1
	s_mul_hi_u32 s29, s0, s1
	s_add_u32 s30, s30, s40
	s_addc_u32 s29, 0, s29
	s_mul_hi_u32 s46, s28, s31
	s_mul_i32 s31, s28, s31
	s_add_u32 s30, s30, s31
	s_mul_hi_u32 s40, s28, s1
	s_addc_u32 s29, s29, s46
	s_addc_u32 s30, s40, 0
	s_mul_i32 s1, s28, s1
	s_add_u32 s1, s29, s1
	s_addc_u32 s29, 0, s30
	s_add_u32 s30, s0, s1
	s_cselect_b64 s[0:1], -1, 0
	s_cmp_lg_u64 s[0:1], 0
	s_addc_u32 s28, s28, s29
	s_mul_i32 s0, s26, s28
	s_mul_hi_u32 s1, s26, s30
	s_add_i32 s0, s1, s0
	s_mul_i32 s27, s27, s30
	s_add_i32 s0, s0, s27
	s_mul_i32 s26, s26, s30
	s_mul_hi_u32 s27, s28, s26
	s_mul_i32 s29, s28, s26
	s_mul_i32 s40, s30, s0
	s_mul_hi_u32 s26, s30, s26
	s_mul_hi_u32 s31, s30, s0
	s_add_u32 s26, s26, s40
	s_addc_u32 s31, 0, s31
	s_add_u32 s26, s26, s29
	s_mul_hi_u32 s1, s28, s0
	s_addc_u32 s26, s31, s27
	s_addc_u32 s1, s1, 0
	s_mul_i32 s0, s28, s0
	s_add_u32 s0, s26, s0
	s_addc_u32 s26, 0, s1
	s_add_u32 s27, s30, s0
	s_cselect_b64 s[0:1], -1, 0
	s_cmp_lg_u64 s[0:1], 0
	s_addc_u32 s0, s28, s26
	s_mul_i32 s26, s8, s0
	s_mul_hi_u32 s28, s8, s27
	s_mul_hi_u32 s1, s8, s0
	s_add_u32 s26, s28, s26
	s_addc_u32 s1, 0, s1
	s_mul_hi_u32 s29, s47, s27
	s_mul_i32 s27, s47, s27
	s_add_u32 s26, s26, s27
	s_mul_hi_u32 s28, s47, s0
	s_addc_u32 s1, s1, s29
	s_addc_u32 s26, s28, 0
	s_mul_i32 s0, s47, s0
	s_add_u32 s0, s1, s0
	s_addc_u32 s1, 0, s26
	s_mul_i32 s1, s25, s1
	s_mul_hi_u32 s26, s25, s0
	s_add_i32 s26, s26, s1
	s_mul_i32 s0, s25, s0
	s_sub_u32 s27, s8, s0
	s_cselect_b64 s[0:1], -1, 0
	s_cmp_lg_u64 s[0:1], 0
	s_subb_u32 s26, s47, s26
	s_sub_u32 s28, s27, s25
	s_cselect_b64 s[0:1], -1, 0
	s_cmp_lg_u64 s[0:1], 0
	s_subb_u32 s29, s26, 0
	;; [unrolled: 4-line block ×3, first 2 shown]
	s_cmp_ge_u32 s28, s25
	s_cselect_b32 s1, -1, 0
	s_cmp_eq_u32 s29, 0
	s_cselect_b32 s1, s1, -1
	s_cmp_lg_u32 s1, 0
	s_cselect_b32 s0, s0, s29
	s_cselect_b32 s28, s30, s28
	s_cmp_ge_u32 s27, s25
	s_cselect_b32 s1, -1, 0
	s_cmp_eq_u32 s26, 0
	s_cselect_b32 s1, s1, -1
	s_cmp_lg_u32 s1, 0
	s_cselect_b32 s1, s0, s26
	s_cselect_b32 s0, s28, s27
	s_cbranch_execnz .LBB116_253
.LBB116_252:                            ;   in Loop: Header=BB116_20 Depth=1
	v_cvt_f32_u32_e32 v2, s25
	s_sub_i32 s0, 0, s25
	v_rcp_iflag_f32_e32 v2, v2
	v_mul_f32_e32 v2, 0x4f7ffffe, v2
	v_cvt_u32_f32_e32 v2, v2
	v_readfirstlane_b32 s1, v2
	s_mul_i32 s0, s0, s1
	s_mul_hi_u32 s0, s1, s0
	s_add_i32 s1, s1, s0
	s_mul_hi_u32 s0, s8, s1
	s_mul_i32 s0, s0, s25
	s_sub_i32 s0, s8, s0
	s_sub_i32 s1, s0, s25
	s_cmp_ge_u32 s0, s25
	s_cselect_b32 s0, s1, s0
	s_sub_i32 s1, s0, s25
	s_cmp_ge_u32 s0, s25
	s_cselect_b32 s40, s1, s0
	s_mov_b64 s[0:1], s[40:41]
.LBB116_253:                            ;   in Loop: Header=BB116_20 Depth=1
	s_sub_u32 s28, s8, s0
	s_subb_u32 s29, s47, s1
	v_cmp_gt_u64_e32 vcc, s[28:29], v[0:1]
                                        ; implicit-def: $vgpr6_vgpr7
	s_and_saveexec_b64 s[26:27], vcc
	s_cbranch_execz .LBB116_263
; %bb.254:                              ;   in Loop: Header=BB116_20 Depth=1
	v_mov_b32_e32 v8, v16
	v_mov_b32_e32 v13, v1
	s_mov_b64 s[30:31], 0
	v_mov_b32_e32 v9, v17
	v_mov_b32_e32 v12, v0
                                        ; implicit-def: $sgpr50_sgpr51
	s_branch .LBB116_258
.LBB116_255:                            ;   in Loop: Header=BB116_258 Depth=2
	s_or_b64 exec, exec, s[0:1]
	s_waitcnt lgkmcnt(0)
	s_barrier
	ds_read_b128 v[4:7], v21 offset:3072
	s_waitcnt lgkmcnt(0)
	s_barrier
	v_cmp_eq_f64_e32 vcc, 0, v[4:5]
	s_cbranch_vccz .LBB116_261
; %bb.256:                              ;   in Loop: Header=BB116_258 Depth=2
	v_add_co_u32_e32 v12, vcc, s25, v12
	v_addc_co_u32_e32 v13, vcc, 0, v13, vcc
	v_mov_b32_e32 v2, s37
	v_add_co_u32_e32 v8, vcc, s36, v8
	v_addc_co_u32_e32 v9, vcc, v9, v2, vcc
	v_cmp_le_u64_e32 vcc, s[28:29], v[12:13]
	s_mov_b64 s[0:1], 0
	s_orn2_b64 s[52:53], vcc, exec
.LBB116_257:                            ;   in Loop: Header=BB116_258 Depth=2
	s_and_b64 s[52:53], exec, s[52:53]
	s_or_b64 s[30:31], s[52:53], s[30:31]
	s_andn2_b64 s[50:51], s[50:51], exec
	s_and_b64 s[0:1], s[0:1], exec
	s_or_b64 s[50:51], s[50:51], s[0:1]
	s_andn2_b64 exec, exec, s[30:31]
	s_cbranch_execz .LBB116_262
.LBB116_258:                            ;   Parent Loop BB116_20 Depth=1
                                        ; =>  This Inner Loop Header: Depth=2
	v_cmp_gt_u64_e32 vcc, s[20:21], v[12:13]
	s_and_saveexec_b64 s[0:1], vcc
	s_cbranch_execz .LBB116_255
; %bb.259:                              ;   in Loop: Header=BB116_258 Depth=2
	global_load_dwordx2 v[4:5], v[8:9], off
	s_waitcnt vmcnt(0)
	v_cmp_o_f64_e32 vcc, v[4:5], v[4:5]
	v_ashrrev_i32_e32 v2, 31, v5
	v_or_b32_e32 v6, 0x80000000, v2
	v_xor_b32_e32 v6, v6, v5
	v_xor_b32_e32 v2, v2, v4
	v_cndmask_b32_e32 v6, -1, v6, vcc
	v_cndmask_b32_e32 v2, -1, v2, vcc
	v_and_b32_e32 v7, v6, v31
	v_and_b32_e32 v6, v2, v30
	v_cmp_eq_u64_e32 vcc, v[6:7], v[26:27]
	s_and_b64 exec, exec, vcc
	s_cbranch_execz .LBB116_255
; %bb.260:                              ;   in Loop: Header=BB116_258 Depth=2
	v_mov_b32_e32 v2, v21
	ds_write_b128 v21, v[2:5] offset:3072
	s_branch .LBB116_255
.LBB116_261:                            ;   in Loop: Header=BB116_258 Depth=2
	s_mov_b64 s[52:53], -1
                                        ; implicit-def: $vgpr12_vgpr13
                                        ; implicit-def: $vgpr8_vgpr9
	s_mov_b64 s[0:1], -1
	s_branch .LBB116_257
.LBB116_262:                            ;   in Loop: Header=BB116_20 Depth=1
	s_or_b64 exec, exec, s[30:31]
	s_andn2_b64 s[0:1], s[22:23], exec
	s_and_b64 s[22:23], s[50:51], exec
	s_or_b64 s[22:23], s[0:1], s[22:23]
.LBB116_263:                            ;   in Loop: Header=BB116_20 Depth=1
	s_or_b64 exec, exec, s[26:27]
	s_mov_b64 s[92:93], 0
	s_mov_b64 s[94:95], -1
.LBB116_264:                            ;   in Loop: Header=BB116_20 Depth=1
	s_orn2_b64 s[0:1], s[22:23], exec
.LBB116_265:                            ;   in Loop: Header=BB116_20 Depth=1
	s_or_b64 exec, exec, s[90:91]
	s_mov_b64 s[26:27], 0
	s_and_saveexec_b64 s[22:23], s[0:1]
	s_cbranch_execz .LBB116_276
; %bb.266:                              ;   in Loop: Header=BB116_20 Depth=1
	v_mov_b32_e32 v4, 1
	s_xor_b64 s[0:1], s[76:77], -1
	v_mov_b32_e32 v5, 0
	v_mov_b32_e32 v34, 1
	s_and_saveexec_b64 s[26:27], s[0:1]
	s_cbranch_execz .LBB116_275
; %bb.267:                              ;   in Loop: Header=BB116_20 Depth=1
	v_cmp_ge_u64_e32 vcc, s[10:11], v[10:11]
	s_and_saveexec_b64 s[0:1], vcc
	s_xor_b64 s[28:29], exec, s[0:1]
	s_cbranch_execz .LBB116_272
; %bb.268:                              ;   in Loop: Header=BB116_20 Depth=1
	ds_read_b64 v[4:5], v21 offset:5120
	v_or_b32_e32 v27, s13, v27
	v_or_b32_e32 v26, s12, v26
	;; [unrolled: 1-line block ×4, first 2 shown]
	s_waitcnt lgkmcnt(0)
	v_cmp_ne_u64_e32 vcc, 0, v[4:5]
	s_cbranch_vccnz .LBB116_272
; %bb.269:                              ;   in Loop: Header=BB116_20 Depth=1
	s_mov_b64 s[0:1], exec
	v_readlane_b32 s12, v54, 12
	v_readlane_b32 s13, v54, 13
	s_and_b64 s[12:13], s[0:1], s[12:13]
	s_mov_b64 exec, s[12:13]
; %bb.270:                              ;   in Loop: Header=BB116_20 Depth=1
	v_mov_b32_e32 v4, s10
	v_mov_b32_e32 v5, s11
	ds_write_b64 v21, v[4:5] offset:5128
; %bb.271:                              ;   in Loop: Header=BB116_20 Depth=1
	s_or_b64 exec, exec, s[0:1]
	s_waitcnt lgkmcnt(0)
	s_barrier
.LBB116_272:                            ;   in Loop: Header=BB116_20 Depth=1
	s_andn2_saveexec_b64 s[0:1], s[28:29]
; %bb.273:                              ;   in Loop: Header=BB116_20 Depth=1
	v_mov_b32_e32 v2, s11
	v_subrev_co_u32_e32 v10, vcc, s10, v10
	v_subb_co_u32_e32 v11, vcc, v11, v2, vcc
; %bb.274:                              ;   in Loop: Header=BB116_20 Depth=1
	s_or_b64 exec, exec, s[0:1]
	v_mov_b32_e32 v4, v10
	v_mov_b32_e32 v34, 8
	v_mov_b32_e32 v5, v11
.LBB116_275:                            ;   in Loop: Header=BB116_20 Depth=1
	s_or_b64 exec, exec, s[26:27]
	v_mov_b32_e32 v11, v5
	s_mov_b64 s[26:27], exec
	v_mov_b32_e32 v10, v4
.LBB116_276:                            ;   in Loop: Header=BB116_20 Depth=1
	s_or_b64 exec, exec, s[22:23]
	s_orn2_b64 s[22:23], s[26:27], exec
.LBB116_277:                            ;   in Loop: Header=BB116_20 Depth=1
	s_or_b64 exec, exec, s[74:75]
	s_andn2_b64 s[0:1], s[86:87], exec
	s_and_b64 s[10:11], s[94:95], exec
	s_or_b64 s[86:87], s[0:1], s[10:11]
	s_andn2_b64 s[0:1], s[84:85], exec
	s_and_b64 s[10:11], s[92:93], exec
	v_mov_b32_e32 v8, v10
	s_or_b64 s[84:85], s[0:1], s[10:11]
	s_and_b64 s[22:23], s[22:23], exec
	v_mov_b32_e32 v9, v11
.LBB116_278:                            ;   in Loop: Header=BB116_20 Depth=1
	s_or_b64 exec, exec, s[88:89]
	s_orn2_b64 s[22:23], s[22:23], exec
.LBB116_279:                            ;   in Loop: Header=BB116_20 Depth=1
	s_or_b64 exec, exec, s[82:83]
	s_andn2_b64 s[0:1], s[78:79], exec
	s_and_b64 s[10:11], s[86:87], exec
	s_or_b64 s[78:79], s[0:1], s[10:11]
	s_andn2_b64 s[0:1], s[6:7], exec
	s_and_b64 s[6:7], s[84:85], exec
	v_mov_b32_e32 v13, v9
	s_or_b64 s[6:7], s[0:1], s[6:7]
	s_and_b64 s[22:23], s[22:23], exec
	v_mov_b32_e32 v12, v8
.LBB116_280:                            ;   in Loop: Header=BB116_20 Depth=1
	s_or_b64 exec, exec, s[80:81]
	s_orn2_b64 s[22:23], s[22:23], exec
.LBB116_281:                            ;   in Loop: Header=BB116_20 Depth=1
	s_or_b64 exec, exec, s[72:73]
	s_mov_b64 s[0:1], 0
	s_and_saveexec_b64 s[10:11], s[22:23]
	s_xor_b64 s[10:11], exec, s[10:11]
	s_cbranch_execz .LBB116_18
; %bb.282:                              ;   in Loop: Header=BB116_20 Depth=1
	v_and_b32_e32 v2, 7, v34
	v_cmp_eq_u32_e32 vcc, 0, v2
	s_mov_b64 s[12:13], -1
	s_mov_b64 s[0:1], -1
	s_and_saveexec_b64 s[18:19], vcc
	s_cbranch_execz .LBB116_17
; %bb.283:                              ;   in Loop: Header=BB116_20 Depth=1
	s_xor_b32 s33, s33, 1
	s_add_i32 s22, s3, -2
	s_cmp_eq_u32 s3, 0
	s_cselect_b64 s[12:13], -1, 0
	s_xor_b64 s[0:1], exec, -1
	s_orn2_b64 s[12:13], s[12:13], exec
	s_mov_b32 s3, s22
	s_branch .LBB116_17
.LBB116_284:                            ;   in Loop: Header=BB116_20 Depth=1
                                        ; implicit-def: $sgpr0_sgpr1
	s_andn2_b64 vcc, exec, s[28:29]
	s_cbranch_vccz .LBB116_235
	s_branch .LBB116_236
.LBB116_285:                            ;   in Loop: Header=BB116_20 Depth=1
                                        ; implicit-def: $sgpr0_sgpr1
	s_branch .LBB116_252
.LBB116_286:
	s_or_b64 exec, exec, s[58:59]
	s_xor_b64 s[4:5], s[64:65], -1
	s_xor_b64 s[2:3], s[60:61], -1
	;; [unrolled: 1-line block ×3, first 2 shown]
	s_mov_b64 s[0:1], 0
	s_and_saveexec_b64 s[8:9], s[2:3]
	s_xor_b64 s[2:3], exec, s[8:9]
	s_cbranch_execnz .LBB116_291
; %bb.287:
	s_andn2_saveexec_b64 s[2:3], s[2:3]
	s_cbranch_execnz .LBB116_304
.LBB116_288:
	s_or_b64 exec, exec, s[2:3]
	s_and_saveexec_b64 s[2:3], s[0:1]
.LBB116_289:
	; divergent unreachable
.LBB116_290:
	s_endpgm
.LBB116_291:
	s_and_saveexec_b64 s[0:1], s[4:5]
	s_xor_b64 s[4:5], exec, s[0:1]
	s_cbranch_execz .LBB116_302
; %bb.292:
	s_and_saveexec_b64 s[0:1], s[6:7]
	s_xor_b64 s[0:1], exec, s[0:1]
; %bb.293:
	v_lshrrev_b32_e32 v2, 31, v27
	v_add_co_u32_e32 v2, vcc, -1, v2
	v_addc_co_u32_e64 v3, s[6:7], 0, -1, vcc
	v_or_b32_e32 v3, 0x80000000, v3
	v_xor_b32_e32 v7, v3, v27
	v_xor_b32_e32 v6, v2, v26
; %bb.294:
	s_or_b64 exec, exec, s[0:1]
	v_readlane_b32 s0, v54, 8
	v_readlane_b32 s8, v54, 4
	v_readlane_b32 s1, v54, 9
	s_mov_b32 s6, s0
	v_readlane_b32 s9, v54, 5
	s_mul_i32 s0, s9, s0
	s_mul_hi_u32 s1, s8, s6
	s_add_i32 s1, s1, s0
	s_mul_i32 s0, s8, s6
	s_lshl_b64 s[0:1], s[0:1], 3
	v_readlane_b32 s6, v54, 6
	v_readlane_b32 s7, v54, 7
	s_add_u32 s0, s6, s0
	s_addc_u32 s1, s7, s1
	v_mov_b32_e32 v2, 0
	global_store_dwordx2 v2, v[6:7], s[0:1]
	s_mov_b64 s[6:7], exec
	v_readlane_b32 s0, v54, 10
	v_readlane_b32 s1, v54, 11
	s_and_b64 s[0:1], s[6:7], s[0:1]
	s_mov_b64 exec, s[0:1]
	s_cbranch_execz .LBB116_301
; %bb.295:
	v_cmp_u_f64_e32 vcc, v[6:7], v[6:7]
	s_mov_b64 s[8:9], 0
                                        ; implicit-def: $sgpr10_sgpr11
                                        ; implicit-def: $sgpr16_sgpr17
                                        ; implicit-def: $sgpr14_sgpr15
	s_xor_b64 s[12:13], vcc, -1
	s_branch .LBB116_297
.LBB116_296:                            ;   in Loop: Header=BB116_297 Depth=1
	s_or_b64 exec, exec, s[0:1]
	s_and_b64 s[0:1], exec, s[16:17]
	s_or_b64 s[8:9], s[0:1], s[8:9]
	s_andn2_b64 s[0:1], s[10:11], exec
	s_and_b64 s[10:11], s[14:15], exec
	s_or_b64 s[10:11], s[0:1], s[10:11]
	s_andn2_b64 exec, exec, s[8:9]
	s_cbranch_execz .LBB116_299
.LBB116_297:                            ; =>This Inner Loop Header: Depth=1
	global_load_dwordx2 v[2:3], v[16:17], off
	s_or_b64 s[14:15], s[14:15], exec
	s_or_b64 s[16:17], s[16:17], exec
	s_waitcnt vmcnt(0)
	v_cmp_o_f64_e32 vcc, v[2:3], v[2:3]
	v_cmp_neq_f64_e64 s[0:1], v[2:3], v[6:7]
	v_mov_b32_e32 v3, v1
	v_mov_b32_e32 v2, v0
                                        ; implicit-def: $vgpr0_vgpr1
	s_or_b64 s[18:19], vcc, s[12:13]
	s_and_b64 s[18:19], s[0:1], s[18:19]
	s_and_saveexec_b64 s[0:1], s[18:19]
	s_cbranch_execz .LBB116_296
; %bb.298:                              ;   in Loop: Header=BB116_297 Depth=1
	v_add_co_u32_e32 v0, vcc, s25, v2
	v_addc_co_u32_e32 v1, vcc, 0, v3, vcc
	v_mov_b32_e32 v4, s37
	v_add_co_u32_e32 v16, vcc, s36, v16
	v_addc_co_u32_e32 v17, vcc, v17, v4, vcc
	v_cmp_le_u64_e32 vcc, s[20:21], v[0:1]
	s_andn2_b64 s[16:17], s[16:17], exec
	s_and_b64 s[18:19], vcc, exec
	s_andn2_b64 s[14:15], s[14:15], exec
	s_or_b64 s[16:17], s[16:17], s[18:19]
	s_branch .LBB116_296
.LBB116_299:
	s_or_b64 exec, exec, s[8:9]
	s_and_saveexec_b64 s[0:1], s[10:11]
	s_xor_b64 s[0:1], exec, s[0:1]
	s_cbranch_execz .LBB116_301
; %bb.300:
	v_readlane_b32 s0, v54, 8
	v_readlane_b32 s10, v54, 0
	;; [unrolled: 1-line block ×3, first 2 shown]
	s_mov_b32 s8, s0
	v_readlane_b32 s11, v54, 1
	s_mul_i32 s0, s11, s0
	s_mul_hi_u32 s1, s10, s8
	s_add_i32 s1, s1, s0
	s_mul_i32 s0, s10, s8
	s_lshl_b64 s[0:1], s[0:1], 3
	v_readlane_b32 s8, v54, 2
	v_readlane_b32 s9, v54, 3
	s_add_u32 s0, s8, s0
	s_addc_u32 s1, s9, s1
	v_mov_b32_e32 v0, 0
	global_store_dwordx2 v0, v[2:3], s[0:1]
.LBB116_301:
	s_or_b64 exec, exec, s[6:7]
.LBB116_302:
	s_or_saveexec_b64 s[0:1], s[4:5]
	s_mov_b64 s[4:5], 0
	s_xor_b64 exec, exec, s[0:1]
	s_cbranch_execnz .LBB116_305
.LBB116_303:
	s_or_b64 exec, exec, s[0:1]
	s_and_b64 s[0:1], s[4:5], exec
	s_andn2_saveexec_b64 s[2:3], s[2:3]
	s_cbranch_execz .LBB116_288
.LBB116_304:
	s_or_b64 s[0:1], s[0:1], exec
	s_trap 2
	s_or_b64 exec, exec, s[2:3]
	s_and_saveexec_b64 s[2:3], s[0:1]
	s_cbranch_execnz .LBB116_289
	s_branch .LBB116_290
.LBB116_305:
	s_mov_b64 s[4:5], exec
	s_trap 2
	s_branch .LBB116_303
	.section	.rodata,"a",@progbits
	.p2align	6, 0x0
	.amdhsa_kernel _ZN2at6native12_GLOBAL__N_112gatherMedianIdmLi1EEEvNS_4cuda6detail10TensorInfoIT_T0_EENS5_IlS7_EENS5_IKS6_S7_EES7_S7_S7_b
		.amdhsa_group_segment_fixed_size 5152
		.amdhsa_private_segment_fixed_size 0
		.amdhsa_kernarg_size 1536
		.amdhsa_user_sgpr_count 6
		.amdhsa_user_sgpr_private_segment_buffer 1
		.amdhsa_user_sgpr_dispatch_ptr 0
		.amdhsa_user_sgpr_queue_ptr 0
		.amdhsa_user_sgpr_kernarg_segment_ptr 1
		.amdhsa_user_sgpr_dispatch_id 0
		.amdhsa_user_sgpr_flat_scratch_init 0
		.amdhsa_user_sgpr_private_segment_size 0
		.amdhsa_uses_dynamic_stack 0
		.amdhsa_system_sgpr_private_segment_wavefront_offset 0
		.amdhsa_system_sgpr_workgroup_id_x 1
		.amdhsa_system_sgpr_workgroup_id_y 1
		.amdhsa_system_sgpr_workgroup_id_z 1
		.amdhsa_system_sgpr_workgroup_info 0
		.amdhsa_system_vgpr_workitem_id 0
		.amdhsa_next_free_vgpr 55
		.amdhsa_next_free_sgpr 96
		.amdhsa_reserve_vcc 1
		.amdhsa_reserve_flat_scratch 0
		.amdhsa_float_round_mode_32 0
		.amdhsa_float_round_mode_16_64 0
		.amdhsa_float_denorm_mode_32 3
		.amdhsa_float_denorm_mode_16_64 3
		.amdhsa_dx10_clamp 1
		.amdhsa_ieee_mode 1
		.amdhsa_fp16_overflow 0
		.amdhsa_exception_fp_ieee_invalid_op 0
		.amdhsa_exception_fp_denorm_src 0
		.amdhsa_exception_fp_ieee_div_zero 0
		.amdhsa_exception_fp_ieee_overflow 0
		.amdhsa_exception_fp_ieee_underflow 0
		.amdhsa_exception_fp_ieee_inexact 0
		.amdhsa_exception_int_div_zero 0
	.end_amdhsa_kernel
	.section	.text._ZN2at6native12_GLOBAL__N_112gatherMedianIdmLi1EEEvNS_4cuda6detail10TensorInfoIT_T0_EENS5_IlS7_EENS5_IKS6_S7_EES7_S7_S7_b,"axG",@progbits,_ZN2at6native12_GLOBAL__N_112gatherMedianIdmLi1EEEvNS_4cuda6detail10TensorInfoIT_T0_EENS5_IlS7_EENS5_IKS6_S7_EES7_S7_S7_b,comdat
.Lfunc_end116:
	.size	_ZN2at6native12_GLOBAL__N_112gatherMedianIdmLi1EEEvNS_4cuda6detail10TensorInfoIT_T0_EENS5_IlS7_EENS5_IKS6_S7_EES7_S7_S7_b, .Lfunc_end116-_ZN2at6native12_GLOBAL__N_112gatherMedianIdmLi1EEEvNS_4cuda6detail10TensorInfoIT_T0_EENS5_IlS7_EENS5_IKS6_S7_EES7_S7_S7_b
                                        ; -- End function
	.set _ZN2at6native12_GLOBAL__N_112gatherMedianIdmLi1EEEvNS_4cuda6detail10TensorInfoIT_T0_EENS5_IlS7_EENS5_IKS6_S7_EES7_S7_S7_b.num_vgpr, 55
	.set _ZN2at6native12_GLOBAL__N_112gatherMedianIdmLi1EEEvNS_4cuda6detail10TensorInfoIT_T0_EENS5_IlS7_EENS5_IKS6_S7_EES7_S7_S7_b.num_agpr, 0
	.set _ZN2at6native12_GLOBAL__N_112gatherMedianIdmLi1EEEvNS_4cuda6detail10TensorInfoIT_T0_EENS5_IlS7_EENS5_IKS6_S7_EES7_S7_S7_b.numbered_sgpr, 96
	.set _ZN2at6native12_GLOBAL__N_112gatherMedianIdmLi1EEEvNS_4cuda6detail10TensorInfoIT_T0_EENS5_IlS7_EENS5_IKS6_S7_EES7_S7_S7_b.num_named_barrier, 0
	.set _ZN2at6native12_GLOBAL__N_112gatherMedianIdmLi1EEEvNS_4cuda6detail10TensorInfoIT_T0_EENS5_IlS7_EENS5_IKS6_S7_EES7_S7_S7_b.private_seg_size, 0
	.set _ZN2at6native12_GLOBAL__N_112gatherMedianIdmLi1EEEvNS_4cuda6detail10TensorInfoIT_T0_EENS5_IlS7_EENS5_IKS6_S7_EES7_S7_S7_b.uses_vcc, 1
	.set _ZN2at6native12_GLOBAL__N_112gatherMedianIdmLi1EEEvNS_4cuda6detail10TensorInfoIT_T0_EENS5_IlS7_EENS5_IKS6_S7_EES7_S7_S7_b.uses_flat_scratch, 0
	.set _ZN2at6native12_GLOBAL__N_112gatherMedianIdmLi1EEEvNS_4cuda6detail10TensorInfoIT_T0_EENS5_IlS7_EENS5_IKS6_S7_EES7_S7_S7_b.has_dyn_sized_stack, 0
	.set _ZN2at6native12_GLOBAL__N_112gatherMedianIdmLi1EEEvNS_4cuda6detail10TensorInfoIT_T0_EENS5_IlS7_EENS5_IKS6_S7_EES7_S7_S7_b.has_recursion, 0
	.set _ZN2at6native12_GLOBAL__N_112gatherMedianIdmLi1EEEvNS_4cuda6detail10TensorInfoIT_T0_EENS5_IlS7_EENS5_IKS6_S7_EES7_S7_S7_b.has_indirect_call, 0
	.section	.AMDGPU.csdata,"",@progbits
; Kernel info:
; codeLenInByte = 15328
; TotalNumSgprs: 100
; NumVgprs: 55
; ScratchSize: 0
; MemoryBound: 0
; FloatMode: 240
; IeeeMode: 1
; LDSByteSize: 5152 bytes/workgroup (compile time only)
; SGPRBlocks: 12
; VGPRBlocks: 13
; NumSGPRsForWavesPerEU: 100
; NumVGPRsForWavesPerEU: 55
; Occupancy: 4
; WaveLimiterHint : 1
; COMPUTE_PGM_RSRC2:SCRATCH_EN: 0
; COMPUTE_PGM_RSRC2:USER_SGPR: 6
; COMPUTE_PGM_RSRC2:TRAP_HANDLER: 0
; COMPUTE_PGM_RSRC2:TGID_X_EN: 1
; COMPUTE_PGM_RSRC2:TGID_Y_EN: 1
; COMPUTE_PGM_RSRC2:TGID_Z_EN: 1
; COMPUTE_PGM_RSRC2:TIDIG_COMP_CNT: 0
	.section	.text._ZN2at6native12_GLOBAL__N_112gatherMedianIdmLi2EEEvNS_4cuda6detail10TensorInfoIT_T0_EENS5_IlS7_EENS5_IKS6_S7_EES7_S7_S7_b,"axG",@progbits,_ZN2at6native12_GLOBAL__N_112gatherMedianIdmLi2EEEvNS_4cuda6detail10TensorInfoIT_T0_EENS5_IlS7_EENS5_IKS6_S7_EES7_S7_S7_b,comdat
	.globl	_ZN2at6native12_GLOBAL__N_112gatherMedianIdmLi2EEEvNS_4cuda6detail10TensorInfoIT_T0_EENS5_IlS7_EENS5_IKS6_S7_EES7_S7_S7_b ; -- Begin function _ZN2at6native12_GLOBAL__N_112gatherMedianIdmLi2EEEvNS_4cuda6detail10TensorInfoIT_T0_EENS5_IlS7_EENS5_IKS6_S7_EES7_S7_S7_b
	.p2align	8
	.type	_ZN2at6native12_GLOBAL__N_112gatherMedianIdmLi2EEEvNS_4cuda6detail10TensorInfoIT_T0_EENS5_IlS7_EENS5_IKS6_S7_EES7_S7_S7_b,@function
_ZN2at6native12_GLOBAL__N_112gatherMedianIdmLi2EEEvNS_4cuda6detail10TensorInfoIT_T0_EENS5_IlS7_EENS5_IKS6_S7_EES7_S7_S7_b: ; @_ZN2at6native12_GLOBAL__N_112gatherMedianIdmLi2EEEvNS_4cuda6detail10TensorInfoIT_T0_EENS5_IlS7_EENS5_IKS6_S7_EES7_S7_S7_b
; %bb.0:
	s_load_dwordx2 s[10:11], s[4:5], 0x500
	s_load_dwordx4 s[20:23], s[4:5], 0x4e0
	s_add_u32 s12, s4, 0x500
	s_addc_u32 s13, s5, 0
	s_mov_b32 s35, 0
	s_waitcnt lgkmcnt(0)
	s_mul_i32 s0, s11, s8
	s_add_i32 s0, s0, s7
	s_mul_i32 s0, s0, s10
	s_add_i32 s34, s0, s6
	v_mov_b32_e32 v1, s34
	v_mov_b32_e32 v2, s35
	v_cmp_le_u64_e32 vcc, s[22:23], v[1:2]
	s_cbranch_vccnz .LBB117_296
; %bb.1:
	s_load_dwordx2 s[2:3], s[4:5], 0x10
	s_load_dwordx2 s[38:39], s[4:5], 0x4f0
	;; [unrolled: 1-line block ×4, first 2 shown]
                                        ; implicit-def: $vgpr47 : SGPR spill to VGPR lane
	s_waitcnt lgkmcnt(0)
	v_writelane_b32 v47, s0, 0
	v_writelane_b32 v47, s1, 1
	;; [unrolled: 1-line block ×3, first 2 shown]
	v_mov_b32_e32 v1, s2
	v_mov_b32_e32 v2, s3
	v_writelane_b32 v47, s3, 3
	v_cmp_lt_u64_e32 vcc, s[34:35], v[1:2]
	s_mov_b64 s[0:1], 0
	v_writelane_b32 v47, s0, 4
	v_writelane_b32 v47, s1, 5
	s_mov_b64 s[0:1], 0
	s_cbranch_vccnz .LBB117_3
; %bb.2:
	s_load_dwordx2 s[14:15], s[4:5], 0x10
	s_waitcnt lgkmcnt(0)
	v_cvt_f32_u32_e32 v1, s14
	s_sub_i32 s0, 0, s14
	v_rcp_iflag_f32_e32 v1, v1
	v_mul_f32_e32 v1, 0x4f7ffffe, v1
	v_cvt_u32_f32_e32 v1, v1
	v_readfirstlane_b32 s1, v1
	s_mul_i32 s0, s0, s1
	s_mul_hi_u32 s0, s1, s0
	s_add_i32 s1, s1, s0
	s_mul_hi_u32 s0, s34, s1
	s_mul_i32 s2, s0, s14
	s_sub_i32 s2, s34, s2
	s_add_i32 s1, s0, 1
	s_sub_i32 s3, s2, s14
	s_cmp_ge_u32 s2, s14
	s_cselect_b32 s0, s1, s0
	s_cselect_b32 s2, s3, s2
	s_add_i32 s1, s0, 1
	s_cmp_ge_u32 s2, s14
	s_cselect_b32 s0, s1, s0
.LBB117_3:
	v_writelane_b32 v47, s0, 6
	v_writelane_b32 v47, s1, 7
	s_load_dwordx2 s[14:15], s[4:5], 0x340
	s_load_dwordx2 s[0:1], s[4:5], 0x1b0
	s_waitcnt lgkmcnt(0)
	v_mov_b32_e32 v2, s1
	v_mov_b32_e32 v1, s0
	v_cmp_lt_u64_e32 vcc, s[34:35], v[1:2]
	s_cbranch_vccnz .LBB117_5
; %bb.4:
	s_load_dwordx2 s[16:17], s[4:5], 0x1b0
	s_waitcnt lgkmcnt(0)
	v_cvt_f32_u32_e32 v1, s16
	s_sub_i32 s0, 0, s16
	v_rcp_iflag_f32_e32 v1, v1
	v_mul_f32_e32 v1, 0x4f7ffffe, v1
	v_cvt_u32_f32_e32 v1, v1
	v_readfirstlane_b32 s1, v1
	s_mul_i32 s0, s0, s1
	s_mul_hi_u32 s0, s1, s0
	s_add_i32 s1, s1, s0
	s_mul_hi_u32 s0, s34, s1
	s_mul_i32 s2, s0, s16
	s_sub_i32 s2, s34, s2
	s_add_i32 s1, s0, 1
	s_sub_i32 s3, s2, s16
	s_cmp_ge_u32 s2, s16
	s_cselect_b32 s0, s1, s0
	s_cselect_b32 s2, s3, s2
	s_add_i32 s1, s0, 1
	s_cmp_ge_u32 s2, s16
	s_cselect_b32 s0, s1, s0
	v_writelane_b32 v47, s0, 4
	v_writelane_b32 v47, s1, 5
.LBB117_5:
	s_load_dwordx4 s[0:3], s[4:5], 0x410
	v_mov_b32_e32 v1, s8
	v_mov_b32_e32 v2, s9
	v_cmp_lt_u64_e32 vcc, s[34:35], v[1:2]
	s_mov_b64 s[16:17], 0
	s_cbranch_vccnz .LBB117_7
; %bb.6:
	v_cvt_f32_u32_e32 v1, s8
	s_sub_i32 s7, 0, s8
	v_rcp_iflag_f32_e32 v1, v1
	v_mul_f32_e32 v1, 0x4f7ffffe, v1
	v_cvt_u32_f32_e32 v1, v1
	v_readfirstlane_b32 s11, v1
	s_mul_i32 s7, s7, s11
	s_mul_hi_u32 s7, s11, s7
	s_add_i32 s11, s11, s7
	s_mul_hi_u32 s7, s34, s11
	s_mul_i32 s16, s7, s8
	s_sub_i32 s16, s34, s16
	s_add_i32 s11, s7, 1
	s_sub_i32 s17, s16, s8
	s_cmp_ge_u32 s16, s8
	s_cselect_b32 s7, s11, s7
	s_cselect_b32 s16, s17, s16
	s_add_i32 s11, s7, 1
	s_cmp_ge_u32 s16, s8
	s_cselect_b32 s16, s11, s7
.LBB117_7:
	s_load_dwordx2 s[18:19], s[4:5], 0x1a0
	s_mul_i32 s7, s16, s9
	s_mul_hi_u32 s9, s16, s8
	s_add_i32 s9, s9, s7
	s_mul_i32 s7, s16, s8
	s_waitcnt lgkmcnt(0)
	v_writelane_b32 v47, s18, 8
	s_sub_u32 s7, s34, s7
	v_writelane_b32 v47, s19, 9
	s_load_dwordx2 s[18:19], s[4:5], 0x0
	s_subb_u32 s8, 0, s9
	s_mul_i32 s3, s7, s3
	s_mul_hi_u32 s9, s7, s2
	s_mul_i32 s8, s8, s2
	s_mul_i32 s2, s7, s2
	;; [unrolled: 1-line block ×3, first 2 shown]
	s_mul_hi_u32 s7, s16, s0
	s_add_i32 s3, s9, s3
	s_add_i32 s1, s7, s1
	s_mul_i32 s0, s16, s0
	s_add_i32 s3, s3, s8
	s_lshl_b64 s[0:1], s[0:1], 3
	s_add_u32 s7, s14, s0
	v_mov_b32_e32 v1, 0
	s_waitcnt lgkmcnt(0)
	v_writelane_b32 v47, s18, 10
	s_addc_u32 s8, s15, s1
	s_lshl_b64 s[0:1], s[2:3], 3
	v_cmp_gt_u64_e64 s[14:15], s[20:21], v[0:1]
	v_writelane_b32 v47, s19, 11
	s_add_u32 s33, s7, s0
	v_mov_b32_e32 v2, 0
	v_mov_b32_e32 v3, 0
	s_addc_u32 s35, s8, s1
	v_writelane_b32 v47, s14, 12
	v_writelane_b32 v47, s15, 13
	s_and_saveexec_b64 s[2:3], s[14:15]
	s_cbranch_execz .LBB117_11
; %bb.8:
	s_load_dword s0, s[12:13], 0xc
	v_mov_b32_e32 v2, 0
	v_mov_b32_e32 v5, v1
	s_mov_b64 s[8:9], 0
	v_mov_b32_e32 v3, 0
	v_mov_b32_e32 v6, s35
	s_waitcnt lgkmcnt(0)
	s_and_b32 s0, s0, 0xffff
	v_mov_b32_e32 v4, v0
.LBB117_9:                              ; =>This Inner Loop Header: Depth=1
	v_mul_lo_u32 v9, v5, s38
	v_mul_lo_u32 v10, v4, s39
	v_mad_u64_u32 v[7:8], s[14:15], v4, s38, 0
	v_add3_u32 v8, v8, v10, v9
	v_lshlrev_b64 v[7:8], 3, v[7:8]
	v_add_co_u32_e32 v7, vcc, s33, v7
	v_addc_co_u32_e32 v8, vcc, v6, v8, vcc
	global_load_dwordx2 v[7:8], v[7:8], off
	v_add_co_u32_e32 v4, vcc, s0, v4
	v_addc_co_u32_e32 v5, vcc, 0, v5, vcc
	v_cmp_le_u64_e32 vcc, s[20:21], v[4:5]
	s_or_b64 s[8:9], vcc, s[8:9]
	s_waitcnt vmcnt(0)
	v_cmp_u_f64_e32 vcc, v[7:8], v[7:8]
	v_cndmask_b32_e64 v7, 0, 1, vcc
	v_add_co_u32_e32 v2, vcc, v2, v7
	v_addc_co_u32_e32 v3, vcc, 0, v3, vcc
	s_andn2_b64 exec, exec, s[8:9]
	s_cbranch_execnz .LBB117_9
; %bb.10:
	s_or_b64 exec, exec, s[8:9]
.LBB117_11:
	s_or_b64 exec, exec, s[2:3]
	s_load_dwordx4 s[0:3], s[4:5], 0x270
	s_waitcnt lgkmcnt(0)
	v_writelane_b32 v47, s0, 14
	v_writelane_b32 v47, s1, 15
	;; [unrolled: 1-line block ×4, first 2 shown]
	s_load_dwordx4 s[0:3], s[4:5], 0xd0
	s_waitcnt lgkmcnt(0)
	v_writelane_b32 v47, s0, 18
	v_writelane_b32 v47, s1, 19
	;; [unrolled: 1-line block ×4, first 2 shown]
	v_cmp_eq_u32_e64 s[2:3], 0, v0
	s_and_saveexec_b64 s[8:9], s[2:3]
; %bb.12:
	v_mov_b32_e32 v4, 0
	v_mov_b32_e32 v5, v4
	ds_write_b64 v4, v[4:5] offset:5136
; %bb.13:
	s_or_b64 exec, exec, s[8:9]
	v_cmp_ne_u64_e32 vcc, 0, v[2:3]
	s_mov_b64 s[14:15], 0
	s_waitcnt lgkmcnt(0)
	s_barrier
	s_and_saveexec_b64 s[8:9], vcc
	s_cbranch_execz .LBB117_18
; %bb.14:
	s_mov_b64 s[16:17], exec
.LBB117_15:                             ; =>This Inner Loop Header: Depth=1
	s_ff1_i32_b64 s0, s[16:17]
	v_readlane_b32 s7, v2, s0
	v_readlane_b32 s1, v3, s0
	s_add_u32 s14, s14, s7
	s_addc_u32 s15, s15, s1
	s_lshl_b64 s[0:1], 1, s0
	s_andn2_b64 s[16:17], s[16:17], s[0:1]
	s_cmp_lg_u64 s[16:17], 0
	s_cbranch_scc1 .LBB117_15
; %bb.16:
	v_mbcnt_lo_u32_b32 v2, exec_lo, 0
	v_mbcnt_hi_u32_b32 v2, exec_hi, v2
	v_cmp_eq_u32_e32 vcc, 0, v2
	s_and_saveexec_b64 s[0:1], vcc
	s_xor_b64 s[0:1], exec, s[0:1]
; %bb.17:
	v_mov_b32_e32 v2, s14
	v_mov_b32_e32 v4, 0
	;; [unrolled: 1-line block ×3, first 2 shown]
	ds_add_u64 v4, v[2:3] offset:5136
.LBB117_18:
	s_or_b64 exec, exec, s[8:9]
	v_mov_b32_e32 v2, 0
	s_load_dword s0, s[4:5], 0x4f8
	s_waitcnt lgkmcnt(0)
	s_barrier
	ds_read_b64 v[2:3], v2 offset:5136
	s_bitcmp1_b32 s0, 0
	s_cselect_b64 s[0:1], -1, 0
	v_mov_b32_e32 v27, s21
	v_mov_b32_e32 v26, s20
	s_waitcnt lgkmcnt(0)
	v_cmp_gt_i64_e32 vcc, 1, v[2:3]
	s_or_b64 s[0:1], s[0:1], vcc
	s_andn2_b64 vcc, exec, s[0:1]
	s_cbranch_vccnz .LBB117_20
; %bb.19:
	v_not_b32_e32 v2, v2
	v_not_b32_e32 v3, v3
	v_mov_b32_e32 v4, s21
	v_add_co_u32_e32 v2, vcc, s20, v2
	v_addc_co_u32_e32 v3, vcc, v4, v3, vcc
	v_lshrrev_b64 v[2:3], 1, v[2:3]
	v_add_co_u32_e32 v26, vcc, 1, v2
	v_addc_co_u32_e32 v27, vcc, 0, v3, vcc
.LBB117_20:
	s_and_saveexec_b64 s[4:5], s[2:3]
	s_cbranch_execz .LBB117_22
; %bb.21:
	v_mov_b32_e32 v2, 0
	v_mov_b32_e32 v4, s20
	;; [unrolled: 1-line block ×4, first 2 shown]
	ds_write_b32 v2, v2 offset:5144
	ds_write_b128 v2, v[2:5] offset:5120
.LBB117_22:
	s_or_b64 exec, exec, s[4:5]
	v_mbcnt_lo_u32_b32 v2, -1, 0
	v_mbcnt_hi_u32_b32 v32, -1, v2
	v_mad_u64_u32 v[2:3], s[0:1], s38, v0, 0
	s_waitcnt lgkmcnt(0)
	s_barrier
	v_mad_u64_u32 v[3:4], s[0:1], s39, v0, v[3:4]
	s_load_dword s0, s[12:13], 0xc
	v_cmp_gt_u32_e32 vcc, 64, v0
	v_cmp_gt_i32_e64 s[8:9], 4, v32
	s_and_b64 s[50:51], vcc, s[8:9]
	v_lshlrev_b64 v[2:3], 3, v[2:3]
	s_waitcnt lgkmcnt(0)
	s_and_b32 s42, s0, 0xffff
	s_bfe_u32 s0, s0, 0xa0006
	s_cmp_gt_u32 s42, 63
	s_cselect_b64 s[52:53], -1, 0
	s_add_u32 s43, s42, -1
	s_addc_u32 s58, 0, -1
	s_add_u32 s59, s43, s20
	s_addc_u32 s55, s58, s21
	s_cmp_lt_u32 s6, s10
	s_cselect_b32 s1, 12, 18
	s_add_u32 s56, s12, s1
	s_addc_u32 s57, s13, 0
	s_add_i32 s1, s0, -1
	s_bfe_u32 s6, s42, 0x30006
	s_and_b32 s1, s1, 0xffff
	v_mov_b32_e32 v35, s35
	v_add_co_u32_e32 v16, vcc, s33, v2
	s_cmp_gt_u32 s1, 6
	v_addc_co_u32_e32 v17, vcc, v35, v3, vcc
	v_lshlrev_b64 v[2:3], v32, -1
	s_cselect_b64 s[10:11], -1, 0
	v_writelane_b32 v47, s10, 22
	s_and_b32 s60, s0, 0x3f8
	v_mov_b32_e32 v4, 0x180
	v_not_b32_e32 v38, v2
	v_lshrrev_b32_e32 v2, 1, v0
	v_writelane_b32 v47, s11, 23
	s_cmp_lg_u32 s6, 0
	v_mov_b32_e32 v5, 0
	v_and_b32_e32 v2, 0x1e0, v2
	v_writelane_b32 v47, s6, 24
	s_cselect_b64 s[0:1], -1, 0
	v_lshlrev_b32_e32 v33, 3, v0
	v_cmp_gt_u64_e64 s[8:9], s[20:21], v[4:5]
	v_mov_b32_e32 v21, 0
	v_lshlrev_b32_e32 v4, 2, v32
	v_or_b32_e32 v39, 0xc00, v2
	v_writelane_b32 v47, s0, 25
	v_mov_b32_e32 v2, 0xc00
	v_mov_b32_e32 v6, 0
	;; [unrolled: 1-line block ×4, first 2 shown]
	s_mov_b32 s49, 0
	v_cmp_eq_u32_e64 s[4:5], 0, v32
	v_cmp_gt_u32_e64 s[16:17], 2, v0
	v_add_u32_e32 v34, 0xc00, v33
	v_lshlrev_b32_e32 v18, 2, v0
	v_mov_b32_e32 v19, v21
	v_and_b32_e32 v36, 0x100, v4
	v_not_b32_e32 v37, v3
	v_writelane_b32 v47, s1, 26
	v_lshlrev_b32_e32 v40, 5, v0
	v_lshl_or_b32 v41, v32, 3, v2
	s_lshl_b32 s61, s42, 3
	s_mov_b32 s0, 62
	v_mov_b32_e32 v7, 0
	s_mov_b64 s[62:63], 0
	v_mov_b32_e32 v23, 0
	v_mov_b32_e32 v25, 0
	;; [unrolled: 1-line block ×3, first 2 shown]
	s_mov_b32 s1, 0
	v_mov_b32_e32 v3, 0x3ff00000
                                        ; implicit-def: $sgpr64_sgpr65
                                        ; implicit-def: $sgpr68_sgpr69
                                        ; implicit-def: $sgpr66_sgpr67
                                        ; implicit-def: $sgpr72_sgpr73
                                        ; implicit-def: $sgpr74_sgpr75
                                        ; implicit-def: $sgpr70_sgpr71
	s_branch .LBB117_26
.LBB117_23:                             ;   in Loop: Header=BB117_26 Depth=1
	s_or_b64 exec, exec, s[22:23]
	s_and_b64 s[12:13], s[12:13], exec
	s_andn2_b64 s[80:81], s[80:81], exec
	s_andn2_b64 s[6:7], s[6:7], exec
	s_orn2_b64 s[18:19], s[18:19], exec
.LBB117_24:                             ;   in Loop: Header=BB117_26 Depth=1
	s_or_b64 exec, exec, s[10:11]
	s_andn2_b64 s[10:11], s[70:71], exec
	s_and_b64 s[12:13], s[12:13], exec
	s_or_b64 s[70:71], s[10:11], s[12:13]
	s_andn2_b64 s[10:11], s[74:75], exec
	s_and_b64 s[12:13], s[80:81], exec
	s_or_b64 s[74:75], s[10:11], s[12:13]
	;; [unrolled: 3-line block ×3, first 2 shown]
	s_orn2_b64 s[6:7], s[18:19], exec
.LBB117_25:                             ;   in Loop: Header=BB117_26 Depth=1
	s_or_b64 exec, exec, s[14:15]
	s_and_b64 s[6:7], exec, s[6:7]
	s_or_b64 s[62:63], s[6:7], s[62:63]
	s_andn2_b64 s[6:7], s[66:67], exec
	s_and_b64 s[10:11], s[70:71], exec
	s_or_b64 s[66:67], s[6:7], s[10:11]
	s_andn2_b64 s[6:7], s[68:69], exec
	s_and_b64 s[10:11], s[74:75], exec
	;; [unrolled: 3-line block ×3, first 2 shown]
	v_mov_b32_e32 v27, v13
	s_or_b64 s[64:65], s[6:7], s[10:11]
	v_mov_b32_e32 v26, v12
	s_andn2_b64 exec, exec, s[62:63]
	s_cbranch_execz .LBB117_292
.LBB117_26:                             ; =>This Loop Header: Depth=1
                                        ;     Child Loop BB117_32 Depth 2
                                        ;     Child Loop BB117_45 Depth 2
	;; [unrolled: 1-line block ×16, first 2 shown]
	ds_read_b128 v[8:11], v21 offset:5120
	s_waitcnt lgkmcnt(0)
	v_readfirstlane_b32 s19, v9
	v_readfirstlane_b32 s18, v8
	s_cmp_lg_u64 s[18:19], 0
	s_cbranch_scc1 .LBB117_53
; %bb.27:                               ;   in Loop: Header=BB117_26 Depth=1
	s_and_b64 vcc, exec, s[8:9]
	s_cbranch_vccz .LBB117_40
; %bb.28:                               ;   in Loop: Header=BB117_26 Depth=1
	s_mov_b64 s[6:7], 0x181
	v_cmp_gt_u64_e32 vcc, s[6:7], v[10:11]
	s_mov_b64 s[12:13], 0
	s_mov_b64 s[6:7], 0
	s_cbranch_vccz .LBB117_41
; %bb.29:                               ;   in Loop: Header=BB117_26 Depth=1
	s_mov_b64 s[14:15], exec
	v_readlane_b32 s6, v47, 12
	v_readlane_b32 s7, v47, 13
	s_and_b64 s[6:7], s[14:15], s[6:7]
	s_mov_b64 exec, s[6:7]
	s_cbranch_execz .LBB117_154
; %bb.30:                               ;   in Loop: Header=BB117_26 Depth=1
	global_load_dwordx2 v[4:5], v[16:17], off
	global_load_ushort v2, v21, s[56:57]
	v_mov_b32_e32 v9, v1
	s_mov_b64 s[18:19], 0
	v_mov_b32_e32 v8, v0
	s_branch .LBB117_32
.LBB117_31:                             ;   in Loop: Header=BB117_32 Depth=2
	s_or_b64 exec, exec, s[6:7]
	s_waitcnt vmcnt(0)
	v_mov_b32_e32 v4, v10
	v_mov_b32_e32 v5, v11
	s_andn2_b64 exec, exec, s[18:19]
	s_cbranch_execz .LBB117_154
.LBB117_32:                             ;   Parent Loop BB117_26 Depth=1
                                        ; =>  This Inner Loop Header: Depth=2
	s_waitcnt vmcnt(0)
	v_add_co_u32_sdwa v8, vcc, v8, v2 dst_sel:DWORD dst_unused:UNUSED_PAD src0_sel:DWORD src1_sel:WORD_0
	v_addc_co_u32_e32 v9, vcc, 0, v9, vcc
	v_cmp_gt_u64_e64 s[6:7], s[20:21], v[8:9]
	v_cmp_le_u64_e32 vcc, s[20:21], v[8:9]
	v_mov_b32_e32 v10, 0
	v_mov_b32_e32 v11, 0
	s_and_saveexec_b64 s[10:11], s[6:7]
	s_cbranch_execz .LBB117_34
; %bb.33:                               ;   in Loop: Header=BB117_32 Depth=2
	s_waitcnt lgkmcnt(0)
	v_mul_lo_u32 v12, v9, s38
	v_mul_lo_u32 v13, v8, s39
	v_mad_u64_u32 v[10:11], s[6:7], v8, s38, 0
	v_add3_u32 v11, v11, v13, v12
	v_lshlrev_b64 v[10:11], 3, v[10:11]
	v_add_co_u32_e64 v10, s[6:7], s33, v10
	v_addc_co_u32_e64 v11, s[6:7], v35, v11, s[6:7]
	global_load_dwordx2 v[10:11], v[10:11], off
.LBB117_34:                             ;   in Loop: Header=BB117_32 Depth=2
	s_or_b64 exec, exec, s[10:11]
	v_cmp_o_f64_e64 s[6:7], v[4:5], v[4:5]
	s_waitcnt lgkmcnt(0)
	v_ashrrev_i32_e32 v12, 31, v5
	v_or_b32_e32 v13, 0x80000000, v12
	v_xor_b32_e32 v13, v13, v5
	v_xor_b32_e32 v12, v12, v4
	v_cndmask_b32_e64 v13, -1, v13, s[6:7]
	v_cndmask_b32_e64 v12, -1, v12, s[6:7]
	v_and_b32_e32 v13, v13, v25
	v_and_b32_e32 v12, v12, v24
	v_cmp_eq_u64_e64 s[10:11], v[12:13], v[22:23]
	v_mov_b32_e32 v12, 0
	s_cmp_lg_u64 s[10:11], 0
	s_cselect_b64 s[6:7], -1, 0
	s_and_b64 s[6:7], s[4:5], s[6:7]
	s_and_saveexec_b64 s[22:23], s[6:7]
	s_cbranch_execz .LBB117_38
; %bb.35:                               ;   in Loop: Header=BB117_32 Depth=2
	s_mov_b64 s[26:27], exec
	v_mbcnt_lo_u32_b32 v12, s26, 0
	v_mbcnt_hi_u32_b32 v12, s27, v12
	s_bcnt1_i32_b64 s28, s[10:11]
	v_cmp_eq_u32_e64 s[6:7], 0, v12
                                        ; implicit-def: $vgpr13
	s_and_saveexec_b64 s[24:25], s[6:7]
; %bb.36:                               ;   in Loop: Header=BB117_32 Depth=2
	s_bcnt1_i32_b64 s6, s[26:27]
	s_mul_i32 s6, s28, s6
	v_mov_b32_e32 v13, s6
	ds_add_rtn_u32 v13, v21, v13 offset:5144
; %bb.37:                               ;   in Loop: Header=BB117_32 Depth=2
	s_or_b64 exec, exec, s[24:25]
	s_waitcnt lgkmcnt(0)
	v_readfirstlane_b32 s6, v13
	v_mov_b32_e32 v13, s6
	v_mad_u32_u24 v12, s28, v12, v13
.LBB117_38:                             ;   in Loop: Header=BB117_32 Depth=2
	s_or_b64 exec, exec, s[22:23]
	ds_bpermute_b32 v12, v36, v12
	s_and_b64 s[6:7], exec, vcc
	s_or_b64 s[18:19], s[6:7], s[18:19]
	s_and_saveexec_b64 s[6:7], s[10:11]
	s_cbranch_execz .LBB117_31
; %bb.39:                               ;   in Loop: Header=BB117_32 Depth=2
	v_and_b32_e32 v14, s10, v38
	v_and_b32_e32 v13, s11, v37
	v_bcnt_u32_b32 v14, v14, 0
	v_bcnt_u32_b32 v13, v13, v14
	v_lshlrev_b32_e32 v13, 3, v13
	s_waitcnt lgkmcnt(0)
	v_lshl_add_u32 v12, v12, 3, v13
	ds_write_b64 v12, v[4:5]
	s_branch .LBB117_31
.LBB117_40:                             ;   in Loop: Header=BB117_26 Depth=1
	s_mov_b64 s[12:13], -1
	s_mov_b64 s[6:7], 0
.LBB117_41:                             ;   in Loop: Header=BB117_26 Depth=1
	s_and_b64 vcc, exec, s[12:13]
	s_cbranch_vccz .LBB117_51
.LBB117_42:                             ;   in Loop: Header=BB117_26 Depth=1
	s_mov_b64 s[6:7], exec
	v_readlane_b32 s10, v47, 12
	v_readlane_b32 s11, v47, 13
	s_and_b64 s[10:11], s[6:7], s[10:11]
	s_mov_b64 exec, s[10:11]
	s_cbranch_execz .LBB117_48
; %bb.43:                               ;   in Loop: Header=BB117_26 Depth=1
	global_load_ushort v2, v21, s[56:57]
	global_load_dwordx2 v[4:5], v[16:17], off
	v_mov_b32_e32 v8, v0
	s_waitcnt vmcnt(1)
	v_and_b32_e32 v2, 0xffff, v2
	v_add_u32_e32 v20, v2, v0
	v_cmp_gt_u64_e32 vcc, s[20:21], v[20:21]
	s_and_saveexec_b64 s[10:11], vcc
	s_cbranch_execz .LBB117_47
; %bb.44:                               ;   in Loop: Header=BB117_26 Depth=1
	v_mov_b32_e32 v12, v20
	v_mov_b32_e32 v9, v1
	s_mov_b64 s[12:13], 0
	v_mov_b32_e32 v13, v21
	v_mov_b32_e32 v8, v0
.LBB117_45:                             ;   Parent Loop BB117_26 Depth=1
                                        ; =>  This Inner Loop Header: Depth=2
	v_mov_b32_e32 v15, v13
	v_mov_b32_e32 v14, v12
	v_mul_lo_u32 v11, v15, s38
	v_mul_lo_u32 v12, v14, s39
	v_mad_u64_u32 v[9:10], s[14:15], v14, s38, 0
	v_mov_b32_e32 v13, s35
	v_lshlrev_b32_e32 v8, 3, v8
	v_add3_u32 v10, v10, v12, v11
	v_lshlrev_b64 v[9:10], 3, v[9:10]
	s_waitcnt vmcnt(0)
	ds_write_b64 v8, v[4:5]
	v_add_co_u32_e32 v9, vcc, s33, v9
	v_addc_co_u32_e32 v10, vcc, v13, v10, vcc
	global_load_dwordx2 v[10:11], v[9:10], off
	v_add_co_u32_e32 v12, vcc, v14, v2
	v_addc_co_u32_e32 v13, vcc, 0, v15, vcc
	v_cmp_le_u64_e32 vcc, s[20:21], v[12:13]
	v_mov_b32_e32 v8, v14
	s_or_b64 s[12:13], vcc, s[12:13]
	v_mov_b32_e32 v9, v15
	s_waitcnt vmcnt(0)
	v_mov_b32_e32 v4, v10
	v_mov_b32_e32 v5, v11
	s_andn2_b64 exec, exec, s[12:13]
	s_cbranch_execnz .LBB117_45
; %bb.46:                               ;   in Loop: Header=BB117_26 Depth=1
	s_or_b64 exec, exec, s[12:13]
	v_mov_b32_e32 v4, v10
	v_sub_u32_e32 v8, v12, v2
	v_mov_b32_e32 v5, v11
.LBB117_47:                             ;   in Loop: Header=BB117_26 Depth=1
	s_or_b64 exec, exec, s[10:11]
	v_lshlrev_b32_e32 v2, 3, v8
	s_waitcnt vmcnt(0)
	ds_write_b64 v2, v[4:5]
.LBB117_48:                             ;   in Loop: Header=BB117_26 Depth=1
	s_or_b64 exec, exec, s[6:7]
	s_waitcnt lgkmcnt(0)
	s_barrier
	s_and_saveexec_b64 s[6:7], s[2:3]
; %bb.49:                               ;   in Loop: Header=BB117_26 Depth=1
	v_mov_b32_e32 v4, s20
	v_mov_b32_e32 v5, s21
	ds_write_b64 v21, v[4:5] offset:5120
; %bb.50:                               ;   in Loop: Header=BB117_26 Depth=1
	s_or_b64 exec, exec, s[6:7]
	s_mov_b64 s[6:7], -1
	s_waitcnt lgkmcnt(0)
	s_barrier
.LBB117_51:                             ;   in Loop: Header=BB117_26 Depth=1
	s_mov_b64 s[18:19], 0
	s_and_b64 vcc, exec, s[6:7]
	s_cbranch_vccz .LBB117_53
; %bb.52:                               ;   in Loop: Header=BB117_26 Depth=1
	ds_read_b64 v[4:5], v21 offset:5120
	s_waitcnt lgkmcnt(0)
	v_readfirstlane_b32 s18, v4
.LBB117_53:                             ;   in Loop: Header=BB117_26 Depth=1
	s_cmp_lt_i32 s18, 1
	s_mov_b64 s[6:7], -1
                                        ; implicit-def: $vgpr8_vgpr9
                                        ; implicit-def: $vgpr12_vgpr13
	s_cbranch_scc1 .LBB117_63
; %bb.54:                               ;   in Loop: Header=BB117_26 Depth=1
	s_and_b64 vcc, exec, s[6:7]
	s_cbranch_vccnz .LBB117_77
.LBB117_55:                             ;   in Loop: Header=BB117_26 Depth=1
	s_lshl_b32 s10, s1, 6
	s_and_saveexec_b64 s[6:7], s[4:5]
	s_cbranch_execz .LBB117_57
.LBB117_56:                             ;   in Loop: Header=BB117_26 Depth=1
	v_lshl_add_u32 v2, s10, 3, v39
	ds_write_b128 v2, v[8:11]
	ds_write_b128 v2, v[12:15] offset:16
.LBB117_57:                             ;   in Loop: Header=BB117_26 Depth=1
	s_or_b64 exec, exec, s[6:7]
	s_waitcnt lgkmcnt(0)
	s_barrier
	s_and_saveexec_b64 s[6:7], s[50:51]
	s_cbranch_execz .LBB117_92
; %bb.58:                               ;   in Loop: Header=BB117_26 Depth=1
	v_mov_b32_e32 v4, 0
	v_mov_b32_e32 v5, 0
	s_andn2_b64 vcc, exec, s[52:53]
	s_cbranch_vccnz .LBB117_91
; %bb.59:                               ;   in Loop: Header=BB117_26 Depth=1
	v_readlane_b32 s12, v47, 22
	v_readlane_b32 s13, v47, 23
	s_andn2_b64 vcc, exec, s[12:13]
	s_cbranch_vccnz .LBB117_87
; %bb.60:                               ;   in Loop: Header=BB117_26 Depth=1
	v_mov_b32_e32 v4, 0
	v_lshl_add_u32 v2, s1, 9, v41
	v_mov_b32_e32 v5, 0
	s_mov_b32 s11, 0
.LBB117_61:                             ;   Parent Loop BB117_26 Depth=1
                                        ; =>  This Inner Loop Header: Depth=2
	ds_read2_b64 v[8:11], v2 offset1:4
	ds_read2_b64 v[12:15], v2 offset0:8 offset1:12
	ds_read2_b64 v[28:31], v2 offset0:16 offset1:20
	;; [unrolled: 1-line block ×3, first 2 shown]
	s_add_i32 s11, s11, 8
	s_waitcnt lgkmcnt(3)
	v_add_co_u32_e32 v4, vcc, v8, v4
	v_addc_co_u32_e32 v5, vcc, v9, v5, vcc
	v_add_co_u32_e32 v4, vcc, v10, v4
	v_addc_co_u32_e32 v5, vcc, v11, v5, vcc
	s_waitcnt lgkmcnt(2)
	v_add_co_u32_e32 v4, vcc, v12, v4
	v_addc_co_u32_e32 v5, vcc, v13, v5, vcc
	v_add_co_u32_e32 v4, vcc, v14, v4
	v_addc_co_u32_e32 v5, vcc, v15, v5, vcc
	;; [unrolled: 5-line block ×3, first 2 shown]
	s_waitcnt lgkmcnt(0)
	v_add_co_u32_e32 v4, vcc, v43, v4
	v_addc_co_u32_e32 v5, vcc, v44, v5, vcc
	v_add_co_u32_e32 v4, vcc, v45, v4
	v_add_u32_e32 v2, 0x100, v2
	s_cmp_eq_u32 s60, s11
	v_addc_co_u32_e32 v5, vcc, v46, v5, vcc
	s_cbranch_scc0 .LBB117_61
; %bb.62:                               ;   in Loop: Header=BB117_26 Depth=1
	s_mov_b32 s11, s60
	s_branch .LBB117_88
.LBB117_63:                             ;   in Loop: Header=BB117_26 Depth=1
	global_load_ushort v2, v21, s[56:57]
	s_mov_b32 s6, s49
	s_waitcnt vmcnt(0)
	v_readfirstlane_b32 s7, v2
	s_and_b32 s7, 0xffff, s7
	s_lshl_b32 s19, s7, 2
	s_mov_b32 s7, s21
	s_cmp_lg_u64 s[6:7], 0
	s_cbranch_scc0 .LBB117_86
; %bb.64:                               ;   in Loop: Header=BB117_26 Depth=1
	v_cvt_f32_u32_e32 v4, s19
	s_sub_u32 s10, 0, s19
	s_subb_u32 s11, 0, 0
	v_mac_f32_e32 v4, 0, v42
	v_rcp_f32_e32 v4, v4
	v_mul_f32_e32 v4, 0x5f7ffffc, v4
	v_mul_f32_e32 v5, 0x2f800000, v4
	v_trunc_f32_e32 v5, v5
	v_mac_f32_e32 v4, 0xcf800000, v5
	v_cvt_u32_f32_e32 v5, v5
	v_cvt_u32_f32_e32 v4, v4
	v_readfirstlane_b32 s12, v5
	v_readfirstlane_b32 s6, v4
	s_mul_i32 s7, s10, s12
	s_mul_hi_u32 s14, s10, s6
	s_mul_i32 s13, s11, s6
	s_add_i32 s7, s14, s7
	s_mul_i32 s15, s10, s6
	s_add_i32 s7, s7, s13
	s_mul_hi_u32 s14, s6, s15
	s_mul_i32 s22, s6, s7
	s_mul_hi_u32 s13, s6, s7
	s_add_u32 s14, s14, s22
	s_addc_u32 s13, 0, s13
	s_mul_hi_u32 s23, s12, s15
	s_mul_i32 s15, s12, s15
	s_add_u32 s14, s14, s15
	s_mul_hi_u32 s22, s12, s7
	s_addc_u32 s13, s13, s23
	s_addc_u32 s14, s22, 0
	s_mul_i32 s7, s12, s7
	s_add_u32 s7, s13, s7
	s_addc_u32 s13, 0, s14
	s_add_u32 s14, s6, s7
	s_cselect_b64 s[6:7], -1, 0
	s_cmp_lg_u64 s[6:7], 0
	s_addc_u32 s12, s12, s13
	s_mul_i32 s6, s10, s12
	s_mul_hi_u32 s7, s10, s14
	s_add_i32 s6, s7, s6
	s_mul_i32 s11, s11, s14
	s_add_i32 s6, s6, s11
	s_mul_i32 s10, s10, s14
	s_mul_hi_u32 s11, s12, s10
	s_mul_i32 s13, s12, s10
	s_mul_i32 s22, s14, s6
	s_mul_hi_u32 s10, s14, s10
	s_mul_hi_u32 s15, s14, s6
	s_add_u32 s10, s10, s22
	s_addc_u32 s15, 0, s15
	s_add_u32 s10, s10, s13
	s_mul_hi_u32 s7, s12, s6
	s_addc_u32 s10, s15, s11
	s_addc_u32 s7, s7, 0
	s_mul_i32 s6, s12, s6
	s_add_u32 s6, s10, s6
	s_addc_u32 s10, 0, s7
	s_add_u32 s11, s14, s6
	s_cselect_b64 s[6:7], -1, 0
	s_cmp_lg_u64 s[6:7], 0
	s_addc_u32 s6, s12, s10
	s_mul_i32 s10, s20, s6
	s_mul_hi_u32 s12, s20, s11
	s_mul_hi_u32 s7, s20, s6
	s_add_u32 s10, s12, s10
	s_addc_u32 s7, 0, s7
	s_mul_hi_u32 s13, s21, s11
	s_mul_i32 s11, s21, s11
	s_add_u32 s10, s10, s11
	s_mul_hi_u32 s12, s21, s6
	s_addc_u32 s7, s7, s13
	s_addc_u32 s10, s12, 0
	s_mul_i32 s6, s21, s6
	s_add_u32 s6, s7, s6
	s_addc_u32 s7, 0, s10
	s_mul_i32 s7, s19, s7
	s_mul_hi_u32 s10, s19, s6
	s_add_i32 s10, s10, s7
	s_mul_i32 s6, s19, s6
	s_sub_u32 s11, s20, s6
	s_cselect_b64 s[6:7], -1, 0
	s_cmp_lg_u64 s[6:7], 0
	s_subb_u32 s10, s21, s10
	s_sub_u32 s12, s11, s19
	s_cselect_b64 s[6:7], -1, 0
	s_cmp_lg_u64 s[6:7], 0
	s_subb_u32 s13, s10, 0
	;; [unrolled: 4-line block ×3, first 2 shown]
	s_cmp_ge_u32 s12, s19
	s_cselect_b32 s7, -1, 0
	s_cmp_eq_u32 s13, 0
	s_cselect_b32 s7, s7, -1
	s_cmp_lg_u32 s7, 0
	s_cselect_b32 s6, s6, s13
	s_cselect_b32 s12, s14, s12
	s_cmp_ge_u32 s11, s19
	s_cselect_b32 s7, -1, 0
	s_cmp_eq_u32 s10, 0
	s_cselect_b32 s7, s7, -1
	s_cmp_lg_u32 s7, 0
	s_cselect_b32 s7, s6, s10
	s_cselect_b32 s6, s12, s11
	s_cbranch_execnz .LBB117_66
.LBB117_65:                             ;   in Loop: Header=BB117_26 Depth=1
	v_cvt_f32_u32_e32 v4, s19
	s_sub_i32 s6, 0, s19
	v_rcp_iflag_f32_e32 v4, v4
	v_mul_f32_e32 v4, 0x4f7ffffe, v4
	v_cvt_u32_f32_e32 v4, v4
	v_readfirstlane_b32 s7, v4
	s_mul_i32 s6, s6, s7
	s_mul_hi_u32 s6, s7, s6
	s_add_i32 s7, s7, s6
	s_mul_hi_u32 s6, s20, s7
	s_mul_i32 s6, s6, s19
	s_sub_i32 s6, s20, s6
	s_sub_i32 s7, s6, s19
	s_cmp_ge_u32 s6, s19
	s_cselect_b32 s6, s7, s6
	s_sub_i32 s7, s6, s19
	s_cmp_ge_u32 s6, s19
	s_cselect_b32 s48, s7, s6
	s_mov_b64 s[6:7], s[48:49]
.LBB117_66:                             ;   in Loop: Header=BB117_26 Depth=1
	s_sub_u32 s76, s20, s6
	s_subb_u32 s77, s21, s7
	v_cmp_gt_u64_e32 vcc, s[76:77], v[18:19]
	v_mov_b32_e32 v8, 0
	v_mov_b32_e32 v10, 0
	;; [unrolled: 1-line block ×8, first 2 shown]
	s_and_saveexec_b64 s[78:79], vcc
	s_cbranch_execz .LBB117_70
; %bb.67:                               ;   in Loop: Header=BB117_26 Depth=1
	v_mov_b32_e32 v4, v18
	s_mov_b64 s[80:81], 0
	s_mov_b64 s[82:83], 0
	;; [unrolled: 1-line block ×5, first 2 shown]
	v_mov_b32_e32 v5, v19
.LBB117_68:                             ;   Parent Loop BB117_26 Depth=1
                                        ; =>  This Inner Loop Header: Depth=2
	v_mul_lo_u32 v10, v5, s38
	v_mul_lo_u32 v11, v4, s39
	v_mad_u64_u32 v[8:9], s[6:7], v4, s38, 0
	s_lshl_b64 s[6:7], s[38:39], 3
	v_mov_b32_e32 v20, s7
	v_add3_u32 v9, v9, v11, v10
	v_lshlrev_b64 v[8:9], 3, v[8:9]
	v_mov_b32_e32 v10, s35
	v_add_co_u32_e32 v8, vcc, s33, v8
	v_addc_co_u32_e32 v9, vcc, v10, v9, vcc
	global_load_dwordx2 v[10:11], v[8:9], off
	v_add_co_u32_e32 v8, vcc, s6, v8
	v_addc_co_u32_e32 v9, vcc, v9, v20, vcc
	global_load_dwordx2 v[12:13], v[8:9], off
	;; [unrolled: 3-line block ×4, first 2 shown]
	s_waitcnt vmcnt(3)
	v_cmp_o_f64_e32 vcc, v[10:11], v[10:11]
	v_ashrrev_i32_e32 v20, 31, v11
	v_or_b32_e32 v28, 0x80000000, v20
	v_xor_b32_e32 v11, v28, v11
	v_xor_b32_e32 v10, v20, v10
	v_cndmask_b32_e32 v29, -1, v11, vcc
	v_cndmask_b32_e32 v28, -1, v10, vcc
	s_waitcnt vmcnt(2)
	v_cmp_o_f64_e32 vcc, v[12:13], v[12:13]
	v_ashrrev_i32_e32 v10, 31, v13
	v_or_b32_e32 v11, 0x80000000, v10
	v_xor_b32_e32 v11, v11, v13
	v_xor_b32_e32 v10, v10, v12
	v_cndmask_b32_e32 v31, -1, v11, vcc
	v_cndmask_b32_e32 v30, -1, v10, vcc
	;; [unrolled: 8-line block ×4, first 2 shown]
	v_and_b32_e32 v9, v29, v25
	v_and_b32_e32 v8, v28, v24
	v_cmp_eq_u64_e32 vcc, v[8:9], v[22:23]
	v_and_b32_e32 v9, v31, v25
	v_and_b32_e32 v8, v30, v24
	v_cmp_eq_u64_e64 s[10:11], v[8:9], v[22:23]
	v_and_b32_e32 v9, v13, v25
	v_and_b32_e32 v8, v12, v24
	v_cmp_eq_u64_e64 s[12:13], v[8:9], v[22:23]
	;; [unrolled: 3-line block ×3, first 2 shown]
	v_lshrrev_b64 v[8:9], s0, v[28:29]
	v_lshrrev_b64 v[12:13], s0, v[12:13]
	v_and_b32_e32 v20, 3, v8
	v_lshrrev_b64 v[8:9], s0, v[30:31]
	v_cmp_eq_u64_e64 s[6:7], 0, v[20:21]
	v_and_b32_e32 v8, 3, v8
	v_mov_b32_e32 v9, v21
	s_and_b64 s[22:23], vcc, s[6:7]
	v_cmp_eq_u64_e64 s[6:7], 0, v[8:9]
	v_and_b32_e32 v12, 3, v12
	v_mov_b32_e32 v13, v21
	v_lshrrev_b64 v[10:11], s0, v[10:11]
	s_and_b64 s[24:25], s[10:11], s[6:7]
	v_cmp_eq_u64_e64 s[6:7], 0, v[12:13]
	v_and_b32_e32 v10, 3, v10
	v_mov_b32_e32 v11, v21
	s_and_b64 s[26:27], s[12:13], s[6:7]
	v_cmp_eq_u64_e64 s[6:7], 0, v[10:11]
	v_cndmask_b32_e64 v14, 0, 1, s[22:23]
	s_and_b64 s[28:29], s[14:15], s[6:7]
	v_cmp_ne_u32_e64 s[6:7], 0, v14
	v_cndmask_b32_e64 v14, 0, 1, s[24:25]
	s_bcnt1_i32_b64 s22, s[6:7]
	v_cmp_ne_u32_e64 s[6:7], 0, v14
	v_cndmask_b32_e64 v14, 0, 1, s[26:27]
	s_bcnt1_i32_b64 s23, s[6:7]
	;; [unrolled: 3-line block ×3, first 2 shown]
	v_cmp_ne_u32_e64 s[6:7], 0, v14
	s_bcnt1_i32_b64 s6, s[6:7]
	s_add_u32 s7, s22, s88
	s_addc_u32 s22, 0, s89
	s_add_u32 s7, s7, s23
	s_addc_u32 s22, s22, 0
	;; [unrolled: 2-line block ×3, first 2 shown]
	s_add_u32 s88, s7, s6
	v_cmp_eq_u64_e64 s[6:7], 1, v[20:21]
	s_addc_u32 s89, s22, 0
	s_and_b64 s[22:23], vcc, s[6:7]
	v_cmp_eq_u64_e64 s[6:7], 1, v[8:9]
	v_cndmask_b32_e64 v14, 0, 1, s[22:23]
	s_and_b64 s[24:25], s[10:11], s[6:7]
	v_cmp_eq_u64_e64 s[6:7], 1, v[12:13]
	s_and_b64 s[26:27], s[12:13], s[6:7]
	v_cmp_eq_u64_e64 s[6:7], 1, v[10:11]
	s_and_b64 s[28:29], s[14:15], s[6:7]
	v_cmp_ne_u32_e64 s[6:7], 0, v14
	v_cndmask_b32_e64 v14, 0, 1, s[24:25]
	s_bcnt1_i32_b64 s22, s[6:7]
	v_cmp_ne_u32_e64 s[6:7], 0, v14
	v_cndmask_b32_e64 v14, 0, 1, s[26:27]
	s_bcnt1_i32_b64 s23, s[6:7]
	;; [unrolled: 3-line block ×3, first 2 shown]
	v_cmp_ne_u32_e64 s[6:7], 0, v14
	s_bcnt1_i32_b64 s6, s[6:7]
	s_add_u32 s7, s22, s86
	s_addc_u32 s22, 0, s87
	s_add_u32 s7, s7, s23
	s_addc_u32 s22, s22, 0
	s_add_u32 s7, s7, s24
	s_addc_u32 s22, s22, 0
	s_add_u32 s86, s7, s6
	v_cmp_eq_u64_e64 s[6:7], 2, v[20:21]
	s_addc_u32 s87, s22, 0
	s_and_b64 s[22:23], vcc, s[6:7]
	v_cmp_eq_u64_e64 s[6:7], 2, v[8:9]
	v_cndmask_b32_e64 v14, 0, 1, s[22:23]
	s_and_b64 s[24:25], s[10:11], s[6:7]
	v_cmp_eq_u64_e64 s[6:7], 2, v[12:13]
	s_and_b64 s[26:27], s[12:13], s[6:7]
	v_cmp_eq_u64_e64 s[6:7], 2, v[10:11]
	s_and_b64 s[28:29], s[14:15], s[6:7]
	v_cmp_ne_u32_e64 s[6:7], 0, v14
	v_cndmask_b32_e64 v14, 0, 1, s[24:25]
	s_bcnt1_i32_b64 s22, s[6:7]
	v_cmp_ne_u32_e64 s[6:7], 0, v14
	v_cndmask_b32_e64 v14, 0, 1, s[26:27]
	s_bcnt1_i32_b64 s23, s[6:7]
	;; [unrolled: 3-line block ×3, first 2 shown]
	v_cmp_ne_u32_e64 s[6:7], 0, v14
	s_bcnt1_i32_b64 s6, s[6:7]
	s_add_u32 s7, s22, s84
	s_addc_u32 s22, 0, s85
	s_add_u32 s7, s7, s23
	s_addc_u32 s22, s22, 0
	;; [unrolled: 2-line block ×3, first 2 shown]
	s_add_u32 s84, s7, s6
	v_cmp_eq_u64_e64 s[6:7], 3, v[20:21]
	s_addc_u32 s85, s22, 0
	s_and_b64 s[6:7], vcc, s[6:7]
	v_cmp_eq_u64_e32 vcc, 3, v[8:9]
	v_cndmask_b32_e64 v8, 0, 1, s[6:7]
	s_and_b64 s[10:11], s[10:11], vcc
	v_cmp_eq_u64_e32 vcc, 3, v[12:13]
	v_mov_b32_e32 v12, s84
	s_and_b64 s[12:13], s[12:13], vcc
	v_cmp_eq_u64_e32 vcc, 3, v[10:11]
	v_mov_b32_e32 v10, s86
	s_and_b64 s[14:15], s[14:15], vcc
	v_cmp_ne_u32_e32 vcc, 0, v8
	v_cndmask_b32_e64 v8, 0, 1, s[10:11]
	s_bcnt1_i32_b64 s6, vcc
	v_cmp_ne_u32_e32 vcc, 0, v8
	v_cndmask_b32_e64 v8, 0, 1, s[12:13]
	s_bcnt1_i32_b64 s7, vcc
	v_cmp_ne_u32_e32 vcc, 0, v8
	v_cndmask_b32_e64 v8, 0, 1, s[14:15]
	s_bcnt1_i32_b64 s10, vcc
	v_cmp_ne_u32_e32 vcc, 0, v8
	s_bcnt1_i32_b64 s11, vcc
	s_add_u32 s6, s6, s82
	s_addc_u32 s12, 0, s83
	s_add_u32 s6, s6, s7
	s_addc_u32 s7, s12, 0
	s_add_u32 s6, s6, s10
	v_add_co_u32_e32 v4, vcc, s19, v4
	s_addc_u32 s7, s7, 0
	v_addc_co_u32_e32 v5, vcc, 0, v5, vcc
	s_add_u32 s82, s6, s11
	v_cmp_le_u64_e32 vcc, s[76:77], v[4:5]
	s_addc_u32 s83, s7, 0
	v_mov_b32_e32 v8, s88
	v_mov_b32_e32 v14, s82
	s_or_b64 s[80:81], vcc, s[80:81]
	v_mov_b32_e32 v9, s89
	v_mov_b32_e32 v11, s87
	;; [unrolled: 1-line block ×4, first 2 shown]
	s_andn2_b64 exec, exec, s[80:81]
	s_cbranch_execnz .LBB117_68
; %bb.69:                               ;   in Loop: Header=BB117_26 Depth=1
	s_or_b64 exec, exec, s[80:81]
.LBB117_70:                             ;   in Loop: Header=BB117_26 Depth=1
	s_or_b64 exec, exec, s[78:79]
	v_mov_b32_e32 v5, s77
	v_add_co_u32_e32 v4, vcc, s76, v0
	v_addc_co_u32_e32 v5, vcc, 0, v5, vcc
	v_cmp_gt_u64_e32 vcc, s[20:21], v[4:5]
	s_and_saveexec_b64 s[12:13], vcc
	s_cbranch_execz .LBB117_76
; %bb.71:                               ;   in Loop: Header=BB117_26 Depth=1
	v_mul_lo_u32 v20, v5, s38
	v_mul_lo_u32 v30, v4, s39
	v_mad_u64_u32 v[28:29], s[6:7], v4, s38, 0
	s_mov_b64 s[14:15], 0
	v_add3_u32 v29, v29, v30, v20
	v_lshlrev_b64 v[28:29], 3, v[28:29]
	v_mov_b32_e32 v20, s35
	v_add_co_u32_e32 v28, vcc, s33, v28
	v_addc_co_u32_e32 v29, vcc, v20, v29, vcc
	global_load_dwordx2 v[30:31], v[28:29], off
	s_branch .LBB117_73
.LBB117_72:                             ;   in Loop: Header=BB117_73 Depth=2
	s_or_b64 exec, exec, s[10:11]
	s_waitcnt vmcnt(0)
	v_cmp_o_f64_e64 s[6:7], v[30:31], v[30:31]
	v_ashrrev_i32_e32 v20, 31, v31
	v_or_b32_e32 v43, 0x80000000, v20
	v_xor_b32_e32 v43, v43, v31
	v_xor_b32_e32 v20, v20, v30
	s_and_b64 s[10:11], exec, vcc
	s_or_b64 s[14:15], s[10:11], s[14:15]
	v_cndmask_b32_e64 v31, -1, v43, s[6:7]
	v_cndmask_b32_e64 v30, -1, v20, s[6:7]
	v_and_b32_e32 v44, v31, v25
	v_and_b32_e32 v43, v30, v24
	v_lshrrev_b64 v[30:31], s0, v[30:31]
	v_cmp_eq_u64_e32 vcc, v[43:44], v[22:23]
	v_and_b32_e32 v20, 3, v30
	v_cmp_eq_u64_e64 s[6:7], 0, v[20:21]
	s_and_b64 s[6:7], vcc, s[6:7]
	v_cndmask_b32_e64 v30, 0, 1, s[6:7]
	v_cmp_ne_u32_e64 s[6:7], 0, v30
	s_bcnt1_i32_b64 s10, s[6:7]
	v_cmp_eq_u64_e64 s[6:7], 1, v[20:21]
	v_add_co_u32_e64 v8, s[10:11], s10, v8
	s_and_b64 s[6:7], vcc, s[6:7]
	v_cndmask_b32_e64 v30, 0, 1, s[6:7]
	v_addc_co_u32_e64 v9, s[10:11], 0, v9, s[10:11]
	v_cmp_ne_u32_e64 s[6:7], 0, v30
	s_bcnt1_i32_b64 s10, s[6:7]
	v_cmp_eq_u64_e64 s[6:7], 2, v[20:21]
	v_add_co_u32_e64 v10, s[10:11], s10, v10
	s_and_b64 s[6:7], vcc, s[6:7]
	v_cndmask_b32_e64 v30, 0, 1, s[6:7]
	v_addc_co_u32_e64 v11, s[10:11], 0, v11, s[10:11]
	v_cmp_ne_u32_e64 s[6:7], 0, v30
	s_bcnt1_i32_b64 s10, s[6:7]
	v_cmp_eq_u64_e64 s[6:7], 3, v[20:21]
	v_add_co_u32_e64 v12, s[10:11], s10, v12
	s_and_b64 s[6:7], vcc, s[6:7]
	v_cndmask_b32_e64 v20, 0, 1, s[6:7]
	v_cmp_ne_u32_e32 vcc, 0, v20
	s_bcnt1_i32_b64 s6, vcc
	v_add_co_u32_e32 v14, vcc, s6, v14
	v_mov_b32_e32 v31, v29
	v_addc_co_u32_e64 v13, s[10:11], 0, v13, s[10:11]
	v_addc_co_u32_e32 v15, vcc, 0, v15, vcc
	v_mov_b32_e32 v30, v28
	s_andn2_b64 exec, exec, s[14:15]
	s_cbranch_execz .LBB117_75
.LBB117_73:                             ;   Parent Loop BB117_26 Depth=1
                                        ; =>  This Inner Loop Header: Depth=2
	v_add_co_u32_sdwa v4, vcc, v4, v2 dst_sel:DWORD dst_unused:UNUSED_PAD src0_sel:DWORD src1_sel:WORD_0
	v_addc_co_u32_e32 v5, vcc, 0, v5, vcc
	v_cmp_gt_u64_e64 s[6:7], s[20:21], v[4:5]
	v_cmp_le_u64_e32 vcc, s[20:21], v[4:5]
	v_mov_b32_e32 v28, 0
	v_mov_b32_e32 v29, 0
	s_and_saveexec_b64 s[10:11], s[6:7]
	s_cbranch_execz .LBB117_72
; %bb.74:                               ;   in Loop: Header=BB117_73 Depth=2
	v_mul_lo_u32 v20, v5, s38
	v_mul_lo_u32 v43, v4, s39
	v_mad_u64_u32 v[28:29], s[6:7], v4, s38, 0
	v_add3_u32 v29, v29, v43, v20
	v_lshlrev_b64 v[28:29], 3, v[28:29]
	v_mov_b32_e32 v20, s35
	v_add_co_u32_e64 v28, s[6:7], s33, v28
	v_addc_co_u32_e64 v29, s[6:7], v20, v29, s[6:7]
	global_load_dwordx2 v[28:29], v[28:29], off
	s_branch .LBB117_72
.LBB117_75:                             ;   in Loop: Header=BB117_26 Depth=1
	s_or_b64 exec, exec, s[14:15]
.LBB117_76:                             ;   in Loop: Header=BB117_26 Depth=1
	s_or_b64 exec, exec, s[12:13]
	s_branch .LBB117_55
.LBB117_77:                             ;   in Loop: Header=BB117_26 Depth=1
	global_load_ushort v2, v21, s[56:57]
	v_mov_b32_e32 v8, 0
	v_mov_b32_e32 v10, 0
	;; [unrolled: 1-line block ×8, first 2 shown]
	s_waitcnt vmcnt(0)
	v_readfirstlane_b32 s6, v2
	s_and_b32 s19, 0xffff, s6
	s_lshl_b32 s22, s19, 2
	v_cvt_f32_u32_e32 v4, s22
	s_sub_i32 s6, 0, s22
	v_rcp_iflag_f32_e32 v4, v4
	v_mul_f32_e32 v4, 0x4f7ffffe, v4
	v_cvt_u32_f32_e32 v4, v4
	v_readfirstlane_b32 s7, v4
	s_mul_i32 s6, s6, s7
	s_mul_hi_u32 s6, s7, s6
	s_add_i32 s7, s7, s6
	s_mul_hi_u32 s6, s18, s7
	s_mul_i32 s7, s6, s22
	s_sub_i32 s7, s18, s7
	s_add_i32 s10, s6, 1
	s_sub_i32 s11, s7, s22
	s_cmp_ge_u32 s7, s22
	s_cselect_b32 s6, s10, s6
	s_cselect_b32 s7, s11, s7
	s_add_i32 s10, s6, 1
	s_cmp_ge_u32 s7, s22
	s_cselect_b32 s6, s10, s6
	s_mul_hi_u32 s77, s19, s6
	s_mul_i32 s76, s19, s6
	s_lshl_b64 s[78:79], s[76:77], 2
	v_cmp_gt_u64_e32 vcc, s[78:79], v[18:19]
	s_and_saveexec_b64 s[80:81], vcc
	s_cbranch_execz .LBB117_81
; %bb.78:                               ;   in Loop: Header=BB117_26 Depth=1
	v_mov_b32_e32 v4, v18
	s_lshl_b32 s23, s19, 5
	s_mov_b64 s[82:83], 0
	v_mov_b32_e32 v28, v40
	s_mov_b64 s[84:85], 0
	s_mov_b64 s[86:87], 0
	;; [unrolled: 1-line block ×4, first 2 shown]
	v_mov_b32_e32 v5, v19
.LBB117_79:                             ;   Parent Loop BB117_26 Depth=1
                                        ; =>  This Inner Loop Header: Depth=2
	ds_read_b128 v[8:11], v28
	ds_read_b128 v[12:15], v28 offset:16
	v_add_u32_e32 v28, s23, v28
	s_waitcnt lgkmcnt(1)
	v_cmp_o_f64_e32 vcc, v[8:9], v[8:9]
	v_ashrrev_i32_e32 v20, 31, v9
	v_or_b32_e32 v29, 0x80000000, v20
	v_xor_b32_e32 v9, v29, v9
	v_xor_b32_e32 v8, v20, v8
	v_ashrrev_i32_e32 v20, 31, v11
	v_or_b32_e32 v29, 0x80000000, v20
	v_cndmask_b32_e32 v9, -1, v9, vcc
	v_cndmask_b32_e32 v8, -1, v8, vcc
	v_cmp_o_f64_e32 vcc, v[10:11], v[10:11]
	v_xor_b32_e32 v11, v29, v11
	v_xor_b32_e32 v10, v20, v10
	v_cndmask_b32_e32 v30, -1, v11, vcc
	v_cndmask_b32_e32 v29, -1, v10, vcc
	s_waitcnt lgkmcnt(0)
	v_cmp_o_f64_e32 vcc, v[12:13], v[12:13]
	v_ashrrev_i32_e32 v10, 31, v13
	v_or_b32_e32 v11, 0x80000000, v10
	v_xor_b32_e32 v11, v11, v13
	v_xor_b32_e32 v10, v10, v12
	v_cndmask_b32_e32 v13, -1, v11, vcc
	v_cndmask_b32_e32 v12, -1, v10, vcc
	v_cmp_o_f64_e32 vcc, v[14:15], v[14:15]
	v_ashrrev_i32_e32 v10, 31, v15
	v_or_b32_e32 v11, 0x80000000, v10
	v_xor_b32_e32 v11, v11, v15
	v_xor_b32_e32 v10, v10, v14
	v_and_b32_e32 v15, v9, v25
	v_and_b32_e32 v14, v8, v24
	v_lshrrev_b64 v[8:9], s0, v[8:9]
	v_cndmask_b32_e32 v11, -1, v11, vcc
	v_and_b32_e32 v20, 3, v8
	v_lshrrev_b64 v[8:9], s0, v[29:30]
	v_cndmask_b32_e32 v10, -1, v10, vcc
	v_cmp_eq_u64_e32 vcc, v[14:15], v[22:23]
	v_and_b32_e32 v15, v30, v25
	v_and_b32_e32 v14, v29, v24
	v_cmp_eq_u64_e64 s[6:7], 0, v[20:21]
	v_cmp_eq_u64_e64 s[10:11], v[14:15], v[22:23]
	v_and_b32_e32 v15, v13, v25
	v_and_b32_e32 v14, v12, v24
	;; [unrolled: 1-line block ×3, first 2 shown]
	v_mov_b32_e32 v9, v21
	v_lshrrev_b64 v[12:13], s0, v[12:13]
	s_and_b64 s[24:25], vcc, s[6:7]
	v_cmp_eq_u64_e64 s[6:7], 0, v[8:9]
	v_cmp_eq_u64_e64 s[12:13], v[14:15], v[22:23]
	v_and_b32_e32 v15, v11, v25
	v_and_b32_e32 v14, v10, v24
	;; [unrolled: 1-line block ×3, first 2 shown]
	v_mov_b32_e32 v13, v21
	v_lshrrev_b64 v[10:11], s0, v[10:11]
	s_and_b64 s[26:27], s[10:11], s[6:7]
	v_cmp_eq_u64_e64 s[6:7], 0, v[12:13]
	v_and_b32_e32 v10, 3, v10
	v_mov_b32_e32 v11, v21
	v_cmp_eq_u64_e64 s[14:15], v[14:15], v[22:23]
	s_and_b64 s[28:29], s[12:13], s[6:7]
	v_cmp_eq_u64_e64 s[6:7], 0, v[10:11]
	v_cndmask_b32_e64 v14, 0, 1, s[24:25]
	s_and_b64 s[30:31], s[14:15], s[6:7]
	v_cmp_ne_u32_e64 s[6:7], 0, v14
	v_cndmask_b32_e64 v14, 0, 1, s[26:27]
	s_bcnt1_i32_b64 s24, s[6:7]
	v_cmp_ne_u32_e64 s[6:7], 0, v14
	v_cndmask_b32_e64 v14, 0, 1, s[28:29]
	s_bcnt1_i32_b64 s25, s[6:7]
	;; [unrolled: 3-line block ×3, first 2 shown]
	v_cmp_ne_u32_e64 s[6:7], 0, v14
	s_bcnt1_i32_b64 s6, s[6:7]
	s_add_u32 s7, s24, s90
	s_addc_u32 s24, 0, s91
	s_add_u32 s7, s7, s25
	s_addc_u32 s24, s24, 0
	;; [unrolled: 2-line block ×3, first 2 shown]
	s_add_u32 s90, s7, s6
	v_cmp_eq_u64_e64 s[6:7], 1, v[20:21]
	s_addc_u32 s91, s24, 0
	s_and_b64 s[24:25], vcc, s[6:7]
	v_cmp_eq_u64_e64 s[6:7], 1, v[8:9]
	v_cndmask_b32_e64 v14, 0, 1, s[24:25]
	s_and_b64 s[26:27], s[10:11], s[6:7]
	v_cmp_eq_u64_e64 s[6:7], 1, v[12:13]
	s_and_b64 s[28:29], s[12:13], s[6:7]
	v_cmp_eq_u64_e64 s[6:7], 1, v[10:11]
	s_and_b64 s[30:31], s[14:15], s[6:7]
	v_cmp_ne_u32_e64 s[6:7], 0, v14
	v_cndmask_b32_e64 v14, 0, 1, s[26:27]
	s_bcnt1_i32_b64 s24, s[6:7]
	v_cmp_ne_u32_e64 s[6:7], 0, v14
	v_cndmask_b32_e64 v14, 0, 1, s[28:29]
	s_bcnt1_i32_b64 s25, s[6:7]
	;; [unrolled: 3-line block ×3, first 2 shown]
	v_cmp_ne_u32_e64 s[6:7], 0, v14
	s_bcnt1_i32_b64 s6, s[6:7]
	s_add_u32 s7, s24, s88
	s_addc_u32 s24, 0, s89
	s_add_u32 s7, s7, s25
	s_addc_u32 s24, s24, 0
	;; [unrolled: 2-line block ×3, first 2 shown]
	s_add_u32 s88, s7, s6
	v_cmp_eq_u64_e64 s[6:7], 2, v[20:21]
	s_addc_u32 s89, s24, 0
	s_and_b64 s[24:25], vcc, s[6:7]
	v_cmp_eq_u64_e64 s[6:7], 2, v[8:9]
	v_cndmask_b32_e64 v14, 0, 1, s[24:25]
	s_and_b64 s[26:27], s[10:11], s[6:7]
	v_cmp_eq_u64_e64 s[6:7], 2, v[12:13]
	s_and_b64 s[28:29], s[12:13], s[6:7]
	v_cmp_eq_u64_e64 s[6:7], 2, v[10:11]
	s_and_b64 s[30:31], s[14:15], s[6:7]
	v_cmp_ne_u32_e64 s[6:7], 0, v14
	v_cndmask_b32_e64 v14, 0, 1, s[26:27]
	s_bcnt1_i32_b64 s24, s[6:7]
	v_cmp_ne_u32_e64 s[6:7], 0, v14
	v_cndmask_b32_e64 v14, 0, 1, s[28:29]
	s_bcnt1_i32_b64 s25, s[6:7]
	;; [unrolled: 3-line block ×3, first 2 shown]
	v_cmp_ne_u32_e64 s[6:7], 0, v14
	s_bcnt1_i32_b64 s6, s[6:7]
	s_add_u32 s7, s24, s86
	s_addc_u32 s24, 0, s87
	s_add_u32 s7, s7, s25
	s_addc_u32 s24, s24, 0
	;; [unrolled: 2-line block ×3, first 2 shown]
	s_add_u32 s86, s7, s6
	v_cmp_eq_u64_e64 s[6:7], 3, v[20:21]
	s_addc_u32 s87, s24, 0
	s_and_b64 s[6:7], vcc, s[6:7]
	v_cmp_eq_u64_e32 vcc, 3, v[8:9]
	v_cndmask_b32_e64 v8, 0, 1, s[6:7]
	s_and_b64 s[10:11], s[10:11], vcc
	v_cmp_eq_u64_e32 vcc, 3, v[12:13]
	v_mov_b32_e32 v12, s86
	s_and_b64 s[12:13], s[12:13], vcc
	v_cmp_eq_u64_e32 vcc, 3, v[10:11]
	v_mov_b32_e32 v10, s88
	s_and_b64 s[14:15], s[14:15], vcc
	v_cmp_ne_u32_e32 vcc, 0, v8
	v_cndmask_b32_e64 v8, 0, 1, s[10:11]
	s_bcnt1_i32_b64 s6, vcc
	v_cmp_ne_u32_e32 vcc, 0, v8
	v_cndmask_b32_e64 v8, 0, 1, s[12:13]
	s_bcnt1_i32_b64 s7, vcc
	;; [unrolled: 3-line block ×3, first 2 shown]
	v_cmp_ne_u32_e32 vcc, 0, v8
	s_bcnt1_i32_b64 s11, vcc
	s_add_u32 s6, s6, s84
	s_addc_u32 s12, 0, s85
	s_add_u32 s6, s6, s7
	s_addc_u32 s7, s12, 0
	s_add_u32 s6, s6, s10
	v_add_co_u32_e32 v4, vcc, s22, v4
	s_addc_u32 s7, s7, 0
	v_addc_co_u32_e32 v5, vcc, 0, v5, vcc
	s_add_u32 s84, s6, s11
	v_cmp_le_u64_e32 vcc, s[78:79], v[4:5]
	s_addc_u32 s85, s7, 0
	v_mov_b32_e32 v8, s90
	v_mov_b32_e32 v14, s84
	s_or_b64 s[82:83], vcc, s[82:83]
	v_mov_b32_e32 v9, s91
	v_mov_b32_e32 v11, s89
	;; [unrolled: 1-line block ×4, first 2 shown]
	s_andn2_b64 exec, exec, s[82:83]
	s_cbranch_execnz .LBB117_79
; %bb.80:                               ;   in Loop: Header=BB117_26 Depth=1
	s_or_b64 exec, exec, s[82:83]
.LBB117_81:                             ;   in Loop: Header=BB117_26 Depth=1
	s_or_b64 exec, exec, s[80:81]
	v_mov_b32_e32 v5, s79
	v_add_co_u32_e32 v4, vcc, s78, v0
	s_and_b32 s48, s18, 0x7fffffff
	v_addc_co_u32_e32 v5, vcc, 0, v5, vcc
	v_cmp_gt_u64_e32 vcc, s[48:49], v[4:5]
	s_and_saveexec_b64 s[24:25], vcc
	s_cbranch_execz .LBB117_85
; %bb.82:                               ;   in Loop: Header=BB117_26 Depth=1
	v_lshl_add_u32 v28, s76, 5, v33
	s_lshl_b32 s22, s19, 3
	s_mov_b64 s[26:27], 0
.LBB117_83:                             ;   Parent Loop BB117_26 Depth=1
                                        ; =>  This Inner Loop Header: Depth=2
	ds_read_b64 v[29:30], v28
	v_add_co_u32_sdwa v4, vcc, v4, v2 dst_sel:DWORD dst_unused:UNUSED_PAD src0_sel:DWORD src1_sel:WORD_0
	v_addc_co_u32_e32 v5, vcc, 0, v5, vcc
	s_waitcnt lgkmcnt(0)
	v_cmp_o_f64_e64 s[6:7], v[29:30], v[29:30]
	v_ashrrev_i32_e32 v20, 31, v30
	v_or_b32_e32 v31, 0x80000000, v20
	v_xor_b32_e32 v20, v20, v29
	v_xor_b32_e32 v31, v31, v30
	v_cmp_le_u64_e32 vcc, s[48:49], v[4:5]
	v_add_u32_e32 v28, s22, v28
	v_cndmask_b32_e64 v30, -1, v31, s[6:7]
	v_cndmask_b32_e64 v29, -1, v20, s[6:7]
	v_and_b32_e32 v44, v30, v25
	v_and_b32_e32 v43, v29, v24
	v_lshrrev_b64 v[29:30], s0, v[29:30]
	v_cmp_eq_u64_e64 s[6:7], v[43:44], v[22:23]
	v_and_b32_e32 v20, 3, v29
	v_cmp_eq_u64_e64 s[10:11], 0, v[20:21]
	v_cmp_eq_u64_e64 s[12:13], 1, v[20:21]
	;; [unrolled: 1-line block ×4, first 2 shown]
	s_and_b64 s[10:11], s[6:7], s[10:11]
	v_cndmask_b32_e64 v20, 0, 1, s[10:11]
	s_and_b64 s[10:11], s[6:7], s[12:13]
	v_cndmask_b32_e64 v29, 0, 1, s[10:11]
	s_and_b64 s[10:11], s[6:7], s[14:15]
	s_and_b64 s[6:7], s[6:7], s[18:19]
	v_cndmask_b32_e64 v31, 0, 1, s[6:7]
	v_cmp_ne_u32_e64 s[6:7], 0, v20
	s_bcnt1_i32_b64 s6, s[6:7]
	v_cndmask_b32_e64 v30, 0, 1, s[10:11]
	v_cmp_ne_u32_e64 s[10:11], 0, v29
	v_add_co_u32_e64 v8, s[6:7], s6, v8
	s_bcnt1_i32_b64 s10, s[10:11]
	v_addc_co_u32_e64 v9, s[6:7], 0, v9, s[6:7]
	v_cmp_ne_u32_e64 s[12:13], 0, v30
	v_cmp_ne_u32_e64 s[14:15], 0, v31
	v_add_co_u32_e64 v10, s[6:7], s10, v10
	s_bcnt1_i32_b64 s11, s[12:13]
	s_bcnt1_i32_b64 s12, s[14:15]
	v_addc_co_u32_e64 v11, s[6:7], 0, v11, s[6:7]
	v_add_co_u32_e64 v12, s[6:7], s11, v12
	s_or_b64 s[26:27], vcc, s[26:27]
	v_add_co_u32_e32 v14, vcc, s12, v14
	v_addc_co_u32_e64 v13, s[6:7], 0, v13, s[6:7]
	v_addc_co_u32_e32 v15, vcc, 0, v15, vcc
	s_andn2_b64 exec, exec, s[26:27]
	s_cbranch_execnz .LBB117_83
; %bb.84:                               ;   in Loop: Header=BB117_26 Depth=1
	s_or_b64 exec, exec, s[26:27]
.LBB117_85:                             ;   in Loop: Header=BB117_26 Depth=1
	s_or_b64 exec, exec, s[24:25]
	s_lshl_b32 s10, s1, 6
	s_and_saveexec_b64 s[6:7], s[4:5]
	s_cbranch_execnz .LBB117_56
	s_branch .LBB117_57
.LBB117_86:                             ;   in Loop: Header=BB117_26 Depth=1
                                        ; implicit-def: $sgpr6_sgpr7
	s_branch .LBB117_65
.LBB117_87:                             ;   in Loop: Header=BB117_26 Depth=1
	v_mov_b32_e32 v4, 0
	v_mov_b32_e32 v5, 0
	s_mov_b32 s11, 0
.LBB117_88:                             ;   in Loop: Header=BB117_26 Depth=1
	v_readlane_b32 s12, v47, 25
	v_readlane_b32 s13, v47, 26
	s_andn2_b64 vcc, exec, s[12:13]
	s_cbranch_vccnz .LBB117_91
; %bb.89:                               ;   in Loop: Header=BB117_26 Depth=1
	s_lshl_b32 s12, s1, 9
	s_lshl_b32 s11, s11, 5
	s_add_i32 s12, s12, s11
	v_add_u32_e32 v2, s12, v41
	v_readlane_b32 s11, v47, 24
.LBB117_90:                             ;   Parent Loop BB117_26 Depth=1
                                        ; =>  This Inner Loop Header: Depth=2
	ds_read_b64 v[8:9], v2
	s_add_i32 s11, s11, -1
	v_add_u32_e32 v2, 32, v2
	s_cmp_lg_u32 s11, 0
	s_waitcnt lgkmcnt(0)
	v_add_co_u32_e32 v4, vcc, v8, v4
	v_addc_co_u32_e32 v5, vcc, v9, v5, vcc
	s_cbranch_scc1 .LBB117_90
.LBB117_91:                             ;   in Loop: Header=BB117_26 Depth=1
	v_add_lshl_u32 v2, s10, v32, 3
	ds_write_b64 v2, v[4:5] offset:3072
.LBB117_92:                             ;   in Loop: Header=BB117_26 Depth=1
	s_or_b64 exec, exec, s[6:7]
	s_lshl_b32 s6, s10, 3
	v_mov_b32_e32 v2, s6
	s_waitcnt lgkmcnt(0)
	s_barrier
	ds_read_b128 v[12:15], v2 offset:3088
	ds_read_b128 v[8:11], v2 offset:3072
	v_cmp_eq_u64_e64 s[6:7], 1, v[26:27]
	s_lshl_b64 s[12:13], 3, s0
	s_not_b64 s[82:83], s[12:13]
	s_waitcnt lgkmcnt(1)
	v_readfirstlane_b32 s78, v12
	s_waitcnt lgkmcnt(0)
	v_cmp_eq_u64_e32 vcc, 1, v[8:9]
	v_readfirstlane_b32 s79, v13
	v_readfirstlane_b32 s10, v14
	;; [unrolled: 1-line block ×3, first 2 shown]
	s_and_b64 s[18:19], vcc, s[6:7]
	s_mov_b64 s[6:7], -1
	s_mov_b64 s[28:29], -1
                                        ; implicit-def: $sgpr26_sgpr27
                                        ; implicit-def: $sgpr24_sgpr25
	s_and_saveexec_b64 s[14:15], s[18:19]
	s_cbranch_execz .LBB117_126
; %bb.93:                               ;   in Loop: Header=BB117_26 Depth=1
	ds_read_b64 v[4:5], v21 offset:5120
	s_waitcnt lgkmcnt(0)
	s_barrier
	v_readfirstlane_b32 s46, v4
	v_readfirstlane_b32 s47, v5
	s_and_saveexec_b64 s[22:23], s[16:17]
; %bb.94:                               ;   in Loop: Header=BB117_26 Depth=1
	v_mov_b32_e32 v20, v21
	ds_write_b64 v34, v[20:21]
; %bb.95:                               ;   in Loop: Header=BB117_26 Depth=1
	s_or_b64 exec, exec, s[22:23]
	v_and_b32_e32 v23, s83, v23
	v_and_b32_e32 v22, s82, v22
	v_or_b32_e32 v25, s13, v25
	v_or_b32_e32 v24, s12, v24
	s_mov_b64 s[24:25], -1
	s_mov_b64 s[26:27], 0
	s_cmp_eq_u64 s[46:47], 0
	s_mov_b64 s[40:41], 0
	s_mov_b64 s[36:37], -1
	s_waitcnt lgkmcnt(0)
	s_barrier
                                        ; implicit-def: $vgpr6_vgpr7
	s_cbranch_scc1 .LBB117_110
; %bb.96:                               ;   in Loop: Header=BB117_26 Depth=1
	s_add_u32 s30, s46, s43
	s_addc_u32 s41, s47, s58
	s_mov_b32 s40, s49
	s_cmp_lg_u64 s[40:41], 0
	s_cbranch_scc0 .LBB117_153
; %bb.97:                               ;   in Loop: Header=BB117_26 Depth=1
	v_cvt_f32_u32_e32 v2, s42
	s_sub_u32 s28, 0, s42
	s_subb_u32 s29, 0, 0
	v_mac_f32_e32 v2, 0, v42
	v_rcp_f32_e32 v2, v2
	v_mul_f32_e32 v2, 0x5f7ffffc, v2
	v_mul_f32_e32 v4, 0x2f800000, v2
	v_trunc_f32_e32 v4, v4
	v_mac_f32_e32 v2, 0xcf800000, v4
	v_cvt_u32_f32_e32 v4, v4
	v_cvt_u32_f32_e32 v2, v2
	v_readfirstlane_b32 s31, v4
	v_readfirstlane_b32 s22, v2
	s_mul_i32 s23, s28, s31
	s_mul_hi_u32 s37, s28, s22
	s_mul_i32 s36, s29, s22
	s_add_i32 s23, s37, s23
	s_mul_i32 s40, s28, s22
	s_add_i32 s23, s23, s36
	s_mul_hi_u32 s37, s22, s40
	s_mul_i32 s44, s22, s23
	s_mul_hi_u32 s36, s22, s23
	s_add_u32 s37, s37, s44
	s_addc_u32 s36, 0, s36
	s_mul_hi_u32 s45, s31, s40
	s_mul_i32 s40, s31, s40
	s_add_u32 s37, s37, s40
	s_mul_hi_u32 s44, s31, s23
	s_addc_u32 s36, s36, s45
	s_addc_u32 s37, s44, 0
	s_mul_i32 s23, s31, s23
	s_add_u32 s23, s36, s23
	s_addc_u32 s36, 0, s37
	s_add_u32 s37, s22, s23
	s_cselect_b64 s[22:23], -1, 0
	s_cmp_lg_u64 s[22:23], 0
	s_addc_u32 s31, s31, s36
	s_mul_i32 s22, s28, s31
	s_mul_hi_u32 s23, s28, s37
	s_add_i32 s22, s23, s22
	s_mul_i32 s29, s29, s37
	s_add_i32 s22, s22, s29
	s_mul_i32 s28, s28, s37
	s_mul_hi_u32 s29, s31, s28
	s_mul_i32 s36, s31, s28
	s_mul_i32 s44, s37, s22
	s_mul_hi_u32 s28, s37, s28
	s_mul_hi_u32 s40, s37, s22
	s_add_u32 s28, s28, s44
	s_addc_u32 s40, 0, s40
	s_add_u32 s28, s28, s36
	s_mul_hi_u32 s23, s31, s22
	s_addc_u32 s28, s40, s29
	s_addc_u32 s23, s23, 0
	s_mul_i32 s22, s31, s22
	s_add_u32 s22, s28, s22
	s_addc_u32 s28, 0, s23
	s_add_u32 s29, s37, s22
	s_cselect_b64 s[22:23], -1, 0
	s_cmp_lg_u64 s[22:23], 0
	s_addc_u32 s22, s31, s28
	s_mul_i32 s28, s30, s22
	s_mul_hi_u32 s31, s30, s29
	s_mul_hi_u32 s23, s30, s22
	s_add_u32 s28, s31, s28
	s_addc_u32 s23, 0, s23
	s_mul_hi_u32 s36, s41, s29
	s_mul_i32 s29, s41, s29
	s_add_u32 s28, s28, s29
	s_mul_hi_u32 s31, s41, s22
	s_addc_u32 s23, s23, s36
	s_addc_u32 s28, s31, 0
	s_mul_i32 s22, s41, s22
	s_add_u32 s22, s23, s22
	s_addc_u32 s23, 0, s28
	s_mul_i32 s23, s42, s23
	s_mul_hi_u32 s28, s42, s22
	s_add_i32 s28, s28, s23
	s_mul_i32 s22, s42, s22
	s_sub_u32 s29, s30, s22
	s_cselect_b64 s[22:23], -1, 0
	s_cmp_lg_u64 s[22:23], 0
	s_subb_u32 s28, s41, s28
	s_sub_u32 s31, s29, s42
	s_cselect_b64 s[22:23], -1, 0
	s_cmp_lg_u64 s[22:23], 0
	s_subb_u32 s36, s28, 0
	;; [unrolled: 4-line block ×3, first 2 shown]
	s_cmp_ge_u32 s31, s42
	s_cselect_b32 s23, -1, 0
	s_cmp_eq_u32 s36, 0
	s_cselect_b32 s23, s23, -1
	s_cmp_lg_u32 s23, 0
	s_cselect_b32 s22, s22, s36
	s_cselect_b32 s31, s37, s31
	s_cmp_ge_u32 s29, s42
	s_cselect_b32 s23, -1, 0
	s_cmp_eq_u32 s28, 0
	s_cselect_b32 s23, s23, -1
	s_cmp_lg_u32 s23, 0
	s_cselect_b32 s23, s22, s28
	s_cselect_b32 s22, s31, s29
	s_cbranch_execnz .LBB117_99
.LBB117_98:                             ;   in Loop: Header=BB117_26 Depth=1
	v_cvt_f32_u32_e32 v2, s42
	s_sub_i32 s22, 0, s42
	v_rcp_iflag_f32_e32 v2, v2
	v_mul_f32_e32 v2, 0x4f7ffffe, v2
	v_cvt_u32_f32_e32 v2, v2
	v_readfirstlane_b32 s23, v2
	s_mul_i32 s22, s22, s23
	s_mul_hi_u32 s22, s23, s22
	s_add_i32 s23, s23, s22
	s_mul_hi_u32 s22, s30, s23
	s_mul_i32 s22, s22, s42
	s_sub_i32 s22, s30, s22
	s_sub_i32 s23, s22, s42
	s_cmp_ge_u32 s22, s42
	s_cselect_b32 s22, s23, s22
	s_sub_i32 s23, s22, s42
	s_cmp_ge_u32 s22, s42
	s_cselect_b32 s48, s23, s22
	s_mov_b64 s[22:23], s[48:49]
.LBB117_99:                             ;   in Loop: Header=BB117_26 Depth=1
	s_sub_u32 s30, s30, s22
	s_subb_u32 s31, s41, s23
	v_cmp_gt_u64_e32 vcc, s[30:31], v[0:1]
	s_mov_b64 s[36:37], 0
	s_mov_b64 s[40:41], 0
                                        ; implicit-def: $vgpr6_vgpr7
	s_and_saveexec_b64 s[28:29], vcc
	s_cbranch_execz .LBB117_109
; %bb.100:                              ;   in Loop: Header=BB117_26 Depth=1
	v_mov_b32_e32 v13, v1
	v_mov_b32_e32 v14, v33
	;; [unrolled: 1-line block ×3, first 2 shown]
                                        ; implicit-def: $sgpr44_sgpr45
	s_branch .LBB117_104
.LBB117_101:                            ;   in Loop: Header=BB117_104 Depth=2
	s_or_b64 exec, exec, s[22:23]
	s_waitcnt lgkmcnt(0)
	s_barrier
	ds_read_b128 v[4:7], v21 offset:3072
	s_waitcnt lgkmcnt(0)
	s_barrier
	v_cmp_neq_f64_e32 vcc, 0, v[4:5]
	s_cbranch_vccnz .LBB117_107
; %bb.102:                              ;   in Loop: Header=BB117_104 Depth=2
	v_add_co_u32_e32 v12, vcc, s42, v12
	v_addc_co_u32_e32 v13, vcc, 0, v13, vcc
	v_cmp_le_u64_e32 vcc, s[30:31], v[12:13]
	v_add_u32_e32 v14, s61, v14
	s_mov_b64 s[22:23], 0
	s_orn2_b64 s[76:77], vcc, exec
.LBB117_103:                            ;   in Loop: Header=BB117_104 Depth=2
	s_and_b64 s[76:77], exec, s[76:77]
	s_or_b64 s[40:41], s[76:77], s[40:41]
	s_andn2_b64 s[44:45], s[44:45], exec
	s_and_b64 s[22:23], s[22:23], exec
	s_or_b64 s[44:45], s[44:45], s[22:23]
	s_andn2_b64 exec, exec, s[40:41]
	s_cbranch_execz .LBB117_108
.LBB117_104:                            ;   Parent Loop BB117_26 Depth=1
                                        ; =>  This Inner Loop Header: Depth=2
	v_cmp_gt_u64_e32 vcc, s[46:47], v[12:13]
	s_and_saveexec_b64 s[22:23], vcc
	s_cbranch_execz .LBB117_101
; %bb.105:                              ;   in Loop: Header=BB117_104 Depth=2
	ds_read_b64 v[4:5], v14
	s_waitcnt lgkmcnt(0)
	v_cmp_o_f64_e32 vcc, v[4:5], v[4:5]
	v_ashrrev_i32_e32 v2, 31, v5
	v_or_b32_e32 v6, 0x80000000, v2
	v_xor_b32_e32 v6, v6, v5
	v_xor_b32_e32 v2, v2, v4
	v_cndmask_b32_e32 v6, -1, v6, vcc
	v_cndmask_b32_e32 v2, -1, v2, vcc
	v_and_b32_e32 v7, v6, v25
	v_and_b32_e32 v6, v2, v24
	v_cmp_eq_u64_e32 vcc, v[6:7], v[22:23]
	s_and_b64 exec, exec, vcc
	s_cbranch_execz .LBB117_101
; %bb.106:                              ;   in Loop: Header=BB117_104 Depth=2
	v_mov_b32_e32 v2, v21
	ds_write_b128 v21, v[2:5] offset:3072
	s_branch .LBB117_101
.LBB117_107:                            ;   in Loop: Header=BB117_104 Depth=2
	s_mov_b64 s[76:77], -1
                                        ; implicit-def: $vgpr12_vgpr13
                                        ; implicit-def: $vgpr14
	s_mov_b64 s[22:23], -1
	s_branch .LBB117_103
.LBB117_108:                            ;   in Loop: Header=BB117_26 Depth=1
	s_or_b64 exec, exec, s[40:41]
	s_and_b64 s[40:41], s[44:45], exec
.LBB117_109:                            ;   in Loop: Header=BB117_26 Depth=1
	s_or_b64 exec, exec, s[28:29]
.LBB117_110:                            ;   in Loop: Header=BB117_26 Depth=1
	s_and_b64 vcc, exec, s[36:37]
	s_cbranch_vccz .LBB117_125
; %bb.111:                              ;   in Loop: Header=BB117_26 Depth=1
	s_mov_b32 s54, s49
	s_cmp_lg_u64 s[54:55], 0
	s_cbranch_scc0 .LBB117_157
; %bb.112:                              ;   in Loop: Header=BB117_26 Depth=1
	v_cvt_f32_u32_e32 v2, s42
	s_sub_u32 s24, 0, s42
	s_subb_u32 s25, 0, 0
	v_mac_f32_e32 v2, 0, v42
	v_rcp_f32_e32 v2, v2
	v_mul_f32_e32 v2, 0x5f7ffffc, v2
	v_mul_f32_e32 v4, 0x2f800000, v2
	v_trunc_f32_e32 v4, v4
	v_mac_f32_e32 v2, 0xcf800000, v4
	v_cvt_u32_f32_e32 v4, v4
	v_cvt_u32_f32_e32 v2, v2
	v_readfirstlane_b32 s26, v4
	v_readfirstlane_b32 s22, v2
	s_mul_i32 s23, s24, s26
	s_mul_hi_u32 s28, s24, s22
	s_mul_i32 s27, s25, s22
	s_add_i32 s23, s28, s23
	s_mul_i32 s29, s24, s22
	s_add_i32 s23, s23, s27
	s_mul_hi_u32 s28, s22, s29
	s_mul_i32 s30, s22, s23
	s_mul_hi_u32 s27, s22, s23
	s_add_u32 s28, s28, s30
	s_addc_u32 s27, 0, s27
	s_mul_hi_u32 s31, s26, s29
	s_mul_i32 s29, s26, s29
	s_add_u32 s28, s28, s29
	s_mul_hi_u32 s30, s26, s23
	s_addc_u32 s27, s27, s31
	s_addc_u32 s28, s30, 0
	s_mul_i32 s23, s26, s23
	s_add_u32 s23, s27, s23
	s_addc_u32 s27, 0, s28
	s_add_u32 s28, s22, s23
	s_cselect_b64 s[22:23], -1, 0
	s_cmp_lg_u64 s[22:23], 0
	s_addc_u32 s26, s26, s27
	s_mul_i32 s22, s24, s26
	s_mul_hi_u32 s23, s24, s28
	s_add_i32 s22, s23, s22
	s_mul_i32 s25, s25, s28
	s_add_i32 s22, s22, s25
	s_mul_i32 s24, s24, s28
	s_mul_hi_u32 s25, s26, s24
	s_mul_i32 s27, s26, s24
	s_mul_i32 s30, s28, s22
	s_mul_hi_u32 s24, s28, s24
	s_mul_hi_u32 s29, s28, s22
	s_add_u32 s24, s24, s30
	s_addc_u32 s29, 0, s29
	s_add_u32 s24, s24, s27
	s_mul_hi_u32 s23, s26, s22
	s_addc_u32 s24, s29, s25
	s_addc_u32 s23, s23, 0
	s_mul_i32 s22, s26, s22
	s_add_u32 s22, s24, s22
	s_addc_u32 s24, 0, s23
	s_add_u32 s25, s28, s22
	s_cselect_b64 s[22:23], -1, 0
	s_cmp_lg_u64 s[22:23], 0
	s_addc_u32 s22, s26, s24
	s_mul_i32 s24, s59, s22
	s_mul_hi_u32 s26, s59, s25
	s_mul_hi_u32 s23, s59, s22
	s_add_u32 s24, s26, s24
	s_addc_u32 s23, 0, s23
	s_mul_hi_u32 s27, s55, s25
	s_mul_i32 s25, s55, s25
	s_add_u32 s24, s24, s25
	s_mul_hi_u32 s26, s55, s22
	s_addc_u32 s23, s23, s27
	s_addc_u32 s24, s26, 0
	s_mul_i32 s22, s55, s22
	s_add_u32 s22, s23, s22
	s_addc_u32 s23, 0, s24
	s_mul_i32 s23, s42, s23
	s_mul_hi_u32 s24, s42, s22
	s_add_i32 s24, s24, s23
	s_mul_i32 s22, s42, s22
	s_sub_u32 s25, s59, s22
	s_cselect_b64 s[22:23], -1, 0
	s_cmp_lg_u64 s[22:23], 0
	s_subb_u32 s24, s55, s24
	s_sub_u32 s26, s25, s42
	s_cselect_b64 s[22:23], -1, 0
	s_cmp_lg_u64 s[22:23], 0
	s_subb_u32 s27, s24, 0
	;; [unrolled: 4-line block ×3, first 2 shown]
	s_cmp_ge_u32 s26, s42
	s_cselect_b32 s23, -1, 0
	s_cmp_eq_u32 s27, 0
	s_cselect_b32 s23, s23, -1
	s_cmp_lg_u32 s23, 0
	s_cselect_b32 s22, s22, s27
	s_cselect_b32 s26, s28, s26
	s_cmp_ge_u32 s25, s42
	s_cselect_b32 s23, -1, 0
	s_cmp_eq_u32 s24, 0
	s_cselect_b32 s23, s23, -1
	s_cmp_lg_u32 s23, 0
	s_cselect_b32 s23, s22, s24
	s_cselect_b32 s22, s26, s25
	s_cbranch_execnz .LBB117_114
.LBB117_113:                            ;   in Loop: Header=BB117_26 Depth=1
	v_cvt_f32_u32_e32 v2, s42
	s_sub_i32 s22, 0, s42
	v_rcp_iflag_f32_e32 v2, v2
	v_mul_f32_e32 v2, 0x4f7ffffe, v2
	v_cvt_u32_f32_e32 v2, v2
	v_readfirstlane_b32 s23, v2
	s_mul_i32 s22, s22, s23
	s_mul_hi_u32 s22, s23, s22
	s_add_i32 s23, s23, s22
	s_mul_hi_u32 s22, s59, s23
	s_mul_i32 s22, s22, s42
	s_sub_i32 s22, s59, s22
	s_sub_i32 s23, s22, s42
	s_cmp_ge_u32 s22, s42
	s_cselect_b32 s22, s23, s22
	s_sub_i32 s23, s22, s42
	s_cmp_ge_u32 s22, s42
	s_cselect_b32 s48, s23, s22
	s_mov_b64 s[22:23], s[48:49]
.LBB117_114:                            ;   in Loop: Header=BB117_26 Depth=1
	s_sub_u32 s26, s59, s22
	s_subb_u32 s27, s55, s23
	v_cmp_gt_u64_e32 vcc, s[26:27], v[0:1]
                                        ; implicit-def: $vgpr6_vgpr7
	s_and_saveexec_b64 s[24:25], vcc
	s_cbranch_execz .LBB117_124
; %bb.115:                              ;   in Loop: Header=BB117_26 Depth=1
	v_mov_b32_e32 v13, v1
	s_mov_b64 s[30:31], 0
	v_mov_b32_e32 v12, v0
                                        ; implicit-def: $sgpr28_sgpr29
	s_branch .LBB117_119
.LBB117_116:                            ;   in Loop: Header=BB117_119 Depth=2
	s_or_b64 exec, exec, s[36:37]
	s_waitcnt lgkmcnt(0)
	s_barrier
	ds_read_b128 v[4:7], v21 offset:3072
	s_waitcnt lgkmcnt(0)
	s_barrier
	v_cmp_neq_f64_e32 vcc, 0, v[4:5]
	s_cbranch_vccnz .LBB117_122
; %bb.117:                              ;   in Loop: Header=BB117_119 Depth=2
	v_add_co_u32_e32 v12, vcc, s42, v12
	v_addc_co_u32_e32 v13, vcc, 0, v13, vcc
	v_cmp_le_u64_e32 vcc, s[26:27], v[12:13]
	s_mov_b64 s[22:23], 0
	s_orn2_b64 s[36:37], vcc, exec
.LBB117_118:                            ;   in Loop: Header=BB117_119 Depth=2
	s_and_b64 s[36:37], exec, s[36:37]
	s_or_b64 s[30:31], s[36:37], s[30:31]
	s_andn2_b64 s[28:29], s[28:29], exec
	s_and_b64 s[22:23], s[22:23], exec
	s_or_b64 s[28:29], s[28:29], s[22:23]
	s_andn2_b64 exec, exec, s[30:31]
	s_cbranch_execz .LBB117_123
.LBB117_119:                            ;   Parent Loop BB117_26 Depth=1
                                        ; =>  This Inner Loop Header: Depth=2
	v_cmp_gt_u64_e32 vcc, s[20:21], v[12:13]
	s_and_saveexec_b64 s[36:37], vcc
	s_cbranch_execz .LBB117_116
; %bb.120:                              ;   in Loop: Header=BB117_119 Depth=2
	v_mul_lo_u32 v2, v13, s38
	v_mul_lo_u32 v6, v12, s39
	v_mad_u64_u32 v[4:5], s[22:23], v12, s38, 0
	v_add3_u32 v5, v5, v6, v2
	v_lshlrev_b64 v[4:5], 3, v[4:5]
	v_mov_b32_e32 v2, s35
	v_add_co_u32_e32 v4, vcc, s33, v4
	v_addc_co_u32_e32 v5, vcc, v2, v5, vcc
	global_load_dwordx2 v[4:5], v[4:5], off
	s_waitcnt vmcnt(0)
	v_cmp_o_f64_e32 vcc, v[4:5], v[4:5]
	v_ashrrev_i32_e32 v2, 31, v5
	v_or_b32_e32 v6, 0x80000000, v2
	v_xor_b32_e32 v6, v6, v5
	v_xor_b32_e32 v2, v2, v4
	v_cndmask_b32_e32 v6, -1, v6, vcc
	v_cndmask_b32_e32 v2, -1, v2, vcc
	v_and_b32_e32 v7, v6, v25
	v_and_b32_e32 v6, v2, v24
	v_cmp_eq_u64_e32 vcc, v[6:7], v[22:23]
	s_and_b64 exec, exec, vcc
	s_cbranch_execz .LBB117_116
; %bb.121:                              ;   in Loop: Header=BB117_119 Depth=2
	v_mov_b32_e32 v2, v21
	ds_write_b128 v21, v[2:5] offset:3072
	s_branch .LBB117_116
.LBB117_122:                            ;   in Loop: Header=BB117_119 Depth=2
	s_mov_b64 s[36:37], -1
                                        ; implicit-def: $vgpr12_vgpr13
	s_mov_b64 s[22:23], -1
	s_branch .LBB117_118
.LBB117_123:                            ;   in Loop: Header=BB117_26 Depth=1
	s_or_b64 exec, exec, s[30:31]
	s_andn2_b64 s[22:23], s[40:41], exec
	s_and_b64 s[26:27], s[28:29], exec
	s_or_b64 s[40:41], s[22:23], s[26:27]
.LBB117_124:                            ;   in Loop: Header=BB117_26 Depth=1
	s_or_b64 exec, exec, s[24:25]
	s_mov_b64 s[24:25], 0
	s_mov_b64 s[26:27], -1
.LBB117_125:                            ;   in Loop: Header=BB117_26 Depth=1
	s_orn2_b64 s[28:29], s[40:41], exec
.LBB117_126:                            ;   in Loop: Header=BB117_26 Depth=1
	s_or_b64 exec, exec, s[14:15]
	s_andn2_b64 s[14:15], s[74:75], exec
	s_and_b64 s[22:23], s[26:27], exec
	s_or_b64 s[74:75], s[14:15], s[22:23]
	s_andn2_b64 s[14:15], s[72:73], exec
	s_and_b64 s[22:23], s[24:25], exec
	s_andn2_b64 s[70:71], s[70:71], exec
	s_or_b64 s[72:73], s[14:15], s[22:23]
                                        ; implicit-def: $vgpr12_vgpr13
	s_and_saveexec_b64 s[14:15], s[28:29]
	s_cbranch_execz .LBB117_25
; %bb.127:                              ;   in Loop: Header=BB117_26 Depth=1
	v_mov_b32_e32 v12, 1
	s_xor_b64 s[18:19], s[18:19], -1
	v_mov_b32_e32 v14, 1
	v_mov_b32_e32 v13, 0
	s_mov_b64 s[22:23], 0
	s_and_saveexec_b64 s[6:7], s[18:19]
	s_cbranch_execz .LBB117_136
; %bb.128:                              ;   in Loop: Header=BB117_26 Depth=1
	v_cmp_le_u64_e32 vcc, v[26:27], v[8:9]
	s_and_saveexec_b64 s[18:19], vcc
	s_xor_b64 s[18:19], exec, s[18:19]
	s_cbranch_execz .LBB117_133
; %bb.129:                              ;   in Loop: Header=BB117_26 Depth=1
	ds_read_b64 v[4:5], v21 offset:5120
	v_and_b32_e32 v23, s83, v23
	v_and_b32_e32 v22, s82, v22
	v_or_b32_e32 v25, s13, v25
	v_or_b32_e32 v24, s12, v24
	s_waitcnt lgkmcnt(0)
	v_cmp_ne_u64_e32 vcc, 0, v[4:5]
	s_cbranch_vccnz .LBB117_133
; %bb.130:                              ;   in Loop: Header=BB117_26 Depth=1
	s_and_saveexec_b64 s[22:23], s[2:3]
; %bb.131:                              ;   in Loop: Header=BB117_26 Depth=1
	ds_write_b64 v21, v[8:9] offset:5128
; %bb.132:                              ;   in Loop: Header=BB117_26 Depth=1
	s_or_b64 exec, exec, s[22:23]
	s_waitcnt lgkmcnt(0)
	s_barrier
.LBB117_133:                            ;   in Loop: Header=BB117_26 Depth=1
	s_or_saveexec_b64 s[18:19], s[18:19]
	s_mov_b64 s[22:23], 0
	v_mov_b32_e32 v14, 8
	s_xor_b64 exec, exec, s[18:19]
; %bb.134:                              ;   in Loop: Header=BB117_26 Depth=1
	v_sub_co_u32_e32 v26, vcc, v26, v8
	s_mov_b64 s[22:23], exec
	v_subb_co_u32_e32 v27, vcc, v27, v9, vcc
	v_mov_b32_e32 v14, 0
; %bb.135:                              ;   in Loop: Header=BB117_26 Depth=1
	s_or_b64 exec, exec, s[18:19]
	v_mov_b32_e32 v12, v26
	s_and_b64 s[22:23], s[22:23], exec
	v_mov_b32_e32 v13, v27
.LBB117_136:                            ;   in Loop: Header=BB117_26 Depth=1
	s_or_b64 exec, exec, s[6:7]
	s_mov_b64 s[18:19], -1
	s_mov_b64 s[24:25], -1
                                        ; implicit-def: $sgpr6_sgpr7
                                        ; implicit-def: $sgpr80_sgpr81
	s_and_saveexec_b64 s[26:27], s[22:23]
	s_xor_b64 s[76:77], exec, s[26:27]
	s_cbranch_execz .LBB117_287
; %bb.137:                              ;   in Loop: Header=BB117_26 Depth=1
	v_cmp_eq_u64_e32 vcc, 1, v[10:11]
	v_cmp_eq_u64_e64 s[6:7], 1, v[12:13]
	s_mov_b64 s[22:23], -1
	s_and_b64 s[86:87], vcc, s[6:7]
                                        ; implicit-def: $sgpr80_sgpr81
                                        ; implicit-def: $sgpr6_sgpr7
	s_and_saveexec_b64 s[84:85], s[86:87]
	s_cbranch_execz .LBB117_176
; %bb.138:                              ;   in Loop: Header=BB117_26 Depth=1
	ds_read_b64 v[4:5], v21 offset:5120
	s_waitcnt lgkmcnt(0)
	s_barrier
	v_readfirstlane_b32 s26, v4
	v_readfirstlane_b32 s27, v5
	s_and_saveexec_b64 s[6:7], s[16:17]
; %bb.139:                              ;   in Loop: Header=BB117_26 Depth=1
	v_mov_b32_e32 v20, v21
	ds_write_b64 v34, v[20:21]
; %bb.140:                              ;   in Loop: Header=BB117_26 Depth=1
	s_or_b64 exec, exec, s[6:7]
	s_lshl_b64 s[6:7], 1, s0
	v_and_b32_e32 v2, s83, v23
	v_and_b32_e32 v4, s82, v22
	v_or_b32_e32 v23, s7, v2
	v_or_b32_e32 v22, s6, v4
	;; [unrolled: 1-line block ×4, first 2 shown]
	s_mov_b64 s[6:7], -1
	s_mov_b64 s[80:81], 0
	s_cmp_eq_u64 s[26:27], 0
	s_mov_b64 s[24:25], 0
	s_mov_b64 s[40:41], -1
	s_waitcnt lgkmcnt(0)
	s_barrier
                                        ; implicit-def: $vgpr6_vgpr7
	s_cbranch_scc1 .LBB117_160
; %bb.141:                              ;   in Loop: Header=BB117_26 Depth=1
	s_add_u32 s30, s26, s43
	s_addc_u32 s25, s27, s58
	s_mov_b32 s24, s49
	s_cmp_lg_u64 s[24:25], 0
	s_cbranch_scc0 .LBB117_204
; %bb.142:                              ;   in Loop: Header=BB117_26 Depth=1
	v_cvt_f32_u32_e32 v2, s42
	s_sub_u32 s24, 0, s42
	s_subb_u32 s28, 0, 0
	v_mac_f32_e32 v2, 0, v42
	v_rcp_f32_e32 v2, v2
	v_mul_f32_e32 v2, 0x5f7ffffc, v2
	v_mul_f32_e32 v4, 0x2f800000, v2
	v_trunc_f32_e32 v4, v4
	v_mac_f32_e32 v2, 0xcf800000, v4
	v_cvt_u32_f32_e32 v4, v4
	v_cvt_u32_f32_e32 v2, v2
	v_readfirstlane_b32 s29, v4
	v_readfirstlane_b32 s22, v2
	s_mul_i32 s23, s24, s29
	s_mul_hi_u32 s36, s24, s22
	s_mul_i32 s31, s28, s22
	s_add_i32 s23, s36, s23
	s_mul_i32 s37, s24, s22
	s_add_i32 s23, s23, s31
	s_mul_hi_u32 s36, s22, s37
	s_mul_i32 s40, s22, s23
	s_mul_hi_u32 s31, s22, s23
	s_add_u32 s36, s36, s40
	s_addc_u32 s31, 0, s31
	s_mul_hi_u32 s41, s29, s37
	s_mul_i32 s37, s29, s37
	s_add_u32 s36, s36, s37
	s_mul_hi_u32 s40, s29, s23
	s_addc_u32 s31, s31, s41
	s_addc_u32 s36, s40, 0
	s_mul_i32 s23, s29, s23
	s_add_u32 s23, s31, s23
	s_addc_u32 s31, 0, s36
	s_add_u32 s36, s22, s23
	s_cselect_b64 s[22:23], -1, 0
	s_cmp_lg_u64 s[22:23], 0
	s_addc_u32 s29, s29, s31
	s_mul_i32 s22, s24, s29
	s_mul_hi_u32 s23, s24, s36
	s_add_i32 s22, s23, s22
	s_mul_i32 s28, s28, s36
	s_add_i32 s22, s22, s28
	s_mul_i32 s24, s24, s36
	s_mul_hi_u32 s28, s29, s24
	s_mul_i32 s31, s29, s24
	s_mul_i32 s40, s36, s22
	s_mul_hi_u32 s24, s36, s24
	s_mul_hi_u32 s37, s36, s22
	s_add_u32 s24, s24, s40
	s_addc_u32 s37, 0, s37
	s_add_u32 s24, s24, s31
	s_mul_hi_u32 s23, s29, s22
	s_addc_u32 s24, s37, s28
	s_addc_u32 s23, s23, 0
	s_mul_i32 s22, s29, s22
	s_add_u32 s22, s24, s22
	s_addc_u32 s24, 0, s23
	s_add_u32 s28, s36, s22
	s_cselect_b64 s[22:23], -1, 0
	s_cmp_lg_u64 s[22:23], 0
	s_addc_u32 s22, s29, s24
	s_mul_i32 s24, s30, s22
	s_mul_hi_u32 s29, s30, s28
	s_mul_hi_u32 s23, s30, s22
	s_add_u32 s24, s29, s24
	s_addc_u32 s23, 0, s23
	s_mul_hi_u32 s31, s25, s28
	s_mul_i32 s28, s25, s28
	s_add_u32 s24, s24, s28
	s_mul_hi_u32 s29, s25, s22
	s_addc_u32 s23, s23, s31
	s_addc_u32 s24, s29, 0
	s_mul_i32 s22, s25, s22
	s_add_u32 s22, s23, s22
	s_addc_u32 s23, 0, s24
	s_mul_i32 s23, s42, s23
	s_mul_hi_u32 s24, s42, s22
	s_add_i32 s24, s24, s23
	s_mul_i32 s22, s42, s22
	s_sub_u32 s28, s30, s22
	s_cselect_b64 s[22:23], -1, 0
	s_cmp_lg_u64 s[22:23], 0
	s_subb_u32 s24, s25, s24
	s_sub_u32 s29, s28, s42
	s_cselect_b64 s[22:23], -1, 0
	s_cmp_lg_u64 s[22:23], 0
	s_subb_u32 s31, s24, 0
	;; [unrolled: 4-line block ×3, first 2 shown]
	s_cmp_ge_u32 s29, s42
	s_cselect_b32 s23, -1, 0
	s_cmp_eq_u32 s31, 0
	s_cselect_b32 s23, s23, -1
	s_cmp_lg_u32 s23, 0
	s_cselect_b32 s22, s22, s31
	s_cselect_b32 s29, s36, s29
	s_cmp_ge_u32 s28, s42
	s_cselect_b32 s23, -1, 0
	s_cmp_eq_u32 s24, 0
	s_cselect_b32 s23, s23, -1
	s_cmp_lg_u32 s23, 0
	s_cselect_b32 s23, s22, s24
	s_cselect_b32 s22, s29, s28
	s_cbranch_execnz .LBB117_144
.LBB117_143:                            ;   in Loop: Header=BB117_26 Depth=1
	v_cvt_f32_u32_e32 v2, s42
	s_sub_i32 s22, 0, s42
	v_rcp_iflag_f32_e32 v2, v2
	v_mul_f32_e32 v2, 0x4f7ffffe, v2
	v_cvt_u32_f32_e32 v2, v2
	v_readfirstlane_b32 s23, v2
	s_mul_i32 s22, s22, s23
	s_mul_hi_u32 s22, s23, s22
	s_add_i32 s23, s23, s22
	s_mul_hi_u32 s22, s30, s23
	s_mul_i32 s22, s22, s42
	s_sub_i32 s22, s30, s22
	s_sub_i32 s23, s22, s42
	s_cmp_ge_u32 s22, s42
	s_cselect_b32 s22, s23, s22
	s_sub_i32 s23, s22, s42
	s_cmp_ge_u32 s22, s42
	s_cselect_b32 s48, s23, s22
	s_mov_b64 s[22:23], s[48:49]
.LBB117_144:                            ;   in Loop: Header=BB117_26 Depth=1
	s_sub_u32 s28, s30, s22
	s_subb_u32 s29, s25, s23
	v_cmp_gt_u64_e32 vcc, s[28:29], v[0:1]
	s_mov_b64 s[40:41], 0
	s_mov_b64 s[24:25], 0
                                        ; implicit-def: $vgpr6_vgpr7
	s_and_saveexec_b64 s[36:37], vcc
	s_cbranch_execz .LBB117_159
; %bb.145:                              ;   in Loop: Header=BB117_26 Depth=1
	v_mov_b32_e32 v9, v1
	v_mov_b32_e32 v15, v33
	;; [unrolled: 1-line block ×3, first 2 shown]
                                        ; implicit-def: $sgpr30_sgpr31
	s_branch .LBB117_149
.LBB117_146:                            ;   in Loop: Header=BB117_149 Depth=2
	s_or_b64 exec, exec, s[44:45]
	s_waitcnt lgkmcnt(0)
	s_barrier
	ds_read_b128 v[4:7], v21 offset:3072
	s_waitcnt lgkmcnt(0)
	s_barrier
	v_cmp_neq_f64_e32 vcc, 0, v[4:5]
	s_cbranch_vccnz .LBB117_152
; %bb.147:                              ;   in Loop: Header=BB117_149 Depth=2
	v_add_co_u32_e32 v8, vcc, s42, v8
	v_addc_co_u32_e32 v9, vcc, 0, v9, vcc
	v_cmp_le_u64_e32 vcc, s[28:29], v[8:9]
	v_add_u32_e32 v15, s61, v15
	s_mov_b64 s[22:23], 0
	s_orn2_b64 s[44:45], vcc, exec
.LBB117_148:                            ;   in Loop: Header=BB117_149 Depth=2
	s_and_b64 s[44:45], exec, s[44:45]
	s_or_b64 s[24:25], s[44:45], s[24:25]
	s_andn2_b64 s[30:31], s[30:31], exec
	s_and_b64 s[22:23], s[22:23], exec
	s_or_b64 s[30:31], s[30:31], s[22:23]
	s_andn2_b64 exec, exec, s[24:25]
	s_cbranch_execz .LBB117_158
.LBB117_149:                            ;   Parent Loop BB117_26 Depth=1
                                        ; =>  This Inner Loop Header: Depth=2
	v_cmp_gt_u64_e32 vcc, s[26:27], v[8:9]
	s_and_saveexec_b64 s[44:45], vcc
	s_cbranch_execz .LBB117_146
; %bb.150:                              ;   in Loop: Header=BB117_149 Depth=2
	ds_read_b64 v[4:5], v15
	s_waitcnt lgkmcnt(0)
	v_cmp_o_f64_e32 vcc, v[4:5], v[4:5]
	v_ashrrev_i32_e32 v2, 31, v5
	v_or_b32_e32 v6, 0x80000000, v2
	v_xor_b32_e32 v6, v6, v5
	v_xor_b32_e32 v2, v2, v4
	v_cndmask_b32_e32 v6, -1, v6, vcc
	v_cndmask_b32_e32 v2, -1, v2, vcc
	v_and_b32_e32 v7, v6, v25
	v_and_b32_e32 v6, v2, v24
	v_cmp_eq_u64_e32 vcc, v[6:7], v[22:23]
	s_and_b64 exec, exec, vcc
	s_cbranch_execz .LBB117_146
; %bb.151:                              ;   in Loop: Header=BB117_149 Depth=2
	v_mov_b32_e32 v2, v21
	ds_write_b128 v21, v[2:5] offset:3072
	s_branch .LBB117_146
.LBB117_152:                            ;   in Loop: Header=BB117_149 Depth=2
	s_mov_b64 s[44:45], -1
                                        ; implicit-def: $vgpr8_vgpr9
                                        ; implicit-def: $vgpr15
	s_mov_b64 s[22:23], -1
	s_branch .LBB117_148
.LBB117_153:                            ;   in Loop: Header=BB117_26 Depth=1
                                        ; implicit-def: $sgpr22_sgpr23
	s_andn2_b64 vcc, exec, s[28:29]
	s_cbranch_vccz .LBB117_98
	s_branch .LBB117_99
.LBB117_154:                            ;   in Loop: Header=BB117_26 Depth=1
	s_or_b64 exec, exec, s[14:15]
	s_waitcnt lgkmcnt(0)
	s_barrier
	s_and_saveexec_b64 s[6:7], s[2:3]
	s_cbranch_execz .LBB117_156
; %bb.155:                              ;   in Loop: Header=BB117_26 Depth=1
	ds_read_b32 v4, v21 offset:5144
	s_waitcnt lgkmcnt(0)
	v_ashrrev_i32_e32 v5, 31, v4
	ds_write_b64 v21, v[4:5] offset:5120
.LBB117_156:                            ;   in Loop: Header=BB117_26 Depth=1
	s_or_b64 exec, exec, s[6:7]
	s_waitcnt lgkmcnt(0)
	s_barrier
	s_mov_b64 s[6:7], -1
	s_and_b64 vcc, exec, s[12:13]
	s_cbranch_vccnz .LBB117_42
	s_branch .LBB117_51
.LBB117_157:                            ;   in Loop: Header=BB117_26 Depth=1
                                        ; implicit-def: $sgpr22_sgpr23
	s_branch .LBB117_113
.LBB117_158:                            ;   in Loop: Header=BB117_26 Depth=1
	s_or_b64 exec, exec, s[24:25]
	s_and_b64 s[24:25], s[30:31], exec
.LBB117_159:                            ;   in Loop: Header=BB117_26 Depth=1
	s_or_b64 exec, exec, s[36:37]
.LBB117_160:                            ;   in Loop: Header=BB117_26 Depth=1
	s_and_b64 vcc, exec, s[40:41]
	s_cbranch_vccz .LBB117_175
; %bb.161:                              ;   in Loop: Header=BB117_26 Depth=1
	s_mov_b32 s54, s49
	s_cmp_lg_u64 s[54:55], 0
	s_cbranch_scc0 .LBB117_205
; %bb.162:                              ;   in Loop: Header=BB117_26 Depth=1
	v_cvt_f32_u32_e32 v2, s42
	s_sub_u32 s22, 0, s42
	s_subb_u32 s23, 0, 0
	v_mac_f32_e32 v2, 0, v42
	v_rcp_f32_e32 v2, v2
	v_mul_f32_e32 v2, 0x5f7ffffc, v2
	v_mul_f32_e32 v4, 0x2f800000, v2
	v_trunc_f32_e32 v4, v4
	v_mac_f32_e32 v2, 0xcf800000, v4
	v_cvt_u32_f32_e32 v4, v4
	v_cvt_u32_f32_e32 v2, v2
	v_readfirstlane_b32 s26, v4
	v_readfirstlane_b32 s6, v2
	s_mul_i32 s7, s22, s26
	s_mul_hi_u32 s28, s22, s6
	s_mul_i32 s27, s23, s6
	s_add_i32 s7, s28, s7
	s_mul_i32 s29, s22, s6
	s_add_i32 s7, s7, s27
	s_mul_hi_u32 s28, s6, s29
	s_mul_i32 s30, s6, s7
	s_mul_hi_u32 s27, s6, s7
	s_add_u32 s28, s28, s30
	s_addc_u32 s27, 0, s27
	s_mul_hi_u32 s31, s26, s29
	s_mul_i32 s29, s26, s29
	s_add_u32 s28, s28, s29
	s_mul_hi_u32 s30, s26, s7
	s_addc_u32 s27, s27, s31
	s_addc_u32 s28, s30, 0
	s_mul_i32 s7, s26, s7
	s_add_u32 s7, s27, s7
	s_addc_u32 s27, 0, s28
	s_add_u32 s28, s6, s7
	s_cselect_b64 s[6:7], -1, 0
	s_cmp_lg_u64 s[6:7], 0
	s_addc_u32 s26, s26, s27
	s_mul_i32 s6, s22, s26
	s_mul_hi_u32 s7, s22, s28
	s_add_i32 s6, s7, s6
	s_mul_i32 s23, s23, s28
	s_add_i32 s6, s6, s23
	s_mul_i32 s22, s22, s28
	s_mul_hi_u32 s23, s26, s22
	s_mul_i32 s27, s26, s22
	s_mul_i32 s30, s28, s6
	s_mul_hi_u32 s22, s28, s22
	s_mul_hi_u32 s29, s28, s6
	s_add_u32 s22, s22, s30
	s_addc_u32 s29, 0, s29
	s_add_u32 s22, s22, s27
	s_mul_hi_u32 s7, s26, s6
	s_addc_u32 s22, s29, s23
	s_addc_u32 s7, s7, 0
	s_mul_i32 s6, s26, s6
	s_add_u32 s6, s22, s6
	s_addc_u32 s22, 0, s7
	s_add_u32 s23, s28, s6
	s_cselect_b64 s[6:7], -1, 0
	s_cmp_lg_u64 s[6:7], 0
	s_addc_u32 s6, s26, s22
	s_mul_i32 s22, s59, s6
	s_mul_hi_u32 s26, s59, s23
	s_mul_hi_u32 s7, s59, s6
	s_add_u32 s22, s26, s22
	s_addc_u32 s7, 0, s7
	s_mul_hi_u32 s27, s55, s23
	s_mul_i32 s23, s55, s23
	s_add_u32 s22, s22, s23
	s_mul_hi_u32 s26, s55, s6
	s_addc_u32 s7, s7, s27
	s_addc_u32 s22, s26, 0
	s_mul_i32 s6, s55, s6
	s_add_u32 s6, s7, s6
	s_addc_u32 s7, 0, s22
	s_mul_i32 s7, s42, s7
	s_mul_hi_u32 s22, s42, s6
	s_add_i32 s22, s22, s7
	s_mul_i32 s6, s42, s6
	s_sub_u32 s23, s59, s6
	s_cselect_b64 s[6:7], -1, 0
	s_cmp_lg_u64 s[6:7], 0
	s_subb_u32 s22, s55, s22
	s_sub_u32 s26, s23, s42
	s_cselect_b64 s[6:7], -1, 0
	s_cmp_lg_u64 s[6:7], 0
	s_subb_u32 s27, s22, 0
	;; [unrolled: 4-line block ×3, first 2 shown]
	s_cmp_ge_u32 s26, s42
	s_cselect_b32 s7, -1, 0
	s_cmp_eq_u32 s27, 0
	s_cselect_b32 s7, s7, -1
	s_cmp_lg_u32 s7, 0
	s_cselect_b32 s6, s6, s27
	s_cselect_b32 s26, s28, s26
	s_cmp_ge_u32 s23, s42
	s_cselect_b32 s7, -1, 0
	s_cmp_eq_u32 s22, 0
	s_cselect_b32 s7, s7, -1
	s_cmp_lg_u32 s7, 0
	s_cselect_b32 s7, s6, s22
	s_cselect_b32 s6, s26, s23
	s_cbranch_execnz .LBB117_164
.LBB117_163:                            ;   in Loop: Header=BB117_26 Depth=1
	v_cvt_f32_u32_e32 v2, s42
	s_sub_i32 s6, 0, s42
	v_rcp_iflag_f32_e32 v2, v2
	v_mul_f32_e32 v2, 0x4f7ffffe, v2
	v_cvt_u32_f32_e32 v2, v2
	v_readfirstlane_b32 s7, v2
	s_mul_i32 s6, s6, s7
	s_mul_hi_u32 s6, s7, s6
	s_add_i32 s7, s7, s6
	s_mul_hi_u32 s6, s59, s7
	s_mul_i32 s6, s6, s42
	s_sub_i32 s6, s59, s6
	s_sub_i32 s7, s6, s42
	s_cmp_ge_u32 s6, s42
	s_cselect_b32 s6, s7, s6
	s_sub_i32 s7, s6, s42
	s_cmp_ge_u32 s6, s42
	s_cselect_b32 s48, s7, s6
	s_mov_b64 s[6:7], s[48:49]
.LBB117_164:                            ;   in Loop: Header=BB117_26 Depth=1
	s_sub_u32 s26, s59, s6
	s_subb_u32 s27, s55, s7
	v_cmp_gt_u64_e32 vcc, s[26:27], v[0:1]
                                        ; implicit-def: $vgpr6_vgpr7
	s_and_saveexec_b64 s[6:7], vcc
	s_cbranch_execz .LBB117_174
; %bb.165:                              ;   in Loop: Header=BB117_26 Depth=1
	v_mov_b32_e32 v9, v1
	s_mov_b64 s[28:29], 0
	v_mov_b32_e32 v8, v0
                                        ; implicit-def: $sgpr30_sgpr31
	s_branch .LBB117_169
.LBB117_166:                            ;   in Loop: Header=BB117_169 Depth=2
	s_or_b64 exec, exec, s[36:37]
	s_waitcnt lgkmcnt(0)
	s_barrier
	ds_read_b128 v[4:7], v21 offset:3072
	s_waitcnt lgkmcnt(0)
	s_barrier
	v_cmp_eq_f64_e32 vcc, 0, v[4:5]
	s_cbranch_vccz .LBB117_172
; %bb.167:                              ;   in Loop: Header=BB117_169 Depth=2
	v_add_co_u32_e32 v8, vcc, s42, v8
	v_addc_co_u32_e32 v9, vcc, 0, v9, vcc
	v_cmp_le_u64_e32 vcc, s[26:27], v[8:9]
	s_mov_b64 s[22:23], 0
	s_orn2_b64 s[36:37], vcc, exec
.LBB117_168:                            ;   in Loop: Header=BB117_169 Depth=2
	s_and_b64 s[36:37], exec, s[36:37]
	s_or_b64 s[28:29], s[36:37], s[28:29]
	s_andn2_b64 s[30:31], s[30:31], exec
	s_and_b64 s[22:23], s[22:23], exec
	s_or_b64 s[30:31], s[30:31], s[22:23]
	s_andn2_b64 exec, exec, s[28:29]
	s_cbranch_execz .LBB117_173
.LBB117_169:                            ;   Parent Loop BB117_26 Depth=1
                                        ; =>  This Inner Loop Header: Depth=2
	v_cmp_gt_u64_e32 vcc, s[20:21], v[8:9]
	s_and_saveexec_b64 s[36:37], vcc
	s_cbranch_execz .LBB117_166
; %bb.170:                              ;   in Loop: Header=BB117_169 Depth=2
	v_mul_lo_u32 v2, v9, s38
	v_mul_lo_u32 v6, v8, s39
	v_mad_u64_u32 v[4:5], s[22:23], v8, s38, 0
	v_add3_u32 v5, v5, v6, v2
	v_lshlrev_b64 v[4:5], 3, v[4:5]
	v_mov_b32_e32 v2, s35
	v_add_co_u32_e32 v4, vcc, s33, v4
	v_addc_co_u32_e32 v5, vcc, v2, v5, vcc
	global_load_dwordx2 v[4:5], v[4:5], off
	s_waitcnt vmcnt(0)
	v_cmp_o_f64_e32 vcc, v[4:5], v[4:5]
	v_ashrrev_i32_e32 v2, 31, v5
	v_or_b32_e32 v6, 0x80000000, v2
	v_xor_b32_e32 v6, v6, v5
	v_xor_b32_e32 v2, v2, v4
	v_cndmask_b32_e32 v6, -1, v6, vcc
	v_cndmask_b32_e32 v2, -1, v2, vcc
	v_and_b32_e32 v7, v6, v25
	v_and_b32_e32 v6, v2, v24
	v_cmp_eq_u64_e32 vcc, v[6:7], v[22:23]
	s_and_b64 exec, exec, vcc
	s_cbranch_execz .LBB117_166
; %bb.171:                              ;   in Loop: Header=BB117_169 Depth=2
	v_mov_b32_e32 v2, v21
	ds_write_b128 v21, v[2:5] offset:3072
	s_branch .LBB117_166
.LBB117_172:                            ;   in Loop: Header=BB117_169 Depth=2
	s_mov_b64 s[36:37], -1
                                        ; implicit-def: $vgpr8_vgpr9
	s_mov_b64 s[22:23], -1
	s_branch .LBB117_168
.LBB117_173:                            ;   in Loop: Header=BB117_26 Depth=1
	s_or_b64 exec, exec, s[28:29]
	s_andn2_b64 s[22:23], s[24:25], exec
	s_and_b64 s[24:25], s[30:31], exec
	s_or_b64 s[24:25], s[22:23], s[24:25]
.LBB117_174:                            ;   in Loop: Header=BB117_26 Depth=1
	s_or_b64 exec, exec, s[6:7]
	s_mov_b64 s[6:7], 0
	s_mov_b64 s[80:81], -1
.LBB117_175:                            ;   in Loop: Header=BB117_26 Depth=1
	s_orn2_b64 s[22:23], s[24:25], exec
.LBB117_176:                            ;   in Loop: Header=BB117_26 Depth=1
	s_or_b64 exec, exec, s[84:85]
	s_mov_b64 s[24:25], 0
	s_and_saveexec_b64 s[84:85], s[22:23]
	s_cbranch_execz .LBB117_286
; %bb.177:                              ;   in Loop: Header=BB117_26 Depth=1
	v_mov_b32_e32 v8, 1
	s_xor_b64 s[26:27], s[86:87], -1
	v_mov_b32_e32 v14, 1
	v_mov_b32_e32 v9, 0
	s_mov_b64 s[22:23], 0
	s_and_saveexec_b64 s[24:25], s[26:27]
	s_cbranch_execz .LBB117_187
; %bb.178:                              ;   in Loop: Header=BB117_26 Depth=1
	v_cmp_le_u64_e32 vcc, v[12:13], v[10:11]
	s_and_saveexec_b64 s[22:23], vcc
	s_xor_b64 s[26:27], exec, s[22:23]
	s_cbranch_execz .LBB117_184
; %bb.179:                              ;   in Loop: Header=BB117_26 Depth=1
	ds_read_b64 v[4:5], v21 offset:5120
	s_lshl_b64 s[22:23], 1, s0
	v_and_b32_e32 v2, s83, v23
	v_and_b32_e32 v8, s82, v22
	v_or_b32_e32 v23, s23, v2
	s_waitcnt lgkmcnt(0)
	v_cmp_ne_u64_e32 vcc, 0, v[4:5]
	v_or_b32_e32 v22, s22, v8
	v_or_b32_e32 v25, s13, v25
	;; [unrolled: 1-line block ×3, first 2 shown]
	s_cbranch_vccnz .LBB117_183
; %bb.180:                              ;   in Loop: Header=BB117_26 Depth=1
	s_and_saveexec_b64 s[22:23], s[2:3]
; %bb.181:                              ;   in Loop: Header=BB117_26 Depth=1
	ds_write_b64 v21, v[10:11] offset:5128
; %bb.182:                              ;   in Loop: Header=BB117_26 Depth=1
	s_or_b64 exec, exec, s[22:23]
	s_waitcnt lgkmcnt(0)
	s_barrier
.LBB117_183:                            ;   in Loop: Header=BB117_26 Depth=1
                                        ; implicit-def: $vgpr8_vgpr9_vgpr10_vgpr11
.LBB117_184:                            ;   in Loop: Header=BB117_26 Depth=1
	s_or_saveexec_b64 s[22:23], s[26:27]
	s_mov_b64 s[26:27], 0
	v_mov_b32_e32 v14, 8
	s_xor_b64 exec, exec, s[22:23]
; %bb.185:                              ;   in Loop: Header=BB117_26 Depth=1
	v_sub_co_u32_e32 v12, vcc, v12, v10
	s_mov_b64 s[26:27], exec
	v_subb_co_u32_e32 v13, vcc, v13, v11, vcc
	v_mov_b32_e32 v14, 0
; %bb.186:                              ;   in Loop: Header=BB117_26 Depth=1
	s_or_b64 exec, exec, s[22:23]
	v_mov_b32_e32 v8, v12
	s_and_b64 s[22:23], s[26:27], exec
	v_mov_b32_e32 v9, v13
.LBB117_187:                            ;   in Loop: Header=BB117_26 Depth=1
	s_or_b64 exec, exec, s[24:25]
	s_mov_b64 s[24:25], -1
                                        ; implicit-def: $sgpr88_sgpr89
                                        ; implicit-def: $sgpr90_sgpr91
	s_and_saveexec_b64 s[86:87], s[22:23]
	s_cbranch_execz .LBB117_285
; %bb.188:                              ;   in Loop: Header=BB117_26 Depth=1
	s_cmp_eq_u64 s[78:79], 1
	v_cmp_eq_u64_e32 vcc, 1, v[8:9]
	s_cselect_b64 s[22:23], -1, 0
	s_and_b64 s[94:95], s[22:23], vcc
	s_mov_b64 s[22:23], -1
                                        ; implicit-def: $sgpr90_sgpr91
                                        ; implicit-def: $sgpr88_sgpr89
	s_and_saveexec_b64 s[92:93], s[94:95]
	s_cbranch_execz .LBB117_224
; %bb.189:                              ;   in Loop: Header=BB117_26 Depth=1
	ds_read_b64 v[4:5], v21 offset:5120
	s_waitcnt lgkmcnt(0)
	s_barrier
	v_readfirstlane_b32 s26, v4
	v_readfirstlane_b32 s27, v5
	s_and_saveexec_b64 s[22:23], s[16:17]
; %bb.190:                              ;   in Loop: Header=BB117_26 Depth=1
	v_mov_b32_e32 v20, v21
	ds_write_b64 v34, v[20:21]
; %bb.191:                              ;   in Loop: Header=BB117_26 Depth=1
	s_or_b64 exec, exec, s[22:23]
	s_lshl_b64 s[22:23], 2, s0
	v_and_b32_e32 v2, s83, v23
	v_and_b32_e32 v4, s82, v22
	v_or_b32_e32 v23, s23, v2
	v_or_b32_e32 v22, s22, v4
	;; [unrolled: 1-line block ×4, first 2 shown]
	s_mov_b64 s[88:89], -1
	s_mov_b64 s[90:91], 0
	s_cmp_eq_u64 s[26:27], 0
	s_mov_b64 s[24:25], 0
	s_mov_b64 s[40:41], -1
	s_waitcnt lgkmcnt(0)
	s_barrier
                                        ; implicit-def: $vgpr6_vgpr7
	s_cbranch_scc1 .LBB117_208
; %bb.192:                              ;   in Loop: Header=BB117_26 Depth=1
	s_add_u32 s30, s26, s43
	s_addc_u32 s25, s27, s58
	s_mov_b32 s24, s49
	s_cmp_lg_u64 s[24:25], 0
	s_cbranch_scc0 .LBB117_251
; %bb.193:                              ;   in Loop: Header=BB117_26 Depth=1
	v_cvt_f32_u32_e32 v2, s42
	s_sub_u32 s24, 0, s42
	s_subb_u32 s28, 0, 0
	v_mac_f32_e32 v2, 0, v42
	v_rcp_f32_e32 v2, v2
	v_mul_f32_e32 v2, 0x5f7ffffc, v2
	v_mul_f32_e32 v4, 0x2f800000, v2
	v_trunc_f32_e32 v4, v4
	v_mac_f32_e32 v2, 0xcf800000, v4
	v_cvt_u32_f32_e32 v4, v4
	v_cvt_u32_f32_e32 v2, v2
	v_readfirstlane_b32 s29, v4
	v_readfirstlane_b32 s22, v2
	s_mul_i32 s23, s24, s29
	s_mul_hi_u32 s36, s24, s22
	s_mul_i32 s31, s28, s22
	s_add_i32 s23, s36, s23
	s_mul_i32 s37, s24, s22
	s_add_i32 s23, s23, s31
	s_mul_hi_u32 s36, s22, s37
	s_mul_i32 s40, s22, s23
	s_mul_hi_u32 s31, s22, s23
	s_add_u32 s36, s36, s40
	s_addc_u32 s31, 0, s31
	s_mul_hi_u32 s41, s29, s37
	s_mul_i32 s37, s29, s37
	s_add_u32 s36, s36, s37
	s_mul_hi_u32 s40, s29, s23
	s_addc_u32 s31, s31, s41
	s_addc_u32 s36, s40, 0
	s_mul_i32 s23, s29, s23
	s_add_u32 s23, s31, s23
	s_addc_u32 s31, 0, s36
	s_add_u32 s36, s22, s23
	s_cselect_b64 s[22:23], -1, 0
	s_cmp_lg_u64 s[22:23], 0
	s_addc_u32 s29, s29, s31
	s_mul_i32 s22, s24, s29
	s_mul_hi_u32 s23, s24, s36
	s_add_i32 s22, s23, s22
	s_mul_i32 s28, s28, s36
	s_add_i32 s22, s22, s28
	s_mul_i32 s24, s24, s36
	s_mul_hi_u32 s28, s29, s24
	s_mul_i32 s31, s29, s24
	s_mul_i32 s40, s36, s22
	s_mul_hi_u32 s24, s36, s24
	s_mul_hi_u32 s37, s36, s22
	s_add_u32 s24, s24, s40
	s_addc_u32 s37, 0, s37
	s_add_u32 s24, s24, s31
	s_mul_hi_u32 s23, s29, s22
	s_addc_u32 s24, s37, s28
	s_addc_u32 s23, s23, 0
	s_mul_i32 s22, s29, s22
	s_add_u32 s22, s24, s22
	s_addc_u32 s24, 0, s23
	s_add_u32 s28, s36, s22
	s_cselect_b64 s[22:23], -1, 0
	s_cmp_lg_u64 s[22:23], 0
	s_addc_u32 s22, s29, s24
	s_mul_i32 s24, s30, s22
	s_mul_hi_u32 s29, s30, s28
	s_mul_hi_u32 s23, s30, s22
	s_add_u32 s24, s29, s24
	s_addc_u32 s23, 0, s23
	s_mul_hi_u32 s31, s25, s28
	s_mul_i32 s28, s25, s28
	s_add_u32 s24, s24, s28
	s_mul_hi_u32 s29, s25, s22
	s_addc_u32 s23, s23, s31
	s_addc_u32 s24, s29, 0
	s_mul_i32 s22, s25, s22
	s_add_u32 s22, s23, s22
	s_addc_u32 s23, 0, s24
	s_mul_i32 s23, s42, s23
	s_mul_hi_u32 s24, s42, s22
	s_add_i32 s24, s24, s23
	s_mul_i32 s22, s42, s22
	s_sub_u32 s28, s30, s22
	s_cselect_b64 s[22:23], -1, 0
	s_cmp_lg_u64 s[22:23], 0
	s_subb_u32 s24, s25, s24
	s_sub_u32 s29, s28, s42
	s_cselect_b64 s[22:23], -1, 0
	s_cmp_lg_u64 s[22:23], 0
	s_subb_u32 s31, s24, 0
	;; [unrolled: 4-line block ×3, first 2 shown]
	s_cmp_ge_u32 s29, s42
	s_cselect_b32 s23, -1, 0
	s_cmp_eq_u32 s31, 0
	s_cselect_b32 s23, s23, -1
	s_cmp_lg_u32 s23, 0
	s_cselect_b32 s22, s22, s31
	s_cselect_b32 s29, s36, s29
	s_cmp_ge_u32 s28, s42
	s_cselect_b32 s23, -1, 0
	s_cmp_eq_u32 s24, 0
	s_cselect_b32 s23, s23, -1
	s_cmp_lg_u32 s23, 0
	s_cselect_b32 s23, s22, s24
	s_cselect_b32 s22, s29, s28
	s_cbranch_execnz .LBB117_195
.LBB117_194:                            ;   in Loop: Header=BB117_26 Depth=1
	v_cvt_f32_u32_e32 v2, s42
	s_sub_i32 s22, 0, s42
	v_rcp_iflag_f32_e32 v2, v2
	v_mul_f32_e32 v2, 0x4f7ffffe, v2
	v_cvt_u32_f32_e32 v2, v2
	v_readfirstlane_b32 s23, v2
	s_mul_i32 s22, s22, s23
	s_mul_hi_u32 s22, s23, s22
	s_add_i32 s23, s23, s22
	s_mul_hi_u32 s22, s30, s23
	s_mul_i32 s22, s22, s42
	s_sub_i32 s22, s30, s22
	s_sub_i32 s23, s22, s42
	s_cmp_ge_u32 s22, s42
	s_cselect_b32 s22, s23, s22
	s_sub_i32 s23, s22, s42
	s_cmp_ge_u32 s22, s42
	s_cselect_b32 s48, s23, s22
	s_mov_b64 s[22:23], s[48:49]
.LBB117_195:                            ;   in Loop: Header=BB117_26 Depth=1
	s_sub_u32 s28, s30, s22
	s_subb_u32 s29, s25, s23
	v_cmp_gt_u64_e32 vcc, s[28:29], v[0:1]
	s_mov_b64 s[40:41], 0
	s_mov_b64 s[24:25], 0
                                        ; implicit-def: $vgpr6_vgpr7
	s_and_saveexec_b64 s[36:37], vcc
	s_cbranch_execz .LBB117_207
; %bb.196:                              ;   in Loop: Header=BB117_26 Depth=1
	v_mov_b32_e32 v11, v1
	v_mov_b32_e32 v12, v33
	;; [unrolled: 1-line block ×3, first 2 shown]
                                        ; implicit-def: $sgpr30_sgpr31
	s_branch .LBB117_200
.LBB117_197:                            ;   in Loop: Header=BB117_200 Depth=2
	s_or_b64 exec, exec, s[44:45]
	s_waitcnt lgkmcnt(0)
	s_barrier
	ds_read_b128 v[4:7], v21 offset:3072
	s_waitcnt lgkmcnt(0)
	s_barrier
	v_cmp_neq_f64_e32 vcc, 0, v[4:5]
	s_cbranch_vccnz .LBB117_203
; %bb.198:                              ;   in Loop: Header=BB117_200 Depth=2
	v_add_co_u32_e32 v10, vcc, s42, v10
	v_addc_co_u32_e32 v11, vcc, 0, v11, vcc
	v_cmp_le_u64_e32 vcc, s[28:29], v[10:11]
	v_add_u32_e32 v12, s61, v12
	s_mov_b64 s[22:23], 0
	s_orn2_b64 s[44:45], vcc, exec
.LBB117_199:                            ;   in Loop: Header=BB117_200 Depth=2
	s_and_b64 s[44:45], exec, s[44:45]
	s_or_b64 s[24:25], s[44:45], s[24:25]
	s_andn2_b64 s[30:31], s[30:31], exec
	s_and_b64 s[22:23], s[22:23], exec
	s_or_b64 s[30:31], s[30:31], s[22:23]
	s_andn2_b64 exec, exec, s[24:25]
	s_cbranch_execz .LBB117_206
.LBB117_200:                            ;   Parent Loop BB117_26 Depth=1
                                        ; =>  This Inner Loop Header: Depth=2
	v_cmp_gt_u64_e32 vcc, s[26:27], v[10:11]
	s_and_saveexec_b64 s[44:45], vcc
	s_cbranch_execz .LBB117_197
; %bb.201:                              ;   in Loop: Header=BB117_200 Depth=2
	ds_read_b64 v[4:5], v12
	s_waitcnt lgkmcnt(0)
	v_cmp_o_f64_e32 vcc, v[4:5], v[4:5]
	v_ashrrev_i32_e32 v2, 31, v5
	v_or_b32_e32 v6, 0x80000000, v2
	v_xor_b32_e32 v6, v6, v5
	v_xor_b32_e32 v2, v2, v4
	v_cndmask_b32_e32 v6, -1, v6, vcc
	v_cndmask_b32_e32 v2, -1, v2, vcc
	v_and_b32_e32 v7, v6, v25
	v_and_b32_e32 v6, v2, v24
	v_cmp_eq_u64_e32 vcc, v[6:7], v[22:23]
	s_and_b64 exec, exec, vcc
	s_cbranch_execz .LBB117_197
; %bb.202:                              ;   in Loop: Header=BB117_200 Depth=2
	v_mov_b32_e32 v2, v21
	ds_write_b128 v21, v[2:5] offset:3072
	s_branch .LBB117_197
.LBB117_203:                            ;   in Loop: Header=BB117_200 Depth=2
	s_mov_b64 s[44:45], -1
                                        ; implicit-def: $vgpr10_vgpr11
                                        ; implicit-def: $vgpr12
	s_mov_b64 s[22:23], -1
	s_branch .LBB117_199
.LBB117_204:                            ;   in Loop: Header=BB117_26 Depth=1
                                        ; implicit-def: $sgpr22_sgpr23
	s_branch .LBB117_143
.LBB117_205:                            ;   in Loop: Header=BB117_26 Depth=1
                                        ; implicit-def: $sgpr6_sgpr7
	s_branch .LBB117_163
.LBB117_206:                            ;   in Loop: Header=BB117_26 Depth=1
	s_or_b64 exec, exec, s[24:25]
	s_and_b64 s[24:25], s[30:31], exec
.LBB117_207:                            ;   in Loop: Header=BB117_26 Depth=1
	s_or_b64 exec, exec, s[36:37]
.LBB117_208:                            ;   in Loop: Header=BB117_26 Depth=1
	s_and_b64 vcc, exec, s[40:41]
	s_cbranch_vccz .LBB117_223
; %bb.209:                              ;   in Loop: Header=BB117_26 Depth=1
	s_mov_b32 s54, s49
	s_cmp_lg_u64 s[54:55], 0
	s_cbranch_scc0 .LBB117_252
; %bb.210:                              ;   in Loop: Header=BB117_26 Depth=1
	v_cvt_f32_u32_e32 v2, s42
	s_sub_u32 s26, 0, s42
	s_subb_u32 s27, 0, 0
	v_mac_f32_e32 v2, 0, v42
	v_rcp_f32_e32 v2, v2
	v_mul_f32_e32 v2, 0x5f7ffffc, v2
	v_mul_f32_e32 v4, 0x2f800000, v2
	v_trunc_f32_e32 v4, v4
	v_mac_f32_e32 v2, 0xcf800000, v4
	v_cvt_u32_f32_e32 v4, v4
	v_cvt_u32_f32_e32 v2, v2
	v_readfirstlane_b32 s28, v4
	v_readfirstlane_b32 s22, v2
	s_mul_i32 s23, s26, s28
	s_mul_hi_u32 s30, s26, s22
	s_mul_i32 s29, s27, s22
	s_add_i32 s23, s30, s23
	s_mul_i32 s31, s26, s22
	s_add_i32 s23, s23, s29
	s_mul_hi_u32 s30, s22, s31
	s_mul_i32 s36, s22, s23
	s_mul_hi_u32 s29, s22, s23
	s_add_u32 s30, s30, s36
	s_addc_u32 s29, 0, s29
	s_mul_hi_u32 s37, s28, s31
	s_mul_i32 s31, s28, s31
	s_add_u32 s30, s30, s31
	s_mul_hi_u32 s36, s28, s23
	s_addc_u32 s29, s29, s37
	s_addc_u32 s30, s36, 0
	s_mul_i32 s23, s28, s23
	s_add_u32 s23, s29, s23
	s_addc_u32 s29, 0, s30
	s_add_u32 s30, s22, s23
	s_cselect_b64 s[22:23], -1, 0
	s_cmp_lg_u64 s[22:23], 0
	s_addc_u32 s28, s28, s29
	s_mul_i32 s22, s26, s28
	s_mul_hi_u32 s23, s26, s30
	s_add_i32 s22, s23, s22
	s_mul_i32 s27, s27, s30
	s_add_i32 s22, s22, s27
	s_mul_i32 s26, s26, s30
	s_mul_hi_u32 s27, s28, s26
	s_mul_i32 s29, s28, s26
	s_mul_i32 s36, s30, s22
	s_mul_hi_u32 s26, s30, s26
	s_mul_hi_u32 s31, s30, s22
	s_add_u32 s26, s26, s36
	s_addc_u32 s31, 0, s31
	s_add_u32 s26, s26, s29
	s_mul_hi_u32 s23, s28, s22
	s_addc_u32 s26, s31, s27
	s_addc_u32 s23, s23, 0
	s_mul_i32 s22, s28, s22
	s_add_u32 s22, s26, s22
	s_addc_u32 s26, 0, s23
	s_add_u32 s27, s30, s22
	s_cselect_b64 s[22:23], -1, 0
	s_cmp_lg_u64 s[22:23], 0
	s_addc_u32 s22, s28, s26
	s_mul_i32 s26, s59, s22
	s_mul_hi_u32 s28, s59, s27
	s_mul_hi_u32 s23, s59, s22
	s_add_u32 s26, s28, s26
	s_addc_u32 s23, 0, s23
	s_mul_hi_u32 s29, s55, s27
	s_mul_i32 s27, s55, s27
	s_add_u32 s26, s26, s27
	s_mul_hi_u32 s28, s55, s22
	s_addc_u32 s23, s23, s29
	s_addc_u32 s26, s28, 0
	s_mul_i32 s22, s55, s22
	s_add_u32 s22, s23, s22
	s_addc_u32 s23, 0, s26
	s_mul_i32 s23, s42, s23
	s_mul_hi_u32 s26, s42, s22
	s_add_i32 s26, s26, s23
	s_mul_i32 s22, s42, s22
	s_sub_u32 s27, s59, s22
	s_cselect_b64 s[22:23], -1, 0
	s_cmp_lg_u64 s[22:23], 0
	s_subb_u32 s26, s55, s26
	s_sub_u32 s28, s27, s42
	s_cselect_b64 s[22:23], -1, 0
	s_cmp_lg_u64 s[22:23], 0
	s_subb_u32 s29, s26, 0
	;; [unrolled: 4-line block ×3, first 2 shown]
	s_cmp_ge_u32 s28, s42
	s_cselect_b32 s23, -1, 0
	s_cmp_eq_u32 s29, 0
	s_cselect_b32 s23, s23, -1
	s_cmp_lg_u32 s23, 0
	s_cselect_b32 s22, s22, s29
	s_cselect_b32 s28, s30, s28
	s_cmp_ge_u32 s27, s42
	s_cselect_b32 s23, -1, 0
	s_cmp_eq_u32 s26, 0
	s_cselect_b32 s23, s23, -1
	s_cmp_lg_u32 s23, 0
	s_cselect_b32 s23, s22, s26
	s_cselect_b32 s22, s28, s27
	s_cbranch_execnz .LBB117_212
.LBB117_211:                            ;   in Loop: Header=BB117_26 Depth=1
	v_cvt_f32_u32_e32 v2, s42
	s_sub_i32 s22, 0, s42
	v_rcp_iflag_f32_e32 v2, v2
	v_mul_f32_e32 v2, 0x4f7ffffe, v2
	v_cvt_u32_f32_e32 v2, v2
	v_readfirstlane_b32 s23, v2
	s_mul_i32 s22, s22, s23
	s_mul_hi_u32 s22, s23, s22
	s_add_i32 s23, s23, s22
	s_mul_hi_u32 s22, s59, s23
	s_mul_i32 s22, s22, s42
	s_sub_i32 s22, s59, s22
	s_sub_i32 s23, s22, s42
	s_cmp_ge_u32 s22, s42
	s_cselect_b32 s22, s23, s22
	s_sub_i32 s23, s22, s42
	s_cmp_ge_u32 s22, s42
	s_cselect_b32 s48, s23, s22
	s_mov_b64 s[22:23], s[48:49]
.LBB117_212:                            ;   in Loop: Header=BB117_26 Depth=1
	s_sub_u32 s36, s59, s22
	s_subb_u32 s37, s55, s23
	v_cmp_gt_u64_e32 vcc, s[36:37], v[0:1]
                                        ; implicit-def: $vgpr6_vgpr7
	s_and_saveexec_b64 s[26:27], vcc
	s_cbranch_execz .LBB117_222
; %bb.213:                              ;   in Loop: Header=BB117_26 Depth=1
	v_mov_b32_e32 v11, v1
	s_mov_b64 s[28:29], 0
	v_mov_b32_e32 v10, v0
                                        ; implicit-def: $sgpr30_sgpr31
	s_branch .LBB117_217
.LBB117_214:                            ;   in Loop: Header=BB117_217 Depth=2
	s_or_b64 exec, exec, s[40:41]
	s_waitcnt lgkmcnt(0)
	s_barrier
	ds_read_b128 v[4:7], v21 offset:3072
	s_waitcnt lgkmcnt(0)
	s_barrier
	v_cmp_eq_f64_e32 vcc, 0, v[4:5]
	s_cbranch_vccz .LBB117_220
; %bb.215:                              ;   in Loop: Header=BB117_217 Depth=2
	v_add_co_u32_e32 v10, vcc, s42, v10
	v_addc_co_u32_e32 v11, vcc, 0, v11, vcc
	v_cmp_le_u64_e32 vcc, s[36:37], v[10:11]
	s_mov_b64 s[22:23], 0
	s_orn2_b64 s[40:41], vcc, exec
.LBB117_216:                            ;   in Loop: Header=BB117_217 Depth=2
	s_and_b64 s[40:41], exec, s[40:41]
	s_or_b64 s[28:29], s[40:41], s[28:29]
	s_andn2_b64 s[30:31], s[30:31], exec
	s_and_b64 s[22:23], s[22:23], exec
	s_or_b64 s[30:31], s[30:31], s[22:23]
	s_andn2_b64 exec, exec, s[28:29]
	s_cbranch_execz .LBB117_221
.LBB117_217:                            ;   Parent Loop BB117_26 Depth=1
                                        ; =>  This Inner Loop Header: Depth=2
	v_cmp_gt_u64_e32 vcc, s[20:21], v[10:11]
	s_and_saveexec_b64 s[40:41], vcc
	s_cbranch_execz .LBB117_214
; %bb.218:                              ;   in Loop: Header=BB117_217 Depth=2
	v_mul_lo_u32 v2, v11, s38
	v_mul_lo_u32 v6, v10, s39
	v_mad_u64_u32 v[4:5], s[22:23], v10, s38, 0
	v_add3_u32 v5, v5, v6, v2
	v_lshlrev_b64 v[4:5], 3, v[4:5]
	v_mov_b32_e32 v2, s35
	v_add_co_u32_e32 v4, vcc, s33, v4
	v_addc_co_u32_e32 v5, vcc, v2, v5, vcc
	global_load_dwordx2 v[4:5], v[4:5], off
	s_waitcnt vmcnt(0)
	v_cmp_o_f64_e32 vcc, v[4:5], v[4:5]
	v_ashrrev_i32_e32 v2, 31, v5
	v_or_b32_e32 v6, 0x80000000, v2
	v_xor_b32_e32 v6, v6, v5
	v_xor_b32_e32 v2, v2, v4
	v_cndmask_b32_e32 v6, -1, v6, vcc
	v_cndmask_b32_e32 v2, -1, v2, vcc
	v_and_b32_e32 v7, v6, v25
	v_and_b32_e32 v6, v2, v24
	v_cmp_eq_u64_e32 vcc, v[6:7], v[22:23]
	s_and_b64 exec, exec, vcc
	s_cbranch_execz .LBB117_214
; %bb.219:                              ;   in Loop: Header=BB117_217 Depth=2
	v_mov_b32_e32 v2, v21
	ds_write_b128 v21, v[2:5] offset:3072
	s_branch .LBB117_214
.LBB117_220:                            ;   in Loop: Header=BB117_217 Depth=2
	s_mov_b64 s[40:41], -1
                                        ; implicit-def: $vgpr10_vgpr11
	s_mov_b64 s[22:23], -1
	s_branch .LBB117_216
.LBB117_221:                            ;   in Loop: Header=BB117_26 Depth=1
	s_or_b64 exec, exec, s[28:29]
	s_andn2_b64 s[22:23], s[24:25], exec
	s_and_b64 s[24:25], s[30:31], exec
	s_or_b64 s[24:25], s[22:23], s[24:25]
.LBB117_222:                            ;   in Loop: Header=BB117_26 Depth=1
	s_or_b64 exec, exec, s[26:27]
	s_mov_b64 s[88:89], 0
	s_mov_b64 s[90:91], -1
.LBB117_223:                            ;   in Loop: Header=BB117_26 Depth=1
	s_orn2_b64 s[22:23], s[24:25], exec
.LBB117_224:                            ;   in Loop: Header=BB117_26 Depth=1
	s_or_b64 exec, exec, s[92:93]
	s_mov_b64 s[24:25], 0
	s_and_saveexec_b64 s[92:93], s[22:23]
	s_cbranch_execz .LBB117_284
; %bb.225:                              ;   in Loop: Header=BB117_26 Depth=1
	v_mov_b32_e32 v10, 1
	s_xor_b64 s[26:27], s[94:95], -1
	v_mov_b32_e32 v14, 1
	v_mov_b32_e32 v11, 0
	s_mov_b64 s[22:23], 0
	s_and_saveexec_b64 s[24:25], s[26:27]
	s_cbranch_execz .LBB117_234
; %bb.226:                              ;   in Loop: Header=BB117_26 Depth=1
	v_cmp_ge_u64_e32 vcc, s[78:79], v[8:9]
	s_and_saveexec_b64 s[22:23], vcc
	s_xor_b64 s[26:27], exec, s[22:23]
	s_cbranch_execz .LBB117_231
; %bb.227:                              ;   in Loop: Header=BB117_26 Depth=1
	s_lshl_b64 s[22:23], 2, s0
	v_and_b32_e32 v4, s82, v22
	v_or_b32_e32 v22, s22, v4
	ds_read_b64 v[4:5], v21 offset:5120
	v_and_b32_e32 v2, s83, v23
	v_or_b32_e32 v23, s23, v2
	v_or_b32_e32 v25, s13, v25
	;; [unrolled: 1-line block ×3, first 2 shown]
	s_waitcnt lgkmcnt(0)
	v_cmp_ne_u64_e32 vcc, 0, v[4:5]
	s_cbranch_vccnz .LBB117_231
; %bb.228:                              ;   in Loop: Header=BB117_26 Depth=1
	s_and_saveexec_b64 s[22:23], s[2:3]
; %bb.229:                              ;   in Loop: Header=BB117_26 Depth=1
	v_mov_b32_e32 v4, s78
	v_mov_b32_e32 v5, s79
	ds_write_b64 v21, v[4:5] offset:5128
; %bb.230:                              ;   in Loop: Header=BB117_26 Depth=1
	s_or_b64 exec, exec, s[22:23]
	s_waitcnt lgkmcnt(0)
	s_barrier
.LBB117_231:                            ;   in Loop: Header=BB117_26 Depth=1
	s_or_saveexec_b64 s[26:27], s[26:27]
	s_mov_b64 s[28:29], 0
	v_mov_b32_e32 v14, 8
	s_xor_b64 exec, exec, s[26:27]
; %bb.232:                              ;   in Loop: Header=BB117_26 Depth=1
	v_subrev_co_u32_e32 v8, vcc, s78, v8
	v_mov_b32_e32 v2, s79
	v_subb_co_u32_e32 v9, vcc, v9, v2, vcc
	v_mov_b32_e32 v14, 0
	s_mov_b64 s[28:29], exec
; %bb.233:                              ;   in Loop: Header=BB117_26 Depth=1
	s_or_b64 exec, exec, s[26:27]
	v_mov_b32_e32 v11, v9
	s_and_b64 s[22:23], s[28:29], exec
	v_mov_b32_e32 v10, v8
.LBB117_234:                            ;   in Loop: Header=BB117_26 Depth=1
	s_or_b64 exec, exec, s[24:25]
	s_mov_b64 s[26:27], -1
                                        ; implicit-def: $sgpr24_sgpr25
                                        ; implicit-def: $sgpr40_sgpr41
	s_and_saveexec_b64 s[78:79], s[22:23]
	s_cbranch_execz .LBB117_283
; %bb.235:                              ;   in Loop: Header=BB117_26 Depth=1
	s_cmp_eq_u64 s[10:11], 1
	v_cmp_eq_u64_e32 vcc, 1, v[10:11]
	s_cselect_b64 s[22:23], -1, 0
	s_and_b64 s[82:83], s[22:23], vcc
	s_mov_b64 s[22:23], -1
                                        ; implicit-def: $sgpr24_sgpr25
                                        ; implicit-def: $sgpr40_sgpr41
	s_and_saveexec_b64 s[94:95], s[82:83]
	s_cbranch_execz .LBB117_271
; %bb.236:                              ;   in Loop: Header=BB117_26 Depth=1
	ds_read_b64 v[4:5], v21 offset:5120
	s_waitcnt lgkmcnt(0)
	s_barrier
	v_readfirstlane_b32 s46, v4
	v_readfirstlane_b32 s47, v5
	s_and_saveexec_b64 s[22:23], s[16:17]
; %bb.237:                              ;   in Loop: Header=BB117_26 Depth=1
	v_mov_b32_e32 v20, v21
	ds_write_b64 v34, v[20:21]
; %bb.238:                              ;   in Loop: Header=BB117_26 Depth=1
	s_or_b64 exec, exec, s[22:23]
	v_or_b32_e32 v23, s13, v23
	v_or_b32_e32 v22, s12, v22
	;; [unrolled: 1-line block ×4, first 2 shown]
	s_mov_b64 s[40:41], -1
	s_mov_b64 s[24:25], 0
	s_cmp_eq_u64 s[46:47], 0
	s_mov_b64 s[26:27], 0
	s_mov_b64 s[36:37], -1
	s_waitcnt lgkmcnt(0)
	s_barrier
                                        ; implicit-def: $vgpr6_vgpr7
	s_cbranch_scc1 .LBB117_255
; %bb.239:                              ;   in Loop: Header=BB117_26 Depth=1
	s_add_u32 s30, s46, s43
	s_addc_u32 s27, s47, s58
	s_mov_b32 s26, s49
	s_cmp_lg_u64 s[26:27], 0
	s_cbranch_scc0 .LBB117_290
; %bb.240:                              ;   in Loop: Header=BB117_26 Depth=1
	v_cvt_f32_u32_e32 v2, s42
	s_sub_u32 s26, 0, s42
	s_subb_u32 s28, 0, 0
	v_mac_f32_e32 v2, 0, v42
	v_rcp_f32_e32 v2, v2
	v_mul_f32_e32 v2, 0x5f7ffffc, v2
	v_mul_f32_e32 v4, 0x2f800000, v2
	v_trunc_f32_e32 v4, v4
	v_mac_f32_e32 v2, 0xcf800000, v4
	v_cvt_u32_f32_e32 v4, v4
	v_cvt_u32_f32_e32 v2, v2
	v_readfirstlane_b32 s29, v4
	v_readfirstlane_b32 s22, v2
	s_mul_i32 s23, s26, s29
	s_mul_hi_u32 s36, s26, s22
	s_mul_i32 s31, s28, s22
	s_add_i32 s23, s36, s23
	s_mul_i32 s37, s26, s22
	s_add_i32 s23, s23, s31
	s_mul_hi_u32 s36, s22, s37
	s_mul_i32 s44, s22, s23
	s_mul_hi_u32 s31, s22, s23
	s_add_u32 s36, s36, s44
	s_addc_u32 s31, 0, s31
	s_mul_hi_u32 s45, s29, s37
	s_mul_i32 s37, s29, s37
	s_add_u32 s36, s36, s37
	s_mul_hi_u32 s44, s29, s23
	s_addc_u32 s31, s31, s45
	s_addc_u32 s36, s44, 0
	s_mul_i32 s23, s29, s23
	s_add_u32 s23, s31, s23
	s_addc_u32 s31, 0, s36
	s_add_u32 s36, s22, s23
	s_cselect_b64 s[22:23], -1, 0
	s_cmp_lg_u64 s[22:23], 0
	s_addc_u32 s29, s29, s31
	s_mul_i32 s22, s26, s29
	s_mul_hi_u32 s23, s26, s36
	s_add_i32 s22, s23, s22
	s_mul_i32 s28, s28, s36
	s_add_i32 s22, s22, s28
	s_mul_i32 s26, s26, s36
	s_mul_hi_u32 s28, s29, s26
	s_mul_i32 s31, s29, s26
	s_mul_i32 s44, s36, s22
	s_mul_hi_u32 s26, s36, s26
	s_mul_hi_u32 s37, s36, s22
	s_add_u32 s26, s26, s44
	s_addc_u32 s37, 0, s37
	s_add_u32 s26, s26, s31
	s_mul_hi_u32 s23, s29, s22
	s_addc_u32 s26, s37, s28
	s_addc_u32 s23, s23, 0
	s_mul_i32 s22, s29, s22
	s_add_u32 s22, s26, s22
	s_addc_u32 s26, 0, s23
	s_add_u32 s28, s36, s22
	s_cselect_b64 s[22:23], -1, 0
	s_cmp_lg_u64 s[22:23], 0
	s_addc_u32 s22, s29, s26
	s_mul_i32 s26, s30, s22
	s_mul_hi_u32 s29, s30, s28
	s_mul_hi_u32 s23, s30, s22
	s_add_u32 s26, s29, s26
	s_addc_u32 s23, 0, s23
	s_mul_hi_u32 s31, s27, s28
	s_mul_i32 s28, s27, s28
	s_add_u32 s26, s26, s28
	s_mul_hi_u32 s29, s27, s22
	s_addc_u32 s23, s23, s31
	s_addc_u32 s26, s29, 0
	s_mul_i32 s22, s27, s22
	s_add_u32 s22, s23, s22
	s_addc_u32 s23, 0, s26
	s_mul_i32 s23, s42, s23
	s_mul_hi_u32 s26, s42, s22
	s_add_i32 s26, s26, s23
	s_mul_i32 s22, s42, s22
	s_sub_u32 s28, s30, s22
	s_cselect_b64 s[22:23], -1, 0
	s_cmp_lg_u64 s[22:23], 0
	s_subb_u32 s26, s27, s26
	s_sub_u32 s29, s28, s42
	s_cselect_b64 s[22:23], -1, 0
	s_cmp_lg_u64 s[22:23], 0
	s_subb_u32 s31, s26, 0
	;; [unrolled: 4-line block ×3, first 2 shown]
	s_cmp_ge_u32 s29, s42
	s_cselect_b32 s23, -1, 0
	s_cmp_eq_u32 s31, 0
	s_cselect_b32 s23, s23, -1
	s_cmp_lg_u32 s23, 0
	s_cselect_b32 s22, s22, s31
	s_cselect_b32 s29, s36, s29
	s_cmp_ge_u32 s28, s42
	s_cselect_b32 s23, -1, 0
	s_cmp_eq_u32 s26, 0
	s_cselect_b32 s23, s23, -1
	s_cmp_lg_u32 s23, 0
	s_cselect_b32 s23, s22, s26
	s_cselect_b32 s22, s29, s28
	s_cbranch_execnz .LBB117_242
.LBB117_241:                            ;   in Loop: Header=BB117_26 Depth=1
	v_cvt_f32_u32_e32 v2, s42
	s_sub_i32 s22, 0, s42
	v_rcp_iflag_f32_e32 v2, v2
	v_mul_f32_e32 v2, 0x4f7ffffe, v2
	v_cvt_u32_f32_e32 v2, v2
	v_readfirstlane_b32 s23, v2
	s_mul_i32 s22, s22, s23
	s_mul_hi_u32 s22, s23, s22
	s_add_i32 s23, s23, s22
	s_mul_hi_u32 s22, s30, s23
	s_mul_i32 s22, s22, s42
	s_sub_i32 s22, s30, s22
	s_sub_i32 s23, s22, s42
	s_cmp_ge_u32 s22, s42
	s_cselect_b32 s22, s23, s22
	s_sub_i32 s23, s22, s42
	s_cmp_ge_u32 s22, s42
	s_cselect_b32 s48, s23, s22
	s_mov_b64 s[22:23], s[48:49]
.LBB117_242:                            ;   in Loop: Header=BB117_26 Depth=1
	s_sub_u32 s30, s30, s22
	s_subb_u32 s31, s27, s23
	v_cmp_gt_u64_e32 vcc, s[30:31], v[0:1]
	s_mov_b64 s[36:37], 0
	s_mov_b64 s[26:27], 0
                                        ; implicit-def: $vgpr6_vgpr7
	s_and_saveexec_b64 s[28:29], vcc
	s_cbranch_execz .LBB117_254
; %bb.243:                              ;   in Loop: Header=BB117_26 Depth=1
	v_mov_b32_e32 v9, v1
	v_mov_b32_e32 v12, v33
	;; [unrolled: 1-line block ×3, first 2 shown]
                                        ; implicit-def: $sgpr44_sgpr45
	s_branch .LBB117_247
.LBB117_244:                            ;   in Loop: Header=BB117_247 Depth=2
	s_or_b64 exec, exec, s[22:23]
	s_waitcnt lgkmcnt(0)
	s_barrier
	ds_read_b128 v[4:7], v21 offset:3072
	s_waitcnt lgkmcnt(0)
	s_barrier
	v_cmp_neq_f64_e32 vcc, 0, v[4:5]
	s_cbranch_vccnz .LBB117_250
; %bb.245:                              ;   in Loop: Header=BB117_247 Depth=2
	v_add_co_u32_e32 v8, vcc, s42, v8
	v_addc_co_u32_e32 v9, vcc, 0, v9, vcc
	v_cmp_le_u64_e32 vcc, s[30:31], v[8:9]
	v_add_u32_e32 v12, s61, v12
	s_mov_b64 s[22:23], 0
	s_orn2_b64 vcc, vcc, exec
.LBB117_246:                            ;   in Loop: Header=BB117_247 Depth=2
	s_and_b64 vcc, exec, vcc
	s_or_b64 s[26:27], vcc, s[26:27]
	s_andn2_b64 s[44:45], s[44:45], exec
	s_and_b64 s[22:23], s[22:23], exec
	s_or_b64 s[44:45], s[44:45], s[22:23]
	s_andn2_b64 exec, exec, s[26:27]
	s_cbranch_execz .LBB117_253
.LBB117_247:                            ;   Parent Loop BB117_26 Depth=1
                                        ; =>  This Inner Loop Header: Depth=2
	v_cmp_gt_u64_e32 vcc, s[46:47], v[8:9]
	s_and_saveexec_b64 s[22:23], vcc
	s_cbranch_execz .LBB117_244
; %bb.248:                              ;   in Loop: Header=BB117_247 Depth=2
	ds_read_b64 v[4:5], v12
	s_waitcnt lgkmcnt(0)
	v_cmp_o_f64_e32 vcc, v[4:5], v[4:5]
	v_ashrrev_i32_e32 v2, 31, v5
	v_or_b32_e32 v6, 0x80000000, v2
	v_xor_b32_e32 v6, v6, v5
	v_xor_b32_e32 v2, v2, v4
	v_cndmask_b32_e32 v6, -1, v6, vcc
	v_cndmask_b32_e32 v2, -1, v2, vcc
	v_and_b32_e32 v7, v6, v25
	v_and_b32_e32 v6, v2, v24
	v_cmp_eq_u64_e32 vcc, v[6:7], v[22:23]
	s_and_b64 exec, exec, vcc
	s_cbranch_execz .LBB117_244
; %bb.249:                              ;   in Loop: Header=BB117_247 Depth=2
	v_mov_b32_e32 v2, v21
	ds_write_b128 v21, v[2:5] offset:3072
	s_branch .LBB117_244
.LBB117_250:                            ;   in Loop: Header=BB117_247 Depth=2
	s_mov_b64 vcc, -1
                                        ; implicit-def: $vgpr8_vgpr9
                                        ; implicit-def: $vgpr12
	s_mov_b64 s[22:23], -1
	s_branch .LBB117_246
.LBB117_251:                            ;   in Loop: Header=BB117_26 Depth=1
                                        ; implicit-def: $sgpr22_sgpr23
	s_branch .LBB117_194
.LBB117_252:                            ;   in Loop: Header=BB117_26 Depth=1
                                        ; implicit-def: $sgpr22_sgpr23
	s_branch .LBB117_211
.LBB117_253:                            ;   in Loop: Header=BB117_26 Depth=1
	s_or_b64 exec, exec, s[26:27]
	s_and_b64 s[26:27], s[44:45], exec
.LBB117_254:                            ;   in Loop: Header=BB117_26 Depth=1
	s_or_b64 exec, exec, s[28:29]
.LBB117_255:                            ;   in Loop: Header=BB117_26 Depth=1
	s_and_b64 vcc, exec, s[36:37]
	s_cbranch_vccz .LBB117_270
; %bb.256:                              ;   in Loop: Header=BB117_26 Depth=1
	s_mov_b32 s54, s49
	s_cmp_lg_u64 s[54:55], 0
	s_cbranch_scc0 .LBB117_291
; %bb.257:                              ;   in Loop: Header=BB117_26 Depth=1
	v_cvt_f32_u32_e32 v2, s42
	s_sub_u32 s24, 0, s42
	s_subb_u32 s25, 0, 0
	v_mac_f32_e32 v2, 0, v42
	v_rcp_f32_e32 v2, v2
	v_mul_f32_e32 v2, 0x5f7ffffc, v2
	v_mul_f32_e32 v4, 0x2f800000, v2
	v_trunc_f32_e32 v4, v4
	v_mac_f32_e32 v2, 0xcf800000, v4
	v_cvt_u32_f32_e32 v4, v4
	v_cvt_u32_f32_e32 v2, v2
	v_readfirstlane_b32 s28, v4
	v_readfirstlane_b32 s22, v2
	s_mul_i32 s23, s24, s28
	s_mul_hi_u32 s30, s24, s22
	s_mul_i32 s29, s25, s22
	s_add_i32 s23, s30, s23
	s_mul_i32 s31, s24, s22
	s_add_i32 s23, s23, s29
	s_mul_hi_u32 s30, s22, s31
	s_mul_i32 s36, s22, s23
	s_mul_hi_u32 s29, s22, s23
	s_add_u32 s30, s30, s36
	s_addc_u32 s29, 0, s29
	s_mul_hi_u32 s37, s28, s31
	s_mul_i32 s31, s28, s31
	s_add_u32 s30, s30, s31
	s_mul_hi_u32 s36, s28, s23
	s_addc_u32 s29, s29, s37
	s_addc_u32 s30, s36, 0
	s_mul_i32 s23, s28, s23
	s_add_u32 s23, s29, s23
	s_addc_u32 s29, 0, s30
	s_add_u32 s30, s22, s23
	s_cselect_b64 s[22:23], -1, 0
	s_cmp_lg_u64 s[22:23], 0
	s_addc_u32 s28, s28, s29
	s_mul_i32 s22, s24, s28
	s_mul_hi_u32 s23, s24, s30
	s_add_i32 s22, s23, s22
	s_mul_i32 s25, s25, s30
	s_add_i32 s22, s22, s25
	s_mul_i32 s24, s24, s30
	s_mul_hi_u32 s25, s28, s24
	s_mul_i32 s29, s28, s24
	s_mul_i32 s36, s30, s22
	s_mul_hi_u32 s24, s30, s24
	s_mul_hi_u32 s31, s30, s22
	s_add_u32 s24, s24, s36
	s_addc_u32 s31, 0, s31
	s_add_u32 s24, s24, s29
	s_mul_hi_u32 s23, s28, s22
	s_addc_u32 s24, s31, s25
	s_addc_u32 s23, s23, 0
	s_mul_i32 s22, s28, s22
	s_add_u32 s22, s24, s22
	s_addc_u32 s24, 0, s23
	s_add_u32 s25, s30, s22
	s_cselect_b64 s[22:23], -1, 0
	s_cmp_lg_u64 s[22:23], 0
	s_addc_u32 s22, s28, s24
	s_mul_i32 s24, s59, s22
	s_mul_hi_u32 s28, s59, s25
	s_mul_hi_u32 s23, s59, s22
	s_add_u32 s24, s28, s24
	s_addc_u32 s23, 0, s23
	s_mul_hi_u32 s29, s55, s25
	s_mul_i32 s25, s55, s25
	s_add_u32 s24, s24, s25
	s_mul_hi_u32 s28, s55, s22
	s_addc_u32 s23, s23, s29
	s_addc_u32 s24, s28, 0
	s_mul_i32 s22, s55, s22
	s_add_u32 s22, s23, s22
	s_addc_u32 s23, 0, s24
	s_mul_i32 s23, s42, s23
	s_mul_hi_u32 s24, s42, s22
	s_add_i32 s24, s24, s23
	s_mul_i32 s22, s42, s22
	s_sub_u32 s25, s59, s22
	s_cselect_b64 s[22:23], -1, 0
	s_cmp_lg_u64 s[22:23], 0
	s_subb_u32 s24, s55, s24
	s_sub_u32 s28, s25, s42
	s_cselect_b64 s[22:23], -1, 0
	s_cmp_lg_u64 s[22:23], 0
	s_subb_u32 s29, s24, 0
	;; [unrolled: 4-line block ×3, first 2 shown]
	s_cmp_ge_u32 s28, s42
	s_cselect_b32 s23, -1, 0
	s_cmp_eq_u32 s29, 0
	s_cselect_b32 s23, s23, -1
	s_cmp_lg_u32 s23, 0
	s_cselect_b32 s22, s22, s29
	s_cselect_b32 s28, s30, s28
	s_cmp_ge_u32 s25, s42
	s_cselect_b32 s23, -1, 0
	s_cmp_eq_u32 s24, 0
	s_cselect_b32 s23, s23, -1
	s_cmp_lg_u32 s23, 0
	s_cselect_b32 s23, s22, s24
	s_cselect_b32 s22, s28, s25
	s_cbranch_execnz .LBB117_259
.LBB117_258:                            ;   in Loop: Header=BB117_26 Depth=1
	v_cvt_f32_u32_e32 v2, s42
	s_sub_i32 s22, 0, s42
	v_rcp_iflag_f32_e32 v2, v2
	v_mul_f32_e32 v2, 0x4f7ffffe, v2
	v_cvt_u32_f32_e32 v2, v2
	v_readfirstlane_b32 s23, v2
	s_mul_i32 s22, s22, s23
	s_mul_hi_u32 s22, s23, s22
	s_add_i32 s23, s23, s22
	s_mul_hi_u32 s22, s59, s23
	s_mul_i32 s22, s22, s42
	s_sub_i32 s22, s59, s22
	s_sub_i32 s23, s22, s42
	s_cmp_ge_u32 s22, s42
	s_cselect_b32 s22, s23, s22
	s_sub_i32 s23, s22, s42
	s_cmp_ge_u32 s22, s42
	s_cselect_b32 s48, s23, s22
	s_mov_b64 s[22:23], s[48:49]
.LBB117_259:                            ;   in Loop: Header=BB117_26 Depth=1
	s_sub_u32 s36, s59, s22
	s_subb_u32 s37, s55, s23
	v_cmp_gt_u64_e32 vcc, s[36:37], v[0:1]
                                        ; implicit-def: $vgpr6_vgpr7
	s_and_saveexec_b64 s[24:25], vcc
	s_cbranch_execz .LBB117_269
; %bb.260:                              ;   in Loop: Header=BB117_26 Depth=1
	v_mov_b32_e32 v9, v1
	s_mov_b64 s[28:29], 0
	v_mov_b32_e32 v8, v0
                                        ; implicit-def: $sgpr30_sgpr31
	s_branch .LBB117_264
.LBB117_261:                            ;   in Loop: Header=BB117_264 Depth=2
	s_or_b64 exec, exec, s[40:41]
	s_waitcnt lgkmcnt(0)
	s_barrier
	ds_read_b128 v[4:7], v21 offset:3072
	s_waitcnt lgkmcnt(0)
	s_barrier
	v_cmp_eq_f64_e32 vcc, 0, v[4:5]
	s_cbranch_vccz .LBB117_267
; %bb.262:                              ;   in Loop: Header=BB117_264 Depth=2
	v_add_co_u32_e32 v8, vcc, s42, v8
	v_addc_co_u32_e32 v9, vcc, 0, v9, vcc
	v_cmp_le_u64_e32 vcc, s[36:37], v[8:9]
	s_mov_b64 s[22:23], 0
	s_orn2_b64 s[40:41], vcc, exec
.LBB117_263:                            ;   in Loop: Header=BB117_264 Depth=2
	s_and_b64 s[40:41], exec, s[40:41]
	s_or_b64 s[28:29], s[40:41], s[28:29]
	s_andn2_b64 s[30:31], s[30:31], exec
	s_and_b64 s[22:23], s[22:23], exec
	s_or_b64 s[30:31], s[30:31], s[22:23]
	s_andn2_b64 exec, exec, s[28:29]
	s_cbranch_execz .LBB117_268
.LBB117_264:                            ;   Parent Loop BB117_26 Depth=1
                                        ; =>  This Inner Loop Header: Depth=2
	v_cmp_gt_u64_e32 vcc, s[20:21], v[8:9]
	s_and_saveexec_b64 s[40:41], vcc
	s_cbranch_execz .LBB117_261
; %bb.265:                              ;   in Loop: Header=BB117_264 Depth=2
	v_mul_lo_u32 v2, v9, s38
	v_mul_lo_u32 v6, v8, s39
	v_mad_u64_u32 v[4:5], s[22:23], v8, s38, 0
	v_add3_u32 v5, v5, v6, v2
	v_lshlrev_b64 v[4:5], 3, v[4:5]
	v_mov_b32_e32 v2, s35
	v_add_co_u32_e32 v4, vcc, s33, v4
	v_addc_co_u32_e32 v5, vcc, v2, v5, vcc
	global_load_dwordx2 v[4:5], v[4:5], off
	s_waitcnt vmcnt(0)
	v_cmp_o_f64_e32 vcc, v[4:5], v[4:5]
	v_ashrrev_i32_e32 v2, 31, v5
	v_or_b32_e32 v6, 0x80000000, v2
	v_xor_b32_e32 v6, v6, v5
	v_xor_b32_e32 v2, v2, v4
	v_cndmask_b32_e32 v6, -1, v6, vcc
	v_cndmask_b32_e32 v2, -1, v2, vcc
	v_and_b32_e32 v7, v6, v25
	v_and_b32_e32 v6, v2, v24
	v_cmp_eq_u64_e32 vcc, v[6:7], v[22:23]
	s_and_b64 exec, exec, vcc
	s_cbranch_execz .LBB117_261
; %bb.266:                              ;   in Loop: Header=BB117_264 Depth=2
	v_mov_b32_e32 v2, v21
	ds_write_b128 v21, v[2:5] offset:3072
	s_branch .LBB117_261
.LBB117_267:                            ;   in Loop: Header=BB117_264 Depth=2
	s_mov_b64 s[40:41], -1
                                        ; implicit-def: $vgpr8_vgpr9
	s_mov_b64 s[22:23], -1
	s_branch .LBB117_263
.LBB117_268:                            ;   in Loop: Header=BB117_26 Depth=1
	s_or_b64 exec, exec, s[28:29]
	s_andn2_b64 s[22:23], s[26:27], exec
	s_and_b64 s[26:27], s[30:31], exec
	s_or_b64 s[26:27], s[22:23], s[26:27]
.LBB117_269:                            ;   in Loop: Header=BB117_26 Depth=1
	s_or_b64 exec, exec, s[24:25]
	s_mov_b64 s[40:41], 0
	s_mov_b64 s[24:25], -1
.LBB117_270:                            ;   in Loop: Header=BB117_26 Depth=1
	s_orn2_b64 s[22:23], s[26:27], exec
.LBB117_271:                            ;   in Loop: Header=BB117_26 Depth=1
	s_or_b64 exec, exec, s[94:95]
	s_mov_b64 s[28:29], 0
	s_and_saveexec_b64 s[26:27], s[22:23]
	s_cbranch_execz .LBB117_282
; %bb.272:                              ;   in Loop: Header=BB117_26 Depth=1
	v_mov_b32_e32 v4, 1
	s_xor_b64 s[22:23], s[82:83], -1
	v_mov_b32_e32 v5, 0
	v_mov_b32_e32 v14, 1
	s_and_saveexec_b64 s[36:37], s[22:23]
	s_cbranch_execz .LBB117_281
; %bb.273:                              ;   in Loop: Header=BB117_26 Depth=1
	v_cmp_ge_u64_e32 vcc, s[10:11], v[10:11]
	s_and_saveexec_b64 s[22:23], vcc
	s_xor_b64 s[28:29], exec, s[22:23]
	s_cbranch_execz .LBB117_278
; %bb.274:                              ;   in Loop: Header=BB117_26 Depth=1
	ds_read_b64 v[4:5], v21 offset:5120
	v_or_b32_e32 v23, s13, v23
	v_or_b32_e32 v22, s12, v22
	;; [unrolled: 1-line block ×4, first 2 shown]
	s_waitcnt lgkmcnt(0)
	v_cmp_ne_u64_e32 vcc, 0, v[4:5]
	s_cbranch_vccnz .LBB117_278
; %bb.275:                              ;   in Loop: Header=BB117_26 Depth=1
	s_and_saveexec_b64 s[12:13], s[2:3]
; %bb.276:                              ;   in Loop: Header=BB117_26 Depth=1
	v_mov_b32_e32 v4, s10
	v_mov_b32_e32 v5, s11
	ds_write_b64 v21, v[4:5] offset:5128
; %bb.277:                              ;   in Loop: Header=BB117_26 Depth=1
	s_or_b64 exec, exec, s[12:13]
	s_waitcnt lgkmcnt(0)
	s_barrier
.LBB117_278:                            ;   in Loop: Header=BB117_26 Depth=1
	s_andn2_saveexec_b64 s[12:13], s[28:29]
; %bb.279:                              ;   in Loop: Header=BB117_26 Depth=1
	v_mov_b32_e32 v2, s11
	v_subrev_co_u32_e32 v10, vcc, s10, v10
	v_subb_co_u32_e32 v11, vcc, v11, v2, vcc
; %bb.280:                              ;   in Loop: Header=BB117_26 Depth=1
	s_or_b64 exec, exec, s[12:13]
	v_mov_b32_e32 v4, v10
	v_mov_b32_e32 v14, 8
	;; [unrolled: 1-line block ×3, first 2 shown]
.LBB117_281:                            ;   in Loop: Header=BB117_26 Depth=1
	s_or_b64 exec, exec, s[36:37]
	v_mov_b32_e32 v11, v5
	s_mov_b64 s[28:29], exec
	v_mov_b32_e32 v10, v4
.LBB117_282:                            ;   in Loop: Header=BB117_26 Depth=1
	s_or_b64 exec, exec, s[26:27]
	s_orn2_b64 s[26:27], s[28:29], exec
.LBB117_283:                            ;   in Loop: Header=BB117_26 Depth=1
	s_or_b64 exec, exec, s[78:79]
	s_andn2_b64 s[10:11], s[90:91], exec
	s_and_b64 s[12:13], s[24:25], exec
	s_or_b64 s[90:91], s[10:11], s[12:13]
	s_andn2_b64 s[10:11], s[88:89], exec
	s_and_b64 s[12:13], s[40:41], exec
	v_mov_b32_e32 v8, v10
	s_or_b64 s[88:89], s[10:11], s[12:13]
	s_and_b64 s[24:25], s[26:27], exec
	v_mov_b32_e32 v9, v11
.LBB117_284:                            ;   in Loop: Header=BB117_26 Depth=1
	s_or_b64 exec, exec, s[92:93]
	s_orn2_b64 s[24:25], s[24:25], exec
.LBB117_285:                            ;   in Loop: Header=BB117_26 Depth=1
	s_or_b64 exec, exec, s[86:87]
	s_andn2_b64 s[10:11], s[80:81], exec
	s_and_b64 s[12:13], s[90:91], exec
	s_or_b64 s[80:81], s[10:11], s[12:13]
	s_andn2_b64 s[6:7], s[6:7], exec
	s_and_b64 s[10:11], s[88:89], exec
	v_mov_b32_e32 v13, v9
	s_or_b64 s[6:7], s[6:7], s[10:11]
	s_and_b64 s[24:25], s[24:25], exec
	v_mov_b32_e32 v12, v8
.LBB117_286:                            ;   in Loop: Header=BB117_26 Depth=1
	s_or_b64 exec, exec, s[84:85]
	s_orn2_b64 s[24:25], s[24:25], exec
.LBB117_287:                            ;   in Loop: Header=BB117_26 Depth=1
	s_or_b64 exec, exec, s[76:77]
	s_mov_b64 s[12:13], 0
	s_and_saveexec_b64 s[10:11], s[24:25]
	s_xor_b64 s[10:11], exec, s[10:11]
	s_cbranch_execz .LBB117_24
; %bb.288:                              ;   in Loop: Header=BB117_26 Depth=1
	v_and_b32_e32 v2, 7, v14
	v_cmp_eq_u32_e32 vcc, 0, v2
	s_mov_b64 s[18:19], -1
	s_mov_b64 s[12:13], -1
	s_and_saveexec_b64 s[22:23], vcc
	s_cbranch_execz .LBB117_23
; %bb.289:                              ;   in Loop: Header=BB117_26 Depth=1
	s_xor_b32 s1, s1, 1
	s_add_i32 s24, s0, -2
	s_cmp_eq_u32 s0, 0
	s_cselect_b64 s[18:19], -1, 0
	s_xor_b64 s[12:13], exec, -1
	s_orn2_b64 s[18:19], s[18:19], exec
	s_mov_b32 s0, s24
	s_branch .LBB117_23
.LBB117_290:                            ;   in Loop: Header=BB117_26 Depth=1
                                        ; implicit-def: $sgpr22_sgpr23
	s_branch .LBB117_241
.LBB117_291:                            ;   in Loop: Header=BB117_26 Depth=1
                                        ; implicit-def: $sgpr22_sgpr23
	s_branch .LBB117_258
.LBB117_292:
	s_or_b64 exec, exec, s[62:63]
	s_xor_b64 s[8:9], s[68:69], -1
	s_xor_b64 s[0:1], s[64:65], -1
	;; [unrolled: 1-line block ×3, first 2 shown]
	s_mov_b64 s[4:5], 0
	s_and_saveexec_b64 s[2:3], s[0:1]
	s_xor_b64 s[2:3], exec, s[2:3]
	s_cbranch_execnz .LBB117_297
; %bb.293:
	s_andn2_saveexec_b64 s[0:1], s[2:3]
	s_cbranch_execnz .LBB117_310
.LBB117_294:
	s_or_b64 exec, exec, s[0:1]
	s_and_saveexec_b64 s[0:1], s[4:5]
.LBB117_295:
	; divergent unreachable
.LBB117_296:
	s_endpgm
.LBB117_297:
	s_and_saveexec_b64 s[0:1], s[8:9]
	s_xor_b64 s[4:5], exec, s[0:1]
	s_cbranch_execz .LBB117_308
; %bb.298:
	s_and_saveexec_b64 s[0:1], s[6:7]
	s_xor_b64 s[6:7], exec, s[0:1]
; %bb.299:
	v_lshrrev_b32_e32 v2, 31, v23
	v_add_co_u32_e32 v2, vcc, -1, v2
	v_addc_co_u32_e64 v3, s[0:1], 0, -1, vcc
	v_or_b32_e32 v3, 0x80000000, v3
	v_xor_b32_e32 v7, v3, v23
	v_xor_b32_e32 v6, v2, v22
; %bb.300:
	s_or_b64 exec, exec, s[6:7]
	v_readlane_b32 s6, v47, 2
	v_readlane_b32 s0, v47, 6
	;; [unrolled: 1-line block ×4, first 2 shown]
	s_mov_b32 s8, s0
	s_mul_i32 s0, s0, s7
	s_mul_hi_u32 s1, s8, s6
	s_add_i32 s1, s1, s0
	s_mul_i32 s0, s8, s6
	v_readlane_b32 s12, v47, 18
	s_sub_u32 s0, s34, s0
	v_readlane_b32 s14, v47, 20
	v_readlane_b32 s15, v47, 21
	s_subb_u32 s1, 0, s1
	s_mul_i32 s6, s0, s15
	s_mul_hi_u32 s7, s0, s14
	v_readlane_b32 s13, v47, 19
	s_add_i32 s6, s7, s6
	s_mul_i32 s1, s1, s14
	s_add_i32 s1, s6, s1
	s_mul_i32 s6, s8, s13
	s_mul_hi_u32 s7, s8, s12
	s_add_i32 s7, s7, s6
	s_mul_i32 s6, s8, s12
	s_lshl_b64 s[6:7], s[6:7], 3
	v_readlane_b32 s8, v47, 10
	s_mul_i32 s0, s0, s14
	v_readlane_b32 s9, v47, 11
	s_add_u32 s6, s8, s6
	s_addc_u32 s7, s9, s7
	s_lshl_b64 s[0:1], s[0:1], 3
	s_add_u32 s0, s6, s0
	s_addc_u32 s1, s7, s1
	v_mov_b32_e32 v2, 0
	global_store_dwordx2 v2, v[6:7], s[0:1]
	s_mov_b64 s[6:7], exec
	v_readlane_b32 s0, v47, 12
	v_readlane_b32 s1, v47, 13
	s_and_b64 s[0:1], s[6:7], s[0:1]
	s_mov_b64 exec, s[0:1]
	s_cbranch_execz .LBB117_307
; %bb.301:
	v_cmp_u_f64_e32 vcc, v[6:7], v[6:7]
	s_mov_b64 s[8:9], 0
	v_mov_b32_e32 v4, s35
                                        ; implicit-def: $sgpr10_sgpr11
                                        ; implicit-def: $sgpr16_sgpr17
                                        ; implicit-def: $sgpr14_sgpr15
	s_xor_b64 s[12:13], vcc, -1
	s_branch .LBB117_303
.LBB117_302:                            ;   in Loop: Header=BB117_303 Depth=1
	s_or_b64 exec, exec, s[0:1]
	s_and_b64 s[0:1], exec, s[16:17]
	s_or_b64 s[8:9], s[0:1], s[8:9]
	s_andn2_b64 s[0:1], s[10:11], exec
	s_and_b64 s[10:11], s[14:15], exec
	s_or_b64 s[10:11], s[0:1], s[10:11]
	s_andn2_b64 exec, exec, s[8:9]
	s_cbranch_execz .LBB117_305
.LBB117_303:                            ; =>This Inner Loop Header: Depth=1
	v_mov_b32_e32 v3, v1
	v_mov_b32_e32 v2, v0
	v_mul_lo_u32 v5, v3, s38
	v_mul_lo_u32 v8, v2, s39
	v_mad_u64_u32 v[0:1], s[0:1], v2, s38, 0
	s_or_b64 s[14:15], s[14:15], exec
	s_or_b64 s[16:17], s[16:17], exec
	v_add3_u32 v1, v1, v8, v5
	v_lshlrev_b64 v[0:1], 3, v[0:1]
	v_add_co_u32_e32 v0, vcc, s33, v0
	v_addc_co_u32_e32 v1, vcc, v4, v1, vcc
	global_load_dwordx2 v[0:1], v[0:1], off
	s_waitcnt vmcnt(0)
	v_cmp_o_f64_e32 vcc, v[0:1], v[0:1]
	v_cmp_neq_f64_e64 s[0:1], v[0:1], v[6:7]
                                        ; implicit-def: $vgpr0_vgpr1
	s_or_b64 s[18:19], vcc, s[12:13]
	s_and_b64 s[18:19], s[0:1], s[18:19]
	s_and_saveexec_b64 s[0:1], s[18:19]
	s_cbranch_execz .LBB117_302
; %bb.304:                              ;   in Loop: Header=BB117_303 Depth=1
	v_add_co_u32_e32 v0, vcc, s42, v2
	v_addc_co_u32_e32 v1, vcc, 0, v3, vcc
	v_cmp_le_u64_e32 vcc, s[20:21], v[0:1]
	s_andn2_b64 s[16:17], s[16:17], exec
	s_and_b64 s[18:19], vcc, exec
	s_andn2_b64 s[14:15], s[14:15], exec
	s_or_b64 s[16:17], s[16:17], s[18:19]
	s_branch .LBB117_302
.LBB117_305:
	s_or_b64 exec, exec, s[8:9]
	s_and_saveexec_b64 s[0:1], s[10:11]
	s_xor_b64 s[0:1], exec, s[0:1]
	s_cbranch_execz .LBB117_307
; %bb.306:
	v_readlane_b32 s8, v47, 0
	v_readlane_b32 s0, v47, 4
	;; [unrolled: 1-line block ×4, first 2 shown]
	s_mov_b32 s10, s0
	s_mul_i32 s0, s0, s9
	s_mul_hi_u32 s1, s10, s8
	s_add_i32 s1, s1, s0
	s_mul_i32 s0, s10, s8
	v_readlane_b32 s12, v47, 14
	s_sub_u32 s0, s34, s0
	v_readlane_b32 s14, v47, 16
	v_readlane_b32 s15, v47, 17
	s_subb_u32 s1, 0, s1
	s_mul_i32 s8, s0, s15
	s_mul_hi_u32 s9, s0, s14
	v_readlane_b32 s13, v47, 15
	s_add_i32 s8, s9, s8
	s_mul_i32 s1, s1, s14
	s_add_i32 s1, s8, s1
	s_mul_i32 s8, s10, s13
	s_mul_hi_u32 s9, s10, s12
	s_add_i32 s9, s9, s8
	s_mul_i32 s8, s10, s12
	s_lshl_b64 s[8:9], s[8:9], 3
	v_readlane_b32 s10, v47, 8
	s_mul_i32 s0, s0, s14
	v_readlane_b32 s11, v47, 9
	s_add_u32 s8, s10, s8
	s_addc_u32 s9, s11, s9
	s_lshl_b64 s[0:1], s[0:1], 3
	s_add_u32 s0, s8, s0
	s_addc_u32 s1, s9, s1
	v_mov_b32_e32 v0, 0
	global_store_dwordx2 v0, v[2:3], s[0:1]
.LBB117_307:
	s_or_b64 exec, exec, s[6:7]
.LBB117_308:
	s_or_saveexec_b64 s[0:1], s[4:5]
	s_mov_b64 s[4:5], 0
	s_xor_b64 exec, exec, s[0:1]
	s_cbranch_execnz .LBB117_311
.LBB117_309:
	s_or_b64 exec, exec, s[0:1]
	s_and_b64 s[4:5], s[4:5], exec
	s_andn2_saveexec_b64 s[0:1], s[2:3]
	s_cbranch_execz .LBB117_294
.LBB117_310:
	s_or_b64 s[4:5], s[4:5], exec
	s_trap 2
	s_or_b64 exec, exec, s[0:1]
	s_and_saveexec_b64 s[0:1], s[4:5]
	s_cbranch_execnz .LBB117_295
	s_branch .LBB117_296
.LBB117_311:
	s_mov_b64 s[4:5], exec
	s_trap 2
	s_branch .LBB117_309
	.section	.rodata,"a",@progbits
	.p2align	6, 0x0
	.amdhsa_kernel _ZN2at6native12_GLOBAL__N_112gatherMedianIdmLi2EEEvNS_4cuda6detail10TensorInfoIT_T0_EENS5_IlS7_EENS5_IKS6_S7_EES7_S7_S7_b
		.amdhsa_group_segment_fixed_size 5152
		.amdhsa_private_segment_fixed_size 0
		.amdhsa_kernarg_size 1536
		.amdhsa_user_sgpr_count 6
		.amdhsa_user_sgpr_private_segment_buffer 1
		.amdhsa_user_sgpr_dispatch_ptr 0
		.amdhsa_user_sgpr_queue_ptr 0
		.amdhsa_user_sgpr_kernarg_segment_ptr 1
		.amdhsa_user_sgpr_dispatch_id 0
		.amdhsa_user_sgpr_flat_scratch_init 0
		.amdhsa_user_sgpr_private_segment_size 0
		.amdhsa_uses_dynamic_stack 0
		.amdhsa_system_sgpr_private_segment_wavefront_offset 0
		.amdhsa_system_sgpr_workgroup_id_x 1
		.amdhsa_system_sgpr_workgroup_id_y 1
		.amdhsa_system_sgpr_workgroup_id_z 1
		.amdhsa_system_sgpr_workgroup_info 0
		.amdhsa_system_vgpr_workitem_id 0
		.amdhsa_next_free_vgpr 48
		.amdhsa_next_free_sgpr 96
		.amdhsa_reserve_vcc 1
		.amdhsa_reserve_flat_scratch 0
		.amdhsa_float_round_mode_32 0
		.amdhsa_float_round_mode_16_64 0
		.amdhsa_float_denorm_mode_32 3
		.amdhsa_float_denorm_mode_16_64 3
		.amdhsa_dx10_clamp 1
		.amdhsa_ieee_mode 1
		.amdhsa_fp16_overflow 0
		.amdhsa_exception_fp_ieee_invalid_op 0
		.amdhsa_exception_fp_denorm_src 0
		.amdhsa_exception_fp_ieee_div_zero 0
		.amdhsa_exception_fp_ieee_overflow 0
		.amdhsa_exception_fp_ieee_underflow 0
		.amdhsa_exception_fp_ieee_inexact 0
		.amdhsa_exception_int_div_zero 0
	.end_amdhsa_kernel
	.section	.text._ZN2at6native12_GLOBAL__N_112gatherMedianIdmLi2EEEvNS_4cuda6detail10TensorInfoIT_T0_EENS5_IlS7_EENS5_IKS6_S7_EES7_S7_S7_b,"axG",@progbits,_ZN2at6native12_GLOBAL__N_112gatherMedianIdmLi2EEEvNS_4cuda6detail10TensorInfoIT_T0_EENS5_IlS7_EENS5_IKS6_S7_EES7_S7_S7_b,comdat
.Lfunc_end117:
	.size	_ZN2at6native12_GLOBAL__N_112gatherMedianIdmLi2EEEvNS_4cuda6detail10TensorInfoIT_T0_EENS5_IlS7_EENS5_IKS6_S7_EES7_S7_S7_b, .Lfunc_end117-_ZN2at6native12_GLOBAL__N_112gatherMedianIdmLi2EEEvNS_4cuda6detail10TensorInfoIT_T0_EENS5_IlS7_EENS5_IKS6_S7_EES7_S7_S7_b
                                        ; -- End function
	.set _ZN2at6native12_GLOBAL__N_112gatherMedianIdmLi2EEEvNS_4cuda6detail10TensorInfoIT_T0_EENS5_IlS7_EENS5_IKS6_S7_EES7_S7_S7_b.num_vgpr, 48
	.set _ZN2at6native12_GLOBAL__N_112gatherMedianIdmLi2EEEvNS_4cuda6detail10TensorInfoIT_T0_EENS5_IlS7_EENS5_IKS6_S7_EES7_S7_S7_b.num_agpr, 0
	.set _ZN2at6native12_GLOBAL__N_112gatherMedianIdmLi2EEEvNS_4cuda6detail10TensorInfoIT_T0_EENS5_IlS7_EENS5_IKS6_S7_EES7_S7_S7_b.numbered_sgpr, 96
	.set _ZN2at6native12_GLOBAL__N_112gatherMedianIdmLi2EEEvNS_4cuda6detail10TensorInfoIT_T0_EENS5_IlS7_EENS5_IKS6_S7_EES7_S7_S7_b.num_named_barrier, 0
	.set _ZN2at6native12_GLOBAL__N_112gatherMedianIdmLi2EEEvNS_4cuda6detail10TensorInfoIT_T0_EENS5_IlS7_EENS5_IKS6_S7_EES7_S7_S7_b.private_seg_size, 0
	.set _ZN2at6native12_GLOBAL__N_112gatherMedianIdmLi2EEEvNS_4cuda6detail10TensorInfoIT_T0_EENS5_IlS7_EENS5_IKS6_S7_EES7_S7_S7_b.uses_vcc, 1
	.set _ZN2at6native12_GLOBAL__N_112gatherMedianIdmLi2EEEvNS_4cuda6detail10TensorInfoIT_T0_EENS5_IlS7_EENS5_IKS6_S7_EES7_S7_S7_b.uses_flat_scratch, 0
	.set _ZN2at6native12_GLOBAL__N_112gatherMedianIdmLi2EEEvNS_4cuda6detail10TensorInfoIT_T0_EENS5_IlS7_EENS5_IKS6_S7_EES7_S7_S7_b.has_dyn_sized_stack, 0
	.set _ZN2at6native12_GLOBAL__N_112gatherMedianIdmLi2EEEvNS_4cuda6detail10TensorInfoIT_T0_EENS5_IlS7_EENS5_IKS6_S7_EES7_S7_S7_b.has_recursion, 0
	.set _ZN2at6native12_GLOBAL__N_112gatherMedianIdmLi2EEEvNS_4cuda6detail10TensorInfoIT_T0_EENS5_IlS7_EENS5_IKS6_S7_EES7_S7_S7_b.has_indirect_call, 0
	.section	.AMDGPU.csdata,"",@progbits
; Kernel info:
; codeLenInByte = 15764
; TotalNumSgprs: 100
; NumVgprs: 48
; ScratchSize: 0
; MemoryBound: 0
; FloatMode: 240
; IeeeMode: 1
; LDSByteSize: 5152 bytes/workgroup (compile time only)
; SGPRBlocks: 12
; VGPRBlocks: 11
; NumSGPRsForWavesPerEU: 100
; NumVGPRsForWavesPerEU: 48
; Occupancy: 5
; WaveLimiterHint : 1
; COMPUTE_PGM_RSRC2:SCRATCH_EN: 0
; COMPUTE_PGM_RSRC2:USER_SGPR: 6
; COMPUTE_PGM_RSRC2:TRAP_HANDLER: 0
; COMPUTE_PGM_RSRC2:TGID_X_EN: 1
; COMPUTE_PGM_RSRC2:TGID_Y_EN: 1
; COMPUTE_PGM_RSRC2:TGID_Z_EN: 1
; COMPUTE_PGM_RSRC2:TIDIG_COMP_CNT: 0
	.section	.text._ZN2at6native12_GLOBAL__N_112gatherMedianIdmLi3EEEvNS_4cuda6detail10TensorInfoIT_T0_EENS5_IlS7_EENS5_IKS6_S7_EES7_S7_S7_b,"axG",@progbits,_ZN2at6native12_GLOBAL__N_112gatherMedianIdmLi3EEEvNS_4cuda6detail10TensorInfoIT_T0_EENS5_IlS7_EENS5_IKS6_S7_EES7_S7_S7_b,comdat
	.globl	_ZN2at6native12_GLOBAL__N_112gatherMedianIdmLi3EEEvNS_4cuda6detail10TensorInfoIT_T0_EENS5_IlS7_EENS5_IKS6_S7_EES7_S7_S7_b ; -- Begin function _ZN2at6native12_GLOBAL__N_112gatherMedianIdmLi3EEEvNS_4cuda6detail10TensorInfoIT_T0_EENS5_IlS7_EENS5_IKS6_S7_EES7_S7_S7_b
	.p2align	8
	.type	_ZN2at6native12_GLOBAL__N_112gatherMedianIdmLi3EEEvNS_4cuda6detail10TensorInfoIT_T0_EENS5_IlS7_EENS5_IKS6_S7_EES7_S7_S7_b,@function
_ZN2at6native12_GLOBAL__N_112gatherMedianIdmLi3EEEvNS_4cuda6detail10TensorInfoIT_T0_EENS5_IlS7_EENS5_IKS6_S7_EES7_S7_S7_b: ; @_ZN2at6native12_GLOBAL__N_112gatherMedianIdmLi3EEEvNS_4cuda6detail10TensorInfoIT_T0_EENS5_IlS7_EENS5_IKS6_S7_EES7_S7_S7_b
; %bb.0:
	s_load_dwordx2 s[12:13], s[4:5], 0x500
	s_load_dwordx4 s[20:23], s[4:5], 0x4e0
	s_add_u32 s14, s4, 0x500
	s_addc_u32 s15, s5, 0
	s_mov_b32 s19, 0
	s_waitcnt lgkmcnt(0)
	s_mul_i32 s0, s13, s8
	s_add_i32 s0, s0, s7
	s_mul_i32 s0, s0, s12
	s_add_i32 s18, s0, s6
	v_mov_b32_e32 v1, s18
	v_mov_b32_e32 v2, s19
	v_cmp_le_u64_e32 vcc, s[22:23], v[1:2]
	s_cbranch_vccnz .LBB118_302
; %bb.1:
	s_load_dwordx4 s[8:11], s[4:5], 0x10
	s_mov_b64 s[22:23], 0
	s_mov_b64 s[16:17], 0
	s_waitcnt lgkmcnt(0)
	v_mov_b32_e32 v1, s10
	v_mov_b32_e32 v2, s11
	v_cmp_lt_u64_e32 vcc, s[18:19], v[1:2]
	s_cbranch_vccnz .LBB118_3
; %bb.2:
	v_cvt_f32_u32_e32 v1, s10
	s_sub_i32 s0, 0, s10
	s_mov_b32 s17, 0
	v_rcp_iflag_f32_e32 v1, v1
	v_mul_f32_e32 v1, 0x4f7ffffe, v1
	v_cvt_u32_f32_e32 v1, v1
	v_readfirstlane_b32 s1, v1
	s_mul_i32 s0, s0, s1
	s_mul_hi_u32 s0, s1, s0
	s_add_i32 s1, s1, s0
	s_mul_hi_u32 s0, s18, s1
	s_mul_i32 s2, s0, s10
	s_sub_i32 s2, s18, s2
	s_add_i32 s1, s0, 1
	s_sub_i32 s3, s2, s10
	s_cmp_ge_u32 s2, s10
	s_cselect_b32 s0, s1, s0
	s_cselect_b32 s2, s3, s2
	s_add_i32 s1, s0, 1
	s_cmp_ge_u32 s2, s10
	s_cselect_b32 s16, s1, s0
.LBB118_3:
	s_load_dwordx4 s[24:27], s[4:5], 0x1b0
	v_mov_b32_e32 v1, s8
	v_mov_b32_e32 v2, s9
                                        ; implicit-def: $vgpr47 : SGPR spill to VGPR lane
	v_cmp_lt_u64_e32 vcc, s[16:17], v[1:2]
	s_and_b64 vcc, exec, vcc
	s_waitcnt lgkmcnt(0)
	v_writelane_b32 v47, s24, 0
	v_writelane_b32 v47, s25, 1
	;; [unrolled: 1-line block ×4, first 2 shown]
	s_cbranch_vccnz .LBB118_5
; %bb.4:
	v_cvt_f32_u32_e32 v1, s8
	s_sub_i32 s0, 0, s8
	s_load_dwordx4 s[24:27], s[4:5], 0x1b0
	v_rcp_iflag_f32_e32 v1, v1
	v_mul_f32_e32 v1, 0x4f7ffffe, v1
	v_cvt_u32_f32_e32 v1, v1
	v_readfirstlane_b32 s1, v1
	s_mul_i32 s0, s0, s1
	s_mul_hi_u32 s0, s1, s0
	s_add_i32 s1, s1, s0
	s_mul_hi_u32 s0, s16, s1
	s_mul_i32 s2, s0, s8
	s_sub_i32 s2, s16, s2
	s_add_i32 s1, s0, 1
	s_sub_i32 s3, s2, s8
	s_cmp_ge_u32 s2, s8
	s_cselect_b32 s0, s1, s0
	s_cselect_b32 s2, s3, s2
	s_add_i32 s1, s0, 1
	s_cmp_ge_u32 s2, s8
	s_cselect_b32 s22, s1, s0
.LBB118_5:
	v_writelane_b32 v47, s22, 4
	v_writelane_b32 v47, s23, 5
	v_writelane_b32 v47, s16, 6
	v_writelane_b32 v47, s17, 7
	v_writelane_b32 v47, s8, 8
	s_waitcnt lgkmcnt(0)
	v_mov_b32_e32 v1, s26
	v_writelane_b32 v47, s9, 9
	v_mov_b32_e32 v2, s27
	v_writelane_b32 v47, s10, 10
	v_cmp_lt_u64_e32 vcc, s[18:19], v[1:2]
	v_writelane_b32 v47, s11, 11
	s_mov_b64 s[0:1], 0
	v_writelane_b32 v47, s0, 12
	s_mov_b64 s[68:69], 0
	v_writelane_b32 v47, s1, 13
	s_cbranch_vccnz .LBB118_7
; %bb.6:
	v_cvt_f32_u32_e32 v1, s26
	s_sub_i32 s0, 0, s26
	s_mov_b32 s69, 0
	v_rcp_iflag_f32_e32 v1, v1
	v_mul_f32_e32 v1, 0x4f7ffffe, v1
	v_cvt_u32_f32_e32 v1, v1
	v_readfirstlane_b32 s1, v1
	s_mul_i32 s0, s0, s1
	s_mul_hi_u32 s0, s1, s0
	s_add_i32 s1, s1, s0
	s_mul_hi_u32 s0, s18, s1
	s_mul_i32 s2, s0, s26
	s_sub_i32 s2, s18, s2
	s_add_i32 s1, s0, 1
	s_sub_i32 s3, s2, s26
	s_cmp_ge_u32 s2, s26
	s_cselect_b32 s0, s1, s0
	s_cselect_b32 s2, s3, s2
	s_add_i32 s1, s0, 1
	s_cmp_ge_u32 s2, s26
	s_cselect_b32 s68, s1, s0
.LBB118_7:
	s_load_dwordx2 s[44:45], s[4:5], 0x4f0
	s_load_dwordx2 s[16:17], s[4:5], 0x420
	s_load_dwordx4 s[0:3], s[4:5], 0x410
	s_load_dwordx4 s[8:11], s[4:5], 0x350
	v_mov_b32_e32 v1, s24
	v_mov_b32_e32 v2, s25
	v_cmp_lt_u64_e32 vcc, s[68:69], v[1:2]
	s_cbranch_vccnz .LBB118_9
; %bb.8:
	s_load_dwordx4 s[24:27], s[4:5], 0x1b0
	s_waitcnt lgkmcnt(0)
	v_cvt_f32_u32_e32 v1, s24
	s_sub_i32 s7, 0, s24
	v_rcp_iflag_f32_e32 v1, v1
	v_mul_f32_e32 v1, 0x4f7ffffe, v1
	v_cvt_u32_f32_e32 v1, v1
	v_readfirstlane_b32 s13, v1
	s_mul_i32 s7, s7, s13
	s_mul_hi_u32 s7, s13, s7
	s_add_i32 s13, s13, s7
	s_mul_hi_u32 s7, s68, s13
	s_mul_i32 s22, s7, s24
	s_sub_i32 s22, s68, s22
	s_add_i32 s13, s7, 1
	s_sub_i32 s23, s22, s24
	s_cmp_ge_u32 s22, s24
	s_cselect_b32 s7, s13, s7
	s_cselect_b32 s22, s23, s22
	s_add_i32 s13, s7, 1
	s_cmp_ge_u32 s22, s24
	s_cselect_b32 s22, s13, s7
	v_writelane_b32 v47, s22, 12
	v_writelane_b32 v47, s23, 13
.LBB118_9:
	s_load_dwordx2 s[22:23], s[4:5], 0x340
	s_waitcnt lgkmcnt(0)
	v_mov_b32_e32 v1, s10
	v_mov_b32_e32 v2, s11
	v_cmp_lt_u64_e32 vcc, s[18:19], v[1:2]
	s_mov_b64 s[24:25], 0
	s_mov_b64 s[26:27], 0
	s_cbranch_vccnz .LBB118_11
; %bb.10:
	v_cvt_f32_u32_e32 v1, s10
	s_sub_i32 s7, 0, s10
	s_mov_b32 s27, 0
	v_rcp_iflag_f32_e32 v1, v1
	v_mul_f32_e32 v1, 0x4f7ffffe, v1
	v_cvt_u32_f32_e32 v1, v1
	v_readfirstlane_b32 s13, v1
	s_mul_i32 s7, s7, s13
	s_mul_hi_u32 s7, s13, s7
	s_add_i32 s13, s13, s7
	s_mul_hi_u32 s7, s18, s13
	s_mul_i32 s19, s7, s10
	s_sub_i32 s19, s18, s19
	s_add_i32 s13, s7, 1
	s_sub_i32 s25, s19, s10
	s_cmp_ge_u32 s19, s10
	s_cselect_b32 s7, s13, s7
	s_cselect_b32 s19, s25, s19
	s_add_i32 s13, s7, 1
	s_cmp_ge_u32 s19, s10
	s_cselect_b32 s26, s13, s7
.LBB118_11:
	s_load_dwordx2 s[28:29], s[4:5], 0x280
	v_mov_b32_e32 v1, s8
	v_mov_b32_e32 v2, s9
	v_cmp_lt_u64_e32 vcc, s[26:27], v[1:2]
	s_and_b64 vcc, exec, vcc
	s_waitcnt lgkmcnt(0)
	v_writelane_b32 v47, s28, 14
	v_writelane_b32 v47, s29, 15
	s_load_dwordx4 s[28:31], s[4:5], 0x270
	s_waitcnt lgkmcnt(0)
	v_writelane_b32 v47, s28, 16
	v_writelane_b32 v47, s29, 17
	;; [unrolled: 1-line block ×4, first 2 shown]
	s_load_dwordx2 s[28:29], s[4:5], 0xe0
	s_waitcnt lgkmcnt(0)
	v_writelane_b32 v47, s28, 20
	v_writelane_b32 v47, s29, 21
	s_load_dwordx4 s[28:31], s[4:5], 0xd0
	s_waitcnt lgkmcnt(0)
	v_writelane_b32 v47, s28, 22
	v_writelane_b32 v47, s29, 23
	;; [unrolled: 1-line block ×4, first 2 shown]
	s_cbranch_vccnz .LBB118_13
; %bb.12:
	v_cvt_f32_u32_e32 v1, s8
	s_sub_i32 s7, 0, s8
	v_rcp_iflag_f32_e32 v1, v1
	v_mul_f32_e32 v1, 0x4f7ffffe, v1
	v_cvt_u32_f32_e32 v1, v1
	v_readfirstlane_b32 s13, v1
	s_mul_i32 s7, s7, s13
	s_mul_hi_u32 s7, s13, s7
	s_add_i32 s13, s13, s7
	s_mul_hi_u32 s7, s26, s13
	s_mul_i32 s19, s7, s8
	s_sub_i32 s19, s26, s19
	s_add_i32 s13, s7, 1
	s_sub_i32 s24, s19, s8
	s_cmp_ge_u32 s19, s8
	s_cselect_b32 s7, s13, s7
	s_cselect_b32 s19, s24, s19
	s_add_i32 s13, s7, 1
	s_cmp_ge_u32 s19, s8
	s_cselect_b32 s24, s13, s7
.LBB118_13:
	s_mul_i32 s7, s26, s11
	s_mul_hi_u32 s11, s26, s10
	s_add_i32 s11, s11, s7
	s_mul_i32 s7, s26, s10
	s_sub_u32 s7, s18, s7
	s_subb_u32 s10, 0, s11
	s_mul_i32 s11, s7, s17
	s_mul_hi_u32 s13, s7, s16
	s_load_dwordx2 s[28:29], s[4:5], 0x1a0
	s_add_i32 s11, s13, s11
	s_mul_i32 s10, s10, s16
	s_add_i32 s11, s11, s10
	s_mul_i32 s10, s7, s16
	s_mul_i32 s7, s24, s9
	s_mul_hi_u32 s9, s24, s8
	s_add_i32 s9, s9, s7
	s_mul_i32 s7, s24, s8
	s_sub_u32 s7, s26, s7
	s_subb_u32 s8, s27, s9
	s_waitcnt lgkmcnt(0)
	v_writelane_b32 v47, s28, 26
	s_mul_i32 s3, s7, s3
	s_mul_hi_u32 s9, s7, s2
	s_mul_i32 s8, s8, s2
	s_mul_i32 s2, s7, s2
	;; [unrolled: 1-line block ×3, first 2 shown]
	s_mul_hi_u32 s7, s24, s0
	v_writelane_b32 v47, s29, 27
	s_load_dwordx2 s[28:29], s[4:5], 0x0
	s_add_i32 s3, s9, s3
	s_add_i32 s1, s7, s1
	s_mul_i32 s0, s24, s0
	s_add_i32 s3, s3, s8
	s_lshl_b64 s[0:1], s[0:1], 3
	s_add_u32 s7, s22, s0
	s_addc_u32 s8, s23, s1
	s_lshl_b64 s[0:1], s[2:3], 3
	s_add_u32 s2, s7, s0
	v_mov_b32_e32 v1, 0
	s_waitcnt lgkmcnt(0)
	v_writelane_b32 v47, s28, 28
	s_addc_u32 s3, s8, s1
	s_lshl_b64 s[0:1], s[10:11], 3
	v_cmp_gt_u64_e64 s[8:9], s[20:21], v[0:1]
	v_writelane_b32 v47, s29, 29
	s_add_u32 s19, s2, s0
	v_mov_b32_e32 v2, 0
	v_mov_b32_e32 v3, 0
	s_addc_u32 s33, s3, s1
	v_writelane_b32 v47, s8, 30
	v_writelane_b32 v47, s9, 31
	s_and_saveexec_b64 s[2:3], s[8:9]
	s_cbranch_execz .LBB118_17
; %bb.14:
	s_load_dword s0, s[14:15], 0xc
	v_mov_b32_e32 v2, 0
	v_mov_b32_e32 v5, v1
	s_mov_b64 s[8:9], 0
	v_mov_b32_e32 v3, 0
	v_mov_b32_e32 v6, s33
	s_waitcnt lgkmcnt(0)
	s_and_b32 s0, s0, 0xffff
	v_mov_b32_e32 v4, v0
.LBB118_15:                             ; =>This Inner Loop Header: Depth=1
	v_mul_lo_u32 v9, v5, s44
	v_mul_lo_u32 v10, v4, s45
	v_mad_u64_u32 v[7:8], s[10:11], v4, s44, 0
	v_add3_u32 v8, v8, v10, v9
	v_lshlrev_b64 v[7:8], 3, v[7:8]
	v_add_co_u32_e32 v7, vcc, s19, v7
	v_addc_co_u32_e32 v8, vcc, v6, v8, vcc
	global_load_dwordx2 v[7:8], v[7:8], off
	v_add_co_u32_e32 v4, vcc, s0, v4
	v_addc_co_u32_e32 v5, vcc, 0, v5, vcc
	v_cmp_le_u64_e32 vcc, s[20:21], v[4:5]
	s_or_b64 s[8:9], vcc, s[8:9]
	s_waitcnt vmcnt(0)
	v_cmp_u_f64_e32 vcc, v[7:8], v[7:8]
	v_cndmask_b32_e64 v7, 0, 1, vcc
	v_add_co_u32_e32 v2, vcc, v2, v7
	v_addc_co_u32_e32 v3, vcc, 0, v3, vcc
	s_andn2_b64 exec, exec, s[8:9]
	s_cbranch_execnz .LBB118_15
; %bb.16:
	s_or_b64 exec, exec, s[8:9]
.LBB118_17:
	s_or_b64 exec, exec, s[2:3]
	v_cmp_eq_u32_e64 s[2:3], 0, v0
	s_and_saveexec_b64 s[8:9], s[2:3]
; %bb.18:
	v_mov_b32_e32 v4, 0
	v_mov_b32_e32 v5, v4
	ds_write_b64 v4, v[4:5] offset:5136
; %bb.19:
	s_or_b64 exec, exec, s[8:9]
	v_cmp_ne_u64_e32 vcc, 0, v[2:3]
	s_mov_b64 s[10:11], 0
	s_waitcnt lgkmcnt(0)
	s_barrier
	s_and_saveexec_b64 s[8:9], vcc
	s_cbranch_execz .LBB118_24
; %bb.20:
	s_mov_b64 s[16:17], exec
.LBB118_21:                             ; =>This Inner Loop Header: Depth=1
	s_ff1_i32_b64 s0, s[16:17]
	v_readlane_b32 s7, v2, s0
	v_readlane_b32 s1, v3, s0
	s_add_u32 s10, s10, s7
	s_addc_u32 s11, s11, s1
	s_lshl_b64 s[0:1], 1, s0
	s_andn2_b64 s[16:17], s[16:17], s[0:1]
	s_cmp_lg_u64 s[16:17], 0
	s_cbranch_scc1 .LBB118_21
; %bb.22:
	v_mbcnt_lo_u32_b32 v2, exec_lo, 0
	v_mbcnt_hi_u32_b32 v2, exec_hi, v2
	v_cmp_eq_u32_e32 vcc, 0, v2
	s_and_saveexec_b64 s[0:1], vcc
	s_xor_b64 s[0:1], exec, s[0:1]
; %bb.23:
	v_mov_b32_e32 v2, s10
	v_mov_b32_e32 v4, 0
	v_mov_b32_e32 v3, s11
	ds_add_u64 v4, v[2:3] offset:5136
.LBB118_24:
	s_or_b64 exec, exec, s[8:9]
	v_mov_b32_e32 v2, 0
	s_load_dword s0, s[4:5], 0x4f8
	s_waitcnt lgkmcnt(0)
	s_barrier
	ds_read_b64 v[2:3], v2 offset:5136
	s_bitcmp1_b32 s0, 0
	s_cselect_b64 s[0:1], -1, 0
	v_mov_b32_e32 v27, s21
	v_mov_b32_e32 v26, s20
	s_waitcnt lgkmcnt(0)
	v_cmp_gt_i64_e32 vcc, 1, v[2:3]
	s_or_b64 s[0:1], s[0:1], vcc
	s_andn2_b64 vcc, exec, s[0:1]
	s_cbranch_vccnz .LBB118_26
; %bb.25:
	v_not_b32_e32 v2, v2
	v_not_b32_e32 v3, v3
	v_mov_b32_e32 v4, s21
	v_add_co_u32_e32 v2, vcc, s20, v2
	v_addc_co_u32_e32 v3, vcc, v4, v3, vcc
	v_lshrrev_b64 v[2:3], 1, v[2:3]
	v_add_co_u32_e32 v26, vcc, 1, v2
	v_addc_co_u32_e32 v27, vcc, 0, v3, vcc
.LBB118_26:
	s_and_saveexec_b64 s[4:5], s[2:3]
	s_cbranch_execz .LBB118_28
; %bb.27:
	v_mov_b32_e32 v2, 0
	v_mov_b32_e32 v4, s20
	;; [unrolled: 1-line block ×4, first 2 shown]
	ds_write_b32 v2, v2 offset:5144
	ds_write_b128 v2, v[2:5] offset:5120
.LBB118_28:
	s_or_b64 exec, exec, s[4:5]
	v_mbcnt_lo_u32_b32 v2, -1, 0
	v_mbcnt_hi_u32_b32 v32, -1, v2
	v_mad_u64_u32 v[2:3], s[0:1], s44, v0, 0
	s_waitcnt lgkmcnt(0)
	s_barrier
	v_mad_u64_u32 v[3:4], s[0:1], s45, v0, v[3:4]
	s_load_dword s0, s[14:15], 0xc
	v_cmp_gt_u32_e32 vcc, 64, v0
	v_cmp_gt_i32_e64 s[8:9], 4, v32
	s_and_b64 s[60:61], vcc, s[8:9]
	v_lshlrev_b64 v[2:3], 3, v[2:3]
	s_waitcnt lgkmcnt(0)
	s_and_b32 s70, s0, 0xffff
	s_bfe_u32 s0, s0, 0xa0006
	s_cmp_gt_u32 s70, 63
	s_cselect_b64 s[62:63], -1, 0
	s_add_u32 s71, s70, -1
	s_addc_u32 s28, 0, -1
	s_add_u32 s29, s71, s20
	s_addc_u32 s65, s28, s21
	s_cmp_lt_u32 s6, s12
	s_cselect_b32 s1, 12, 18
	s_add_u32 s66, s14, s1
	s_addc_u32 s67, s15, 0
	s_add_i32 s1, s0, -1
	s_bfe_u32 s6, s70, 0x30006
	s_and_b32 s1, s1, 0xffff
	v_mov_b32_e32 v35, s33
	v_add_co_u32_e32 v16, vcc, s19, v2
	s_cmp_gt_u32 s1, 6
	v_addc_co_u32_e32 v17, vcc, v35, v3, vcc
	v_lshlrev_b64 v[2:3], v32, -1
	s_cselect_b64 s[10:11], -1, 0
	v_writelane_b32 v47, s10, 32
	s_and_b32 s31, s0, 0x3f8
	v_mov_b32_e32 v4, 0x180
	v_not_b32_e32 v38, v2
	v_lshrrev_b32_e32 v2, 1, v0
	v_writelane_b32 v47, s11, 33
	s_cmp_lg_u32 s6, 0
	v_mov_b32_e32 v5, 0
	v_and_b32_e32 v2, 0x1e0, v2
	v_writelane_b32 v47, s6, 34
	s_cselect_b64 s[0:1], -1, 0
	v_lshlrev_b32_e32 v33, 3, v0
	v_cmp_gt_u64_e64 s[8:9], s[20:21], v[4:5]
	v_mov_b32_e32 v21, 0
	v_lshlrev_b32_e32 v4, 2, v32
	v_or_b32_e32 v39, 0xc00, v2
	v_writelane_b32 v47, s0, 35
	v_mov_b32_e32 v2, 0xc00
	v_mov_b32_e32 v6, 0
	;; [unrolled: 1-line block ×4, first 2 shown]
	s_mov_b32 s59, 0
	v_cmp_eq_u32_e64 s[4:5], 0, v32
	v_cmp_gt_u32_e64 s[16:17], 2, v0
	v_add_u32_e32 v34, 0xc00, v33
	v_lshlrev_b32_e32 v18, 2, v0
	v_mov_b32_e32 v19, v21
	v_and_b32_e32 v36, 0x100, v4
	v_not_b32_e32 v37, v3
	v_writelane_b32 v47, s1, 36
	v_lshlrev_b32_e32 v40, 5, v0
	v_lshl_or_b32 v41, v32, 3, v2
	s_lshl_b32 s30, s70, 3
	s_mov_b32 s0, 62
	v_mov_b32_e32 v7, 0
	s_mov_b64 s[72:73], 0
	v_mov_b32_e32 v23, 0
	v_mov_b32_e32 v25, 0
	;; [unrolled: 1-line block ×3, first 2 shown]
	s_mov_b32 s1, 0
	v_mov_b32_e32 v3, 0x3ff00000
                                        ; implicit-def: $sgpr74_sgpr75
                                        ; implicit-def: $sgpr78_sgpr79
                                        ; implicit-def: $sgpr76_sgpr77
                                        ; implicit-def: $sgpr82_sgpr83
                                        ; implicit-def: $sgpr84_sgpr85
                                        ; implicit-def: $sgpr80_sgpr81
	s_branch .LBB118_32
.LBB118_29:                             ;   in Loop: Header=BB118_32 Depth=1
	s_or_b64 exec, exec, s[24:25]
	s_and_b64 s[12:13], s[12:13], exec
	s_andn2_b64 s[92:93], s[92:93], exec
	s_andn2_b64 s[6:7], s[6:7], exec
	s_orn2_b64 s[86:87], s[22:23], exec
.LBB118_30:                             ;   in Loop: Header=BB118_32 Depth=1
	s_or_b64 exec, exec, s[10:11]
	s_andn2_b64 s[10:11], s[80:81], exec
	s_and_b64 s[12:13], s[12:13], exec
	s_or_b64 s[80:81], s[10:11], s[12:13]
	s_andn2_b64 s[10:11], s[84:85], exec
	s_and_b64 s[12:13], s[92:93], exec
	s_or_b64 s[84:85], s[10:11], s[12:13]
	;; [unrolled: 3-line block ×3, first 2 shown]
	s_orn2_b64 s[6:7], s[86:87], exec
.LBB118_31:                             ;   in Loop: Header=BB118_32 Depth=1
	s_or_b64 exec, exec, s[14:15]
	s_and_b64 s[6:7], exec, s[6:7]
	s_or_b64 s[72:73], s[6:7], s[72:73]
	s_andn2_b64 s[6:7], s[76:77], exec
	s_and_b64 s[10:11], s[80:81], exec
	s_or_b64 s[76:77], s[6:7], s[10:11]
	s_andn2_b64 s[6:7], s[78:79], exec
	s_and_b64 s[10:11], s[84:85], exec
	;; [unrolled: 3-line block ×3, first 2 shown]
	v_mov_b32_e32 v27, v13
	s_or_b64 s[74:75], s[6:7], s[10:11]
	v_mov_b32_e32 v26, v12
	s_andn2_b64 exec, exec, s[72:73]
	s_cbranch_execz .LBB118_298
.LBB118_32:                             ; =>This Loop Header: Depth=1
                                        ;     Child Loop BB118_38 Depth 2
                                        ;     Child Loop BB118_51 Depth 2
                                        ;     Child Loop BB118_85 Depth 2
                                        ;     Child Loop BB118_89 Depth 2
                                        ;     Child Loop BB118_74 Depth 2
                                        ;     Child Loop BB118_79 Depth 2
                                        ;     Child Loop BB118_67 Depth 2
                                        ;     Child Loop BB118_96 Depth 2
                                        ;     Child Loop BB118_110 Depth 2
                                        ;     Child Loop BB118_125 Depth 2
                                        ;     Child Loop BB118_155 Depth 2
                                        ;     Child Loop BB118_175 Depth 2
                                        ;     Child Loop BB118_206 Depth 2
                                        ;     Child Loop BB118_223 Depth 2
                                        ;     Child Loop BB118_253 Depth 2
                                        ;     Child Loop BB118_270 Depth 2
	ds_read_b128 v[8:11], v21 offset:5120
	s_waitcnt lgkmcnt(0)
	v_readfirstlane_b32 s87, v9
	v_readfirstlane_b32 s86, v8
	s_cmp_lg_u64 s[86:87], 0
	s_cbranch_scc1 .LBB118_59
; %bb.33:                               ;   in Loop: Header=BB118_32 Depth=1
	s_and_b64 vcc, exec, s[8:9]
	s_cbranch_vccz .LBB118_46
; %bb.34:                               ;   in Loop: Header=BB118_32 Depth=1
	s_mov_b64 s[6:7], 0x181
	v_cmp_gt_u64_e32 vcc, s[6:7], v[10:11]
	s_mov_b64 s[12:13], 0
	s_mov_b64 s[6:7], 0
	s_cbranch_vccz .LBB118_47
; %bb.35:                               ;   in Loop: Header=BB118_32 Depth=1
	s_mov_b64 s[14:15], exec
	v_readlane_b32 s6, v47, 30
	v_readlane_b32 s7, v47, 31
	s_and_b64 s[6:7], s[14:15], s[6:7]
	s_mov_b64 exec, s[6:7]
	s_cbranch_execz .LBB118_160
; %bb.36:                               ;   in Loop: Header=BB118_32 Depth=1
	global_load_dwordx2 v[4:5], v[16:17], off
	global_load_ushort v2, v21, s[66:67]
	v_mov_b32_e32 v9, v1
	s_mov_b64 s[22:23], 0
	v_mov_b32_e32 v8, v0
	s_branch .LBB118_38
.LBB118_37:                             ;   in Loop: Header=BB118_38 Depth=2
	s_or_b64 exec, exec, s[6:7]
	s_waitcnt vmcnt(0)
	v_mov_b32_e32 v4, v10
	v_mov_b32_e32 v5, v11
	s_andn2_b64 exec, exec, s[22:23]
	s_cbranch_execz .LBB118_160
.LBB118_38:                             ;   Parent Loop BB118_32 Depth=1
                                        ; =>  This Inner Loop Header: Depth=2
	s_waitcnt vmcnt(0)
	v_add_co_u32_sdwa v8, vcc, v8, v2 dst_sel:DWORD dst_unused:UNUSED_PAD src0_sel:DWORD src1_sel:WORD_0
	v_addc_co_u32_e32 v9, vcc, 0, v9, vcc
	v_cmp_gt_u64_e64 s[6:7], s[20:21], v[8:9]
	v_cmp_le_u64_e32 vcc, s[20:21], v[8:9]
	v_mov_b32_e32 v10, 0
	v_mov_b32_e32 v11, 0
	s_and_saveexec_b64 s[10:11], s[6:7]
	s_cbranch_execz .LBB118_40
; %bb.39:                               ;   in Loop: Header=BB118_38 Depth=2
	s_waitcnt lgkmcnt(0)
	v_mul_lo_u32 v12, v9, s44
	v_mul_lo_u32 v13, v8, s45
	v_mad_u64_u32 v[10:11], s[6:7], v8, s44, 0
	v_add3_u32 v11, v11, v13, v12
	v_lshlrev_b64 v[10:11], 3, v[10:11]
	v_add_co_u32_e64 v10, s[6:7], s19, v10
	v_addc_co_u32_e64 v11, s[6:7], v35, v11, s[6:7]
	global_load_dwordx2 v[10:11], v[10:11], off
.LBB118_40:                             ;   in Loop: Header=BB118_38 Depth=2
	s_or_b64 exec, exec, s[10:11]
	v_cmp_o_f64_e64 s[6:7], v[4:5], v[4:5]
	s_waitcnt lgkmcnt(0)
	v_ashrrev_i32_e32 v12, 31, v5
	v_or_b32_e32 v13, 0x80000000, v12
	v_xor_b32_e32 v13, v13, v5
	v_xor_b32_e32 v12, v12, v4
	v_cndmask_b32_e64 v13, -1, v13, s[6:7]
	v_cndmask_b32_e64 v12, -1, v12, s[6:7]
	v_and_b32_e32 v13, v13, v25
	v_and_b32_e32 v12, v12, v24
	v_cmp_eq_u64_e64 s[10:11], v[12:13], v[22:23]
	v_mov_b32_e32 v12, 0
	s_cmp_lg_u64 s[10:11], 0
	s_cselect_b64 s[6:7], -1, 0
	s_and_b64 s[6:7], s[4:5], s[6:7]
	s_and_saveexec_b64 s[24:25], s[6:7]
	s_cbranch_execz .LBB118_44
; %bb.41:                               ;   in Loop: Header=BB118_38 Depth=2
	s_mov_b64 s[34:35], exec
	v_mbcnt_lo_u32_b32 v12, s34, 0
	v_mbcnt_hi_u32_b32 v12, s35, v12
	s_bcnt1_i32_b64 s36, s[10:11]
	v_cmp_eq_u32_e64 s[6:7], 0, v12
                                        ; implicit-def: $vgpr13
	s_and_saveexec_b64 s[26:27], s[6:7]
; %bb.42:                               ;   in Loop: Header=BB118_38 Depth=2
	s_bcnt1_i32_b64 s6, s[34:35]
	s_mul_i32 s6, s36, s6
	v_mov_b32_e32 v13, s6
	ds_add_rtn_u32 v13, v21, v13 offset:5144
; %bb.43:                               ;   in Loop: Header=BB118_38 Depth=2
	s_or_b64 exec, exec, s[26:27]
	s_waitcnt lgkmcnt(0)
	v_readfirstlane_b32 s6, v13
	v_mov_b32_e32 v13, s6
	v_mad_u32_u24 v12, s36, v12, v13
.LBB118_44:                             ;   in Loop: Header=BB118_38 Depth=2
	s_or_b64 exec, exec, s[24:25]
	ds_bpermute_b32 v12, v36, v12
	s_and_b64 s[6:7], exec, vcc
	s_or_b64 s[22:23], s[6:7], s[22:23]
	s_and_saveexec_b64 s[6:7], s[10:11]
	s_cbranch_execz .LBB118_37
; %bb.45:                               ;   in Loop: Header=BB118_38 Depth=2
	v_and_b32_e32 v14, s10, v38
	v_and_b32_e32 v13, s11, v37
	v_bcnt_u32_b32 v14, v14, 0
	v_bcnt_u32_b32 v13, v13, v14
	v_lshlrev_b32_e32 v13, 3, v13
	s_waitcnt lgkmcnt(0)
	v_lshl_add_u32 v12, v12, 3, v13
	ds_write_b64 v12, v[4:5]
	s_branch .LBB118_37
.LBB118_46:                             ;   in Loop: Header=BB118_32 Depth=1
	s_mov_b64 s[12:13], -1
	s_mov_b64 s[6:7], 0
.LBB118_47:                             ;   in Loop: Header=BB118_32 Depth=1
	s_and_b64 vcc, exec, s[12:13]
	s_cbranch_vccz .LBB118_57
.LBB118_48:                             ;   in Loop: Header=BB118_32 Depth=1
	s_mov_b64 s[6:7], exec
	v_readlane_b32 s10, v47, 30
	v_readlane_b32 s11, v47, 31
	s_and_b64 s[10:11], s[6:7], s[10:11]
	s_mov_b64 exec, s[10:11]
	s_cbranch_execz .LBB118_54
; %bb.49:                               ;   in Loop: Header=BB118_32 Depth=1
	global_load_ushort v2, v21, s[66:67]
	global_load_dwordx2 v[4:5], v[16:17], off
	v_mov_b32_e32 v8, v0
	s_waitcnt vmcnt(1)
	v_and_b32_e32 v2, 0xffff, v2
	v_add_u32_e32 v20, v2, v0
	v_cmp_gt_u64_e32 vcc, s[20:21], v[20:21]
	s_and_saveexec_b64 s[10:11], vcc
	s_cbranch_execz .LBB118_53
; %bb.50:                               ;   in Loop: Header=BB118_32 Depth=1
	v_mov_b32_e32 v12, v20
	v_mov_b32_e32 v9, v1
	s_mov_b64 s[12:13], 0
	v_mov_b32_e32 v13, v21
	v_mov_b32_e32 v8, v0
.LBB118_51:                             ;   Parent Loop BB118_32 Depth=1
                                        ; =>  This Inner Loop Header: Depth=2
	v_mov_b32_e32 v15, v13
	v_mov_b32_e32 v14, v12
	v_mul_lo_u32 v11, v15, s44
	v_mul_lo_u32 v12, v14, s45
	v_mad_u64_u32 v[9:10], s[14:15], v14, s44, 0
	v_mov_b32_e32 v13, s33
	v_lshlrev_b32_e32 v8, 3, v8
	v_add3_u32 v10, v10, v12, v11
	v_lshlrev_b64 v[9:10], 3, v[9:10]
	s_waitcnt vmcnt(0)
	ds_write_b64 v8, v[4:5]
	v_add_co_u32_e32 v9, vcc, s19, v9
	v_addc_co_u32_e32 v10, vcc, v13, v10, vcc
	global_load_dwordx2 v[10:11], v[9:10], off
	v_add_co_u32_e32 v12, vcc, v14, v2
	v_addc_co_u32_e32 v13, vcc, 0, v15, vcc
	v_cmp_le_u64_e32 vcc, s[20:21], v[12:13]
	v_mov_b32_e32 v8, v14
	s_or_b64 s[12:13], vcc, s[12:13]
	v_mov_b32_e32 v9, v15
	s_waitcnt vmcnt(0)
	v_mov_b32_e32 v4, v10
	v_mov_b32_e32 v5, v11
	s_andn2_b64 exec, exec, s[12:13]
	s_cbranch_execnz .LBB118_51
; %bb.52:                               ;   in Loop: Header=BB118_32 Depth=1
	s_or_b64 exec, exec, s[12:13]
	v_mov_b32_e32 v4, v10
	v_sub_u32_e32 v8, v12, v2
	v_mov_b32_e32 v5, v11
.LBB118_53:                             ;   in Loop: Header=BB118_32 Depth=1
	s_or_b64 exec, exec, s[10:11]
	v_lshlrev_b32_e32 v2, 3, v8
	s_waitcnt vmcnt(0)
	ds_write_b64 v2, v[4:5]
.LBB118_54:                             ;   in Loop: Header=BB118_32 Depth=1
	s_or_b64 exec, exec, s[6:7]
	s_waitcnt lgkmcnt(0)
	s_barrier
	s_and_saveexec_b64 s[6:7], s[2:3]
; %bb.55:                               ;   in Loop: Header=BB118_32 Depth=1
	v_mov_b32_e32 v4, s20
	v_mov_b32_e32 v5, s21
	ds_write_b64 v21, v[4:5] offset:5120
; %bb.56:                               ;   in Loop: Header=BB118_32 Depth=1
	s_or_b64 exec, exec, s[6:7]
	s_mov_b64 s[6:7], -1
	s_waitcnt lgkmcnt(0)
	s_barrier
.LBB118_57:                             ;   in Loop: Header=BB118_32 Depth=1
	s_mov_b64 s[86:87], 0
	s_and_b64 vcc, exec, s[6:7]
	s_cbranch_vccz .LBB118_59
; %bb.58:                               ;   in Loop: Header=BB118_32 Depth=1
	ds_read_b64 v[4:5], v21 offset:5120
	s_waitcnt lgkmcnt(0)
	v_readfirstlane_b32 s86, v4
.LBB118_59:                             ;   in Loop: Header=BB118_32 Depth=1
	s_cmp_lt_i32 s86, 1
	s_mov_b64 s[6:7], -1
                                        ; implicit-def: $vgpr8_vgpr9
                                        ; implicit-def: $vgpr12_vgpr13
	s_cbranch_scc1 .LBB118_69
; %bb.60:                               ;   in Loop: Header=BB118_32 Depth=1
	s_and_b64 vcc, exec, s[6:7]
	s_cbranch_vccnz .LBB118_83
.LBB118_61:                             ;   in Loop: Header=BB118_32 Depth=1
	s_lshl_b32 s10, s1, 6
	s_and_saveexec_b64 s[6:7], s[4:5]
	s_cbranch_execz .LBB118_63
.LBB118_62:                             ;   in Loop: Header=BB118_32 Depth=1
	v_lshl_add_u32 v2, s10, 3, v39
	ds_write_b128 v2, v[8:11]
	ds_write_b128 v2, v[12:15] offset:16
.LBB118_63:                             ;   in Loop: Header=BB118_32 Depth=1
	s_or_b64 exec, exec, s[6:7]
	s_waitcnt lgkmcnt(0)
	s_barrier
	s_and_saveexec_b64 s[6:7], s[60:61]
	s_cbranch_execz .LBB118_98
; %bb.64:                               ;   in Loop: Header=BB118_32 Depth=1
	v_mov_b32_e32 v4, 0
	v_mov_b32_e32 v5, 0
	s_andn2_b64 vcc, exec, s[62:63]
	s_cbranch_vccnz .LBB118_97
; %bb.65:                               ;   in Loop: Header=BB118_32 Depth=1
	v_readlane_b32 s12, v47, 32
	v_readlane_b32 s13, v47, 33
	s_andn2_b64 vcc, exec, s[12:13]
	s_cbranch_vccnz .LBB118_93
; %bb.66:                               ;   in Loop: Header=BB118_32 Depth=1
	v_mov_b32_e32 v4, 0
	v_lshl_add_u32 v2, s1, 9, v41
	v_mov_b32_e32 v5, 0
	s_mov_b32 s11, 0
.LBB118_67:                             ;   Parent Loop BB118_32 Depth=1
                                        ; =>  This Inner Loop Header: Depth=2
	ds_read2_b64 v[8:11], v2 offset1:4
	ds_read2_b64 v[12:15], v2 offset0:8 offset1:12
	ds_read2_b64 v[28:31], v2 offset0:16 offset1:20
	;; [unrolled: 1-line block ×3, first 2 shown]
	s_add_i32 s11, s11, 8
	s_waitcnt lgkmcnt(3)
	v_add_co_u32_e32 v4, vcc, v8, v4
	v_addc_co_u32_e32 v5, vcc, v9, v5, vcc
	v_add_co_u32_e32 v4, vcc, v10, v4
	v_addc_co_u32_e32 v5, vcc, v11, v5, vcc
	s_waitcnt lgkmcnt(2)
	v_add_co_u32_e32 v4, vcc, v12, v4
	v_addc_co_u32_e32 v5, vcc, v13, v5, vcc
	v_add_co_u32_e32 v4, vcc, v14, v4
	v_addc_co_u32_e32 v5, vcc, v15, v5, vcc
	;; [unrolled: 5-line block ×3, first 2 shown]
	s_waitcnt lgkmcnt(0)
	v_add_co_u32_e32 v4, vcc, v43, v4
	v_addc_co_u32_e32 v5, vcc, v44, v5, vcc
	v_add_co_u32_e32 v4, vcc, v45, v4
	v_add_u32_e32 v2, 0x100, v2
	s_cmp_eq_u32 s31, s11
	v_addc_co_u32_e32 v5, vcc, v46, v5, vcc
	s_cbranch_scc0 .LBB118_67
; %bb.68:                               ;   in Loop: Header=BB118_32 Depth=1
	s_mov_b32 s11, s31
	s_branch .LBB118_94
.LBB118_69:                             ;   in Loop: Header=BB118_32 Depth=1
	global_load_ushort v2, v21, s[66:67]
	s_mov_b32 s6, s59
	s_waitcnt vmcnt(0)
	v_readfirstlane_b32 s7, v2
	s_and_b32 s7, 0xffff, s7
	s_lshl_b32 s22, s7, 2
	s_mov_b32 s7, s21
	s_cmp_lg_u64 s[6:7], 0
	s_cbranch_scc0 .LBB118_92
; %bb.70:                               ;   in Loop: Header=BB118_32 Depth=1
	v_cvt_f32_u32_e32 v4, s22
	s_sub_u32 s10, 0, s22
	s_subb_u32 s11, 0, 0
	v_mac_f32_e32 v4, 0, v42
	v_rcp_f32_e32 v4, v4
	v_mul_f32_e32 v4, 0x5f7ffffc, v4
	v_mul_f32_e32 v5, 0x2f800000, v4
	v_trunc_f32_e32 v5, v5
	v_mac_f32_e32 v4, 0xcf800000, v5
	v_cvt_u32_f32_e32 v5, v5
	v_cvt_u32_f32_e32 v4, v4
	v_readfirstlane_b32 s12, v5
	v_readfirstlane_b32 s6, v4
	s_mul_i32 s7, s10, s12
	s_mul_hi_u32 s14, s10, s6
	s_mul_i32 s13, s11, s6
	s_add_i32 s7, s14, s7
	s_mul_i32 s15, s10, s6
	s_add_i32 s7, s7, s13
	s_mul_hi_u32 s14, s6, s15
	s_mul_i32 s23, s6, s7
	s_mul_hi_u32 s13, s6, s7
	s_add_u32 s14, s14, s23
	s_addc_u32 s13, 0, s13
	s_mul_hi_u32 s24, s12, s15
	s_mul_i32 s15, s12, s15
	s_add_u32 s14, s14, s15
	s_mul_hi_u32 s23, s12, s7
	s_addc_u32 s13, s13, s24
	s_addc_u32 s14, s23, 0
	s_mul_i32 s7, s12, s7
	s_add_u32 s7, s13, s7
	s_addc_u32 s13, 0, s14
	s_add_u32 s14, s6, s7
	s_cselect_b64 s[6:7], -1, 0
	s_cmp_lg_u64 s[6:7], 0
	s_addc_u32 s12, s12, s13
	s_mul_i32 s6, s10, s12
	s_mul_hi_u32 s7, s10, s14
	s_add_i32 s6, s7, s6
	s_mul_i32 s11, s11, s14
	s_add_i32 s6, s6, s11
	s_mul_i32 s10, s10, s14
	s_mul_hi_u32 s11, s12, s10
	s_mul_i32 s13, s12, s10
	s_mul_i32 s23, s14, s6
	s_mul_hi_u32 s10, s14, s10
	s_mul_hi_u32 s15, s14, s6
	s_add_u32 s10, s10, s23
	s_addc_u32 s15, 0, s15
	s_add_u32 s10, s10, s13
	s_mul_hi_u32 s7, s12, s6
	s_addc_u32 s10, s15, s11
	s_addc_u32 s7, s7, 0
	s_mul_i32 s6, s12, s6
	s_add_u32 s6, s10, s6
	s_addc_u32 s10, 0, s7
	s_add_u32 s11, s14, s6
	s_cselect_b64 s[6:7], -1, 0
	s_cmp_lg_u64 s[6:7], 0
	s_addc_u32 s6, s12, s10
	s_mul_i32 s10, s20, s6
	s_mul_hi_u32 s12, s20, s11
	s_mul_hi_u32 s7, s20, s6
	s_add_u32 s10, s12, s10
	s_addc_u32 s7, 0, s7
	s_mul_hi_u32 s13, s21, s11
	s_mul_i32 s11, s21, s11
	s_add_u32 s10, s10, s11
	s_mul_hi_u32 s12, s21, s6
	s_addc_u32 s7, s7, s13
	s_addc_u32 s10, s12, 0
	s_mul_i32 s6, s21, s6
	s_add_u32 s6, s7, s6
	s_addc_u32 s7, 0, s10
	s_mul_i32 s7, s22, s7
	s_mul_hi_u32 s10, s22, s6
	s_add_i32 s10, s10, s7
	s_mul_i32 s6, s22, s6
	s_sub_u32 s11, s20, s6
	s_cselect_b64 s[6:7], -1, 0
	s_cmp_lg_u64 s[6:7], 0
	s_subb_u32 s10, s21, s10
	s_sub_u32 s12, s11, s22
	s_cselect_b64 s[6:7], -1, 0
	s_cmp_lg_u64 s[6:7], 0
	s_subb_u32 s13, s10, 0
	;; [unrolled: 4-line block ×3, first 2 shown]
	s_cmp_ge_u32 s12, s22
	s_cselect_b32 s7, -1, 0
	s_cmp_eq_u32 s13, 0
	s_cselect_b32 s7, s7, -1
	s_cmp_lg_u32 s7, 0
	s_cselect_b32 s6, s6, s13
	s_cselect_b32 s12, s14, s12
	s_cmp_ge_u32 s11, s22
	s_cselect_b32 s7, -1, 0
	s_cmp_eq_u32 s10, 0
	s_cselect_b32 s7, s7, -1
	s_cmp_lg_u32 s7, 0
	s_cselect_b32 s7, s6, s10
	s_cselect_b32 s6, s12, s11
	s_cbranch_execnz .LBB118_72
.LBB118_71:                             ;   in Loop: Header=BB118_32 Depth=1
	v_cvt_f32_u32_e32 v4, s22
	s_sub_i32 s6, 0, s22
	v_rcp_iflag_f32_e32 v4, v4
	v_mul_f32_e32 v4, 0x4f7ffffe, v4
	v_cvt_u32_f32_e32 v4, v4
	v_readfirstlane_b32 s7, v4
	s_mul_i32 s6, s6, s7
	s_mul_hi_u32 s6, s7, s6
	s_add_i32 s7, s7, s6
	s_mul_hi_u32 s6, s20, s7
	s_mul_i32 s6, s6, s22
	s_sub_i32 s6, s20, s6
	s_sub_i32 s7, s6, s22
	s_cmp_ge_u32 s6, s22
	s_cselect_b32 s6, s7, s6
	s_sub_i32 s7, s6, s22
	s_cmp_ge_u32 s6, s22
	s_cselect_b32 s58, s7, s6
	s_mov_b64 s[6:7], s[58:59]
.LBB118_72:                             ;   in Loop: Header=BB118_32 Depth=1
	s_sub_u32 s50, s20, s6
	s_subb_u32 s51, s21, s7
	v_cmp_gt_u64_e32 vcc, s[50:51], v[18:19]
	v_mov_b32_e32 v8, 0
	v_mov_b32_e32 v10, 0
	;; [unrolled: 1-line block ×8, first 2 shown]
	s_and_saveexec_b64 s[52:53], vcc
	s_cbranch_execz .LBB118_76
; %bb.73:                               ;   in Loop: Header=BB118_32 Depth=1
	v_mov_b32_e32 v4, v18
	s_mov_b64 s[88:89], 0
	s_mov_b64 s[90:91], 0
	;; [unrolled: 1-line block ×5, first 2 shown]
	v_mov_b32_e32 v5, v19
.LBB118_74:                             ;   Parent Loop BB118_32 Depth=1
                                        ; =>  This Inner Loop Header: Depth=2
	v_mul_lo_u32 v10, v5, s44
	v_mul_lo_u32 v11, v4, s45
	v_mad_u64_u32 v[8:9], s[6:7], v4, s44, 0
	s_lshl_b64 s[6:7], s[44:45], 3
	v_mov_b32_e32 v20, s7
	v_add3_u32 v9, v9, v11, v10
	v_lshlrev_b64 v[8:9], 3, v[8:9]
	v_mov_b32_e32 v10, s33
	v_add_co_u32_e32 v8, vcc, s19, v8
	v_addc_co_u32_e32 v9, vcc, v10, v9, vcc
	global_load_dwordx2 v[10:11], v[8:9], off
	v_add_co_u32_e32 v8, vcc, s6, v8
	v_addc_co_u32_e32 v9, vcc, v9, v20, vcc
	global_load_dwordx2 v[12:13], v[8:9], off
	;; [unrolled: 3-line block ×4, first 2 shown]
	s_waitcnt vmcnt(3)
	v_cmp_o_f64_e32 vcc, v[10:11], v[10:11]
	v_ashrrev_i32_e32 v20, 31, v11
	v_or_b32_e32 v28, 0x80000000, v20
	v_xor_b32_e32 v11, v28, v11
	v_xor_b32_e32 v10, v20, v10
	v_cndmask_b32_e32 v29, -1, v11, vcc
	v_cndmask_b32_e32 v28, -1, v10, vcc
	s_waitcnt vmcnt(2)
	v_cmp_o_f64_e32 vcc, v[12:13], v[12:13]
	v_ashrrev_i32_e32 v10, 31, v13
	v_or_b32_e32 v11, 0x80000000, v10
	v_xor_b32_e32 v11, v11, v13
	v_xor_b32_e32 v10, v10, v12
	v_cndmask_b32_e32 v31, -1, v11, vcc
	v_cndmask_b32_e32 v30, -1, v10, vcc
	;; [unrolled: 8-line block ×4, first 2 shown]
	v_and_b32_e32 v9, v29, v25
	v_and_b32_e32 v8, v28, v24
	v_cmp_eq_u64_e32 vcc, v[8:9], v[22:23]
	v_and_b32_e32 v9, v31, v25
	v_and_b32_e32 v8, v30, v24
	v_cmp_eq_u64_e64 s[10:11], v[8:9], v[22:23]
	v_and_b32_e32 v9, v13, v25
	v_and_b32_e32 v8, v12, v24
	v_cmp_eq_u64_e64 s[12:13], v[8:9], v[22:23]
	v_and_b32_e32 v9, v11, v25
	v_and_b32_e32 v8, v10, v24
	v_cmp_eq_u64_e64 s[14:15], v[8:9], v[22:23]
	v_lshrrev_b64 v[8:9], s0, v[28:29]
	v_lshrrev_b64 v[12:13], s0, v[12:13]
	v_and_b32_e32 v20, 3, v8
	v_lshrrev_b64 v[8:9], s0, v[30:31]
	v_cmp_eq_u64_e64 s[6:7], 0, v[20:21]
	v_and_b32_e32 v8, 3, v8
	v_mov_b32_e32 v9, v21
	s_and_b64 s[24:25], vcc, s[6:7]
	v_cmp_eq_u64_e64 s[6:7], 0, v[8:9]
	v_and_b32_e32 v12, 3, v12
	v_mov_b32_e32 v13, v21
	v_lshrrev_b64 v[10:11], s0, v[10:11]
	s_and_b64 s[26:27], s[10:11], s[6:7]
	v_cmp_eq_u64_e64 s[6:7], 0, v[12:13]
	v_and_b32_e32 v10, 3, v10
	v_mov_b32_e32 v11, v21
	s_and_b64 s[34:35], s[12:13], s[6:7]
	v_cmp_eq_u64_e64 s[6:7], 0, v[10:11]
	v_cndmask_b32_e64 v14, 0, 1, s[24:25]
	s_and_b64 s[38:39], s[14:15], s[6:7]
	v_cmp_ne_u32_e64 s[6:7], 0, v14
	v_cndmask_b32_e64 v14, 0, 1, s[26:27]
	s_bcnt1_i32_b64 s23, s[6:7]
	v_cmp_ne_u32_e64 s[6:7], 0, v14
	v_cndmask_b32_e64 v14, 0, 1, s[34:35]
	s_bcnt1_i32_b64 s24, s[6:7]
	;; [unrolled: 3-line block ×3, first 2 shown]
	v_cmp_ne_u32_e64 s[6:7], 0, v14
	s_bcnt1_i32_b64 s6, s[6:7]
	s_add_u32 s7, s23, s36
	s_addc_u32 s23, 0, s37
	s_add_u32 s7, s7, s24
	s_addc_u32 s23, s23, 0
	;; [unrolled: 2-line block ×3, first 2 shown]
	s_add_u32 s36, s7, s6
	v_cmp_eq_u64_e64 s[6:7], 1, v[20:21]
	s_addc_u32 s37, s23, 0
	s_and_b64 s[24:25], vcc, s[6:7]
	v_cmp_eq_u64_e64 s[6:7], 1, v[8:9]
	v_cndmask_b32_e64 v14, 0, 1, s[24:25]
	s_and_b64 s[26:27], s[10:11], s[6:7]
	v_cmp_eq_u64_e64 s[6:7], 1, v[12:13]
	s_and_b64 s[34:35], s[12:13], s[6:7]
	v_cmp_eq_u64_e64 s[6:7], 1, v[10:11]
	s_and_b64 s[38:39], s[14:15], s[6:7]
	v_cmp_ne_u32_e64 s[6:7], 0, v14
	v_cndmask_b32_e64 v14, 0, 1, s[26:27]
	s_bcnt1_i32_b64 s23, s[6:7]
	v_cmp_ne_u32_e64 s[6:7], 0, v14
	v_cndmask_b32_e64 v14, 0, 1, s[34:35]
	s_bcnt1_i32_b64 s24, s[6:7]
	;; [unrolled: 3-line block ×3, first 2 shown]
	v_cmp_ne_u32_e64 s[6:7], 0, v14
	s_bcnt1_i32_b64 s6, s[6:7]
	s_add_u32 s7, s23, s94
	s_addc_u32 s23, 0, s95
	s_add_u32 s7, s7, s24
	s_addc_u32 s23, s23, 0
	;; [unrolled: 2-line block ×3, first 2 shown]
	s_add_u32 s94, s7, s6
	v_cmp_eq_u64_e64 s[6:7], 2, v[20:21]
	s_addc_u32 s95, s23, 0
	s_and_b64 s[24:25], vcc, s[6:7]
	v_cmp_eq_u64_e64 s[6:7], 2, v[8:9]
	v_cndmask_b32_e64 v14, 0, 1, s[24:25]
	s_and_b64 s[26:27], s[10:11], s[6:7]
	v_cmp_eq_u64_e64 s[6:7], 2, v[12:13]
	s_and_b64 s[34:35], s[12:13], s[6:7]
	v_cmp_eq_u64_e64 s[6:7], 2, v[10:11]
	s_and_b64 s[38:39], s[14:15], s[6:7]
	v_cmp_ne_u32_e64 s[6:7], 0, v14
	v_cndmask_b32_e64 v14, 0, 1, s[26:27]
	s_bcnt1_i32_b64 s23, s[6:7]
	v_cmp_ne_u32_e64 s[6:7], 0, v14
	v_cndmask_b32_e64 v14, 0, 1, s[34:35]
	s_bcnt1_i32_b64 s24, s[6:7]
	;; [unrolled: 3-line block ×3, first 2 shown]
	v_cmp_ne_u32_e64 s[6:7], 0, v14
	s_bcnt1_i32_b64 s6, s[6:7]
	s_add_u32 s7, s23, s92
	s_addc_u32 s23, 0, s93
	s_add_u32 s7, s7, s24
	s_addc_u32 s23, s23, 0
	;; [unrolled: 2-line block ×3, first 2 shown]
	s_add_u32 s92, s7, s6
	v_cmp_eq_u64_e64 s[6:7], 3, v[20:21]
	s_addc_u32 s93, s23, 0
	s_and_b64 s[6:7], vcc, s[6:7]
	v_cmp_eq_u64_e32 vcc, 3, v[8:9]
	v_cndmask_b32_e64 v8, 0, 1, s[6:7]
	s_and_b64 s[10:11], s[10:11], vcc
	v_cmp_eq_u64_e32 vcc, 3, v[12:13]
	v_mov_b32_e32 v12, s92
	s_and_b64 s[12:13], s[12:13], vcc
	v_cmp_eq_u64_e32 vcc, 3, v[10:11]
	v_mov_b32_e32 v10, s94
	s_and_b64 s[14:15], s[14:15], vcc
	v_cmp_ne_u32_e32 vcc, 0, v8
	v_cndmask_b32_e64 v8, 0, 1, s[10:11]
	s_bcnt1_i32_b64 s6, vcc
	v_cmp_ne_u32_e32 vcc, 0, v8
	v_cndmask_b32_e64 v8, 0, 1, s[12:13]
	s_bcnt1_i32_b64 s7, vcc
	;; [unrolled: 3-line block ×3, first 2 shown]
	v_cmp_ne_u32_e32 vcc, 0, v8
	s_bcnt1_i32_b64 s11, vcc
	s_add_u32 s6, s6, s90
	s_addc_u32 s12, 0, s91
	s_add_u32 s6, s6, s7
	s_addc_u32 s7, s12, 0
	s_add_u32 s6, s6, s10
	v_add_co_u32_e32 v4, vcc, s22, v4
	s_addc_u32 s7, s7, 0
	v_addc_co_u32_e32 v5, vcc, 0, v5, vcc
	s_add_u32 s90, s6, s11
	v_cmp_le_u64_e32 vcc, s[50:51], v[4:5]
	s_addc_u32 s91, s7, 0
	v_mov_b32_e32 v8, s36
	v_mov_b32_e32 v14, s90
	s_or_b64 s[88:89], vcc, s[88:89]
	v_mov_b32_e32 v9, s37
	v_mov_b32_e32 v11, s95
	;; [unrolled: 1-line block ×4, first 2 shown]
	s_andn2_b64 exec, exec, s[88:89]
	s_cbranch_execnz .LBB118_74
; %bb.75:                               ;   in Loop: Header=BB118_32 Depth=1
	s_or_b64 exec, exec, s[88:89]
.LBB118_76:                             ;   in Loop: Header=BB118_32 Depth=1
	s_or_b64 exec, exec, s[52:53]
	v_mov_b32_e32 v5, s51
	v_add_co_u32_e32 v4, vcc, s50, v0
	v_addc_co_u32_e32 v5, vcc, 0, v5, vcc
	v_cmp_gt_u64_e32 vcc, s[20:21], v[4:5]
	s_and_saveexec_b64 s[12:13], vcc
	s_cbranch_execz .LBB118_82
; %bb.77:                               ;   in Loop: Header=BB118_32 Depth=1
	v_mul_lo_u32 v20, v5, s44
	v_mul_lo_u32 v30, v4, s45
	v_mad_u64_u32 v[28:29], s[6:7], v4, s44, 0
	s_mov_b64 s[14:15], 0
	v_add3_u32 v29, v29, v30, v20
	v_lshlrev_b64 v[28:29], 3, v[28:29]
	v_mov_b32_e32 v20, s33
	v_add_co_u32_e32 v28, vcc, s19, v28
	v_addc_co_u32_e32 v29, vcc, v20, v29, vcc
	global_load_dwordx2 v[30:31], v[28:29], off
	s_branch .LBB118_79
.LBB118_78:                             ;   in Loop: Header=BB118_79 Depth=2
	s_or_b64 exec, exec, s[10:11]
	s_waitcnt vmcnt(0)
	v_cmp_o_f64_e64 s[6:7], v[30:31], v[30:31]
	v_ashrrev_i32_e32 v20, 31, v31
	v_or_b32_e32 v43, 0x80000000, v20
	v_xor_b32_e32 v43, v43, v31
	v_xor_b32_e32 v20, v20, v30
	s_and_b64 s[10:11], exec, vcc
	s_or_b64 s[14:15], s[10:11], s[14:15]
	v_cndmask_b32_e64 v31, -1, v43, s[6:7]
	v_cndmask_b32_e64 v30, -1, v20, s[6:7]
	v_and_b32_e32 v44, v31, v25
	v_and_b32_e32 v43, v30, v24
	v_lshrrev_b64 v[30:31], s0, v[30:31]
	v_cmp_eq_u64_e32 vcc, v[43:44], v[22:23]
	v_and_b32_e32 v20, 3, v30
	v_cmp_eq_u64_e64 s[6:7], 0, v[20:21]
	s_and_b64 s[6:7], vcc, s[6:7]
	v_cndmask_b32_e64 v30, 0, 1, s[6:7]
	v_cmp_ne_u32_e64 s[6:7], 0, v30
	s_bcnt1_i32_b64 s10, s[6:7]
	v_cmp_eq_u64_e64 s[6:7], 1, v[20:21]
	v_add_co_u32_e64 v8, s[10:11], s10, v8
	s_and_b64 s[6:7], vcc, s[6:7]
	v_cndmask_b32_e64 v30, 0, 1, s[6:7]
	v_addc_co_u32_e64 v9, s[10:11], 0, v9, s[10:11]
	v_cmp_ne_u32_e64 s[6:7], 0, v30
	s_bcnt1_i32_b64 s10, s[6:7]
	v_cmp_eq_u64_e64 s[6:7], 2, v[20:21]
	v_add_co_u32_e64 v10, s[10:11], s10, v10
	s_and_b64 s[6:7], vcc, s[6:7]
	v_cndmask_b32_e64 v30, 0, 1, s[6:7]
	v_addc_co_u32_e64 v11, s[10:11], 0, v11, s[10:11]
	v_cmp_ne_u32_e64 s[6:7], 0, v30
	s_bcnt1_i32_b64 s10, s[6:7]
	v_cmp_eq_u64_e64 s[6:7], 3, v[20:21]
	v_add_co_u32_e64 v12, s[10:11], s10, v12
	s_and_b64 s[6:7], vcc, s[6:7]
	v_cndmask_b32_e64 v20, 0, 1, s[6:7]
	v_cmp_ne_u32_e32 vcc, 0, v20
	s_bcnt1_i32_b64 s6, vcc
	v_add_co_u32_e32 v14, vcc, s6, v14
	v_mov_b32_e32 v31, v29
	v_addc_co_u32_e64 v13, s[10:11], 0, v13, s[10:11]
	v_addc_co_u32_e32 v15, vcc, 0, v15, vcc
	v_mov_b32_e32 v30, v28
	s_andn2_b64 exec, exec, s[14:15]
	s_cbranch_execz .LBB118_81
.LBB118_79:                             ;   Parent Loop BB118_32 Depth=1
                                        ; =>  This Inner Loop Header: Depth=2
	v_add_co_u32_sdwa v4, vcc, v4, v2 dst_sel:DWORD dst_unused:UNUSED_PAD src0_sel:DWORD src1_sel:WORD_0
	v_addc_co_u32_e32 v5, vcc, 0, v5, vcc
	v_cmp_gt_u64_e64 s[6:7], s[20:21], v[4:5]
	v_cmp_le_u64_e32 vcc, s[20:21], v[4:5]
	v_mov_b32_e32 v28, 0
	v_mov_b32_e32 v29, 0
	s_and_saveexec_b64 s[10:11], s[6:7]
	s_cbranch_execz .LBB118_78
; %bb.80:                               ;   in Loop: Header=BB118_79 Depth=2
	v_mul_lo_u32 v20, v5, s44
	v_mul_lo_u32 v43, v4, s45
	v_mad_u64_u32 v[28:29], s[6:7], v4, s44, 0
	v_add3_u32 v29, v29, v43, v20
	v_lshlrev_b64 v[28:29], 3, v[28:29]
	v_mov_b32_e32 v20, s33
	v_add_co_u32_e64 v28, s[6:7], s19, v28
	v_addc_co_u32_e64 v29, s[6:7], v20, v29, s[6:7]
	global_load_dwordx2 v[28:29], v[28:29], off
	s_branch .LBB118_78
.LBB118_81:                             ;   in Loop: Header=BB118_32 Depth=1
	s_or_b64 exec, exec, s[14:15]
.LBB118_82:                             ;   in Loop: Header=BB118_32 Depth=1
	s_or_b64 exec, exec, s[12:13]
	s_branch .LBB118_61
.LBB118_83:                             ;   in Loop: Header=BB118_32 Depth=1
	global_load_ushort v2, v21, s[66:67]
	v_mov_b32_e32 v8, 0
	v_mov_b32_e32 v10, 0
	;; [unrolled: 1-line block ×8, first 2 shown]
	s_waitcnt vmcnt(0)
	v_readfirstlane_b32 s6, v2
	s_and_b32 s22, 0xffff, s6
	s_lshl_b32 s23, s22, 2
	v_cvt_f32_u32_e32 v4, s23
	s_sub_i32 s6, 0, s23
	v_rcp_iflag_f32_e32 v4, v4
	v_mul_f32_e32 v4, 0x4f7ffffe, v4
	v_cvt_u32_f32_e32 v4, v4
	v_readfirstlane_b32 s7, v4
	s_mul_i32 s6, s6, s7
	s_mul_hi_u32 s6, s7, s6
	s_add_i32 s7, s7, s6
	s_mul_hi_u32 s6, s86, s7
	s_mul_i32 s7, s6, s23
	s_sub_i32 s7, s86, s7
	s_add_i32 s10, s6, 1
	s_sub_i32 s11, s7, s23
	s_cmp_ge_u32 s7, s23
	s_cselect_b32 s6, s10, s6
	s_cselect_b32 s7, s11, s7
	s_add_i32 s10, s6, 1
	s_cmp_ge_u32 s7, s23
	s_cselect_b32 s6, s10, s6
	s_mul_hi_u32 s37, s22, s6
	s_mul_i32 s36, s22, s6
	s_lshl_b64 s[38:39], s[36:37], 2
	v_cmp_gt_u64_e32 vcc, s[38:39], v[18:19]
	s_and_saveexec_b64 s[50:51], vcc
	s_cbranch_execz .LBB118_87
; %bb.84:                               ;   in Loop: Header=BB118_32 Depth=1
	v_mov_b32_e32 v4, v18
	s_lshl_b32 s24, s22, 5
	s_mov_b64 s[52:53], 0
	v_mov_b32_e32 v28, v40
	s_mov_b64 s[88:89], 0
	s_mov_b64 s[90:91], 0
	s_mov_b64 s[92:93], 0
	s_mov_b64 s[94:95], 0
	v_mov_b32_e32 v5, v19
.LBB118_85:                             ;   Parent Loop BB118_32 Depth=1
                                        ; =>  This Inner Loop Header: Depth=2
	ds_read_b128 v[8:11], v28
	ds_read_b128 v[12:15], v28 offset:16
	v_add_u32_e32 v28, s24, v28
	s_waitcnt lgkmcnt(1)
	v_cmp_o_f64_e32 vcc, v[8:9], v[8:9]
	v_ashrrev_i32_e32 v20, 31, v9
	v_or_b32_e32 v29, 0x80000000, v20
	v_xor_b32_e32 v9, v29, v9
	v_xor_b32_e32 v8, v20, v8
	v_ashrrev_i32_e32 v20, 31, v11
	v_or_b32_e32 v29, 0x80000000, v20
	v_cndmask_b32_e32 v9, -1, v9, vcc
	v_cndmask_b32_e32 v8, -1, v8, vcc
	v_cmp_o_f64_e32 vcc, v[10:11], v[10:11]
	v_xor_b32_e32 v11, v29, v11
	v_xor_b32_e32 v10, v20, v10
	v_cndmask_b32_e32 v30, -1, v11, vcc
	v_cndmask_b32_e32 v29, -1, v10, vcc
	s_waitcnt lgkmcnt(0)
	v_cmp_o_f64_e32 vcc, v[12:13], v[12:13]
	v_ashrrev_i32_e32 v10, 31, v13
	v_or_b32_e32 v11, 0x80000000, v10
	v_xor_b32_e32 v11, v11, v13
	v_xor_b32_e32 v10, v10, v12
	v_cndmask_b32_e32 v13, -1, v11, vcc
	v_cndmask_b32_e32 v12, -1, v10, vcc
	v_cmp_o_f64_e32 vcc, v[14:15], v[14:15]
	v_ashrrev_i32_e32 v10, 31, v15
	v_or_b32_e32 v11, 0x80000000, v10
	v_xor_b32_e32 v11, v11, v15
	v_xor_b32_e32 v10, v10, v14
	v_and_b32_e32 v15, v9, v25
	v_and_b32_e32 v14, v8, v24
	v_lshrrev_b64 v[8:9], s0, v[8:9]
	v_cndmask_b32_e32 v11, -1, v11, vcc
	v_and_b32_e32 v20, 3, v8
	v_lshrrev_b64 v[8:9], s0, v[29:30]
	v_cndmask_b32_e32 v10, -1, v10, vcc
	v_cmp_eq_u64_e32 vcc, v[14:15], v[22:23]
	v_and_b32_e32 v15, v30, v25
	v_and_b32_e32 v14, v29, v24
	v_cmp_eq_u64_e64 s[6:7], 0, v[20:21]
	v_cmp_eq_u64_e64 s[10:11], v[14:15], v[22:23]
	v_and_b32_e32 v15, v13, v25
	v_and_b32_e32 v14, v12, v24
	v_and_b32_e32 v8, 3, v8
	v_mov_b32_e32 v9, v21
	v_lshrrev_b64 v[12:13], s0, v[12:13]
	s_and_b64 s[26:27], vcc, s[6:7]
	v_cmp_eq_u64_e64 s[6:7], 0, v[8:9]
	v_cmp_eq_u64_e64 s[12:13], v[14:15], v[22:23]
	v_and_b32_e32 v15, v11, v25
	v_and_b32_e32 v14, v10, v24
	;; [unrolled: 1-line block ×3, first 2 shown]
	v_mov_b32_e32 v13, v21
	v_lshrrev_b64 v[10:11], s0, v[10:11]
	s_and_b64 s[34:35], s[10:11], s[6:7]
	v_cmp_eq_u64_e64 s[6:7], 0, v[12:13]
	v_and_b32_e32 v10, 3, v10
	v_mov_b32_e32 v11, v21
	v_cmp_eq_u64_e64 s[14:15], v[14:15], v[22:23]
	s_and_b64 s[40:41], s[12:13], s[6:7]
	v_cmp_eq_u64_e64 s[6:7], 0, v[10:11]
	v_cndmask_b32_e64 v14, 0, 1, s[26:27]
	s_and_b64 s[42:43], s[14:15], s[6:7]
	v_cmp_ne_u32_e64 s[6:7], 0, v14
	v_cndmask_b32_e64 v14, 0, 1, s[34:35]
	s_bcnt1_i32_b64 s25, s[6:7]
	v_cmp_ne_u32_e64 s[6:7], 0, v14
	v_cndmask_b32_e64 v14, 0, 1, s[40:41]
	s_bcnt1_i32_b64 s26, s[6:7]
	;; [unrolled: 3-line block ×3, first 2 shown]
	v_cmp_ne_u32_e64 s[6:7], 0, v14
	s_bcnt1_i32_b64 s6, s[6:7]
	s_add_u32 s7, s25, s94
	s_addc_u32 s25, 0, s95
	s_add_u32 s7, s7, s26
	s_addc_u32 s25, s25, 0
	;; [unrolled: 2-line block ×3, first 2 shown]
	s_add_u32 s94, s7, s6
	v_cmp_eq_u64_e64 s[6:7], 1, v[20:21]
	s_addc_u32 s95, s25, 0
	s_and_b64 s[26:27], vcc, s[6:7]
	v_cmp_eq_u64_e64 s[6:7], 1, v[8:9]
	v_cndmask_b32_e64 v14, 0, 1, s[26:27]
	s_and_b64 s[34:35], s[10:11], s[6:7]
	v_cmp_eq_u64_e64 s[6:7], 1, v[12:13]
	s_and_b64 s[40:41], s[12:13], s[6:7]
	v_cmp_eq_u64_e64 s[6:7], 1, v[10:11]
	s_and_b64 s[42:43], s[14:15], s[6:7]
	v_cmp_ne_u32_e64 s[6:7], 0, v14
	v_cndmask_b32_e64 v14, 0, 1, s[34:35]
	s_bcnt1_i32_b64 s25, s[6:7]
	v_cmp_ne_u32_e64 s[6:7], 0, v14
	v_cndmask_b32_e64 v14, 0, 1, s[40:41]
	s_bcnt1_i32_b64 s26, s[6:7]
	;; [unrolled: 3-line block ×3, first 2 shown]
	v_cmp_ne_u32_e64 s[6:7], 0, v14
	s_bcnt1_i32_b64 s6, s[6:7]
	s_add_u32 s7, s25, s92
	s_addc_u32 s25, 0, s93
	s_add_u32 s7, s7, s26
	s_addc_u32 s25, s25, 0
	;; [unrolled: 2-line block ×3, first 2 shown]
	s_add_u32 s92, s7, s6
	v_cmp_eq_u64_e64 s[6:7], 2, v[20:21]
	s_addc_u32 s93, s25, 0
	s_and_b64 s[26:27], vcc, s[6:7]
	v_cmp_eq_u64_e64 s[6:7], 2, v[8:9]
	v_cndmask_b32_e64 v14, 0, 1, s[26:27]
	s_and_b64 s[34:35], s[10:11], s[6:7]
	v_cmp_eq_u64_e64 s[6:7], 2, v[12:13]
	s_and_b64 s[40:41], s[12:13], s[6:7]
	v_cmp_eq_u64_e64 s[6:7], 2, v[10:11]
	s_and_b64 s[42:43], s[14:15], s[6:7]
	v_cmp_ne_u32_e64 s[6:7], 0, v14
	v_cndmask_b32_e64 v14, 0, 1, s[34:35]
	s_bcnt1_i32_b64 s25, s[6:7]
	v_cmp_ne_u32_e64 s[6:7], 0, v14
	v_cndmask_b32_e64 v14, 0, 1, s[40:41]
	s_bcnt1_i32_b64 s26, s[6:7]
	;; [unrolled: 3-line block ×3, first 2 shown]
	v_cmp_ne_u32_e64 s[6:7], 0, v14
	s_bcnt1_i32_b64 s6, s[6:7]
	s_add_u32 s7, s25, s90
	s_addc_u32 s25, 0, s91
	s_add_u32 s7, s7, s26
	s_addc_u32 s25, s25, 0
	;; [unrolled: 2-line block ×3, first 2 shown]
	s_add_u32 s90, s7, s6
	v_cmp_eq_u64_e64 s[6:7], 3, v[20:21]
	s_addc_u32 s91, s25, 0
	s_and_b64 s[6:7], vcc, s[6:7]
	v_cmp_eq_u64_e32 vcc, 3, v[8:9]
	v_cndmask_b32_e64 v8, 0, 1, s[6:7]
	s_and_b64 s[10:11], s[10:11], vcc
	v_cmp_eq_u64_e32 vcc, 3, v[12:13]
	v_mov_b32_e32 v12, s90
	s_and_b64 s[12:13], s[12:13], vcc
	v_cmp_eq_u64_e32 vcc, 3, v[10:11]
	v_mov_b32_e32 v10, s92
	s_and_b64 s[14:15], s[14:15], vcc
	v_cmp_ne_u32_e32 vcc, 0, v8
	v_cndmask_b32_e64 v8, 0, 1, s[10:11]
	s_bcnt1_i32_b64 s6, vcc
	v_cmp_ne_u32_e32 vcc, 0, v8
	v_cndmask_b32_e64 v8, 0, 1, s[12:13]
	s_bcnt1_i32_b64 s7, vcc
	;; [unrolled: 3-line block ×3, first 2 shown]
	v_cmp_ne_u32_e32 vcc, 0, v8
	s_bcnt1_i32_b64 s11, vcc
	s_add_u32 s6, s6, s88
	s_addc_u32 s12, 0, s89
	s_add_u32 s6, s6, s7
	s_addc_u32 s7, s12, 0
	s_add_u32 s6, s6, s10
	v_add_co_u32_e32 v4, vcc, s23, v4
	s_addc_u32 s7, s7, 0
	v_addc_co_u32_e32 v5, vcc, 0, v5, vcc
	s_add_u32 s88, s6, s11
	v_cmp_le_u64_e32 vcc, s[38:39], v[4:5]
	s_addc_u32 s89, s7, 0
	v_mov_b32_e32 v8, s94
	v_mov_b32_e32 v14, s88
	s_or_b64 s[52:53], vcc, s[52:53]
	v_mov_b32_e32 v9, s95
	v_mov_b32_e32 v11, s93
	;; [unrolled: 1-line block ×4, first 2 shown]
	s_andn2_b64 exec, exec, s[52:53]
	s_cbranch_execnz .LBB118_85
; %bb.86:                               ;   in Loop: Header=BB118_32 Depth=1
	s_or_b64 exec, exec, s[52:53]
.LBB118_87:                             ;   in Loop: Header=BB118_32 Depth=1
	s_or_b64 exec, exec, s[50:51]
	v_mov_b32_e32 v5, s39
	v_add_co_u32_e32 v4, vcc, s38, v0
	s_and_b32 s58, s86, 0x7fffffff
	v_addc_co_u32_e32 v5, vcc, 0, v5, vcc
	v_cmp_gt_u64_e32 vcc, s[58:59], v[4:5]
	s_and_saveexec_b64 s[10:11], vcc
	s_cbranch_execz .LBB118_91
; %bb.88:                               ;   in Loop: Header=BB118_32 Depth=1
	v_lshl_add_u32 v28, s36, 5, v33
	s_lshl_b32 s14, s22, 3
	s_mov_b64 s[12:13], 0
.LBB118_89:                             ;   Parent Loop BB118_32 Depth=1
                                        ; =>  This Inner Loop Header: Depth=2
	ds_read_b64 v[29:30], v28
	v_add_u32_e32 v28, s14, v28
	s_waitcnt lgkmcnt(0)
	v_cmp_o_f64_e32 vcc, v[29:30], v[29:30]
	v_ashrrev_i32_e32 v20, 31, v30
	v_or_b32_e32 v31, 0x80000000, v20
	v_xor_b32_e32 v30, v31, v30
	v_xor_b32_e32 v20, v20, v29
	v_cndmask_b32_e32 v30, -1, v30, vcc
	v_cndmask_b32_e32 v29, -1, v20, vcc
	v_and_b32_e32 v44, v30, v25
	v_and_b32_e32 v43, v29, v24
	v_lshrrev_b64 v[29:30], s0, v[29:30]
	v_cmp_eq_u64_e32 vcc, v[43:44], v[22:23]
	v_and_b32_e32 v20, 3, v29
	v_cmp_eq_u64_e64 s[6:7], 0, v[20:21]
	s_and_b64 s[6:7], vcc, s[6:7]
	v_cndmask_b32_e64 v29, 0, 1, s[6:7]
	v_cmp_ne_u32_e64 s[6:7], 0, v29
	s_bcnt1_i32_b64 s6, s[6:7]
	v_add_co_u32_e64 v8, s[6:7], s6, v8
	v_addc_co_u32_e64 v9, s[6:7], 0, v9, s[6:7]
	v_cmp_eq_u64_e64 s[6:7], 1, v[20:21]
	s_and_b64 s[6:7], vcc, s[6:7]
	v_cndmask_b32_e64 v29, 0, 1, s[6:7]
	v_cmp_ne_u32_e64 s[6:7], 0, v29
	s_bcnt1_i32_b64 s6, s[6:7]
	v_add_co_u32_e64 v10, s[6:7], s6, v10
	v_addc_co_u32_e64 v11, s[6:7], 0, v11, s[6:7]
	;; [unrolled: 7-line block ×3, first 2 shown]
	v_cmp_eq_u64_e64 s[6:7], 3, v[20:21]
	s_and_b64 s[6:7], vcc, s[6:7]
	v_cndmask_b32_e64 v20, 0, 1, s[6:7]
	v_cmp_ne_u32_e32 vcc, 0, v20
	s_bcnt1_i32_b64 s6, vcc
	v_add_co_u32_e32 v14, vcc, s6, v14
	v_addc_co_u32_e32 v15, vcc, 0, v15, vcc
	v_add_co_u32_sdwa v4, vcc, v4, v2 dst_sel:DWORD dst_unused:UNUSED_PAD src0_sel:DWORD src1_sel:WORD_0
	v_addc_co_u32_e32 v5, vcc, 0, v5, vcc
	v_cmp_le_u64_e32 vcc, s[58:59], v[4:5]
	s_or_b64 s[12:13], vcc, s[12:13]
	s_andn2_b64 exec, exec, s[12:13]
	s_cbranch_execnz .LBB118_89
; %bb.90:                               ;   in Loop: Header=BB118_32 Depth=1
	s_or_b64 exec, exec, s[12:13]
.LBB118_91:                             ;   in Loop: Header=BB118_32 Depth=1
	s_or_b64 exec, exec, s[10:11]
	s_lshl_b32 s10, s1, 6
	s_and_saveexec_b64 s[6:7], s[4:5]
	s_cbranch_execnz .LBB118_62
	s_branch .LBB118_63
.LBB118_92:                             ;   in Loop: Header=BB118_32 Depth=1
                                        ; implicit-def: $sgpr6_sgpr7
	s_branch .LBB118_71
.LBB118_93:                             ;   in Loop: Header=BB118_32 Depth=1
	v_mov_b32_e32 v4, 0
	v_mov_b32_e32 v5, 0
	s_mov_b32 s11, 0
.LBB118_94:                             ;   in Loop: Header=BB118_32 Depth=1
	v_readlane_b32 s12, v47, 35
	v_readlane_b32 s13, v47, 36
	s_andn2_b64 vcc, exec, s[12:13]
	s_cbranch_vccnz .LBB118_97
; %bb.95:                               ;   in Loop: Header=BB118_32 Depth=1
	s_lshl_b32 s12, s1, 9
	s_lshl_b32 s11, s11, 5
	s_add_i32 s12, s12, s11
	v_add_u32_e32 v2, s12, v41
	v_readlane_b32 s11, v47, 34
.LBB118_96:                             ;   Parent Loop BB118_32 Depth=1
                                        ; =>  This Inner Loop Header: Depth=2
	ds_read_b64 v[8:9], v2
	s_add_i32 s11, s11, -1
	v_add_u32_e32 v2, 32, v2
	s_cmp_lg_u32 s11, 0
	s_waitcnt lgkmcnt(0)
	v_add_co_u32_e32 v4, vcc, v8, v4
	v_addc_co_u32_e32 v5, vcc, v9, v5, vcc
	s_cbranch_scc1 .LBB118_96
.LBB118_97:                             ;   in Loop: Header=BB118_32 Depth=1
	v_add_lshl_u32 v2, s10, v32, 3
	ds_write_b64 v2, v[4:5] offset:3072
.LBB118_98:                             ;   in Loop: Header=BB118_32 Depth=1
	s_or_b64 exec, exec, s[6:7]
	s_lshl_b32 s6, s10, 3
	v_mov_b32_e32 v2, s6
	s_waitcnt lgkmcnt(0)
	s_barrier
	ds_read_b128 v[12:15], v2 offset:3088
	ds_read_b128 v[8:11], v2 offset:3072
	v_cmp_eq_u64_e64 s[6:7], 1, v[26:27]
	s_lshl_b64 s[12:13], 3, s0
	s_not_b64 s[94:95], s[12:13]
	s_waitcnt lgkmcnt(1)
	v_readfirstlane_b32 s90, v12
	s_waitcnt lgkmcnt(0)
	v_cmp_eq_u64_e32 vcc, 1, v[8:9]
	v_readfirstlane_b32 s91, v13
	v_readfirstlane_b32 s10, v14
	;; [unrolled: 1-line block ×3, first 2 shown]
	s_and_b64 s[36:37], vcc, s[6:7]
	s_mov_b64 s[6:7], -1
	s_mov_b64 s[22:23], -1
                                        ; implicit-def: $sgpr38_sgpr39
                                        ; implicit-def: $sgpr34_sgpr35
	s_and_saveexec_b64 s[14:15], s[36:37]
	s_cbranch_execz .LBB118_132
; %bb.99:                               ;   in Loop: Header=BB118_32 Depth=1
	ds_read_b64 v[4:5], v21 offset:5120
	s_waitcnt lgkmcnt(0)
	s_barrier
	v_readfirstlane_b32 s42, v4
	v_readfirstlane_b32 s43, v5
	s_and_saveexec_b64 s[22:23], s[16:17]
; %bb.100:                              ;   in Loop: Header=BB118_32 Depth=1
	v_mov_b32_e32 v20, v21
	ds_write_b64 v34, v[20:21]
; %bb.101:                              ;   in Loop: Header=BB118_32 Depth=1
	s_or_b64 exec, exec, s[22:23]
	v_and_b32_e32 v23, s95, v23
	v_and_b32_e32 v22, s94, v22
	v_or_b32_e32 v25, s13, v25
	v_or_b32_e32 v24, s12, v24
	s_mov_b64 s[34:35], -1
	s_mov_b64 s[38:39], 0
	s_cmp_eq_u64 s[42:43], 0
	s_mov_b64 s[40:41], 0
	s_mov_b64 s[22:23], -1
	s_waitcnt lgkmcnt(0)
	s_barrier
                                        ; implicit-def: $vgpr6_vgpr7
	s_cbranch_scc1 .LBB118_116
; %bb.102:                              ;   in Loop: Header=BB118_32 Depth=1
	s_add_u32 s26, s42, s71
	s_addc_u32 s41, s43, s28
	s_mov_b32 s40, s59
	s_cmp_lg_u64 s[40:41], 0
	s_cbranch_scc0 .LBB118_159
; %bb.103:                              ;   in Loop: Header=BB118_32 Depth=1
	v_cvt_f32_u32_e32 v2, s70
	s_sub_u32 s24, 0, s70
	s_subb_u32 s25, 0, 0
	v_mac_f32_e32 v2, 0, v42
	v_rcp_f32_e32 v2, v2
	v_mul_f32_e32 v2, 0x5f7ffffc, v2
	v_mul_f32_e32 v4, 0x2f800000, v2
	v_trunc_f32_e32 v4, v4
	v_mac_f32_e32 v2, 0xcf800000, v4
	v_cvt_u32_f32_e32 v4, v4
	v_cvt_u32_f32_e32 v2, v2
	v_readfirstlane_b32 s27, v4
	v_readfirstlane_b32 s22, v2
	s_mul_i32 s23, s24, s27
	s_mul_hi_u32 s46, s24, s22
	s_mul_i32 s40, s25, s22
	s_add_i32 s23, s46, s23
	s_mul_i32 s47, s24, s22
	s_add_i32 s23, s23, s40
	s_mul_hi_u32 s46, s22, s47
	s_mul_i32 s48, s22, s23
	s_mul_hi_u32 s40, s22, s23
	s_add_u32 s46, s46, s48
	s_addc_u32 s40, 0, s40
	s_mul_hi_u32 s49, s27, s47
	s_mul_i32 s47, s27, s47
	s_add_u32 s46, s46, s47
	s_mul_hi_u32 s48, s27, s23
	s_addc_u32 s40, s40, s49
	s_addc_u32 s46, s48, 0
	s_mul_i32 s23, s27, s23
	s_add_u32 s23, s40, s23
	s_addc_u32 s40, 0, s46
	s_add_u32 s46, s22, s23
	s_cselect_b64 s[22:23], -1, 0
	s_cmp_lg_u64 s[22:23], 0
	s_addc_u32 s27, s27, s40
	s_mul_i32 s22, s24, s27
	s_mul_hi_u32 s23, s24, s46
	s_add_i32 s22, s23, s22
	s_mul_i32 s25, s25, s46
	s_add_i32 s22, s22, s25
	s_mul_i32 s24, s24, s46
	s_mul_hi_u32 s25, s27, s24
	s_mul_i32 s40, s27, s24
	s_mul_i32 s48, s46, s22
	s_mul_hi_u32 s24, s46, s24
	s_mul_hi_u32 s47, s46, s22
	s_add_u32 s24, s24, s48
	s_addc_u32 s47, 0, s47
	s_add_u32 s24, s24, s40
	s_mul_hi_u32 s23, s27, s22
	s_addc_u32 s24, s47, s25
	s_addc_u32 s23, s23, 0
	s_mul_i32 s22, s27, s22
	s_add_u32 s22, s24, s22
	s_addc_u32 s24, 0, s23
	s_add_u32 s25, s46, s22
	s_cselect_b64 s[22:23], -1, 0
	s_cmp_lg_u64 s[22:23], 0
	s_addc_u32 s22, s27, s24
	s_mul_i32 s24, s26, s22
	s_mul_hi_u32 s27, s26, s25
	s_mul_hi_u32 s23, s26, s22
	s_add_u32 s24, s27, s24
	s_addc_u32 s23, 0, s23
	s_mul_hi_u32 s40, s41, s25
	s_mul_i32 s25, s41, s25
	s_add_u32 s24, s24, s25
	s_mul_hi_u32 s27, s41, s22
	s_addc_u32 s23, s23, s40
	s_addc_u32 s24, s27, 0
	s_mul_i32 s22, s41, s22
	s_add_u32 s22, s23, s22
	s_addc_u32 s23, 0, s24
	s_mul_i32 s23, s70, s23
	s_mul_hi_u32 s24, s70, s22
	s_add_i32 s24, s24, s23
	s_mul_i32 s22, s70, s22
	s_sub_u32 s25, s26, s22
	s_cselect_b64 s[22:23], -1, 0
	s_cmp_lg_u64 s[22:23], 0
	s_subb_u32 s24, s41, s24
	s_sub_u32 s27, s25, s70
	s_cselect_b64 s[22:23], -1, 0
	s_cmp_lg_u64 s[22:23], 0
	s_subb_u32 s40, s24, 0
	;; [unrolled: 4-line block ×3, first 2 shown]
	s_cmp_ge_u32 s27, s70
	s_cselect_b32 s23, -1, 0
	s_cmp_eq_u32 s40, 0
	s_cselect_b32 s23, s23, -1
	s_cmp_lg_u32 s23, 0
	s_cselect_b32 s22, s22, s40
	s_cselect_b32 s27, s46, s27
	s_cmp_ge_u32 s25, s70
	s_cselect_b32 s23, -1, 0
	s_cmp_eq_u32 s24, 0
	s_cselect_b32 s23, s23, -1
	s_cmp_lg_u32 s23, 0
	s_cselect_b32 s23, s22, s24
	s_cselect_b32 s22, s27, s25
	s_cbranch_execnz .LBB118_105
.LBB118_104:                            ;   in Loop: Header=BB118_32 Depth=1
	v_cvt_f32_u32_e32 v2, s70
	s_sub_i32 s22, 0, s70
	v_rcp_iflag_f32_e32 v2, v2
	v_mul_f32_e32 v2, 0x4f7ffffe, v2
	v_cvt_u32_f32_e32 v2, v2
	v_readfirstlane_b32 s23, v2
	s_mul_i32 s22, s22, s23
	s_mul_hi_u32 s22, s23, s22
	s_add_i32 s23, s23, s22
	s_mul_hi_u32 s22, s26, s23
	s_mul_i32 s22, s22, s70
	s_sub_i32 s22, s26, s22
	s_sub_i32 s23, s22, s70
	s_cmp_ge_u32 s22, s70
	s_cselect_b32 s22, s23, s22
	s_sub_i32 s23, s22, s70
	s_cmp_ge_u32 s22, s70
	s_cselect_b32 s58, s23, s22
	s_mov_b64 s[22:23], s[58:59]
.LBB118_105:                            ;   in Loop: Header=BB118_32 Depth=1
	s_sub_u32 s24, s26, s22
	s_subb_u32 s25, s41, s23
	v_cmp_gt_u64_e32 vcc, s[24:25], v[0:1]
	s_mov_b64 s[22:23], 0
	s_mov_b64 s[40:41], 0
                                        ; implicit-def: $vgpr6_vgpr7
	s_and_saveexec_b64 s[46:47], vcc
	s_cbranch_execz .LBB118_115
; %bb.106:                              ;   in Loop: Header=BB118_32 Depth=1
	v_mov_b32_e32 v13, v1
	s_mov_b64 s[26:27], 0
	v_mov_b32_e32 v14, v33
	v_mov_b32_e32 v12, v0
                                        ; implicit-def: $sgpr40_sgpr41
	s_branch .LBB118_110
.LBB118_107:                            ;   in Loop: Header=BB118_110 Depth=2
	s_or_b64 exec, exec, s[48:49]
	s_waitcnt lgkmcnt(0)
	s_barrier
	ds_read_b128 v[4:7], v21 offset:3072
	s_waitcnt lgkmcnt(0)
	s_barrier
	v_cmp_neq_f64_e32 vcc, 0, v[4:5]
	s_cbranch_vccnz .LBB118_113
; %bb.108:                              ;   in Loop: Header=BB118_110 Depth=2
	v_add_co_u32_e32 v12, vcc, s70, v12
	v_addc_co_u32_e32 v13, vcc, 0, v13, vcc
	v_cmp_le_u64_e32 vcc, s[24:25], v[12:13]
	v_add_u32_e32 v14, s30, v14
	s_mov_b64 s[48:49], 0
	s_orn2_b64 s[50:51], vcc, exec
.LBB118_109:                            ;   in Loop: Header=BB118_110 Depth=2
	s_and_b64 s[50:51], exec, s[50:51]
	s_or_b64 s[26:27], s[50:51], s[26:27]
	s_andn2_b64 s[40:41], s[40:41], exec
	s_and_b64 s[48:49], s[48:49], exec
	s_or_b64 s[40:41], s[40:41], s[48:49]
	s_andn2_b64 exec, exec, s[26:27]
	s_cbranch_execz .LBB118_114
.LBB118_110:                            ;   Parent Loop BB118_32 Depth=1
                                        ; =>  This Inner Loop Header: Depth=2
	v_cmp_gt_u64_e32 vcc, s[42:43], v[12:13]
	s_and_saveexec_b64 s[48:49], vcc
	s_cbranch_execz .LBB118_107
; %bb.111:                              ;   in Loop: Header=BB118_110 Depth=2
	ds_read_b64 v[4:5], v14
	s_waitcnt lgkmcnt(0)
	v_cmp_o_f64_e32 vcc, v[4:5], v[4:5]
	v_ashrrev_i32_e32 v2, 31, v5
	v_or_b32_e32 v6, 0x80000000, v2
	v_xor_b32_e32 v6, v6, v5
	v_xor_b32_e32 v2, v2, v4
	v_cndmask_b32_e32 v6, -1, v6, vcc
	v_cndmask_b32_e32 v2, -1, v2, vcc
	v_and_b32_e32 v7, v6, v25
	v_and_b32_e32 v6, v2, v24
	v_cmp_eq_u64_e32 vcc, v[6:7], v[22:23]
	s_and_b64 exec, exec, vcc
	s_cbranch_execz .LBB118_107
; %bb.112:                              ;   in Loop: Header=BB118_110 Depth=2
	v_mov_b32_e32 v2, v21
	ds_write_b128 v21, v[2:5] offset:3072
	s_branch .LBB118_107
.LBB118_113:                            ;   in Loop: Header=BB118_110 Depth=2
	s_mov_b64 s[50:51], -1
                                        ; implicit-def: $vgpr12_vgpr13
                                        ; implicit-def: $vgpr14
	s_mov_b64 s[48:49], -1
	s_branch .LBB118_109
.LBB118_114:                            ;   in Loop: Header=BB118_32 Depth=1
	s_or_b64 exec, exec, s[26:27]
	s_and_b64 s[40:41], s[40:41], exec
.LBB118_115:                            ;   in Loop: Header=BB118_32 Depth=1
	s_or_b64 exec, exec, s[46:47]
.LBB118_116:                            ;   in Loop: Header=BB118_32 Depth=1
	s_and_b64 vcc, exec, s[22:23]
	s_cbranch_vccz .LBB118_131
; %bb.117:                              ;   in Loop: Header=BB118_32 Depth=1
	s_mov_b32 s64, s59
	s_cmp_lg_u64 s[64:65], 0
	s_cbranch_scc0 .LBB118_163
; %bb.118:                              ;   in Loop: Header=BB118_32 Depth=1
	v_cvt_f32_u32_e32 v2, s70
	s_sub_u32 s24, 0, s70
	s_subb_u32 s25, 0, 0
	v_mac_f32_e32 v2, 0, v42
	v_rcp_f32_e32 v2, v2
	v_mul_f32_e32 v2, 0x5f7ffffc, v2
	v_mul_f32_e32 v4, 0x2f800000, v2
	v_trunc_f32_e32 v4, v4
	v_mac_f32_e32 v2, 0xcf800000, v4
	v_cvt_u32_f32_e32 v4, v4
	v_cvt_u32_f32_e32 v2, v2
	v_readfirstlane_b32 s26, v4
	v_readfirstlane_b32 s22, v2
	s_mul_i32 s23, s24, s26
	s_mul_hi_u32 s34, s24, s22
	s_mul_i32 s27, s25, s22
	s_add_i32 s23, s34, s23
	s_mul_i32 s35, s24, s22
	s_add_i32 s23, s23, s27
	s_mul_hi_u32 s34, s22, s35
	s_mul_i32 s38, s22, s23
	s_mul_hi_u32 s27, s22, s23
	s_add_u32 s34, s34, s38
	s_addc_u32 s27, 0, s27
	s_mul_hi_u32 s39, s26, s35
	s_mul_i32 s35, s26, s35
	s_add_u32 s34, s34, s35
	s_mul_hi_u32 s38, s26, s23
	s_addc_u32 s27, s27, s39
	s_addc_u32 s34, s38, 0
	s_mul_i32 s23, s26, s23
	s_add_u32 s23, s27, s23
	s_addc_u32 s27, 0, s34
	s_add_u32 s34, s22, s23
	s_cselect_b64 s[22:23], -1, 0
	s_cmp_lg_u64 s[22:23], 0
	s_addc_u32 s26, s26, s27
	s_mul_i32 s22, s24, s26
	s_mul_hi_u32 s23, s24, s34
	s_add_i32 s22, s23, s22
	s_mul_i32 s25, s25, s34
	s_add_i32 s22, s22, s25
	s_mul_i32 s24, s24, s34
	s_mul_hi_u32 s25, s26, s24
	s_mul_i32 s27, s26, s24
	s_mul_i32 s38, s34, s22
	s_mul_hi_u32 s24, s34, s24
	s_mul_hi_u32 s35, s34, s22
	s_add_u32 s24, s24, s38
	s_addc_u32 s35, 0, s35
	s_add_u32 s24, s24, s27
	s_mul_hi_u32 s23, s26, s22
	s_addc_u32 s24, s35, s25
	s_addc_u32 s23, s23, 0
	s_mul_i32 s22, s26, s22
	s_add_u32 s22, s24, s22
	s_addc_u32 s24, 0, s23
	s_add_u32 s25, s34, s22
	s_cselect_b64 s[22:23], -1, 0
	s_cmp_lg_u64 s[22:23], 0
	s_addc_u32 s22, s26, s24
	s_mul_i32 s24, s29, s22
	s_mul_hi_u32 s26, s29, s25
	s_mul_hi_u32 s23, s29, s22
	s_add_u32 s24, s26, s24
	s_addc_u32 s23, 0, s23
	s_mul_hi_u32 s27, s65, s25
	s_mul_i32 s25, s65, s25
	s_add_u32 s24, s24, s25
	s_mul_hi_u32 s26, s65, s22
	s_addc_u32 s23, s23, s27
	s_addc_u32 s24, s26, 0
	s_mul_i32 s22, s65, s22
	s_add_u32 s22, s23, s22
	s_addc_u32 s23, 0, s24
	s_mul_i32 s23, s70, s23
	s_mul_hi_u32 s24, s70, s22
	s_add_i32 s24, s24, s23
	s_mul_i32 s22, s70, s22
	s_sub_u32 s25, s29, s22
	s_cselect_b64 s[22:23], -1, 0
	s_cmp_lg_u64 s[22:23], 0
	s_subb_u32 s24, s65, s24
	s_sub_u32 s26, s25, s70
	s_cselect_b64 s[22:23], -1, 0
	s_cmp_lg_u64 s[22:23], 0
	s_subb_u32 s27, s24, 0
	;; [unrolled: 4-line block ×3, first 2 shown]
	s_cmp_ge_u32 s26, s70
	s_cselect_b32 s23, -1, 0
	s_cmp_eq_u32 s27, 0
	s_cselect_b32 s23, s23, -1
	s_cmp_lg_u32 s23, 0
	s_cselect_b32 s22, s22, s27
	s_cselect_b32 s26, s34, s26
	s_cmp_ge_u32 s25, s70
	s_cselect_b32 s23, -1, 0
	s_cmp_eq_u32 s24, 0
	s_cselect_b32 s23, s23, -1
	s_cmp_lg_u32 s23, 0
	s_cselect_b32 s23, s22, s24
	s_cselect_b32 s22, s26, s25
	s_cbranch_execnz .LBB118_120
.LBB118_119:                            ;   in Loop: Header=BB118_32 Depth=1
	v_cvt_f32_u32_e32 v2, s70
	s_sub_i32 s22, 0, s70
	v_rcp_iflag_f32_e32 v2, v2
	v_mul_f32_e32 v2, 0x4f7ffffe, v2
	v_cvt_u32_f32_e32 v2, v2
	v_readfirstlane_b32 s23, v2
	s_mul_i32 s22, s22, s23
	s_mul_hi_u32 s22, s23, s22
	s_add_i32 s23, s23, s22
	s_mul_hi_u32 s22, s29, s23
	s_mul_i32 s22, s22, s70
	s_sub_i32 s22, s29, s22
	s_sub_i32 s23, s22, s70
	s_cmp_ge_u32 s22, s70
	s_cselect_b32 s22, s23, s22
	s_sub_i32 s23, s22, s70
	s_cmp_ge_u32 s22, s70
	s_cselect_b32 s58, s23, s22
	s_mov_b64 s[22:23], s[58:59]
.LBB118_120:                            ;   in Loop: Header=BB118_32 Depth=1
	s_sub_u32 s34, s29, s22
	s_subb_u32 s35, s65, s23
	v_cmp_gt_u64_e32 vcc, s[34:35], v[0:1]
                                        ; implicit-def: $vgpr6_vgpr7
	s_and_saveexec_b64 s[22:23], vcc
	s_cbranch_execz .LBB118_130
; %bb.121:                              ;   in Loop: Header=BB118_32 Depth=1
	v_mov_b32_e32 v13, v1
	s_mov_b64 s[26:27], 0
	v_mov_b32_e32 v12, v0
                                        ; implicit-def: $sgpr24_sgpr25
	s_branch .LBB118_125
.LBB118_122:                            ;   in Loop: Header=BB118_125 Depth=2
	s_or_b64 exec, exec, s[38:39]
	s_waitcnt lgkmcnt(0)
	s_barrier
	ds_read_b128 v[4:7], v21 offset:3072
	s_waitcnt lgkmcnt(0)
	s_barrier
	v_cmp_neq_f64_e32 vcc, 0, v[4:5]
	s_cbranch_vccnz .LBB118_128
; %bb.123:                              ;   in Loop: Header=BB118_125 Depth=2
	v_add_co_u32_e32 v12, vcc, s70, v12
	v_addc_co_u32_e32 v13, vcc, 0, v13, vcc
	v_cmp_le_u64_e32 vcc, s[34:35], v[12:13]
	s_mov_b64 s[38:39], 0
	s_orn2_b64 s[42:43], vcc, exec
.LBB118_124:                            ;   in Loop: Header=BB118_125 Depth=2
	s_and_b64 s[42:43], exec, s[42:43]
	s_or_b64 s[26:27], s[42:43], s[26:27]
	s_andn2_b64 s[24:25], s[24:25], exec
	s_and_b64 s[38:39], s[38:39], exec
	s_or_b64 s[24:25], s[24:25], s[38:39]
	s_andn2_b64 exec, exec, s[26:27]
	s_cbranch_execz .LBB118_129
.LBB118_125:                            ;   Parent Loop BB118_32 Depth=1
                                        ; =>  This Inner Loop Header: Depth=2
	v_cmp_gt_u64_e32 vcc, s[20:21], v[12:13]
	s_and_saveexec_b64 s[38:39], vcc
	s_cbranch_execz .LBB118_122
; %bb.126:                              ;   in Loop: Header=BB118_125 Depth=2
	v_mul_lo_u32 v2, v13, s44
	v_mul_lo_u32 v6, v12, s45
	v_mad_u64_u32 v[4:5], s[42:43], v12, s44, 0
	v_add3_u32 v5, v5, v6, v2
	v_lshlrev_b64 v[4:5], 3, v[4:5]
	v_mov_b32_e32 v2, s33
	v_add_co_u32_e32 v4, vcc, s19, v4
	v_addc_co_u32_e32 v5, vcc, v2, v5, vcc
	global_load_dwordx2 v[4:5], v[4:5], off
	s_waitcnt vmcnt(0)
	v_cmp_o_f64_e32 vcc, v[4:5], v[4:5]
	v_ashrrev_i32_e32 v2, 31, v5
	v_or_b32_e32 v6, 0x80000000, v2
	v_xor_b32_e32 v6, v6, v5
	v_xor_b32_e32 v2, v2, v4
	v_cndmask_b32_e32 v6, -1, v6, vcc
	v_cndmask_b32_e32 v2, -1, v2, vcc
	v_and_b32_e32 v7, v6, v25
	v_and_b32_e32 v6, v2, v24
	v_cmp_eq_u64_e32 vcc, v[6:7], v[22:23]
	s_and_b64 exec, exec, vcc
	s_cbranch_execz .LBB118_122
; %bb.127:                              ;   in Loop: Header=BB118_125 Depth=2
	v_mov_b32_e32 v2, v21
	ds_write_b128 v21, v[2:5] offset:3072
	s_branch .LBB118_122
.LBB118_128:                            ;   in Loop: Header=BB118_125 Depth=2
	s_mov_b64 s[42:43], -1
                                        ; implicit-def: $vgpr12_vgpr13
	s_mov_b64 s[38:39], -1
	s_branch .LBB118_124
.LBB118_129:                            ;   in Loop: Header=BB118_32 Depth=1
	s_or_b64 exec, exec, s[26:27]
	s_andn2_b64 s[26:27], s[40:41], exec
	s_and_b64 s[24:25], s[24:25], exec
	s_or_b64 s[40:41], s[26:27], s[24:25]
.LBB118_130:                            ;   in Loop: Header=BB118_32 Depth=1
	s_or_b64 exec, exec, s[22:23]
	s_mov_b64 s[34:35], 0
	s_mov_b64 s[38:39], -1
.LBB118_131:                            ;   in Loop: Header=BB118_32 Depth=1
	s_orn2_b64 s[22:23], s[40:41], exec
.LBB118_132:                            ;   in Loop: Header=BB118_32 Depth=1
	s_or_b64 exec, exec, s[14:15]
	s_andn2_b64 s[14:15], s[84:85], exec
	s_and_b64 s[24:25], s[38:39], exec
	s_or_b64 s[84:85], s[14:15], s[24:25]
	s_andn2_b64 s[14:15], s[82:83], exec
	s_and_b64 s[24:25], s[34:35], exec
	s_andn2_b64 s[80:81], s[80:81], exec
	s_or_b64 s[82:83], s[14:15], s[24:25]
                                        ; implicit-def: $vgpr12_vgpr13
	s_and_saveexec_b64 s[14:15], s[22:23]
	s_cbranch_execz .LBB118_31
; %bb.133:                              ;   in Loop: Header=BB118_32 Depth=1
	v_mov_b32_e32 v12, 1
	s_xor_b64 s[22:23], s[36:37], -1
	v_mov_b32_e32 v14, 1
	v_mov_b32_e32 v13, 0
	s_mov_b64 s[24:25], 0
	s_and_saveexec_b64 s[6:7], s[22:23]
	s_cbranch_execz .LBB118_142
; %bb.134:                              ;   in Loop: Header=BB118_32 Depth=1
	v_cmp_le_u64_e32 vcc, v[26:27], v[8:9]
	s_and_saveexec_b64 s[22:23], vcc
	s_xor_b64 s[22:23], exec, s[22:23]
	s_cbranch_execz .LBB118_139
; %bb.135:                              ;   in Loop: Header=BB118_32 Depth=1
	ds_read_b64 v[4:5], v21 offset:5120
	v_and_b32_e32 v23, s95, v23
	v_and_b32_e32 v22, s94, v22
	v_or_b32_e32 v25, s13, v25
	v_or_b32_e32 v24, s12, v24
	s_waitcnt lgkmcnt(0)
	v_cmp_ne_u64_e32 vcc, 0, v[4:5]
	s_cbranch_vccnz .LBB118_139
; %bb.136:                              ;   in Loop: Header=BB118_32 Depth=1
	s_and_saveexec_b64 s[24:25], s[2:3]
; %bb.137:                              ;   in Loop: Header=BB118_32 Depth=1
	ds_write_b64 v21, v[8:9] offset:5128
; %bb.138:                              ;   in Loop: Header=BB118_32 Depth=1
	s_or_b64 exec, exec, s[24:25]
	s_waitcnt lgkmcnt(0)
	s_barrier
.LBB118_139:                            ;   in Loop: Header=BB118_32 Depth=1
	s_or_saveexec_b64 s[22:23], s[22:23]
	s_mov_b64 s[24:25], 0
	v_mov_b32_e32 v14, 8
	s_xor_b64 exec, exec, s[22:23]
; %bb.140:                              ;   in Loop: Header=BB118_32 Depth=1
	v_sub_co_u32_e32 v26, vcc, v26, v8
	v_subb_co_u32_e32 v27, vcc, v27, v9, vcc
	v_mov_b32_e32 v14, 0
	s_mov_b64 s[24:25], exec
; %bb.141:                              ;   in Loop: Header=BB118_32 Depth=1
	s_or_b64 exec, exec, s[22:23]
	v_mov_b32_e32 v12, v26
	s_and_b64 s[24:25], s[24:25], exec
	v_mov_b32_e32 v13, v27
.LBB118_142:                            ;   in Loop: Header=BB118_32 Depth=1
	s_or_b64 exec, exec, s[6:7]
	s_mov_b64 s[86:87], -1
	s_mov_b64 s[22:23], -1
                                        ; implicit-def: $sgpr6_sgpr7
                                        ; implicit-def: $sgpr92_sgpr93
	s_and_saveexec_b64 s[26:27], s[24:25]
	s_xor_b64 s[88:89], exec, s[26:27]
	s_cbranch_execz .LBB118_293
; %bb.143:                              ;   in Loop: Header=BB118_32 Depth=1
	v_cmp_eq_u64_e32 vcc, 1, v[10:11]
	v_cmp_eq_u64_e64 s[6:7], 1, v[12:13]
                                        ; implicit-def: $sgpr92_sgpr93
	s_and_b64 s[36:37], vcc, s[6:7]
                                        ; implicit-def: $sgpr6_sgpr7
	s_and_saveexec_b64 s[34:35], s[36:37]
	s_cbranch_execz .LBB118_182
; %bb.144:                              ;   in Loop: Header=BB118_32 Depth=1
	ds_read_b64 v[4:5], v21 offset:5120
	s_waitcnt lgkmcnt(0)
	s_barrier
	v_readfirstlane_b32 s40, v4
	v_readfirstlane_b32 s41, v5
	s_and_saveexec_b64 s[6:7], s[16:17]
; %bb.145:                              ;   in Loop: Header=BB118_32 Depth=1
	v_mov_b32_e32 v20, v21
	ds_write_b64 v34, v[20:21]
; %bb.146:                              ;   in Loop: Header=BB118_32 Depth=1
	s_or_b64 exec, exec, s[6:7]
	s_lshl_b64 s[6:7], 1, s0
	v_and_b32_e32 v2, s95, v23
	v_and_b32_e32 v4, s94, v22
	v_or_b32_e32 v23, s7, v2
	v_or_b32_e32 v22, s6, v4
	;; [unrolled: 1-line block ×4, first 2 shown]
	s_mov_b64 s[6:7], -1
	s_mov_b64 s[92:93], 0
	s_cmp_eq_u64 s[40:41], 0
	s_mov_b64 s[38:39], 0
	s_mov_b64 s[42:43], -1
	s_waitcnt lgkmcnt(0)
	s_barrier
                                        ; implicit-def: $vgpr6_vgpr7
	s_cbranch_scc1 .LBB118_166
; %bb.147:                              ;   in Loop: Header=BB118_32 Depth=1
	s_add_u32 s26, s40, s71
	s_addc_u32 s39, s41, s28
	s_mov_b32 s38, s59
	s_cmp_lg_u64 s[38:39], 0
	s_cbranch_scc0 .LBB118_210
; %bb.148:                              ;   in Loop: Header=BB118_32 Depth=1
	v_cvt_f32_u32_e32 v2, s70
	s_sub_u32 s24, 0, s70
	s_subb_u32 s25, 0, 0
	v_mac_f32_e32 v2, 0, v42
	v_rcp_f32_e32 v2, v2
	v_mul_f32_e32 v2, 0x5f7ffffc, v2
	v_mul_f32_e32 v4, 0x2f800000, v2
	v_trunc_f32_e32 v4, v4
	v_mac_f32_e32 v2, 0xcf800000, v4
	v_cvt_u32_f32_e32 v4, v4
	v_cvt_u32_f32_e32 v2, v2
	v_readfirstlane_b32 s27, v4
	v_readfirstlane_b32 s22, v2
	s_mul_i32 s23, s24, s27
	s_mul_hi_u32 s42, s24, s22
	s_mul_i32 s38, s25, s22
	s_add_i32 s23, s42, s23
	s_mul_i32 s43, s24, s22
	s_add_i32 s23, s23, s38
	s_mul_hi_u32 s42, s22, s43
	s_mul_i32 s46, s22, s23
	s_mul_hi_u32 s38, s22, s23
	s_add_u32 s42, s42, s46
	s_addc_u32 s38, 0, s38
	s_mul_hi_u32 s47, s27, s43
	s_mul_i32 s43, s27, s43
	s_add_u32 s42, s42, s43
	s_mul_hi_u32 s46, s27, s23
	s_addc_u32 s38, s38, s47
	s_addc_u32 s42, s46, 0
	s_mul_i32 s23, s27, s23
	s_add_u32 s23, s38, s23
	s_addc_u32 s38, 0, s42
	s_add_u32 s42, s22, s23
	s_cselect_b64 s[22:23], -1, 0
	s_cmp_lg_u64 s[22:23], 0
	s_addc_u32 s27, s27, s38
	s_mul_i32 s22, s24, s27
	s_mul_hi_u32 s23, s24, s42
	s_add_i32 s22, s23, s22
	s_mul_i32 s25, s25, s42
	s_add_i32 s22, s22, s25
	s_mul_i32 s24, s24, s42
	s_mul_hi_u32 s25, s27, s24
	s_mul_i32 s38, s27, s24
	s_mul_i32 s46, s42, s22
	s_mul_hi_u32 s24, s42, s24
	s_mul_hi_u32 s43, s42, s22
	s_add_u32 s24, s24, s46
	s_addc_u32 s43, 0, s43
	s_add_u32 s24, s24, s38
	s_mul_hi_u32 s23, s27, s22
	s_addc_u32 s24, s43, s25
	s_addc_u32 s23, s23, 0
	s_mul_i32 s22, s27, s22
	s_add_u32 s22, s24, s22
	s_addc_u32 s24, 0, s23
	s_add_u32 s25, s42, s22
	s_cselect_b64 s[22:23], -1, 0
	s_cmp_lg_u64 s[22:23], 0
	s_addc_u32 s22, s27, s24
	s_mul_i32 s24, s26, s22
	s_mul_hi_u32 s27, s26, s25
	s_mul_hi_u32 s23, s26, s22
	s_add_u32 s24, s27, s24
	s_addc_u32 s23, 0, s23
	s_mul_hi_u32 s38, s39, s25
	s_mul_i32 s25, s39, s25
	s_add_u32 s24, s24, s25
	s_mul_hi_u32 s27, s39, s22
	s_addc_u32 s23, s23, s38
	s_addc_u32 s24, s27, 0
	s_mul_i32 s22, s39, s22
	s_add_u32 s22, s23, s22
	s_addc_u32 s23, 0, s24
	s_mul_i32 s23, s70, s23
	s_mul_hi_u32 s24, s70, s22
	s_add_i32 s24, s24, s23
	s_mul_i32 s22, s70, s22
	s_sub_u32 s25, s26, s22
	s_cselect_b64 s[22:23], -1, 0
	s_cmp_lg_u64 s[22:23], 0
	s_subb_u32 s24, s39, s24
	s_sub_u32 s27, s25, s70
	s_cselect_b64 s[22:23], -1, 0
	s_cmp_lg_u64 s[22:23], 0
	s_subb_u32 s38, s24, 0
	s_sub_u32 s42, s27, s70
	s_cselect_b64 s[22:23], -1, 0
	s_cmp_lg_u64 s[22:23], 0
	s_subb_u32 s22, s38, 0
	s_cmp_ge_u32 s27, s70
	s_cselect_b32 s23, -1, 0
	s_cmp_eq_u32 s38, 0
	s_cselect_b32 s23, s23, -1
	s_cmp_lg_u32 s23, 0
	s_cselect_b32 s22, s22, s38
	s_cselect_b32 s27, s42, s27
	s_cmp_ge_u32 s25, s70
	s_cselect_b32 s23, -1, 0
	s_cmp_eq_u32 s24, 0
	s_cselect_b32 s23, s23, -1
	s_cmp_lg_u32 s23, 0
	s_cselect_b32 s23, s22, s24
	s_cselect_b32 s22, s27, s25
	s_cbranch_execnz .LBB118_150
.LBB118_149:                            ;   in Loop: Header=BB118_32 Depth=1
	v_cvt_f32_u32_e32 v2, s70
	s_sub_i32 s22, 0, s70
	v_rcp_iflag_f32_e32 v2, v2
	v_mul_f32_e32 v2, 0x4f7ffffe, v2
	v_cvt_u32_f32_e32 v2, v2
	v_readfirstlane_b32 s23, v2
	s_mul_i32 s22, s22, s23
	s_mul_hi_u32 s22, s23, s22
	s_add_i32 s23, s23, s22
	s_mul_hi_u32 s22, s26, s23
	s_mul_i32 s22, s22, s70
	s_sub_i32 s22, s26, s22
	s_sub_i32 s23, s22, s70
	s_cmp_ge_u32 s22, s70
	s_cselect_b32 s22, s23, s22
	s_sub_i32 s23, s22, s70
	s_cmp_ge_u32 s22, s70
	s_cselect_b32 s58, s23, s22
	s_mov_b64 s[22:23], s[58:59]
.LBB118_150:                            ;   in Loop: Header=BB118_32 Depth=1
	s_sub_u32 s46, s26, s22
	s_subb_u32 s47, s39, s23
	v_cmp_gt_u64_e32 vcc, s[46:47], v[0:1]
	s_mov_b64 s[42:43], 0
	s_mov_b64 s[38:39], 0
                                        ; implicit-def: $vgpr6_vgpr7
	s_and_saveexec_b64 s[22:23], vcc
	s_cbranch_execz .LBB118_165
; %bb.151:                              ;   in Loop: Header=BB118_32 Depth=1
	v_mov_b32_e32 v9, v1
	s_mov_b64 s[24:25], 0
	v_mov_b32_e32 v15, v33
	v_mov_b32_e32 v8, v0
                                        ; implicit-def: $sgpr26_sgpr27
	s_branch .LBB118_155
.LBB118_152:                            ;   in Loop: Header=BB118_155 Depth=2
	s_or_b64 exec, exec, s[38:39]
	s_waitcnt lgkmcnt(0)
	s_barrier
	ds_read_b128 v[4:7], v21 offset:3072
	s_waitcnt lgkmcnt(0)
	s_barrier
	v_cmp_neq_f64_e32 vcc, 0, v[4:5]
	s_cbranch_vccnz .LBB118_158
; %bb.153:                              ;   in Loop: Header=BB118_155 Depth=2
	v_add_co_u32_e32 v8, vcc, s70, v8
	v_addc_co_u32_e32 v9, vcc, 0, v9, vcc
	v_cmp_le_u64_e32 vcc, s[46:47], v[8:9]
	v_add_u32_e32 v15, s30, v15
	s_mov_b64 s[38:39], 0
	s_orn2_b64 s[48:49], vcc, exec
.LBB118_154:                            ;   in Loop: Header=BB118_155 Depth=2
	s_and_b64 s[48:49], exec, s[48:49]
	s_or_b64 s[24:25], s[48:49], s[24:25]
	s_andn2_b64 s[26:27], s[26:27], exec
	s_and_b64 s[38:39], s[38:39], exec
	s_or_b64 s[26:27], s[26:27], s[38:39]
	s_andn2_b64 exec, exec, s[24:25]
	s_cbranch_execz .LBB118_164
.LBB118_155:                            ;   Parent Loop BB118_32 Depth=1
                                        ; =>  This Inner Loop Header: Depth=2
	v_cmp_gt_u64_e32 vcc, s[40:41], v[8:9]
	s_and_saveexec_b64 s[38:39], vcc
	s_cbranch_execz .LBB118_152
; %bb.156:                              ;   in Loop: Header=BB118_155 Depth=2
	ds_read_b64 v[4:5], v15
	s_waitcnt lgkmcnt(0)
	v_cmp_o_f64_e32 vcc, v[4:5], v[4:5]
	v_ashrrev_i32_e32 v2, 31, v5
	v_or_b32_e32 v6, 0x80000000, v2
	v_xor_b32_e32 v6, v6, v5
	v_xor_b32_e32 v2, v2, v4
	v_cndmask_b32_e32 v6, -1, v6, vcc
	v_cndmask_b32_e32 v2, -1, v2, vcc
	v_and_b32_e32 v7, v6, v25
	v_and_b32_e32 v6, v2, v24
	v_cmp_eq_u64_e32 vcc, v[6:7], v[22:23]
	s_and_b64 exec, exec, vcc
	s_cbranch_execz .LBB118_152
; %bb.157:                              ;   in Loop: Header=BB118_155 Depth=2
	v_mov_b32_e32 v2, v21
	ds_write_b128 v21, v[2:5] offset:3072
	s_branch .LBB118_152
.LBB118_158:                            ;   in Loop: Header=BB118_155 Depth=2
	s_mov_b64 s[48:49], -1
                                        ; implicit-def: $vgpr8_vgpr9
                                        ; implicit-def: $vgpr15
	s_mov_b64 s[38:39], -1
	s_branch .LBB118_154
.LBB118_159:                            ;   in Loop: Header=BB118_32 Depth=1
                                        ; implicit-def: $sgpr22_sgpr23
	s_branch .LBB118_104
.LBB118_160:                            ;   in Loop: Header=BB118_32 Depth=1
	s_or_b64 exec, exec, s[14:15]
	s_waitcnt lgkmcnt(0)
	s_barrier
	s_and_saveexec_b64 s[6:7], s[2:3]
	s_cbranch_execz .LBB118_162
; %bb.161:                              ;   in Loop: Header=BB118_32 Depth=1
	ds_read_b32 v4, v21 offset:5144
	s_waitcnt lgkmcnt(0)
	v_ashrrev_i32_e32 v5, 31, v4
	ds_write_b64 v21, v[4:5] offset:5120
.LBB118_162:                            ;   in Loop: Header=BB118_32 Depth=1
	s_or_b64 exec, exec, s[6:7]
	s_waitcnt lgkmcnt(0)
	s_barrier
	s_mov_b64 s[6:7], -1
	s_and_b64 vcc, exec, s[12:13]
	s_cbranch_vccnz .LBB118_48
	s_branch .LBB118_57
.LBB118_163:                            ;   in Loop: Header=BB118_32 Depth=1
                                        ; implicit-def: $sgpr22_sgpr23
	s_branch .LBB118_119
.LBB118_164:                            ;   in Loop: Header=BB118_32 Depth=1
	s_or_b64 exec, exec, s[24:25]
	s_and_b64 s[38:39], s[26:27], exec
.LBB118_165:                            ;   in Loop: Header=BB118_32 Depth=1
	s_or_b64 exec, exec, s[22:23]
.LBB118_166:                            ;   in Loop: Header=BB118_32 Depth=1
	s_and_b64 vcc, exec, s[42:43]
	s_cbranch_vccz .LBB118_181
; %bb.167:                              ;   in Loop: Header=BB118_32 Depth=1
	s_mov_b32 s64, s59
	s_cmp_lg_u64 s[64:65], 0
	s_cbranch_scc0 .LBB118_211
; %bb.168:                              ;   in Loop: Header=BB118_32 Depth=1
	v_cvt_f32_u32_e32 v2, s70
	s_sub_u32 s22, 0, s70
	s_subb_u32 s23, 0, 0
	v_mac_f32_e32 v2, 0, v42
	v_rcp_f32_e32 v2, v2
	v_mul_f32_e32 v2, 0x5f7ffffc, v2
	v_mul_f32_e32 v4, 0x2f800000, v2
	v_trunc_f32_e32 v4, v4
	v_mac_f32_e32 v2, 0xcf800000, v4
	v_cvt_u32_f32_e32 v4, v4
	v_cvt_u32_f32_e32 v2, v2
	v_readfirstlane_b32 s24, v4
	v_readfirstlane_b32 s6, v2
	s_mul_i32 s7, s22, s24
	s_mul_hi_u32 s26, s22, s6
	s_mul_i32 s25, s23, s6
	s_add_i32 s7, s26, s7
	s_mul_i32 s27, s22, s6
	s_add_i32 s7, s7, s25
	s_mul_hi_u32 s26, s6, s27
	s_mul_i32 s40, s6, s7
	s_mul_hi_u32 s25, s6, s7
	s_add_u32 s26, s26, s40
	s_addc_u32 s25, 0, s25
	s_mul_hi_u32 s41, s24, s27
	s_mul_i32 s27, s24, s27
	s_add_u32 s26, s26, s27
	s_mul_hi_u32 s40, s24, s7
	s_addc_u32 s25, s25, s41
	s_addc_u32 s26, s40, 0
	s_mul_i32 s7, s24, s7
	s_add_u32 s7, s25, s7
	s_addc_u32 s25, 0, s26
	s_add_u32 s26, s6, s7
	s_cselect_b64 s[6:7], -1, 0
	s_cmp_lg_u64 s[6:7], 0
	s_addc_u32 s24, s24, s25
	s_mul_i32 s6, s22, s24
	s_mul_hi_u32 s7, s22, s26
	s_add_i32 s6, s7, s6
	s_mul_i32 s23, s23, s26
	s_add_i32 s6, s6, s23
	s_mul_i32 s22, s22, s26
	s_mul_hi_u32 s23, s24, s22
	s_mul_i32 s25, s24, s22
	s_mul_i32 s40, s26, s6
	s_mul_hi_u32 s22, s26, s22
	s_mul_hi_u32 s27, s26, s6
	s_add_u32 s22, s22, s40
	s_addc_u32 s27, 0, s27
	s_add_u32 s22, s22, s25
	s_mul_hi_u32 s7, s24, s6
	s_addc_u32 s22, s27, s23
	s_addc_u32 s7, s7, 0
	s_mul_i32 s6, s24, s6
	s_add_u32 s6, s22, s6
	s_addc_u32 s22, 0, s7
	s_add_u32 s23, s26, s6
	s_cselect_b64 s[6:7], -1, 0
	s_cmp_lg_u64 s[6:7], 0
	s_addc_u32 s6, s24, s22
	s_mul_i32 s22, s29, s6
	s_mul_hi_u32 s24, s29, s23
	s_mul_hi_u32 s7, s29, s6
	s_add_u32 s22, s24, s22
	s_addc_u32 s7, 0, s7
	s_mul_hi_u32 s25, s65, s23
	s_mul_i32 s23, s65, s23
	s_add_u32 s22, s22, s23
	s_mul_hi_u32 s24, s65, s6
	s_addc_u32 s7, s7, s25
	s_addc_u32 s22, s24, 0
	s_mul_i32 s6, s65, s6
	s_add_u32 s6, s7, s6
	s_addc_u32 s7, 0, s22
	s_mul_i32 s7, s70, s7
	s_mul_hi_u32 s22, s70, s6
	s_add_i32 s22, s22, s7
	s_mul_i32 s6, s70, s6
	s_sub_u32 s23, s29, s6
	s_cselect_b64 s[6:7], -1, 0
	s_cmp_lg_u64 s[6:7], 0
	s_subb_u32 s22, s65, s22
	s_sub_u32 s24, s23, s70
	s_cselect_b64 s[6:7], -1, 0
	s_cmp_lg_u64 s[6:7], 0
	s_subb_u32 s25, s22, 0
	;; [unrolled: 4-line block ×3, first 2 shown]
	s_cmp_ge_u32 s24, s70
	s_cselect_b32 s7, -1, 0
	s_cmp_eq_u32 s25, 0
	s_cselect_b32 s7, s7, -1
	s_cmp_lg_u32 s7, 0
	s_cselect_b32 s6, s6, s25
	s_cselect_b32 s24, s26, s24
	s_cmp_ge_u32 s23, s70
	s_cselect_b32 s7, -1, 0
	s_cmp_eq_u32 s22, 0
	s_cselect_b32 s7, s7, -1
	s_cmp_lg_u32 s7, 0
	s_cselect_b32 s7, s6, s22
	s_cselect_b32 s6, s24, s23
	s_cbranch_execnz .LBB118_170
.LBB118_169:                            ;   in Loop: Header=BB118_32 Depth=1
	v_cvt_f32_u32_e32 v2, s70
	s_sub_i32 s6, 0, s70
	v_rcp_iflag_f32_e32 v2, v2
	v_mul_f32_e32 v2, 0x4f7ffffe, v2
	v_cvt_u32_f32_e32 v2, v2
	v_readfirstlane_b32 s7, v2
	s_mul_i32 s6, s6, s7
	s_mul_hi_u32 s6, s7, s6
	s_add_i32 s7, s7, s6
	s_mul_hi_u32 s6, s29, s7
	s_mul_i32 s6, s6, s70
	s_sub_i32 s6, s29, s6
	s_sub_i32 s7, s6, s70
	s_cmp_ge_u32 s6, s70
	s_cselect_b32 s6, s7, s6
	s_sub_i32 s7, s6, s70
	s_cmp_ge_u32 s6, s70
	s_cselect_b32 s58, s7, s6
	s_mov_b64 s[6:7], s[58:59]
.LBB118_170:                            ;   in Loop: Header=BB118_32 Depth=1
	s_sub_u32 s22, s29, s6
	s_subb_u32 s23, s65, s7
	v_cmp_gt_u64_e32 vcc, s[22:23], v[0:1]
                                        ; implicit-def: $vgpr6_vgpr7
	s_and_saveexec_b64 s[6:7], vcc
	s_cbranch_execz .LBB118_180
; %bb.171:                              ;   in Loop: Header=BB118_32 Depth=1
	v_mov_b32_e32 v9, v1
	s_mov_b64 s[24:25], 0
	v_mov_b32_e32 v8, v0
                                        ; implicit-def: $sgpr26_sgpr27
	s_branch .LBB118_175
.LBB118_172:                            ;   in Loop: Header=BB118_175 Depth=2
	s_or_b64 exec, exec, s[40:41]
	s_waitcnt lgkmcnt(0)
	s_barrier
	ds_read_b128 v[4:7], v21 offset:3072
	s_waitcnt lgkmcnt(0)
	s_barrier
	v_cmp_eq_f64_e32 vcc, 0, v[4:5]
	s_cbranch_vccz .LBB118_178
; %bb.173:                              ;   in Loop: Header=BB118_175 Depth=2
	v_add_co_u32_e32 v8, vcc, s70, v8
	v_addc_co_u32_e32 v9, vcc, 0, v9, vcc
	v_cmp_le_u64_e32 vcc, s[22:23], v[8:9]
	s_mov_b64 s[40:41], 0
	s_orn2_b64 s[42:43], vcc, exec
.LBB118_174:                            ;   in Loop: Header=BB118_175 Depth=2
	s_and_b64 s[42:43], exec, s[42:43]
	s_or_b64 s[24:25], s[42:43], s[24:25]
	s_andn2_b64 s[26:27], s[26:27], exec
	s_and_b64 s[40:41], s[40:41], exec
	s_or_b64 s[26:27], s[26:27], s[40:41]
	s_andn2_b64 exec, exec, s[24:25]
	s_cbranch_execz .LBB118_179
.LBB118_175:                            ;   Parent Loop BB118_32 Depth=1
                                        ; =>  This Inner Loop Header: Depth=2
	v_cmp_gt_u64_e32 vcc, s[20:21], v[8:9]
	s_and_saveexec_b64 s[40:41], vcc
	s_cbranch_execz .LBB118_172
; %bb.176:                              ;   in Loop: Header=BB118_175 Depth=2
	v_mul_lo_u32 v2, v9, s44
	v_mul_lo_u32 v6, v8, s45
	v_mad_u64_u32 v[4:5], s[42:43], v8, s44, 0
	v_add3_u32 v5, v5, v6, v2
	v_lshlrev_b64 v[4:5], 3, v[4:5]
	v_mov_b32_e32 v2, s33
	v_add_co_u32_e32 v4, vcc, s19, v4
	v_addc_co_u32_e32 v5, vcc, v2, v5, vcc
	global_load_dwordx2 v[4:5], v[4:5], off
	s_waitcnt vmcnt(0)
	v_cmp_o_f64_e32 vcc, v[4:5], v[4:5]
	v_ashrrev_i32_e32 v2, 31, v5
	v_or_b32_e32 v6, 0x80000000, v2
	v_xor_b32_e32 v6, v6, v5
	v_xor_b32_e32 v2, v2, v4
	v_cndmask_b32_e32 v6, -1, v6, vcc
	v_cndmask_b32_e32 v2, -1, v2, vcc
	v_and_b32_e32 v7, v6, v25
	v_and_b32_e32 v6, v2, v24
	v_cmp_eq_u64_e32 vcc, v[6:7], v[22:23]
	s_and_b64 exec, exec, vcc
	s_cbranch_execz .LBB118_172
; %bb.177:                              ;   in Loop: Header=BB118_175 Depth=2
	v_mov_b32_e32 v2, v21
	ds_write_b128 v21, v[2:5] offset:3072
	s_branch .LBB118_172
.LBB118_178:                            ;   in Loop: Header=BB118_175 Depth=2
	s_mov_b64 s[42:43], -1
                                        ; implicit-def: $vgpr8_vgpr9
	s_mov_b64 s[40:41], -1
	s_branch .LBB118_174
.LBB118_179:                            ;   in Loop: Header=BB118_32 Depth=1
	s_or_b64 exec, exec, s[24:25]
	s_andn2_b64 s[22:23], s[38:39], exec
	s_and_b64 s[24:25], s[26:27], exec
	s_or_b64 s[38:39], s[22:23], s[24:25]
.LBB118_180:                            ;   in Loop: Header=BB118_32 Depth=1
	s_or_b64 exec, exec, s[6:7]
	s_mov_b64 s[6:7], 0
	s_mov_b64 s[92:93], -1
.LBB118_181:                            ;   in Loop: Header=BB118_32 Depth=1
	s_orn2_b64 s[22:23], s[38:39], exec
.LBB118_182:                            ;   in Loop: Header=BB118_32 Depth=1
	s_or_b64 exec, exec, s[34:35]
	s_mov_b64 s[24:25], 0
	s_and_saveexec_b64 s[52:53], s[22:23]
	s_cbranch_execz .LBB118_292
; %bb.183:                              ;   in Loop: Header=BB118_32 Depth=1
	v_mov_b32_e32 v8, 1
	s_xor_b64 s[22:23], s[36:37], -1
	v_mov_b32_e32 v14, 1
	v_mov_b32_e32 v9, 0
	s_and_saveexec_b64 s[34:35], s[22:23]
	s_cbranch_execz .LBB118_193
; %bb.184:                              ;   in Loop: Header=BB118_32 Depth=1
	v_cmp_le_u64_e32 vcc, v[12:13], v[10:11]
	s_and_saveexec_b64 s[22:23], vcc
	s_xor_b64 s[22:23], exec, s[22:23]
	s_cbranch_execz .LBB118_190
; %bb.185:                              ;   in Loop: Header=BB118_32 Depth=1
	s_lshl_b64 s[24:25], 1, s0
	v_and_b32_e32 v4, s94, v22
	v_or_b32_e32 v22, s24, v4
	ds_read_b64 v[4:5], v21 offset:5120
	v_and_b32_e32 v2, s95, v23
	v_or_b32_e32 v23, s25, v2
	v_or_b32_e32 v25, s13, v25
	;; [unrolled: 1-line block ×3, first 2 shown]
	s_waitcnt lgkmcnt(0)
	v_cmp_ne_u64_e32 vcc, 0, v[4:5]
	s_cbranch_vccnz .LBB118_189
; %bb.186:                              ;   in Loop: Header=BB118_32 Depth=1
	s_and_saveexec_b64 s[24:25], s[2:3]
; %bb.187:                              ;   in Loop: Header=BB118_32 Depth=1
	ds_write_b64 v21, v[10:11] offset:5128
; %bb.188:                              ;   in Loop: Header=BB118_32 Depth=1
	s_or_b64 exec, exec, s[24:25]
	s_waitcnt lgkmcnt(0)
	s_barrier
.LBB118_189:                            ;   in Loop: Header=BB118_32 Depth=1
                                        ; implicit-def: $vgpr8_vgpr9_vgpr10_vgpr11
.LBB118_190:                            ;   in Loop: Header=BB118_32 Depth=1
	s_or_saveexec_b64 s[22:23], s[22:23]
	s_mov_b64 s[24:25], 0
	v_mov_b32_e32 v14, 8
	s_xor_b64 exec, exec, s[22:23]
; %bb.191:                              ;   in Loop: Header=BB118_32 Depth=1
	v_sub_co_u32_e32 v12, vcc, v12, v10
	v_subb_co_u32_e32 v13, vcc, v13, v11, vcc
	v_mov_b32_e32 v14, 0
	s_mov_b64 s[24:25], exec
; %bb.192:                              ;   in Loop: Header=BB118_32 Depth=1
	s_or_b64 exec, exec, s[22:23]
	v_mov_b32_e32 v8, v12
	s_and_b64 s[24:25], s[24:25], exec
	v_mov_b32_e32 v9, v13
.LBB118_193:                            ;   in Loop: Header=BB118_32 Depth=1
	s_or_b64 exec, exec, s[34:35]
	s_mov_b64 s[22:23], -1
                                        ; implicit-def: $sgpr36_sgpr37
                                        ; implicit-def: $sgpr38_sgpr39
	s_and_saveexec_b64 s[50:51], s[24:25]
	s_cbranch_execz .LBB118_291
; %bb.194:                              ;   in Loop: Header=BB118_32 Depth=1
	s_cmp_eq_u64 s[90:91], 1
	v_cmp_eq_u64_e32 vcc, 1, v[8:9]
	s_cselect_b64 s[22:23], -1, 0
	s_and_b64 s[34:35], s[22:23], vcc
	s_mov_b64 s[22:23], -1
                                        ; implicit-def: $sgpr38_sgpr39
                                        ; implicit-def: $sgpr36_sgpr37
	s_and_saveexec_b64 s[56:57], s[34:35]
	s_cbranch_execz .LBB118_230
; %bb.195:                              ;   in Loop: Header=BB118_32 Depth=1
	ds_read_b64 v[4:5], v21 offset:5120
	s_waitcnt lgkmcnt(0)
	s_barrier
	v_readfirstlane_b32 s42, v4
	v_readfirstlane_b32 s43, v5
	s_and_saveexec_b64 s[22:23], s[16:17]
; %bb.196:                              ;   in Loop: Header=BB118_32 Depth=1
	v_mov_b32_e32 v20, v21
	ds_write_b64 v34, v[20:21]
; %bb.197:                              ;   in Loop: Header=BB118_32 Depth=1
	s_or_b64 exec, exec, s[22:23]
	s_lshl_b64 s[22:23], 2, s0
	v_and_b32_e32 v2, s95, v23
	v_and_b32_e32 v4, s94, v22
	v_or_b32_e32 v23, s23, v2
	v_or_b32_e32 v22, s22, v4
	;; [unrolled: 1-line block ×4, first 2 shown]
	s_mov_b64 s[36:37], -1
	s_mov_b64 s[38:39], 0
	s_cmp_eq_u64 s[42:43], 0
	s_mov_b64 s[40:41], 0
	s_mov_b64 s[48:49], -1
	s_waitcnt lgkmcnt(0)
	s_barrier
                                        ; implicit-def: $vgpr6_vgpr7
	s_cbranch_scc1 .LBB118_214
; %bb.198:                              ;   in Loop: Header=BB118_32 Depth=1
	s_add_u32 s26, s42, s71
	s_addc_u32 s41, s43, s28
	s_mov_b32 s40, s59
	s_cmp_lg_u64 s[40:41], 0
	s_cbranch_scc0 .LBB118_257
; %bb.199:                              ;   in Loop: Header=BB118_32 Depth=1
	v_cvt_f32_u32_e32 v2, s70
	s_sub_u32 s24, 0, s70
	s_subb_u32 s25, 0, 0
	v_mac_f32_e32 v2, 0, v42
	v_rcp_f32_e32 v2, v2
	v_mul_f32_e32 v2, 0x5f7ffffc, v2
	v_mul_f32_e32 v4, 0x2f800000, v2
	v_trunc_f32_e32 v4, v4
	v_mac_f32_e32 v2, 0xcf800000, v4
	v_cvt_u32_f32_e32 v4, v4
	v_cvt_u32_f32_e32 v2, v2
	v_readfirstlane_b32 s27, v4
	v_readfirstlane_b32 s22, v2
	s_mul_i32 s23, s24, s27
	s_mul_hi_u32 s46, s24, s22
	s_mul_i32 s40, s25, s22
	s_add_i32 s23, s46, s23
	s_mul_i32 s47, s24, s22
	s_add_i32 s23, s23, s40
	s_mul_hi_u32 s46, s22, s47
	s_mul_i32 s48, s22, s23
	s_mul_hi_u32 s40, s22, s23
	s_add_u32 s46, s46, s48
	s_addc_u32 s40, 0, s40
	s_mul_hi_u32 s49, s27, s47
	s_mul_i32 s47, s27, s47
	s_add_u32 s46, s46, s47
	s_mul_hi_u32 s48, s27, s23
	s_addc_u32 s40, s40, s49
	s_addc_u32 s46, s48, 0
	s_mul_i32 s23, s27, s23
	s_add_u32 s23, s40, s23
	s_addc_u32 s40, 0, s46
	s_add_u32 s46, s22, s23
	s_cselect_b64 s[22:23], -1, 0
	s_cmp_lg_u64 s[22:23], 0
	s_addc_u32 s27, s27, s40
	s_mul_i32 s22, s24, s27
	s_mul_hi_u32 s23, s24, s46
	s_add_i32 s22, s23, s22
	s_mul_i32 s25, s25, s46
	s_add_i32 s22, s22, s25
	s_mul_i32 s24, s24, s46
	s_mul_hi_u32 s25, s27, s24
	s_mul_i32 s40, s27, s24
	s_mul_i32 s48, s46, s22
	s_mul_hi_u32 s24, s46, s24
	s_mul_hi_u32 s47, s46, s22
	s_add_u32 s24, s24, s48
	s_addc_u32 s47, 0, s47
	s_add_u32 s24, s24, s40
	s_mul_hi_u32 s23, s27, s22
	s_addc_u32 s24, s47, s25
	s_addc_u32 s23, s23, 0
	s_mul_i32 s22, s27, s22
	s_add_u32 s22, s24, s22
	s_addc_u32 s24, 0, s23
	s_add_u32 s25, s46, s22
	s_cselect_b64 s[22:23], -1, 0
	s_cmp_lg_u64 s[22:23], 0
	s_addc_u32 s22, s27, s24
	s_mul_i32 s24, s26, s22
	s_mul_hi_u32 s27, s26, s25
	s_mul_hi_u32 s23, s26, s22
	s_add_u32 s24, s27, s24
	s_addc_u32 s23, 0, s23
	s_mul_hi_u32 s40, s41, s25
	s_mul_i32 s25, s41, s25
	s_add_u32 s24, s24, s25
	s_mul_hi_u32 s27, s41, s22
	s_addc_u32 s23, s23, s40
	s_addc_u32 s24, s27, 0
	s_mul_i32 s22, s41, s22
	s_add_u32 s22, s23, s22
	s_addc_u32 s23, 0, s24
	s_mul_i32 s23, s70, s23
	s_mul_hi_u32 s24, s70, s22
	s_add_i32 s24, s24, s23
	s_mul_i32 s22, s70, s22
	s_sub_u32 s25, s26, s22
	s_cselect_b64 s[22:23], -1, 0
	s_cmp_lg_u64 s[22:23], 0
	s_subb_u32 s24, s41, s24
	s_sub_u32 s27, s25, s70
	s_cselect_b64 s[22:23], -1, 0
	s_cmp_lg_u64 s[22:23], 0
	s_subb_u32 s40, s24, 0
	;; [unrolled: 4-line block ×3, first 2 shown]
	s_cmp_ge_u32 s27, s70
	s_cselect_b32 s23, -1, 0
	s_cmp_eq_u32 s40, 0
	s_cselect_b32 s23, s23, -1
	s_cmp_lg_u32 s23, 0
	s_cselect_b32 s22, s22, s40
	s_cselect_b32 s27, s46, s27
	s_cmp_ge_u32 s25, s70
	s_cselect_b32 s23, -1, 0
	s_cmp_eq_u32 s24, 0
	s_cselect_b32 s23, s23, -1
	s_cmp_lg_u32 s23, 0
	s_cselect_b32 s23, s22, s24
	s_cselect_b32 s22, s27, s25
	s_cbranch_execnz .LBB118_201
.LBB118_200:                            ;   in Loop: Header=BB118_32 Depth=1
	v_cvt_f32_u32_e32 v2, s70
	s_sub_i32 s22, 0, s70
	v_rcp_iflag_f32_e32 v2, v2
	v_mul_f32_e32 v2, 0x4f7ffffe, v2
	v_cvt_u32_f32_e32 v2, v2
	v_readfirstlane_b32 s23, v2
	s_mul_i32 s22, s22, s23
	s_mul_hi_u32 s22, s23, s22
	s_add_i32 s23, s23, s22
	s_mul_hi_u32 s22, s26, s23
	s_mul_i32 s22, s22, s70
	s_sub_i32 s22, s26, s22
	s_sub_i32 s23, s22, s70
	s_cmp_ge_u32 s22, s70
	s_cselect_b32 s22, s23, s22
	s_sub_i32 s23, s22, s70
	s_cmp_ge_u32 s22, s70
	s_cselect_b32 s58, s23, s22
	s_mov_b64 s[22:23], s[58:59]
.LBB118_201:                            ;   in Loop: Header=BB118_32 Depth=1
	s_sub_u32 s46, s26, s22
	s_subb_u32 s47, s41, s23
	v_cmp_gt_u64_e32 vcc, s[46:47], v[0:1]
	s_mov_b64 s[48:49], 0
	s_mov_b64 s[40:41], 0
                                        ; implicit-def: $vgpr6_vgpr7
	s_and_saveexec_b64 s[22:23], vcc
	s_cbranch_execz .LBB118_213
; %bb.202:                              ;   in Loop: Header=BB118_32 Depth=1
	v_mov_b32_e32 v11, v1
	s_mov_b64 s[24:25], 0
	v_mov_b32_e32 v12, v33
	v_mov_b32_e32 v10, v0
                                        ; implicit-def: $sgpr26_sgpr27
	s_branch .LBB118_206
.LBB118_203:                            ;   in Loop: Header=BB118_206 Depth=2
	s_or_b64 exec, exec, s[40:41]
	s_waitcnt lgkmcnt(0)
	s_barrier
	ds_read_b128 v[4:7], v21 offset:3072
	s_waitcnt lgkmcnt(0)
	s_barrier
	v_cmp_neq_f64_e32 vcc, 0, v[4:5]
	s_cbranch_vccnz .LBB118_209
; %bb.204:                              ;   in Loop: Header=BB118_206 Depth=2
	v_add_co_u32_e32 v10, vcc, s70, v10
	v_addc_co_u32_e32 v11, vcc, 0, v11, vcc
	v_cmp_le_u64_e32 vcc, s[46:47], v[10:11]
	v_add_u32_e32 v12, s30, v12
	s_mov_b64 s[40:41], 0
	s_orn2_b64 s[54:55], vcc, exec
.LBB118_205:                            ;   in Loop: Header=BB118_206 Depth=2
	s_and_b64 s[54:55], exec, s[54:55]
	s_or_b64 s[24:25], s[54:55], s[24:25]
	s_andn2_b64 s[26:27], s[26:27], exec
	s_and_b64 s[40:41], s[40:41], exec
	s_or_b64 s[26:27], s[26:27], s[40:41]
	s_andn2_b64 exec, exec, s[24:25]
	s_cbranch_execz .LBB118_212
.LBB118_206:                            ;   Parent Loop BB118_32 Depth=1
                                        ; =>  This Inner Loop Header: Depth=2
	v_cmp_gt_u64_e32 vcc, s[42:43], v[10:11]
	s_and_saveexec_b64 s[40:41], vcc
	s_cbranch_execz .LBB118_203
; %bb.207:                              ;   in Loop: Header=BB118_206 Depth=2
	ds_read_b64 v[4:5], v12
	s_waitcnt lgkmcnt(0)
	v_cmp_o_f64_e32 vcc, v[4:5], v[4:5]
	v_ashrrev_i32_e32 v2, 31, v5
	v_or_b32_e32 v6, 0x80000000, v2
	v_xor_b32_e32 v6, v6, v5
	v_xor_b32_e32 v2, v2, v4
	v_cndmask_b32_e32 v6, -1, v6, vcc
	v_cndmask_b32_e32 v2, -1, v2, vcc
	v_and_b32_e32 v7, v6, v25
	v_and_b32_e32 v6, v2, v24
	v_cmp_eq_u64_e32 vcc, v[6:7], v[22:23]
	s_and_b64 exec, exec, vcc
	s_cbranch_execz .LBB118_203
; %bb.208:                              ;   in Loop: Header=BB118_206 Depth=2
	v_mov_b32_e32 v2, v21
	ds_write_b128 v21, v[2:5] offset:3072
	s_branch .LBB118_203
.LBB118_209:                            ;   in Loop: Header=BB118_206 Depth=2
	s_mov_b64 s[54:55], -1
                                        ; implicit-def: $vgpr10_vgpr11
                                        ; implicit-def: $vgpr12
	s_mov_b64 s[40:41], -1
	s_branch .LBB118_205
.LBB118_210:                            ;   in Loop: Header=BB118_32 Depth=1
                                        ; implicit-def: $sgpr22_sgpr23
	s_branch .LBB118_149
.LBB118_211:                            ;   in Loop: Header=BB118_32 Depth=1
                                        ; implicit-def: $sgpr6_sgpr7
	s_branch .LBB118_169
.LBB118_212:                            ;   in Loop: Header=BB118_32 Depth=1
	s_or_b64 exec, exec, s[24:25]
	s_and_b64 s[40:41], s[26:27], exec
.LBB118_213:                            ;   in Loop: Header=BB118_32 Depth=1
	s_or_b64 exec, exec, s[22:23]
.LBB118_214:                            ;   in Loop: Header=BB118_32 Depth=1
	s_and_b64 vcc, exec, s[48:49]
	s_cbranch_vccz .LBB118_229
; %bb.215:                              ;   in Loop: Header=BB118_32 Depth=1
	s_mov_b32 s64, s59
	s_cmp_lg_u64 s[64:65], 0
	s_cbranch_scc0 .LBB118_258
; %bb.216:                              ;   in Loop: Header=BB118_32 Depth=1
	v_cvt_f32_u32_e32 v2, s70
	s_sub_u32 s24, 0, s70
	s_subb_u32 s25, 0, 0
	v_mac_f32_e32 v2, 0, v42
	v_rcp_f32_e32 v2, v2
	v_mul_f32_e32 v2, 0x5f7ffffc, v2
	v_mul_f32_e32 v4, 0x2f800000, v2
	v_trunc_f32_e32 v4, v4
	v_mac_f32_e32 v2, 0xcf800000, v4
	v_cvt_u32_f32_e32 v4, v4
	v_cvt_u32_f32_e32 v2, v2
	v_readfirstlane_b32 s26, v4
	v_readfirstlane_b32 s22, v2
	s_mul_i32 s23, s24, s26
	s_mul_hi_u32 s36, s24, s22
	s_mul_i32 s27, s25, s22
	s_add_i32 s23, s36, s23
	s_mul_i32 s37, s24, s22
	s_add_i32 s23, s23, s27
	s_mul_hi_u32 s36, s22, s37
	s_mul_i32 s38, s22, s23
	s_mul_hi_u32 s27, s22, s23
	s_add_u32 s36, s36, s38
	s_addc_u32 s27, 0, s27
	s_mul_hi_u32 s39, s26, s37
	s_mul_i32 s37, s26, s37
	s_add_u32 s36, s36, s37
	s_mul_hi_u32 s38, s26, s23
	s_addc_u32 s27, s27, s39
	s_addc_u32 s36, s38, 0
	s_mul_i32 s23, s26, s23
	s_add_u32 s23, s27, s23
	s_addc_u32 s27, 0, s36
	s_add_u32 s36, s22, s23
	s_cselect_b64 s[22:23], -1, 0
	s_cmp_lg_u64 s[22:23], 0
	s_addc_u32 s26, s26, s27
	s_mul_i32 s22, s24, s26
	s_mul_hi_u32 s23, s24, s36
	s_add_i32 s22, s23, s22
	s_mul_i32 s25, s25, s36
	s_add_i32 s22, s22, s25
	s_mul_i32 s24, s24, s36
	s_mul_hi_u32 s25, s26, s24
	s_mul_i32 s27, s26, s24
	s_mul_i32 s38, s36, s22
	s_mul_hi_u32 s24, s36, s24
	s_mul_hi_u32 s37, s36, s22
	s_add_u32 s24, s24, s38
	s_addc_u32 s37, 0, s37
	s_add_u32 s24, s24, s27
	s_mul_hi_u32 s23, s26, s22
	s_addc_u32 s24, s37, s25
	s_addc_u32 s23, s23, 0
	s_mul_i32 s22, s26, s22
	s_add_u32 s22, s24, s22
	s_addc_u32 s24, 0, s23
	s_add_u32 s25, s36, s22
	s_cselect_b64 s[22:23], -1, 0
	s_cmp_lg_u64 s[22:23], 0
	s_addc_u32 s22, s26, s24
	s_mul_i32 s24, s29, s22
	s_mul_hi_u32 s26, s29, s25
	s_mul_hi_u32 s23, s29, s22
	s_add_u32 s24, s26, s24
	s_addc_u32 s23, 0, s23
	s_mul_hi_u32 s27, s65, s25
	s_mul_i32 s25, s65, s25
	s_add_u32 s24, s24, s25
	s_mul_hi_u32 s26, s65, s22
	s_addc_u32 s23, s23, s27
	s_addc_u32 s24, s26, 0
	s_mul_i32 s22, s65, s22
	s_add_u32 s22, s23, s22
	s_addc_u32 s23, 0, s24
	s_mul_i32 s23, s70, s23
	s_mul_hi_u32 s24, s70, s22
	s_add_i32 s24, s24, s23
	s_mul_i32 s22, s70, s22
	s_sub_u32 s25, s29, s22
	s_cselect_b64 s[22:23], -1, 0
	s_cmp_lg_u64 s[22:23], 0
	s_subb_u32 s24, s65, s24
	s_sub_u32 s26, s25, s70
	s_cselect_b64 s[22:23], -1, 0
	s_cmp_lg_u64 s[22:23], 0
	s_subb_u32 s27, s24, 0
	;; [unrolled: 4-line block ×3, first 2 shown]
	s_cmp_ge_u32 s26, s70
	s_cselect_b32 s23, -1, 0
	s_cmp_eq_u32 s27, 0
	s_cselect_b32 s23, s23, -1
	s_cmp_lg_u32 s23, 0
	s_cselect_b32 s22, s22, s27
	s_cselect_b32 s26, s36, s26
	s_cmp_ge_u32 s25, s70
	s_cselect_b32 s23, -1, 0
	s_cmp_eq_u32 s24, 0
	s_cselect_b32 s23, s23, -1
	s_cmp_lg_u32 s23, 0
	s_cselect_b32 s23, s22, s24
	s_cselect_b32 s22, s26, s25
	s_cbranch_execnz .LBB118_218
.LBB118_217:                            ;   in Loop: Header=BB118_32 Depth=1
	v_cvt_f32_u32_e32 v2, s70
	s_sub_i32 s22, 0, s70
	v_rcp_iflag_f32_e32 v2, v2
	v_mul_f32_e32 v2, 0x4f7ffffe, v2
	v_cvt_u32_f32_e32 v2, v2
	v_readfirstlane_b32 s23, v2
	s_mul_i32 s22, s22, s23
	s_mul_hi_u32 s22, s23, s22
	s_add_i32 s23, s23, s22
	s_mul_hi_u32 s22, s29, s23
	s_mul_i32 s22, s22, s70
	s_sub_i32 s22, s29, s22
	s_sub_i32 s23, s22, s70
	s_cmp_ge_u32 s22, s70
	s_cselect_b32 s22, s23, s22
	s_sub_i32 s23, s22, s70
	s_cmp_ge_u32 s22, s70
	s_cselect_b32 s58, s23, s22
	s_mov_b64 s[22:23], s[58:59]
.LBB118_218:                            ;   in Loop: Header=BB118_32 Depth=1
	s_sub_u32 s36, s29, s22
	s_subb_u32 s37, s65, s23
	v_cmp_gt_u64_e32 vcc, s[36:37], v[0:1]
                                        ; implicit-def: $vgpr6_vgpr7
	s_and_saveexec_b64 s[22:23], vcc
	s_cbranch_execz .LBB118_228
; %bb.219:                              ;   in Loop: Header=BB118_32 Depth=1
	v_mov_b32_e32 v11, v1
	s_mov_b64 s[24:25], 0
	v_mov_b32_e32 v10, v0
                                        ; implicit-def: $sgpr26_sgpr27
	s_branch .LBB118_223
.LBB118_220:                            ;   in Loop: Header=BB118_223 Depth=2
	s_or_b64 exec, exec, s[38:39]
	s_waitcnt lgkmcnt(0)
	s_barrier
	ds_read_b128 v[4:7], v21 offset:3072
	s_waitcnt lgkmcnt(0)
	s_barrier
	v_cmp_eq_f64_e32 vcc, 0, v[4:5]
	s_cbranch_vccz .LBB118_226
; %bb.221:                              ;   in Loop: Header=BB118_223 Depth=2
	v_add_co_u32_e32 v10, vcc, s70, v10
	v_addc_co_u32_e32 v11, vcc, 0, v11, vcc
	v_cmp_le_u64_e32 vcc, s[36:37], v[10:11]
	s_mov_b64 s[38:39], 0
	s_orn2_b64 s[42:43], vcc, exec
.LBB118_222:                            ;   in Loop: Header=BB118_223 Depth=2
	s_and_b64 s[42:43], exec, s[42:43]
	s_or_b64 s[24:25], s[42:43], s[24:25]
	s_andn2_b64 s[26:27], s[26:27], exec
	s_and_b64 s[38:39], s[38:39], exec
	s_or_b64 s[26:27], s[26:27], s[38:39]
	s_andn2_b64 exec, exec, s[24:25]
	s_cbranch_execz .LBB118_227
.LBB118_223:                            ;   Parent Loop BB118_32 Depth=1
                                        ; =>  This Inner Loop Header: Depth=2
	v_cmp_gt_u64_e32 vcc, s[20:21], v[10:11]
	s_and_saveexec_b64 s[38:39], vcc
	s_cbranch_execz .LBB118_220
; %bb.224:                              ;   in Loop: Header=BB118_223 Depth=2
	v_mul_lo_u32 v2, v11, s44
	v_mul_lo_u32 v6, v10, s45
	v_mad_u64_u32 v[4:5], s[42:43], v10, s44, 0
	v_add3_u32 v5, v5, v6, v2
	v_lshlrev_b64 v[4:5], 3, v[4:5]
	v_mov_b32_e32 v2, s33
	v_add_co_u32_e32 v4, vcc, s19, v4
	v_addc_co_u32_e32 v5, vcc, v2, v5, vcc
	global_load_dwordx2 v[4:5], v[4:5], off
	s_waitcnt vmcnt(0)
	v_cmp_o_f64_e32 vcc, v[4:5], v[4:5]
	v_ashrrev_i32_e32 v2, 31, v5
	v_or_b32_e32 v6, 0x80000000, v2
	v_xor_b32_e32 v6, v6, v5
	v_xor_b32_e32 v2, v2, v4
	v_cndmask_b32_e32 v6, -1, v6, vcc
	v_cndmask_b32_e32 v2, -1, v2, vcc
	v_and_b32_e32 v7, v6, v25
	v_and_b32_e32 v6, v2, v24
	v_cmp_eq_u64_e32 vcc, v[6:7], v[22:23]
	s_and_b64 exec, exec, vcc
	s_cbranch_execz .LBB118_220
; %bb.225:                              ;   in Loop: Header=BB118_223 Depth=2
	v_mov_b32_e32 v2, v21
	ds_write_b128 v21, v[2:5] offset:3072
	s_branch .LBB118_220
.LBB118_226:                            ;   in Loop: Header=BB118_223 Depth=2
	s_mov_b64 s[42:43], -1
                                        ; implicit-def: $vgpr10_vgpr11
	s_mov_b64 s[38:39], -1
	s_branch .LBB118_222
.LBB118_227:                            ;   in Loop: Header=BB118_32 Depth=1
	s_or_b64 exec, exec, s[24:25]
	s_andn2_b64 s[24:25], s[40:41], exec
	s_and_b64 s[26:27], s[26:27], exec
	s_or_b64 s[40:41], s[24:25], s[26:27]
.LBB118_228:                            ;   in Loop: Header=BB118_32 Depth=1
	s_or_b64 exec, exec, s[22:23]
	s_mov_b64 s[36:37], 0
	s_mov_b64 s[38:39], -1
.LBB118_229:                            ;   in Loop: Header=BB118_32 Depth=1
	s_orn2_b64 s[22:23], s[40:41], exec
.LBB118_230:                            ;   in Loop: Header=BB118_32 Depth=1
	s_or_b64 exec, exec, s[56:57]
	s_mov_b64 s[24:25], 0
	s_and_saveexec_b64 s[56:57], s[22:23]
	s_cbranch_execz .LBB118_290
; %bb.231:                              ;   in Loop: Header=BB118_32 Depth=1
	v_mov_b32_e32 v10, 1
	s_xor_b64 s[22:23], s[34:35], -1
	v_mov_b32_e32 v14, 1
	v_mov_b32_e32 v11, 0
	s_and_saveexec_b64 s[34:35], s[22:23]
	s_cbranch_execz .LBB118_240
; %bb.232:                              ;   in Loop: Header=BB118_32 Depth=1
	v_cmp_ge_u64_e32 vcc, s[90:91], v[8:9]
	s_and_saveexec_b64 s[22:23], vcc
	s_xor_b64 s[22:23], exec, s[22:23]
	s_cbranch_execz .LBB118_237
; %bb.233:                              ;   in Loop: Header=BB118_32 Depth=1
	s_lshl_b64 s[24:25], 2, s0
	v_and_b32_e32 v4, s94, v22
	v_or_b32_e32 v22, s24, v4
	ds_read_b64 v[4:5], v21 offset:5120
	v_and_b32_e32 v2, s95, v23
	v_or_b32_e32 v23, s25, v2
	v_or_b32_e32 v25, s13, v25
	;; [unrolled: 1-line block ×3, first 2 shown]
	s_waitcnt lgkmcnt(0)
	v_cmp_ne_u64_e32 vcc, 0, v[4:5]
	s_cbranch_vccnz .LBB118_237
; %bb.234:                              ;   in Loop: Header=BB118_32 Depth=1
	s_and_saveexec_b64 s[24:25], s[2:3]
; %bb.235:                              ;   in Loop: Header=BB118_32 Depth=1
	v_mov_b32_e32 v4, s90
	v_mov_b32_e32 v5, s91
	ds_write_b64 v21, v[4:5] offset:5128
; %bb.236:                              ;   in Loop: Header=BB118_32 Depth=1
	s_or_b64 exec, exec, s[24:25]
	s_waitcnt lgkmcnt(0)
	s_barrier
.LBB118_237:                            ;   in Loop: Header=BB118_32 Depth=1
	s_or_saveexec_b64 s[22:23], s[22:23]
	s_mov_b64 s[24:25], 0
	v_mov_b32_e32 v14, 8
	s_xor_b64 exec, exec, s[22:23]
; %bb.238:                              ;   in Loop: Header=BB118_32 Depth=1
	v_subrev_co_u32_e32 v8, vcc, s90, v8
	v_mov_b32_e32 v2, s91
	v_subb_co_u32_e32 v9, vcc, v9, v2, vcc
	v_mov_b32_e32 v14, 0
	s_mov_b64 s[24:25], exec
; %bb.239:                              ;   in Loop: Header=BB118_32 Depth=1
	s_or_b64 exec, exec, s[22:23]
	v_mov_b32_e32 v11, v9
	s_and_b64 s[24:25], s[24:25], exec
	v_mov_b32_e32 v10, v8
.LBB118_240:                            ;   in Loop: Header=BB118_32 Depth=1
	s_or_b64 exec, exec, s[34:35]
	s_mov_b64 s[22:23], -1
                                        ; implicit-def: $sgpr40_sgpr41
                                        ; implicit-def: $sgpr54_sgpr55
	s_and_saveexec_b64 s[90:91], s[24:25]
	s_cbranch_execz .LBB118_289
; %bb.241:                              ;   in Loop: Header=BB118_32 Depth=1
	s_cmp_eq_u64 s[10:11], 1
	v_cmp_eq_u64_e32 vcc, 1, v[10:11]
	s_cselect_b64 s[22:23], -1, 0
	s_and_b64 s[34:35], s[22:23], vcc
	s_mov_b64 s[22:23], -1
                                        ; implicit-def: $sgpr40_sgpr41
                                        ; implicit-def: $sgpr54_sgpr55
	s_and_saveexec_b64 s[94:95], s[34:35]
	s_cbranch_execz .LBB118_277
; %bb.242:                              ;   in Loop: Header=BB118_32 Depth=1
	ds_read_b64 v[4:5], v21 offset:5120
	s_waitcnt lgkmcnt(0)
	s_barrier
	v_readfirstlane_b32 s48, v4
	v_readfirstlane_b32 s49, v5
	s_and_saveexec_b64 s[22:23], s[16:17]
; %bb.243:                              ;   in Loop: Header=BB118_32 Depth=1
	v_mov_b32_e32 v20, v21
	ds_write_b64 v34, v[20:21]
; %bb.244:                              ;   in Loop: Header=BB118_32 Depth=1
	s_or_b64 exec, exec, s[22:23]
	v_or_b32_e32 v23, s13, v23
	v_or_b32_e32 v22, s12, v22
	;; [unrolled: 1-line block ×4, first 2 shown]
	s_mov_b64 s[54:55], -1
	s_mov_b64 s[40:41], 0
	s_cmp_eq_u64 s[48:49], 0
	s_mov_b64 s[42:43], 0
	s_mov_b64 s[22:23], -1
	s_waitcnt lgkmcnt(0)
	s_barrier
                                        ; implicit-def: $vgpr6_vgpr7
	s_cbranch_scc1 .LBB118_261
; %bb.245:                              ;   in Loop: Header=BB118_32 Depth=1
	s_add_u32 s26, s48, s71
	s_addc_u32 s43, s49, s28
	s_mov_b32 s42, s59
	s_cmp_lg_u64 s[42:43], 0
	s_cbranch_scc0 .LBB118_296
; %bb.246:                              ;   in Loop: Header=BB118_32 Depth=1
	v_cvt_f32_u32_e32 v2, s70
	s_sub_u32 s24, 0, s70
	s_subb_u32 s25, 0, 0
	v_mac_f32_e32 v2, 0, v42
	v_rcp_f32_e32 v2, v2
	v_mul_f32_e32 v2, 0x5f7ffffc, v2
	v_mul_f32_e32 v4, 0x2f800000, v2
	v_trunc_f32_e32 v4, v4
	v_mac_f32_e32 v2, 0xcf800000, v4
	v_cvt_u32_f32_e32 v4, v4
	v_cvt_u32_f32_e32 v2, v2
	v_readfirstlane_b32 s27, v4
	v_readfirstlane_b32 s22, v2
	s_mul_i32 s23, s24, s27
	s_mul_hi_u32 s46, s24, s22
	s_mul_i32 s42, s25, s22
	s_add_i32 s23, s46, s23
	s_mul_i32 s47, s24, s22
	s_add_i32 s23, s23, s42
	s_mul_hi_u32 s46, s22, s47
	s_mul_i32 s58, s22, s23
	s_mul_hi_u32 s42, s22, s23
	s_add_u32 s46, s46, s58
	s_addc_u32 s42, 0, s42
	s_mul_hi_u32 s64, s27, s47
	s_mul_i32 s47, s27, s47
	s_add_u32 s46, s46, s47
	s_mul_hi_u32 s58, s27, s23
	s_addc_u32 s42, s42, s64
	s_addc_u32 s46, s58, 0
	s_mul_i32 s23, s27, s23
	s_add_u32 s23, s42, s23
	s_addc_u32 s42, 0, s46
	s_add_u32 s46, s22, s23
	s_cselect_b64 s[22:23], -1, 0
	s_cmp_lg_u64 s[22:23], 0
	s_addc_u32 s27, s27, s42
	s_mul_i32 s22, s24, s27
	s_mul_hi_u32 s23, s24, s46
	s_add_i32 s22, s23, s22
	s_mul_i32 s25, s25, s46
	s_add_i32 s22, s22, s25
	s_mul_i32 s24, s24, s46
	s_mul_hi_u32 s25, s27, s24
	s_mul_i32 s42, s27, s24
	s_mul_i32 s58, s46, s22
	s_mul_hi_u32 s24, s46, s24
	s_mul_hi_u32 s47, s46, s22
	s_add_u32 s24, s24, s58
	s_addc_u32 s47, 0, s47
	s_add_u32 s24, s24, s42
	s_mul_hi_u32 s23, s27, s22
	s_addc_u32 s24, s47, s25
	s_addc_u32 s23, s23, 0
	s_mul_i32 s22, s27, s22
	s_add_u32 s22, s24, s22
	s_addc_u32 s24, 0, s23
	s_add_u32 s25, s46, s22
	s_cselect_b64 s[22:23], -1, 0
	s_cmp_lg_u64 s[22:23], 0
	s_addc_u32 s22, s27, s24
	s_mul_i32 s24, s26, s22
	s_mul_hi_u32 s27, s26, s25
	s_mul_hi_u32 s23, s26, s22
	s_add_u32 s24, s27, s24
	s_addc_u32 s23, 0, s23
	s_mul_hi_u32 s42, s43, s25
	s_mul_i32 s25, s43, s25
	s_add_u32 s24, s24, s25
	s_mul_hi_u32 s27, s43, s22
	s_addc_u32 s23, s23, s42
	s_addc_u32 s24, s27, 0
	s_mul_i32 s22, s43, s22
	s_add_u32 s22, s23, s22
	s_addc_u32 s23, 0, s24
	s_mul_i32 s23, s70, s23
	s_mul_hi_u32 s24, s70, s22
	s_add_i32 s24, s24, s23
	s_mul_i32 s22, s70, s22
	s_sub_u32 s25, s26, s22
	s_cselect_b64 s[22:23], -1, 0
	s_cmp_lg_u64 s[22:23], 0
	s_subb_u32 s24, s43, s24
	s_sub_u32 s27, s25, s70
	s_cselect_b64 s[22:23], -1, 0
	s_cmp_lg_u64 s[22:23], 0
	s_subb_u32 s42, s24, 0
	;; [unrolled: 4-line block ×3, first 2 shown]
	s_cmp_ge_u32 s27, s70
	s_cselect_b32 s23, -1, 0
	s_cmp_eq_u32 s42, 0
	s_cselect_b32 s23, s23, -1
	s_cmp_lg_u32 s23, 0
	s_cselect_b32 s22, s22, s42
	s_cselect_b32 s27, s46, s27
	s_cmp_ge_u32 s25, s70
	s_cselect_b32 s23, -1, 0
	s_cmp_eq_u32 s24, 0
	s_cselect_b32 s23, s23, -1
	s_cmp_lg_u32 s23, 0
	s_cselect_b32 s23, s22, s24
	s_cselect_b32 s22, s27, s25
	s_cbranch_execnz .LBB118_248
.LBB118_247:                            ;   in Loop: Header=BB118_32 Depth=1
	v_cvt_f32_u32_e32 v2, s70
	s_sub_i32 s22, 0, s70
	v_rcp_iflag_f32_e32 v2, v2
	v_mul_f32_e32 v2, 0x4f7ffffe, v2
	v_cvt_u32_f32_e32 v2, v2
	v_readfirstlane_b32 s23, v2
	s_mul_i32 s22, s22, s23
	s_mul_hi_u32 s22, s23, s22
	s_add_i32 s23, s23, s22
	s_mul_hi_u32 s22, s26, s23
	s_mul_i32 s22, s22, s70
	s_sub_i32 s22, s26, s22
	s_sub_i32 s23, s22, s70
	s_cmp_ge_u32 s22, s70
	s_cselect_b32 s22, s23, s22
	s_sub_i32 s23, s22, s70
	s_cmp_ge_u32 s22, s70
	s_cselect_b32 s58, s23, s22
	s_mov_b64 s[22:23], s[58:59]
.LBB118_248:                            ;   in Loop: Header=BB118_32 Depth=1
	s_sub_u32 s24, s26, s22
	s_subb_u32 s25, s43, s23
	v_cmp_gt_u64_e32 vcc, s[24:25], v[0:1]
	s_mov_b64 s[22:23], 0
	s_mov_b64 s[42:43], 0
                                        ; implicit-def: $vgpr6_vgpr7
	s_and_saveexec_b64 s[46:47], vcc
	s_cbranch_execz .LBB118_260
; %bb.249:                              ;   in Loop: Header=BB118_32 Depth=1
	v_mov_b32_e32 v9, v1
	v_writelane_b32 v47, s68, 37
	s_mov_b64 s[26:27], 0
	v_mov_b32_e32 v12, v33
	v_mov_b32_e32 v8, v0
	v_writelane_b32 v47, s69, 38
                                        ; implicit-def: $sgpr42_sgpr43
	s_branch .LBB118_253
.LBB118_250:                            ;   in Loop: Header=BB118_253 Depth=2
	s_or_b64 exec, exec, s[68:69]
	s_waitcnt lgkmcnt(0)
	s_barrier
	ds_read_b128 v[4:7], v21 offset:3072
	s_waitcnt lgkmcnt(0)
	s_barrier
	v_cmp_neq_f64_e32 vcc, 0, v[4:5]
	s_cbranch_vccnz .LBB118_256
; %bb.251:                              ;   in Loop: Header=BB118_253 Depth=2
	v_add_co_u32_e32 v8, vcc, s70, v8
	v_addc_co_u32_e32 v9, vcc, 0, v9, vcc
	v_cmp_le_u64_e32 vcc, s[24:25], v[8:9]
	v_add_u32_e32 v12, s30, v12
	s_mov_b64 s[68:69], 0
	s_orn2_b64 vcc, vcc, exec
.LBB118_252:                            ;   in Loop: Header=BB118_253 Depth=2
	s_and_b64 vcc, exec, vcc
	s_or_b64 s[26:27], vcc, s[26:27]
	s_andn2_b64 s[42:43], s[42:43], exec
	s_and_b64 s[68:69], s[68:69], exec
	s_or_b64 s[42:43], s[42:43], s[68:69]
	s_andn2_b64 exec, exec, s[26:27]
	s_cbranch_execz .LBB118_259
.LBB118_253:                            ;   Parent Loop BB118_32 Depth=1
                                        ; =>  This Inner Loop Header: Depth=2
	v_cmp_gt_u64_e32 vcc, s[48:49], v[8:9]
	s_and_saveexec_b64 s[68:69], vcc
	s_cbranch_execz .LBB118_250
; %bb.254:                              ;   in Loop: Header=BB118_253 Depth=2
	ds_read_b64 v[4:5], v12
	s_waitcnt lgkmcnt(0)
	v_cmp_o_f64_e32 vcc, v[4:5], v[4:5]
	v_ashrrev_i32_e32 v2, 31, v5
	v_or_b32_e32 v6, 0x80000000, v2
	v_xor_b32_e32 v6, v6, v5
	v_xor_b32_e32 v2, v2, v4
	v_cndmask_b32_e32 v6, -1, v6, vcc
	v_cndmask_b32_e32 v2, -1, v2, vcc
	v_and_b32_e32 v7, v6, v25
	v_and_b32_e32 v6, v2, v24
	v_cmp_eq_u64_e32 vcc, v[6:7], v[22:23]
	s_and_b64 exec, exec, vcc
	s_cbranch_execz .LBB118_250
; %bb.255:                              ;   in Loop: Header=BB118_253 Depth=2
	v_mov_b32_e32 v2, v21
	ds_write_b128 v21, v[2:5] offset:3072
	s_branch .LBB118_250
.LBB118_256:                            ;   in Loop: Header=BB118_253 Depth=2
	s_mov_b64 vcc, -1
                                        ; implicit-def: $vgpr8_vgpr9
                                        ; implicit-def: $vgpr12
	s_mov_b64 s[68:69], -1
	s_branch .LBB118_252
.LBB118_257:                            ;   in Loop: Header=BB118_32 Depth=1
                                        ; implicit-def: $sgpr22_sgpr23
	s_branch .LBB118_200
.LBB118_258:                            ;   in Loop: Header=BB118_32 Depth=1
                                        ; implicit-def: $sgpr22_sgpr23
	s_branch .LBB118_217
.LBB118_259:                            ;   in Loop: Header=BB118_32 Depth=1
	s_or_b64 exec, exec, s[26:27]
	v_readlane_b32 s68, v47, 37
	s_and_b64 s[42:43], s[42:43], exec
	v_readlane_b32 s69, v47, 38
.LBB118_260:                            ;   in Loop: Header=BB118_32 Depth=1
	s_or_b64 exec, exec, s[46:47]
.LBB118_261:                            ;   in Loop: Header=BB118_32 Depth=1
	s_and_b64 vcc, exec, s[22:23]
	s_cbranch_vccz .LBB118_276
; %bb.262:                              ;   in Loop: Header=BB118_32 Depth=1
	s_mov_b32 s64, s59
	s_cmp_lg_u64 s[64:65], 0
	s_cbranch_scc0 .LBB118_297
; %bb.263:                              ;   in Loop: Header=BB118_32 Depth=1
	v_cvt_f32_u32_e32 v2, s70
	s_sub_u32 s24, 0, s70
	s_subb_u32 s25, 0, 0
	v_mac_f32_e32 v2, 0, v42
	v_rcp_f32_e32 v2, v2
	v_mul_f32_e32 v2, 0x5f7ffffc, v2
	v_mul_f32_e32 v4, 0x2f800000, v2
	v_trunc_f32_e32 v4, v4
	v_mac_f32_e32 v2, 0xcf800000, v4
	v_cvt_u32_f32_e32 v4, v4
	v_cvt_u32_f32_e32 v2, v2
	v_readfirstlane_b32 s26, v4
	v_readfirstlane_b32 s22, v2
	s_mul_i32 s23, s24, s26
	s_mul_hi_u32 s40, s24, s22
	s_mul_i32 s27, s25, s22
	s_add_i32 s23, s40, s23
	s_mul_i32 s41, s24, s22
	s_add_i32 s23, s23, s27
	s_mul_hi_u32 s40, s22, s41
	s_mul_i32 s46, s22, s23
	s_mul_hi_u32 s27, s22, s23
	s_add_u32 s40, s40, s46
	s_addc_u32 s27, 0, s27
	s_mul_hi_u32 s47, s26, s41
	s_mul_i32 s41, s26, s41
	s_add_u32 s40, s40, s41
	s_mul_hi_u32 s46, s26, s23
	s_addc_u32 s27, s27, s47
	s_addc_u32 s40, s46, 0
	s_mul_i32 s23, s26, s23
	s_add_u32 s23, s27, s23
	s_addc_u32 s27, 0, s40
	s_add_u32 s40, s22, s23
	s_cselect_b64 s[22:23], -1, 0
	s_cmp_lg_u64 s[22:23], 0
	s_addc_u32 s26, s26, s27
	s_mul_i32 s22, s24, s26
	s_mul_hi_u32 s23, s24, s40
	s_add_i32 s22, s23, s22
	s_mul_i32 s25, s25, s40
	s_add_i32 s22, s22, s25
	s_mul_i32 s24, s24, s40
	s_mul_hi_u32 s25, s26, s24
	s_mul_i32 s27, s26, s24
	s_mul_i32 s46, s40, s22
	s_mul_hi_u32 s24, s40, s24
	s_mul_hi_u32 s41, s40, s22
	s_add_u32 s24, s24, s46
	s_addc_u32 s41, 0, s41
	s_add_u32 s24, s24, s27
	s_mul_hi_u32 s23, s26, s22
	s_addc_u32 s24, s41, s25
	s_addc_u32 s23, s23, 0
	s_mul_i32 s22, s26, s22
	s_add_u32 s22, s24, s22
	s_addc_u32 s24, 0, s23
	s_add_u32 s25, s40, s22
	s_cselect_b64 s[22:23], -1, 0
	s_cmp_lg_u64 s[22:23], 0
	s_addc_u32 s22, s26, s24
	s_mul_i32 s24, s29, s22
	s_mul_hi_u32 s26, s29, s25
	s_mul_hi_u32 s23, s29, s22
	s_add_u32 s24, s26, s24
	s_addc_u32 s23, 0, s23
	s_mul_hi_u32 s27, s65, s25
	s_mul_i32 s25, s65, s25
	s_add_u32 s24, s24, s25
	s_mul_hi_u32 s26, s65, s22
	s_addc_u32 s23, s23, s27
	s_addc_u32 s24, s26, 0
	s_mul_i32 s22, s65, s22
	s_add_u32 s22, s23, s22
	s_addc_u32 s23, 0, s24
	s_mul_i32 s23, s70, s23
	s_mul_hi_u32 s24, s70, s22
	s_add_i32 s24, s24, s23
	s_mul_i32 s22, s70, s22
	s_sub_u32 s25, s29, s22
	s_cselect_b64 s[22:23], -1, 0
	s_cmp_lg_u64 s[22:23], 0
	s_subb_u32 s24, s65, s24
	s_sub_u32 s26, s25, s70
	s_cselect_b64 s[22:23], -1, 0
	s_cmp_lg_u64 s[22:23], 0
	s_subb_u32 s27, s24, 0
	;; [unrolled: 4-line block ×3, first 2 shown]
	s_cmp_ge_u32 s26, s70
	s_cselect_b32 s23, -1, 0
	s_cmp_eq_u32 s27, 0
	s_cselect_b32 s23, s23, -1
	s_cmp_lg_u32 s23, 0
	s_cselect_b32 s22, s22, s27
	s_cselect_b32 s26, s40, s26
	s_cmp_ge_u32 s25, s70
	s_cselect_b32 s23, -1, 0
	s_cmp_eq_u32 s24, 0
	s_cselect_b32 s23, s23, -1
	s_cmp_lg_u32 s23, 0
	s_cselect_b32 s23, s22, s24
	s_cselect_b32 s22, s26, s25
	s_cbranch_execnz .LBB118_265
.LBB118_264:                            ;   in Loop: Header=BB118_32 Depth=1
	v_cvt_f32_u32_e32 v2, s70
	s_sub_i32 s22, 0, s70
	v_rcp_iflag_f32_e32 v2, v2
	v_mul_f32_e32 v2, 0x4f7ffffe, v2
	v_cvt_u32_f32_e32 v2, v2
	v_readfirstlane_b32 s23, v2
	s_mul_i32 s22, s22, s23
	s_mul_hi_u32 s22, s23, s22
	s_add_i32 s23, s23, s22
	s_mul_hi_u32 s22, s29, s23
	s_mul_i32 s22, s22, s70
	s_sub_i32 s22, s29, s22
	s_sub_i32 s23, s22, s70
	s_cmp_ge_u32 s22, s70
	s_cselect_b32 s22, s23, s22
	s_sub_i32 s23, s22, s70
	s_cmp_ge_u32 s22, s70
	s_cselect_b32 s58, s23, s22
	s_mov_b64 s[22:23], s[58:59]
.LBB118_265:                            ;   in Loop: Header=BB118_32 Depth=1
	s_sub_u32 s40, s29, s22
	s_subb_u32 s41, s65, s23
	v_cmp_gt_u64_e32 vcc, s[40:41], v[0:1]
                                        ; implicit-def: $vgpr6_vgpr7
	s_and_saveexec_b64 s[22:23], vcc
	s_cbranch_execz .LBB118_275
; %bb.266:                              ;   in Loop: Header=BB118_32 Depth=1
	v_mov_b32_e32 v9, v1
	s_mov_b64 s[24:25], 0
	v_mov_b32_e32 v8, v0
                                        ; implicit-def: $sgpr26_sgpr27
	s_branch .LBB118_270
.LBB118_267:                            ;   in Loop: Header=BB118_270 Depth=2
	s_or_b64 exec, exec, s[46:47]
	s_waitcnt lgkmcnt(0)
	s_barrier
	ds_read_b128 v[4:7], v21 offset:3072
	s_waitcnt lgkmcnt(0)
	s_barrier
	v_cmp_eq_f64_e32 vcc, 0, v[4:5]
	s_cbranch_vccz .LBB118_273
; %bb.268:                              ;   in Loop: Header=BB118_270 Depth=2
	v_add_co_u32_e32 v8, vcc, s70, v8
	v_addc_co_u32_e32 v9, vcc, 0, v9, vcc
	v_cmp_le_u64_e32 vcc, s[40:41], v[8:9]
	s_mov_b64 s[46:47], 0
	s_orn2_b64 s[48:49], vcc, exec
.LBB118_269:                            ;   in Loop: Header=BB118_270 Depth=2
	s_and_b64 s[48:49], exec, s[48:49]
	s_or_b64 s[24:25], s[48:49], s[24:25]
	s_andn2_b64 s[26:27], s[26:27], exec
	s_and_b64 s[46:47], s[46:47], exec
	s_or_b64 s[26:27], s[26:27], s[46:47]
	s_andn2_b64 exec, exec, s[24:25]
	s_cbranch_execz .LBB118_274
.LBB118_270:                            ;   Parent Loop BB118_32 Depth=1
                                        ; =>  This Inner Loop Header: Depth=2
	v_cmp_gt_u64_e32 vcc, s[20:21], v[8:9]
	s_and_saveexec_b64 s[46:47], vcc
	s_cbranch_execz .LBB118_267
; %bb.271:                              ;   in Loop: Header=BB118_270 Depth=2
	v_mul_lo_u32 v2, v9, s44
	v_mul_lo_u32 v6, v8, s45
	v_mad_u64_u32 v[4:5], s[48:49], v8, s44, 0
	v_add3_u32 v5, v5, v6, v2
	v_lshlrev_b64 v[4:5], 3, v[4:5]
	v_mov_b32_e32 v2, s33
	v_add_co_u32_e32 v4, vcc, s19, v4
	v_addc_co_u32_e32 v5, vcc, v2, v5, vcc
	global_load_dwordx2 v[4:5], v[4:5], off
	s_waitcnt vmcnt(0)
	v_cmp_o_f64_e32 vcc, v[4:5], v[4:5]
	v_ashrrev_i32_e32 v2, 31, v5
	v_or_b32_e32 v6, 0x80000000, v2
	v_xor_b32_e32 v6, v6, v5
	v_xor_b32_e32 v2, v2, v4
	v_cndmask_b32_e32 v6, -1, v6, vcc
	v_cndmask_b32_e32 v2, -1, v2, vcc
	v_and_b32_e32 v7, v6, v25
	v_and_b32_e32 v6, v2, v24
	v_cmp_eq_u64_e32 vcc, v[6:7], v[22:23]
	s_and_b64 exec, exec, vcc
	s_cbranch_execz .LBB118_267
; %bb.272:                              ;   in Loop: Header=BB118_270 Depth=2
	v_mov_b32_e32 v2, v21
	ds_write_b128 v21, v[2:5] offset:3072
	s_branch .LBB118_267
.LBB118_273:                            ;   in Loop: Header=BB118_270 Depth=2
	s_mov_b64 s[48:49], -1
                                        ; implicit-def: $vgpr8_vgpr9
	s_mov_b64 s[46:47], -1
	s_branch .LBB118_269
.LBB118_274:                            ;   in Loop: Header=BB118_32 Depth=1
	s_or_b64 exec, exec, s[24:25]
	s_andn2_b64 s[24:25], s[42:43], exec
	s_and_b64 s[26:27], s[26:27], exec
	s_or_b64 s[42:43], s[24:25], s[26:27]
.LBB118_275:                            ;   in Loop: Header=BB118_32 Depth=1
	s_or_b64 exec, exec, s[22:23]
	s_mov_b64 s[54:55], 0
	s_mov_b64 s[40:41], -1
.LBB118_276:                            ;   in Loop: Header=BB118_32 Depth=1
	s_orn2_b64 s[22:23], s[42:43], exec
.LBB118_277:                            ;   in Loop: Header=BB118_32 Depth=1
	s_or_b64 exec, exec, s[94:95]
	s_mov_b64 s[24:25], 0
	s_and_saveexec_b64 s[42:43], s[22:23]
	s_cbranch_execz .LBB118_288
; %bb.278:                              ;   in Loop: Header=BB118_32 Depth=1
	v_mov_b32_e32 v4, 1
	s_xor_b64 s[24:25], s[34:35], -1
	v_mov_b32_e32 v5, 0
	v_mov_b32_e32 v14, 1
	s_and_saveexec_b64 s[22:23], s[24:25]
	s_cbranch_execz .LBB118_287
; %bb.279:                              ;   in Loop: Header=BB118_32 Depth=1
	v_cmp_ge_u64_e32 vcc, s[10:11], v[10:11]
	s_and_saveexec_b64 s[24:25], vcc
	s_xor_b64 s[24:25], exec, s[24:25]
	s_cbranch_execz .LBB118_284
; %bb.280:                              ;   in Loop: Header=BB118_32 Depth=1
	ds_read_b64 v[4:5], v21 offset:5120
	v_or_b32_e32 v23, s13, v23
	v_or_b32_e32 v22, s12, v22
	;; [unrolled: 1-line block ×4, first 2 shown]
	s_waitcnt lgkmcnt(0)
	v_cmp_ne_u64_e32 vcc, 0, v[4:5]
	s_cbranch_vccnz .LBB118_284
; %bb.281:                              ;   in Loop: Header=BB118_32 Depth=1
	s_and_saveexec_b64 s[12:13], s[2:3]
; %bb.282:                              ;   in Loop: Header=BB118_32 Depth=1
	v_mov_b32_e32 v4, s10
	v_mov_b32_e32 v5, s11
	ds_write_b64 v21, v[4:5] offset:5128
; %bb.283:                              ;   in Loop: Header=BB118_32 Depth=1
	s_or_b64 exec, exec, s[12:13]
	s_waitcnt lgkmcnt(0)
	s_barrier
.LBB118_284:                            ;   in Loop: Header=BB118_32 Depth=1
	s_andn2_saveexec_b64 s[12:13], s[24:25]
; %bb.285:                              ;   in Loop: Header=BB118_32 Depth=1
	v_mov_b32_e32 v2, s11
	v_subrev_co_u32_e32 v10, vcc, s10, v10
	v_subb_co_u32_e32 v11, vcc, v11, v2, vcc
; %bb.286:                              ;   in Loop: Header=BB118_32 Depth=1
	s_or_b64 exec, exec, s[12:13]
	v_mov_b32_e32 v4, v10
	v_mov_b32_e32 v14, 8
	v_mov_b32_e32 v5, v11
.LBB118_287:                            ;   in Loop: Header=BB118_32 Depth=1
	s_or_b64 exec, exec, s[22:23]
	v_mov_b32_e32 v11, v5
	s_mov_b64 s[24:25], exec
	v_mov_b32_e32 v10, v4
.LBB118_288:                            ;   in Loop: Header=BB118_32 Depth=1
	s_or_b64 exec, exec, s[42:43]
	s_orn2_b64 s[22:23], s[24:25], exec
.LBB118_289:                            ;   in Loop: Header=BB118_32 Depth=1
	s_or_b64 exec, exec, s[90:91]
	s_andn2_b64 s[10:11], s[38:39], exec
	s_and_b64 s[12:13], s[40:41], exec
	s_or_b64 s[38:39], s[10:11], s[12:13]
	s_andn2_b64 s[10:11], s[36:37], exec
	s_and_b64 s[12:13], s[54:55], exec
	v_mov_b32_e32 v8, v10
	s_or_b64 s[36:37], s[10:11], s[12:13]
	s_and_b64 s[24:25], s[22:23], exec
	v_mov_b32_e32 v9, v11
.LBB118_290:                            ;   in Loop: Header=BB118_32 Depth=1
	s_or_b64 exec, exec, s[56:57]
	s_orn2_b64 s[22:23], s[24:25], exec
.LBB118_291:                            ;   in Loop: Header=BB118_32 Depth=1
	s_or_b64 exec, exec, s[50:51]
	s_andn2_b64 s[10:11], s[92:93], exec
	s_and_b64 s[12:13], s[38:39], exec
	s_or_b64 s[92:93], s[10:11], s[12:13]
	s_andn2_b64 s[6:7], s[6:7], exec
	s_and_b64 s[10:11], s[36:37], exec
	v_mov_b32_e32 v13, v9
	s_or_b64 s[6:7], s[6:7], s[10:11]
	s_and_b64 s[24:25], s[22:23], exec
	v_mov_b32_e32 v12, v8
.LBB118_292:                            ;   in Loop: Header=BB118_32 Depth=1
	s_or_b64 exec, exec, s[52:53]
	s_orn2_b64 s[22:23], s[24:25], exec
.LBB118_293:                            ;   in Loop: Header=BB118_32 Depth=1
	s_or_b64 exec, exec, s[88:89]
	s_mov_b64 s[12:13], 0
	s_and_saveexec_b64 s[10:11], s[22:23]
	s_xor_b64 s[10:11], exec, s[10:11]
	s_cbranch_execz .LBB118_30
; %bb.294:                              ;   in Loop: Header=BB118_32 Depth=1
	v_and_b32_e32 v2, 7, v14
	v_cmp_eq_u32_e32 vcc, 0, v2
	s_mov_b64 s[22:23], -1
	s_mov_b64 s[12:13], -1
	s_and_saveexec_b64 s[24:25], vcc
	s_cbranch_execz .LBB118_29
; %bb.295:                              ;   in Loop: Header=BB118_32 Depth=1
	s_xor_b32 s1, s1, 1
	s_add_i32 s26, s0, -2
	s_cmp_eq_u32 s0, 0
	s_cselect_b64 s[22:23], -1, 0
	s_xor_b64 s[12:13], exec, -1
	s_orn2_b64 s[22:23], s[22:23], exec
	s_mov_b32 s0, s26
	s_branch .LBB118_29
.LBB118_296:                            ;   in Loop: Header=BB118_32 Depth=1
                                        ; implicit-def: $sgpr22_sgpr23
	s_branch .LBB118_247
.LBB118_297:                            ;   in Loop: Header=BB118_32 Depth=1
                                        ; implicit-def: $sgpr22_sgpr23
	s_branch .LBB118_264
.LBB118_298:
	s_or_b64 exec, exec, s[72:73]
	s_xor_b64 s[8:9], s[78:79], -1
	s_xor_b64 s[0:1], s[74:75], -1
	;; [unrolled: 1-line block ×3, first 2 shown]
	s_mov_b64 s[4:5], 0
	s_and_saveexec_b64 s[2:3], s[0:1]
	s_xor_b64 s[2:3], exec, s[2:3]
	s_cbranch_execnz .LBB118_303
; %bb.299:
	s_andn2_saveexec_b64 s[0:1], s[2:3]
	s_cbranch_execnz .LBB118_316
.LBB118_300:
	s_or_b64 exec, exec, s[0:1]
	s_and_saveexec_b64 s[0:1], s[4:5]
.LBB118_301:
	; divergent unreachable
.LBB118_302:
	s_endpgm
.LBB118_303:
	s_and_saveexec_b64 s[0:1], s[8:9]
	s_xor_b64 s[4:5], exec, s[0:1]
	s_cbranch_execz .LBB118_314
; %bb.304:
	s_and_saveexec_b64 s[0:1], s[6:7]
	s_xor_b64 s[6:7], exec, s[0:1]
; %bb.305:
	v_lshrrev_b32_e32 v2, 31, v23
	v_add_co_u32_e32 v2, vcc, -1, v2
	v_addc_co_u32_e64 v3, s[0:1], 0, -1, vcc
	v_or_b32_e32 v3, 0x80000000, v3
	v_xor_b32_e32 v7, v3, v23
	v_xor_b32_e32 v6, v2, v22
; %bb.306:
	s_or_b64 exec, exec, s[6:7]
	v_readlane_b32 s8, v47, 8
	v_readlane_b32 s0, v47, 4
	;; [unrolled: 1-line block ×4, first 2 shown]
	s_mov_b32 s14, s0
	s_mul_i32 s0, s0, s9
	s_mul_hi_u32 s1, s14, s8
	s_add_i32 s1, s1, s0
	s_mul_i32 s0, s14, s8
	v_readlane_b32 s12, v47, 6
	v_readlane_b32 s24, v47, 22
	;; [unrolled: 1-line block ×3, first 2 shown]
	s_sub_u32 s0, s12, s0
	v_readlane_b32 s26, v47, 24
	v_readlane_b32 s27, v47, 25
	s_subb_u32 s1, s13, s1
	s_mul_i32 s6, s0, s27
	s_mul_hi_u32 s7, s0, s26
	v_readlane_b32 s10, v47, 10
	v_readlane_b32 s11, v47, 11
	;; [unrolled: 1-line block ×3, first 2 shown]
	s_add_i32 s6, s7, s6
	s_mul_i32 s1, s1, s26
	s_add_i32 s1, s6, s1
	s_mul_i32 s6, s14, s25
	s_mul_hi_u32 s7, s14, s24
	s_mul_i32 s8, s12, s11
	s_mul_hi_u32 s9, s12, s10
	s_add_i32 s7, s7, s6
	s_add_i32 s9, s9, s8
	s_mul_i32 s8, s12, s10
	v_readlane_b32 s12, v47, 20
	s_sub_u32 s8, s18, s8
	v_readlane_b32 s13, v47, 21
	s_subb_u32 s9, 0, s9
	s_mul_i32 s10, s8, s13
	s_mul_hi_u32 s11, s8, s12
	s_mul_i32 s6, s14, s24
	s_add_i32 s10, s11, s10
	s_mul_i32 s9, s9, s12
	s_add_i32 s9, s10, s9
	s_lshl_b64 s[6:7], s[6:7], 3
	v_readlane_b32 s10, v47, 28
	s_mul_i32 s0, s0, s26
	v_readlane_b32 s11, v47, 29
	s_add_u32 s6, s10, s6
	s_addc_u32 s7, s11, s7
	s_lshl_b64 s[0:1], s[0:1], 3
	s_mul_i32 s8, s8, s12
	s_add_u32 s6, s6, s0
	s_addc_u32 s7, s7, s1
	s_lshl_b64 s[0:1], s[8:9], 3
	s_add_u32 s0, s6, s0
	s_addc_u32 s1, s7, s1
	v_mov_b32_e32 v2, 0
	global_store_dwordx2 v2, v[6:7], s[0:1]
	s_mov_b64 s[6:7], exec
	v_readlane_b32 s0, v47, 30
	v_readlane_b32 s1, v47, 31
	s_and_b64 s[0:1], s[6:7], s[0:1]
	s_mov_b64 exec, s[0:1]
	s_cbranch_execz .LBB118_313
; %bb.307:
	v_cmp_u_f64_e32 vcc, v[6:7], v[6:7]
	s_mov_b64 s[8:9], 0
	v_mov_b32_e32 v4, s33
                                        ; implicit-def: $sgpr10_sgpr11
                                        ; implicit-def: $sgpr16_sgpr17
                                        ; implicit-def: $sgpr14_sgpr15
	s_xor_b64 s[12:13], vcc, -1
	s_branch .LBB118_309
.LBB118_308:                            ;   in Loop: Header=BB118_309 Depth=1
	s_or_b64 exec, exec, s[0:1]
	s_and_b64 s[0:1], exec, s[16:17]
	s_or_b64 s[8:9], s[0:1], s[8:9]
	s_andn2_b64 s[0:1], s[10:11], exec
	s_and_b64 s[10:11], s[14:15], exec
	s_or_b64 s[10:11], s[0:1], s[10:11]
	s_andn2_b64 exec, exec, s[8:9]
	s_cbranch_execz .LBB118_311
.LBB118_309:                            ; =>This Inner Loop Header: Depth=1
	v_mov_b32_e32 v3, v1
	v_mov_b32_e32 v2, v0
	v_mul_lo_u32 v5, v3, s44
	v_mul_lo_u32 v8, v2, s45
	v_mad_u64_u32 v[0:1], s[0:1], v2, s44, 0
	s_or_b64 s[14:15], s[14:15], exec
	s_or_b64 s[16:17], s[16:17], exec
	v_add3_u32 v1, v1, v8, v5
	v_lshlrev_b64 v[0:1], 3, v[0:1]
	v_add_co_u32_e32 v0, vcc, s19, v0
	v_addc_co_u32_e32 v1, vcc, v4, v1, vcc
	global_load_dwordx2 v[0:1], v[0:1], off
	s_waitcnt vmcnt(0)
	v_cmp_o_f64_e32 vcc, v[0:1], v[0:1]
	v_cmp_neq_f64_e64 s[0:1], v[0:1], v[6:7]
                                        ; implicit-def: $vgpr0_vgpr1
	s_or_b64 s[22:23], vcc, s[12:13]
	s_and_b64 s[22:23], s[0:1], s[22:23]
	s_and_saveexec_b64 s[0:1], s[22:23]
	s_cbranch_execz .LBB118_308
; %bb.310:                              ;   in Loop: Header=BB118_309 Depth=1
	v_add_co_u32_e32 v0, vcc, s70, v2
	v_addc_co_u32_e32 v1, vcc, 0, v3, vcc
	v_cmp_le_u64_e32 vcc, s[20:21], v[0:1]
	s_andn2_b64 s[16:17], s[16:17], exec
	s_and_b64 s[22:23], vcc, exec
	s_andn2_b64 s[14:15], s[14:15], exec
	s_or_b64 s[16:17], s[16:17], s[22:23]
	s_branch .LBB118_308
.LBB118_311:
	s_or_b64 exec, exec, s[8:9]
	s_and_saveexec_b64 s[0:1], s[10:11]
	s_xor_b64 s[0:1], exec, s[0:1]
	s_cbranch_execz .LBB118_313
; %bb.312:
	v_readlane_b32 s12, v47, 0
	v_readlane_b32 s0, v47, 12
	;; [unrolled: 1-line block ×4, first 2 shown]
	s_mov_b32 s10, s0
	s_mul_i32 s0, s0, s13
	s_mul_hi_u32 s1, s10, s12
	s_add_i32 s1, s1, s0
	s_mul_i32 s0, s10, s12
	v_readlane_b32 s20, v47, 16
	s_sub_u32 s0, s68, s0
	v_readlane_b32 s22, v47, 18
	v_readlane_b32 s23, v47, 19
	s_subb_u32 s1, s69, s1
	s_mul_i32 s8, s0, s23
	s_mul_hi_u32 s9, s0, s22
	v_readlane_b32 s21, v47, 17
	s_add_i32 s8, s9, s8
	s_mul_i32 s1, s1, s22
	v_readlane_b32 s14, v47, 2
	v_readlane_b32 s15, v47, 3
	s_add_i32 s1, s8, s1
	s_mul_i32 s8, s10, s21
	s_mul_hi_u32 s9, s10, s20
	s_add_i32 s9, s9, s8
	s_mul_i32 s8, s10, s20
	s_mul_i32 s10, s68, s15
	s_mul_hi_u32 s11, s68, s14
	s_add_i32 s11, s11, s10
	s_mul_i32 s10, s68, s14
	v_readlane_b32 s14, v47, 14
	s_sub_u32 s10, s18, s10
	v_readlane_b32 s15, v47, 15
	s_subb_u32 s11, 0, s11
	s_mul_i32 s12, s10, s15
	s_mul_hi_u32 s13, s10, s14
	s_add_i32 s12, s13, s12
	s_mul_i32 s11, s11, s14
	s_add_i32 s11, s12, s11
	s_lshl_b64 s[8:9], s[8:9], 3
	v_readlane_b32 s12, v47, 26
	s_mul_i32 s0, s0, s22
	v_readlane_b32 s13, v47, 27
	s_add_u32 s8, s12, s8
	s_addc_u32 s9, s13, s9
	s_lshl_b64 s[0:1], s[0:1], 3
	s_mul_i32 s10, s10, s14
	s_add_u32 s8, s8, s0
	s_addc_u32 s9, s9, s1
	s_lshl_b64 s[0:1], s[10:11], 3
	s_add_u32 s0, s8, s0
	s_addc_u32 s1, s9, s1
	v_mov_b32_e32 v0, 0
	global_store_dwordx2 v0, v[2:3], s[0:1]
.LBB118_313:
	s_or_b64 exec, exec, s[6:7]
.LBB118_314:
	s_or_saveexec_b64 s[0:1], s[4:5]
	s_mov_b64 s[4:5], 0
	s_xor_b64 exec, exec, s[0:1]
	s_cbranch_execnz .LBB118_317
.LBB118_315:
	s_or_b64 exec, exec, s[0:1]
	s_and_b64 s[4:5], s[4:5], exec
	s_andn2_saveexec_b64 s[0:1], s[2:3]
	s_cbranch_execz .LBB118_300
.LBB118_316:
	s_or_b64 s[4:5], s[4:5], exec
	s_trap 2
	s_or_b64 exec, exec, s[0:1]
	s_and_saveexec_b64 s[0:1], s[4:5]
	s_cbranch_execnz .LBB118_301
	s_branch .LBB118_302
.LBB118_317:
	s_mov_b64 s[4:5], exec
	s_trap 2
	s_branch .LBB118_315
	.section	.rodata,"a",@progbits
	.p2align	6, 0x0
	.amdhsa_kernel _ZN2at6native12_GLOBAL__N_112gatherMedianIdmLi3EEEvNS_4cuda6detail10TensorInfoIT_T0_EENS5_IlS7_EENS5_IKS6_S7_EES7_S7_S7_b
		.amdhsa_group_segment_fixed_size 5152
		.amdhsa_private_segment_fixed_size 0
		.amdhsa_kernarg_size 1536
		.amdhsa_user_sgpr_count 6
		.amdhsa_user_sgpr_private_segment_buffer 1
		.amdhsa_user_sgpr_dispatch_ptr 0
		.amdhsa_user_sgpr_queue_ptr 0
		.amdhsa_user_sgpr_kernarg_segment_ptr 1
		.amdhsa_user_sgpr_dispatch_id 0
		.amdhsa_user_sgpr_flat_scratch_init 0
		.amdhsa_user_sgpr_private_segment_size 0
		.amdhsa_uses_dynamic_stack 0
		.amdhsa_system_sgpr_private_segment_wavefront_offset 0
		.amdhsa_system_sgpr_workgroup_id_x 1
		.amdhsa_system_sgpr_workgroup_id_y 1
		.amdhsa_system_sgpr_workgroup_id_z 1
		.amdhsa_system_sgpr_workgroup_info 0
		.amdhsa_system_vgpr_workitem_id 0
		.amdhsa_next_free_vgpr 48
		.amdhsa_next_free_sgpr 96
		.amdhsa_reserve_vcc 1
		.amdhsa_reserve_flat_scratch 0
		.amdhsa_float_round_mode_32 0
		.amdhsa_float_round_mode_16_64 0
		.amdhsa_float_denorm_mode_32 3
		.amdhsa_float_denorm_mode_16_64 3
		.amdhsa_dx10_clamp 1
		.amdhsa_ieee_mode 1
		.amdhsa_fp16_overflow 0
		.amdhsa_exception_fp_ieee_invalid_op 0
		.amdhsa_exception_fp_denorm_src 0
		.amdhsa_exception_fp_ieee_div_zero 0
		.amdhsa_exception_fp_ieee_overflow 0
		.amdhsa_exception_fp_ieee_underflow 0
		.amdhsa_exception_fp_ieee_inexact 0
		.amdhsa_exception_int_div_zero 0
	.end_amdhsa_kernel
	.section	.text._ZN2at6native12_GLOBAL__N_112gatherMedianIdmLi3EEEvNS_4cuda6detail10TensorInfoIT_T0_EENS5_IlS7_EENS5_IKS6_S7_EES7_S7_S7_b,"axG",@progbits,_ZN2at6native12_GLOBAL__N_112gatherMedianIdmLi3EEEvNS_4cuda6detail10TensorInfoIT_T0_EENS5_IlS7_EENS5_IKS6_S7_EES7_S7_S7_b,comdat
.Lfunc_end118:
	.size	_ZN2at6native12_GLOBAL__N_112gatherMedianIdmLi3EEEvNS_4cuda6detail10TensorInfoIT_T0_EENS5_IlS7_EENS5_IKS6_S7_EES7_S7_S7_b, .Lfunc_end118-_ZN2at6native12_GLOBAL__N_112gatherMedianIdmLi3EEEvNS_4cuda6detail10TensorInfoIT_T0_EENS5_IlS7_EENS5_IKS6_S7_EES7_S7_S7_b
                                        ; -- End function
	.set _ZN2at6native12_GLOBAL__N_112gatherMedianIdmLi3EEEvNS_4cuda6detail10TensorInfoIT_T0_EENS5_IlS7_EENS5_IKS6_S7_EES7_S7_S7_b.num_vgpr, 48
	.set _ZN2at6native12_GLOBAL__N_112gatherMedianIdmLi3EEEvNS_4cuda6detail10TensorInfoIT_T0_EENS5_IlS7_EENS5_IKS6_S7_EES7_S7_S7_b.num_agpr, 0
	.set _ZN2at6native12_GLOBAL__N_112gatherMedianIdmLi3EEEvNS_4cuda6detail10TensorInfoIT_T0_EENS5_IlS7_EENS5_IKS6_S7_EES7_S7_S7_b.numbered_sgpr, 96
	.set _ZN2at6native12_GLOBAL__N_112gatherMedianIdmLi3EEEvNS_4cuda6detail10TensorInfoIT_T0_EENS5_IlS7_EENS5_IKS6_S7_EES7_S7_S7_b.num_named_barrier, 0
	.set _ZN2at6native12_GLOBAL__N_112gatherMedianIdmLi3EEEvNS_4cuda6detail10TensorInfoIT_T0_EENS5_IlS7_EENS5_IKS6_S7_EES7_S7_S7_b.private_seg_size, 0
	.set _ZN2at6native12_GLOBAL__N_112gatherMedianIdmLi3EEEvNS_4cuda6detail10TensorInfoIT_T0_EENS5_IlS7_EENS5_IKS6_S7_EES7_S7_S7_b.uses_vcc, 1
	.set _ZN2at6native12_GLOBAL__N_112gatherMedianIdmLi3EEEvNS_4cuda6detail10TensorInfoIT_T0_EENS5_IlS7_EENS5_IKS6_S7_EES7_S7_S7_b.uses_flat_scratch, 0
	.set _ZN2at6native12_GLOBAL__N_112gatherMedianIdmLi3EEEvNS_4cuda6detail10TensorInfoIT_T0_EENS5_IlS7_EENS5_IKS6_S7_EES7_S7_S7_b.has_dyn_sized_stack, 0
	.set _ZN2at6native12_GLOBAL__N_112gatherMedianIdmLi3EEEvNS_4cuda6detail10TensorInfoIT_T0_EENS5_IlS7_EENS5_IKS6_S7_EES7_S7_S7_b.has_recursion, 0
	.set _ZN2at6native12_GLOBAL__N_112gatherMedianIdmLi3EEEvNS_4cuda6detail10TensorInfoIT_T0_EENS5_IlS7_EENS5_IKS6_S7_EES7_S7_S7_b.has_indirect_call, 0
	.section	.AMDGPU.csdata,"",@progbits
; Kernel info:
; codeLenInByte = 16472
; TotalNumSgprs: 100
; NumVgprs: 48
; ScratchSize: 0
; MemoryBound: 0
; FloatMode: 240
; IeeeMode: 1
; LDSByteSize: 5152 bytes/workgroup (compile time only)
; SGPRBlocks: 12
; VGPRBlocks: 11
; NumSGPRsForWavesPerEU: 100
; NumVGPRsForWavesPerEU: 48
; Occupancy: 5
; WaveLimiterHint : 1
; COMPUTE_PGM_RSRC2:SCRATCH_EN: 0
; COMPUTE_PGM_RSRC2:USER_SGPR: 6
; COMPUTE_PGM_RSRC2:TRAP_HANDLER: 0
; COMPUTE_PGM_RSRC2:TGID_X_EN: 1
; COMPUTE_PGM_RSRC2:TGID_Y_EN: 1
; COMPUTE_PGM_RSRC2:TGID_Z_EN: 1
; COMPUTE_PGM_RSRC2:TIDIG_COMP_CNT: 0
	.section	.text._ZN2at6native12_GLOBAL__N_112gatherMedianIdmLin1EEEvNS_4cuda6detail10TensorInfoIT_T0_EENS5_IlS7_EENS5_IKS6_S7_EES7_S7_S7_b,"axG",@progbits,_ZN2at6native12_GLOBAL__N_112gatherMedianIdmLin1EEEvNS_4cuda6detail10TensorInfoIT_T0_EENS5_IlS7_EENS5_IKS6_S7_EES7_S7_S7_b,comdat
	.globl	_ZN2at6native12_GLOBAL__N_112gatherMedianIdmLin1EEEvNS_4cuda6detail10TensorInfoIT_T0_EENS5_IlS7_EENS5_IKS6_S7_EES7_S7_S7_b ; -- Begin function _ZN2at6native12_GLOBAL__N_112gatherMedianIdmLin1EEEvNS_4cuda6detail10TensorInfoIT_T0_EENS5_IlS7_EENS5_IKS6_S7_EES7_S7_S7_b
	.p2align	8
	.type	_ZN2at6native12_GLOBAL__N_112gatherMedianIdmLin1EEEvNS_4cuda6detail10TensorInfoIT_T0_EENS5_IlS7_EENS5_IKS6_S7_EES7_S7_S7_b,@function
_ZN2at6native12_GLOBAL__N_112gatherMedianIdmLin1EEEvNS_4cuda6detail10TensorInfoIT_T0_EENS5_IlS7_EENS5_IKS6_S7_EES7_S7_S7_b: ; @_ZN2at6native12_GLOBAL__N_112gatherMedianIdmLin1EEEvNS_4cuda6detail10TensorInfoIT_T0_EENS5_IlS7_EENS5_IKS6_S7_EES7_S7_S7_b
; %bb.0:
	s_load_dwordx2 s[10:11], s[4:5], 0x500
	s_load_dwordx4 s[20:23], s[4:5], 0x4e0
	s_add_u32 s12, s4, 0x500
	s_addc_u32 s13, s5, 0
	s_mov_b32 s1, 0
	s_waitcnt lgkmcnt(0)
	s_mul_i32 s0, s11, s8
	s_add_i32 s0, s0, s7
	s_mul_i32 s0, s0, s10
	s_add_i32 s0, s0, s6
	v_mov_b32_e32 v2, s1
	v_mov_b32_e32 v1, s0
	v_cmp_le_u64_e32 vcc, s[22:23], v[1:2]
	s_cbranch_vccnz .LBB119_315
; %bb.1:
	s_load_dword s2, s[4:5], 0x198
	s_load_dwordx2 s[24:25], s[4:5], 0x4f0
	s_mov_b64 s[22:23], 0
	s_mov_b64 s[28:29], s[0:1]
	s_waitcnt lgkmcnt(0)
	s_cmp_lt_i32 s2, 2
	s_cbranch_scc1 .LBB119_9
; %bb.2:
	s_add_i32 s7, s2, 1
	s_add_i32 s8, s2, -1
	s_mov_b32 s2, 0
	s_mov_b32 s9, s2
	s_lshl_b64 s[8:9], s[8:9], 3
	s_add_u32 s3, s4, s8
	s_addc_u32 s9, s5, s9
	s_add_u32 s8, s3, 8
	s_addc_u32 s9, s9, 0
	s_mov_b64 s[14:15], s[0:1]
.LBB119_3:                              ; =>This Inner Loop Header: Depth=1
	s_load_dwordx2 s[16:17], s[8:9], 0x0
	s_waitcnt lgkmcnt(0)
	s_or_b64 s[18:19], s[14:15], s[16:17]
	s_mov_b32 s3, s19
	s_cmp_lg_u64 s[2:3], 0
	s_cbranch_scc0 .LBB119_8
; %bb.4:                                ;   in Loop: Header=BB119_3 Depth=1
	v_cvt_f32_u32_e32 v1, s16
	v_cvt_f32_u32_e32 v2, s17
	s_sub_u32 s3, 0, s16
	s_subb_u32 s11, 0, s17
	v_mac_f32_e32 v1, 0x4f800000, v2
	v_rcp_f32_e32 v1, v1
	v_mul_f32_e32 v1, 0x5f7ffffc, v1
	v_mul_f32_e32 v2, 0x2f800000, v1
	v_trunc_f32_e32 v2, v2
	v_mac_f32_e32 v1, 0xcf800000, v2
	v_cvt_u32_f32_e32 v2, v2
	v_cvt_u32_f32_e32 v1, v1
	v_readfirstlane_b32 s26, v2
	v_readfirstlane_b32 s18, v1
	s_mul_i32 s19, s3, s26
	s_mul_hi_u32 s28, s3, s18
	s_mul_i32 s27, s11, s18
	s_add_i32 s19, s28, s19
	s_mul_i32 s29, s3, s18
	s_add_i32 s19, s19, s27
	s_mul_i32 s28, s18, s19
	s_mul_hi_u32 s30, s18, s29
	s_mul_hi_u32 s27, s18, s19
	s_add_u32 s28, s30, s28
	s_addc_u32 s27, 0, s27
	s_mul_hi_u32 s31, s26, s29
	s_mul_i32 s29, s26, s29
	s_add_u32 s28, s28, s29
	s_mul_hi_u32 s30, s26, s19
	s_addc_u32 s27, s27, s31
	s_addc_u32 s28, s30, 0
	s_mul_i32 s19, s26, s19
	s_add_u32 s19, s27, s19
	s_addc_u32 s27, 0, s28
	s_add_u32 s28, s18, s19
	s_cselect_b64 s[18:19], -1, 0
	s_cmp_lg_u64 s[18:19], 0
	s_addc_u32 s26, s26, s27
	s_mul_i32 s18, s3, s26
	s_mul_hi_u32 s19, s3, s28
	s_add_i32 s18, s19, s18
	s_mul_i32 s11, s11, s28
	s_add_i32 s18, s18, s11
	s_mul_i32 s3, s3, s28
	s_mul_hi_u32 s19, s26, s3
	s_mul_i32 s27, s26, s3
	s_mul_i32 s30, s28, s18
	s_mul_hi_u32 s3, s28, s3
	s_mul_hi_u32 s29, s28, s18
	s_add_u32 s3, s3, s30
	s_addc_u32 s29, 0, s29
	s_add_u32 s3, s3, s27
	s_mul_hi_u32 s11, s26, s18
	s_addc_u32 s3, s29, s19
	s_addc_u32 s11, s11, 0
	s_mul_i32 s18, s26, s18
	s_add_u32 s3, s3, s18
	s_addc_u32 s11, 0, s11
	s_add_u32 s3, s28, s3
	s_cselect_b64 s[18:19], -1, 0
	s_cmp_lg_u64 s[18:19], 0
	s_addc_u32 s11, s26, s11
	s_mul_i32 s19, s14, s11
	s_mul_hi_u32 s26, s14, s3
	s_mul_hi_u32 s18, s14, s11
	s_add_u32 s19, s26, s19
	s_addc_u32 s18, 0, s18
	s_mul_hi_u32 s27, s15, s3
	s_mul_i32 s3, s15, s3
	s_add_u32 s3, s19, s3
	s_mul_hi_u32 s26, s15, s11
	s_addc_u32 s3, s18, s27
	s_addc_u32 s18, s26, 0
	s_mul_i32 s11, s15, s11
	s_add_u32 s3, s3, s11
	s_addc_u32 s11, 0, s18
	s_mul_i32 s18, s16, s11
	s_mul_hi_u32 s19, s16, s3
	s_add_i32 s18, s19, s18
	s_mul_i32 s19, s17, s3
	s_add_i32 s28, s18, s19
	s_sub_i32 s26, s15, s28
	s_mul_i32 s18, s16, s3
	s_sub_u32 s29, s14, s18
	s_cselect_b64 s[18:19], -1, 0
	s_cmp_lg_u64 s[18:19], 0
	s_subb_u32 s30, s26, s17
	s_sub_u32 s31, s29, s16
	s_cselect_b64 s[26:27], -1, 0
	s_cmp_lg_u64 s[26:27], 0
	s_subb_u32 s26, s30, 0
	s_cmp_ge_u32 s26, s17
	s_cselect_b32 s27, -1, 0
	s_cmp_ge_u32 s31, s16
	s_cselect_b32 s30, -1, 0
	s_cmp_eq_u32 s26, s17
	s_cselect_b32 s26, s30, s27
	s_add_u32 s27, s3, 1
	s_addc_u32 s30, s11, 0
	s_add_u32 s31, s3, 2
	s_addc_u32 s33, s11, 0
	s_cmp_lg_u32 s26, 0
	s_cselect_b32 s26, s31, s27
	s_cselect_b32 s27, s33, s30
	s_cmp_lg_u64 s[18:19], 0
	s_subb_u32 s18, s15, s28
	s_cmp_ge_u32 s18, s17
	s_cselect_b32 s19, -1, 0
	s_cmp_ge_u32 s29, s16
	s_cselect_b32 s28, -1, 0
	s_cmp_eq_u32 s18, s17
	s_cselect_b32 s18, s28, s19
	s_cmp_lg_u32 s18, 0
	s_cselect_b32 s29, s27, s11
	s_cselect_b32 s28, s26, s3
	s_cbranch_execnz .LBB119_6
.LBB119_5:                              ;   in Loop: Header=BB119_3 Depth=1
	v_cvt_f32_u32_e32 v1, s16
	s_sub_i32 s3, 0, s16
	s_mov_b32 s29, s2
	v_rcp_iflag_f32_e32 v1, v1
	v_mul_f32_e32 v1, 0x4f7ffffe, v1
	v_cvt_u32_f32_e32 v1, v1
	v_readfirstlane_b32 s11, v1
	s_mul_i32 s3, s3, s11
	s_mul_hi_u32 s3, s11, s3
	s_add_i32 s11, s11, s3
	s_mul_hi_u32 s3, s14, s11
	s_mul_i32 s18, s3, s16
	s_sub_i32 s18, s14, s18
	s_add_i32 s11, s3, 1
	s_sub_i32 s19, s18, s16
	s_cmp_ge_u32 s18, s16
	s_cselect_b32 s3, s11, s3
	s_cselect_b32 s18, s19, s18
	s_add_i32 s11, s3, 1
	s_cmp_ge_u32 s18, s16
	s_cselect_b32 s28, s11, s3
.LBB119_6:                              ;   in Loop: Header=BB119_3 Depth=1
	s_mul_i32 s3, s28, s17
	s_mul_hi_u32 s11, s28, s16
	s_load_dwordx2 s[18:19], s[8:9], 0xc8
	s_add_i32 s3, s11, s3
	s_mul_i32 s11, s29, s16
	s_add_i32 s3, s3, s11
	s_mul_i32 s11, s28, s16
	s_sub_u32 s11, s14, s11
	s_subb_u32 s3, s15, s3
	s_waitcnt lgkmcnt(0)
	s_mul_i32 s3, s18, s3
	s_mul_hi_u32 s14, s18, s11
	s_add_i32 s3, s14, s3
	s_mul_i32 s14, s19, s11
	s_add_i32 s3, s3, s14
	s_mul_i32 s11, s18, s11
	s_add_u32 s22, s11, s22
	s_addc_u32 s23, s3, s23
	s_add_i32 s7, s7, -1
	s_add_u32 s8, s8, -8
	s_addc_u32 s9, s9, -1
	s_cmp_gt_u32 s7, 2
	s_cbranch_scc0 .LBB119_9
; %bb.7:                                ;   in Loop: Header=BB119_3 Depth=1
	s_mov_b64 s[14:15], s[28:29]
	s_branch .LBB119_3
.LBB119_8:                              ;   in Loop: Header=BB119_3 Depth=1
                                        ; implicit-def: $sgpr28_sgpr29
	s_branch .LBB119_5
.LBB119_9:
	s_load_dword s8, s[4:5], 0x338
	s_load_dwordx2 s[2:3], s[4:5], 0xd0
                                        ; implicit-def: $vgpr58 : SGPR spill to VGPR lane
	s_mov_b64 s[26:27], 0
	s_mov_b64 s[34:35], s[0:1]
	s_waitcnt lgkmcnt(0)
	v_writelane_b32 v58, s2, 0
	v_writelane_b32 v58, s3, 1
	s_add_u32 s2, s4, 0x1a0
	s_addc_u32 s3, s5, 0
	s_cmp_lt_i32 s8, 2
	s_cbranch_scc1 .LBB119_17
; %bb.10:
	s_add_i32 s7, s8, 1
	s_add_i32 s14, s8, -1
	s_mov_b32 s8, 0
	s_mov_b32 s15, s8
	s_lshl_b64 s[14:15], s[14:15], 3
	s_add_u32 s9, s2, s14
	s_addc_u32 s11, s3, s15
	s_add_u32 s14, s9, 8
	s_addc_u32 s15, s11, 0
	s_mov_b64 s[16:17], s[0:1]
.LBB119_11:                             ; =>This Inner Loop Header: Depth=1
	s_load_dwordx2 s[18:19], s[14:15], 0x0
	s_waitcnt lgkmcnt(0)
	s_or_b64 s[30:31], s[16:17], s[18:19]
	s_mov_b32 s9, s31
	s_cmp_lg_u64 s[8:9], 0
	s_cbranch_scc0 .LBB119_16
; %bb.12:                               ;   in Loop: Header=BB119_11 Depth=1
	v_cvt_f32_u32_e32 v1, s18
	v_cvt_f32_u32_e32 v2, s19
	s_sub_u32 s9, 0, s18
	s_subb_u32 s11, 0, s19
	v_mac_f32_e32 v1, 0x4f800000, v2
	v_rcp_f32_e32 v1, v1
	v_mul_f32_e32 v1, 0x5f7ffffc, v1
	v_mul_f32_e32 v2, 0x2f800000, v1
	v_trunc_f32_e32 v2, v2
	v_mac_f32_e32 v1, 0xcf800000, v2
	v_cvt_u32_f32_e32 v2, v2
	v_cvt_u32_f32_e32 v1, v1
	v_readfirstlane_b32 s33, v2
	v_readfirstlane_b32 s30, v1
	s_mul_i32 s31, s9, s33
	s_mul_hi_u32 s35, s9, s30
	s_mul_i32 s34, s11, s30
	s_add_i32 s31, s35, s31
	s_mul_i32 s36, s9, s30
	s_add_i32 s31, s31, s34
	s_mul_i32 s35, s30, s31
	s_mul_hi_u32 s37, s30, s36
	s_mul_hi_u32 s34, s30, s31
	s_add_u32 s35, s37, s35
	s_addc_u32 s34, 0, s34
	s_mul_hi_u32 s38, s33, s36
	s_mul_i32 s36, s33, s36
	s_add_u32 s35, s35, s36
	s_mul_hi_u32 s37, s33, s31
	s_addc_u32 s34, s34, s38
	s_addc_u32 s35, s37, 0
	s_mul_i32 s31, s33, s31
	s_add_u32 s31, s34, s31
	s_addc_u32 s34, 0, s35
	s_add_u32 s35, s30, s31
	s_cselect_b64 s[30:31], -1, 0
	s_cmp_lg_u64 s[30:31], 0
	s_addc_u32 s33, s33, s34
	s_mul_i32 s30, s9, s33
	s_mul_hi_u32 s31, s9, s35
	s_add_i32 s30, s31, s30
	s_mul_i32 s11, s11, s35
	s_add_i32 s30, s30, s11
	s_mul_i32 s9, s9, s35
	s_mul_hi_u32 s31, s33, s9
	s_mul_i32 s34, s33, s9
	s_mul_i32 s37, s35, s30
	s_mul_hi_u32 s9, s35, s9
	s_mul_hi_u32 s36, s35, s30
	s_add_u32 s9, s9, s37
	s_addc_u32 s36, 0, s36
	s_add_u32 s9, s9, s34
	s_mul_hi_u32 s11, s33, s30
	s_addc_u32 s9, s36, s31
	s_addc_u32 s11, s11, 0
	s_mul_i32 s30, s33, s30
	s_add_u32 s9, s9, s30
	s_addc_u32 s11, 0, s11
	s_add_u32 s9, s35, s9
	s_cselect_b64 s[30:31], -1, 0
	s_cmp_lg_u64 s[30:31], 0
	s_addc_u32 s11, s33, s11
	s_mul_i32 s31, s16, s11
	s_mul_hi_u32 s33, s16, s9
	s_mul_hi_u32 s30, s16, s11
	s_add_u32 s31, s33, s31
	s_addc_u32 s30, 0, s30
	s_mul_hi_u32 s34, s17, s9
	s_mul_i32 s9, s17, s9
	s_add_u32 s9, s31, s9
	s_mul_hi_u32 s33, s17, s11
	s_addc_u32 s9, s30, s34
	s_addc_u32 s30, s33, 0
	s_mul_i32 s11, s17, s11
	s_add_u32 s9, s9, s11
	s_addc_u32 s11, 0, s30
	s_mul_i32 s30, s18, s11
	s_mul_hi_u32 s31, s18, s9
	s_add_i32 s30, s31, s30
	s_mul_i32 s31, s19, s9
	s_add_i32 s33, s30, s31
	s_sub_i32 s34, s17, s33
	s_mul_i32 s30, s18, s9
	s_sub_u32 s36, s16, s30
	s_cselect_b64 s[30:31], -1, 0
	s_cmp_lg_u64 s[30:31], 0
	s_subb_u32 s37, s34, s19
	s_sub_u32 s38, s36, s18
	s_cselect_b64 s[34:35], -1, 0
	s_cmp_lg_u64 s[34:35], 0
	s_subb_u32 s34, s37, 0
	s_cmp_ge_u32 s34, s19
	s_cselect_b32 s35, -1, 0
	s_cmp_ge_u32 s38, s18
	s_cselect_b32 s37, -1, 0
	s_cmp_eq_u32 s34, s19
	s_cselect_b32 s34, s37, s35
	s_add_u32 s35, s9, 1
	s_addc_u32 s37, s11, 0
	s_add_u32 s38, s9, 2
	s_addc_u32 s39, s11, 0
	s_cmp_lg_u32 s34, 0
	s_cselect_b32 s34, s38, s35
	s_cselect_b32 s35, s39, s37
	s_cmp_lg_u64 s[30:31], 0
	s_subb_u32 s30, s17, s33
	s_cmp_ge_u32 s30, s19
	s_cselect_b32 s31, -1, 0
	s_cmp_ge_u32 s36, s18
	s_cselect_b32 s33, -1, 0
	s_cmp_eq_u32 s30, s19
	s_cselect_b32 s30, s33, s31
	s_cmp_lg_u32 s30, 0
	s_cselect_b32 s35, s35, s11
	s_cselect_b32 s34, s34, s9
	s_cbranch_execnz .LBB119_14
.LBB119_13:                             ;   in Loop: Header=BB119_11 Depth=1
	v_cvt_f32_u32_e32 v1, s18
	s_sub_i32 s9, 0, s18
	s_mov_b32 s35, s8
	v_rcp_iflag_f32_e32 v1, v1
	v_mul_f32_e32 v1, 0x4f7ffffe, v1
	v_cvt_u32_f32_e32 v1, v1
	v_readfirstlane_b32 s11, v1
	s_mul_i32 s9, s9, s11
	s_mul_hi_u32 s9, s11, s9
	s_add_i32 s11, s11, s9
	s_mul_hi_u32 s9, s16, s11
	s_mul_i32 s30, s9, s18
	s_sub_i32 s30, s16, s30
	s_add_i32 s11, s9, 1
	s_sub_i32 s31, s30, s18
	s_cmp_ge_u32 s30, s18
	s_cselect_b32 s9, s11, s9
	s_cselect_b32 s30, s31, s30
	s_add_i32 s11, s9, 1
	s_cmp_ge_u32 s30, s18
	s_cselect_b32 s34, s11, s9
.LBB119_14:                             ;   in Loop: Header=BB119_11 Depth=1
	s_mul_i32 s9, s34, s19
	s_mul_hi_u32 s11, s34, s18
	s_load_dwordx2 s[30:31], s[14:15], 0xc8
	s_add_i32 s9, s11, s9
	s_mul_i32 s11, s35, s18
	s_add_i32 s9, s9, s11
	s_mul_i32 s11, s34, s18
	s_sub_u32 s11, s16, s11
	s_subb_u32 s9, s17, s9
	s_waitcnt lgkmcnt(0)
	s_mul_i32 s9, s30, s9
	s_mul_hi_u32 s16, s30, s11
	s_add_i32 s9, s16, s9
	s_mul_i32 s16, s31, s11
	s_add_i32 s9, s9, s16
	s_mul_i32 s11, s30, s11
	s_add_u32 s26, s11, s26
	s_addc_u32 s27, s9, s27
	s_add_i32 s7, s7, -1
	s_add_u32 s14, s14, -8
	s_addc_u32 s15, s15, -1
	s_cmp_gt_u32 s7, 2
	s_cbranch_scc0 .LBB119_17
; %bb.15:                               ;   in Loop: Header=BB119_11 Depth=1
	s_mov_b64 s[16:17], s[34:35]
	s_branch .LBB119_11
.LBB119_16:                             ;   in Loop: Header=BB119_11 Depth=1
                                        ; implicit-def: $sgpr34_sgpr35
	s_branch .LBB119_13
.LBB119_17:
	s_load_dword s14, s[4:5], 0x4d8
	s_load_dwordx2 s[8:9], s[2:3], 0xd0
                                        ; kill: killed $sgpr2 killed $sgpr3
	s_add_u32 s3, s4, 0x340
	s_addc_u32 s11, s5, 0
	s_waitcnt lgkmcnt(0)
	s_cmp_lt_i32 s14, 2
	v_writelane_b32 v58, s8, 2
	v_writelane_b32 v58, s9, 3
	s_mov_b64 s[8:9], 0
	s_cbranch_scc1 .LBB119_25
; %bb.18:
	s_mov_b32 s2, 0
	s_add_i32 s8, s14, -1
	s_mov_b32 s9, s2
	s_add_i32 s7, s14, 1
	s_lshl_b64 s[8:9], s[8:9], 3
	s_add_u32 s3, s3, s8
	s_addc_u32 s8, s11, s9
	s_add_u32 s14, s3, 8
	s_addc_u32 s15, s8, 0
	s_mov_b64 s[8:9], 0
.LBB119_19:                             ; =>This Inner Loop Header: Depth=1
	s_load_dwordx2 s[16:17], s[14:15], 0x0
	s_waitcnt lgkmcnt(0)
	s_or_b64 s[18:19], s[0:1], s[16:17]
	s_mov_b32 s3, s19
	s_cmp_lg_u64 s[2:3], 0
	s_cbranch_scc0 .LBB119_24
; %bb.20:                               ;   in Loop: Header=BB119_19 Depth=1
	v_cvt_f32_u32_e32 v1, s16
	v_cvt_f32_u32_e32 v2, s17
	s_sub_u32 s3, 0, s16
	s_subb_u32 s11, 0, s17
	v_mac_f32_e32 v1, 0x4f800000, v2
	v_rcp_f32_e32 v1, v1
	v_mul_f32_e32 v1, 0x5f7ffffc, v1
	v_mul_f32_e32 v2, 0x2f800000, v1
	v_trunc_f32_e32 v2, v2
	v_mac_f32_e32 v1, 0xcf800000, v2
	v_cvt_u32_f32_e32 v2, v2
	v_cvt_u32_f32_e32 v1, v1
	v_readfirstlane_b32 s30, v2
	v_readfirstlane_b32 s18, v1
	s_mul_i32 s19, s3, s30
	s_mul_hi_u32 s33, s3, s18
	s_mul_i32 s31, s11, s18
	s_add_i32 s19, s33, s19
	s_mul_i32 s36, s3, s18
	s_add_i32 s19, s19, s31
	s_mul_i32 s33, s18, s19
	s_mul_hi_u32 s37, s18, s36
	s_mul_hi_u32 s31, s18, s19
	s_add_u32 s33, s37, s33
	s_addc_u32 s31, 0, s31
	s_mul_hi_u32 s38, s30, s36
	s_mul_i32 s36, s30, s36
	s_add_u32 s33, s33, s36
	s_mul_hi_u32 s37, s30, s19
	s_addc_u32 s31, s31, s38
	s_addc_u32 s33, s37, 0
	s_mul_i32 s19, s30, s19
	s_add_u32 s19, s31, s19
	s_addc_u32 s31, 0, s33
	s_add_u32 s33, s18, s19
	s_cselect_b64 s[18:19], -1, 0
	s_cmp_lg_u64 s[18:19], 0
	s_addc_u32 s30, s30, s31
	s_mul_i32 s18, s3, s30
	s_mul_hi_u32 s19, s3, s33
	s_add_i32 s18, s19, s18
	s_mul_i32 s11, s11, s33
	s_add_i32 s18, s18, s11
	s_mul_i32 s3, s3, s33
	s_mul_hi_u32 s19, s30, s3
	s_mul_i32 s31, s30, s3
	s_mul_i32 s37, s33, s18
	s_mul_hi_u32 s3, s33, s3
	s_mul_hi_u32 s36, s33, s18
	s_add_u32 s3, s3, s37
	s_addc_u32 s36, 0, s36
	s_add_u32 s3, s3, s31
	s_mul_hi_u32 s11, s30, s18
	s_addc_u32 s3, s36, s19
	s_addc_u32 s11, s11, 0
	s_mul_i32 s18, s30, s18
	s_add_u32 s3, s3, s18
	s_addc_u32 s11, 0, s11
	s_add_u32 s3, s33, s3
	s_cselect_b64 s[18:19], -1, 0
	s_cmp_lg_u64 s[18:19], 0
	s_addc_u32 s11, s30, s11
	s_mul_i32 s19, s0, s11
	s_mul_hi_u32 s30, s0, s3
	s_mul_hi_u32 s18, s0, s11
	s_add_u32 s19, s30, s19
	s_addc_u32 s18, 0, s18
	s_mul_hi_u32 s31, s1, s3
	s_mul_i32 s3, s1, s3
	s_add_u32 s3, s19, s3
	s_mul_hi_u32 s30, s1, s11
	s_addc_u32 s3, s18, s31
	s_addc_u32 s18, s30, 0
	s_mul_i32 s11, s1, s11
	s_add_u32 s3, s3, s11
	s_addc_u32 s11, 0, s18
	s_mul_i32 s18, s16, s11
	s_mul_hi_u32 s19, s16, s3
	s_add_i32 s18, s19, s18
	s_mul_i32 s19, s17, s3
	s_add_i32 s33, s18, s19
	s_sub_i32 s30, s1, s33
	s_mul_i32 s18, s16, s3
	s_sub_u32 s36, s0, s18
	s_cselect_b64 s[18:19], -1, 0
	s_cmp_lg_u64 s[18:19], 0
	s_subb_u32 s37, s30, s17
	s_sub_u32 s38, s36, s16
	s_cselect_b64 s[30:31], -1, 0
	s_cmp_lg_u64 s[30:31], 0
	s_subb_u32 s30, s37, 0
	s_cmp_ge_u32 s30, s17
	s_cselect_b32 s31, -1, 0
	s_cmp_ge_u32 s38, s16
	s_cselect_b32 s37, -1, 0
	s_cmp_eq_u32 s30, s17
	s_cselect_b32 s30, s37, s31
	s_add_u32 s31, s3, 1
	s_addc_u32 s37, s11, 0
	s_add_u32 s38, s3, 2
	s_addc_u32 s39, s11, 0
	s_cmp_lg_u32 s30, 0
	s_cselect_b32 s30, s38, s31
	s_cselect_b32 s31, s39, s37
	s_cmp_lg_u64 s[18:19], 0
	s_subb_u32 s18, s1, s33
	s_cmp_ge_u32 s18, s17
	s_cselect_b32 s19, -1, 0
	s_cmp_ge_u32 s36, s16
	s_cselect_b32 s33, -1, 0
	s_cmp_eq_u32 s18, s17
	s_cselect_b32 s18, s33, s19
	s_cmp_lg_u32 s18, 0
	s_cselect_b32 s19, s31, s11
	s_cselect_b32 s18, s30, s3
	s_cbranch_execnz .LBB119_22
.LBB119_21:                             ;   in Loop: Header=BB119_19 Depth=1
	v_cvt_f32_u32_e32 v1, s16
	s_sub_i32 s3, 0, s16
	v_rcp_iflag_f32_e32 v1, v1
	v_mul_f32_e32 v1, 0x4f7ffffe, v1
	v_cvt_u32_f32_e32 v1, v1
	v_readfirstlane_b32 s11, v1
	s_mul_i32 s3, s3, s11
	s_mul_hi_u32 s3, s11, s3
	s_add_i32 s11, s11, s3
	s_mul_hi_u32 s3, s0, s11
	s_mul_i32 s18, s3, s16
	s_sub_i32 s18, s0, s18
	s_add_i32 s11, s3, 1
	s_sub_i32 s19, s18, s16
	s_cmp_ge_u32 s18, s16
	s_cselect_b32 s3, s11, s3
	s_cselect_b32 s18, s19, s18
	s_add_i32 s11, s3, 1
	s_cmp_ge_u32 s18, s16
	s_cselect_b32 s18, s11, s3
	s_mov_b32 s19, s2
.LBB119_22:                             ;   in Loop: Header=BB119_19 Depth=1
	s_mul_i32 s3, s18, s17
	s_mul_hi_u32 s11, s18, s16
	s_load_dwordx2 s[30:31], s[14:15], 0xc8
	s_add_i32 s3, s11, s3
	s_mul_i32 s11, s19, s16
	s_add_i32 s3, s3, s11
	s_mul_i32 s11, s18, s16
	s_sub_u32 s0, s0, s11
	s_subb_u32 s1, s1, s3
	s_waitcnt lgkmcnt(0)
	s_mul_i32 s1, s30, s1
	s_mul_hi_u32 s3, s30, s0
	s_add_i32 s1, s3, s1
	s_mul_i32 s3, s31, s0
	s_add_i32 s1, s1, s3
	s_mul_i32 s0, s30, s0
	s_add_u32 s8, s0, s8
	s_addc_u32 s9, s1, s9
	s_add_i32 s7, s7, -1
	s_add_u32 s14, s14, -8
	s_addc_u32 s15, s15, -1
	s_cmp_gt_u32 s7, 2
	s_cbranch_scc0 .LBB119_26
; %bb.23:                               ;   in Loop: Header=BB119_19 Depth=1
	s_mov_b64 s[0:1], s[18:19]
	s_branch .LBB119_19
.LBB119_24:                             ;   in Loop: Header=BB119_19 Depth=1
                                        ; implicit-def: $sgpr18_sgpr19
	s_branch .LBB119_21
.LBB119_25:
	s_mov_b64 s[18:19], s[0:1]
.LBB119_26:
	s_load_dwordx2 s[0:1], s[4:5], 0x410
	s_load_dwordx2 s[2:3], s[4:5], 0x0
	v_mov_b32_e32 v2, 0
	v_mov_b32_e32 v1, 0
	;; [unrolled: 1-line block ×3, first 2 shown]
	s_waitcnt lgkmcnt(0)
	s_mul_i32 s1, s1, s18
	v_writelane_b32 v58, s2, 4
	v_writelane_b32 v58, s3, 5
	s_load_dwordx2 s[2:3], s[4:5], 0x1a0
	s_load_dwordx2 s[14:15], s[4:5], 0x340
	s_mul_i32 s16, s0, s18
	s_waitcnt lgkmcnt(0)
	v_writelane_b32 v58, s2, 6
	v_writelane_b32 v58, s3, 7
	s_mul_i32 s2, s0, s19
	s_mul_hi_u32 s3, s0, s18
	s_add_i32 s2, s3, s2
	s_add_i32 s17, s2, s1
	v_cmp_gt_u64_e64 s[2:3], s[20:21], v[0:1]
	s_mov_b64 s[0:1], exec
	v_writelane_b32 v58, s2, 8
	v_writelane_b32 v58, s3, 9
	s_and_b64 s[2:3], s[0:1], s[2:3]
	s_mov_b64 exec, s[2:3]
	s_cbranch_execz .LBB119_30
; %bb.27:
	v_mad_u64_u32 v[2:3], s[2:3], s24, v0, 0
	s_load_dword s7, s[12:13], 0xc
	s_lshl_b64 s[18:19], s[8:9], 3
	v_mad_u64_u32 v[3:4], s[2:3], s25, v0, v[3:4]
	s_lshl_b64 s[2:3], s[16:17], 3
	s_waitcnt lgkmcnt(0)
	s_and_b32 s7, s7, 0xffff
	s_add_u32 s11, s14, s18
	s_addc_u32 s18, s15, s19
	v_lshlrev_b64 v[2:3], 3, v[2:3]
	s_add_u32 s2, s11, s2
	s_addc_u32 s3, s18, s3
	v_mov_b32_e32 v5, s3
	v_add_co_u32_e32 v4, vcc, s2, v2
	s_mul_i32 s2, s25, s7
	s_mul_hi_u32 s3, s24, s7
	s_add_i32 s3, s3, s2
	s_mul_i32 s2, s24, s7
	v_addc_co_u32_e32 v5, vcc, v5, v3, vcc
	s_lshl_b64 s[18:19], s[2:3], 3
	v_mov_b32_e32 v2, 0
	v_mov_b32_e32 v7, v1
	s_mov_b64 s[2:3], 0
	v_mov_b32_e32 v3, 0
	v_mov_b32_e32 v8, s19
	;; [unrolled: 1-line block ×3, first 2 shown]
.LBB119_28:                             ; =>This Inner Loop Header: Depth=1
	global_load_dwordx2 v[9:10], v[4:5], off
	v_add_co_u32_e32 v6, vcc, s7, v6
	v_addc_co_u32_e32 v7, vcc, 0, v7, vcc
	v_add_co_u32_e32 v4, vcc, s18, v4
	v_addc_co_u32_e32 v5, vcc, v5, v8, vcc
	v_cmp_le_u64_e32 vcc, s[20:21], v[6:7]
	s_or_b64 s[2:3], vcc, s[2:3]
	s_waitcnt vmcnt(0)
	v_cmp_u_f64_e32 vcc, v[9:10], v[9:10]
	v_cndmask_b32_e64 v9, 0, 1, vcc
	v_add_co_u32_e32 v2, vcc, v2, v9
	v_addc_co_u32_e32 v3, vcc, 0, v3, vcc
	s_andn2_b64 exec, exec, s[2:3]
	s_cbranch_execnz .LBB119_28
; %bb.29:
	s_or_b64 exec, exec, s[2:3]
.LBB119_30:
	s_or_b64 exec, exec, s[0:1]
	v_cmp_eq_u32_e64 s[2:3], 0, v0
	s_mov_b64 s[0:1], exec
	v_writelane_b32 v58, s2, 10
	v_writelane_b32 v58, s3, 11
	s_and_b64 s[2:3], s[0:1], s[2:3]
	s_mov_b64 exec, s[2:3]
; %bb.31:
	v_mov_b32_e32 v4, 0
	v_mov_b32_e32 v5, v4
	ds_write_b64 v4, v[4:5] offset:5136
; %bb.32:
	s_or_b64 exec, exec, s[0:1]
	v_cmp_ne_u64_e32 vcc, 0, v[2:3]
	s_mov_b64 s[2:3], 0
	s_waitcnt lgkmcnt(0)
	s_barrier
	s_and_saveexec_b64 s[0:1], vcc
	s_cbranch_execz .LBB119_37
; %bb.33:
	s_mov_b64 s[18:19], exec
.LBB119_34:                             ; =>This Inner Loop Header: Depth=1
	s_ff1_i32_b64 s7, s[18:19]
	v_readlane_b32 s30, v2, s7
	v_readlane_b32 s11, v3, s7
	s_add_u32 s2, s2, s30
	s_addc_u32 s3, s3, s11
	s_lshl_b64 s[30:31], 1, s7
	s_andn2_b64 s[18:19], s[18:19], s[30:31]
	s_cmp_lg_u64 s[18:19], 0
	s_cbranch_scc1 .LBB119_34
; %bb.35:
	v_mbcnt_lo_u32_b32 v2, exec_lo, 0
	v_mbcnt_hi_u32_b32 v2, exec_hi, v2
	v_cmp_eq_u32_e32 vcc, 0, v2
	s_and_saveexec_b64 s[18:19], vcc
	s_xor_b64 s[18:19], exec, s[18:19]
; %bb.36:
	v_mov_b32_e32 v2, s2
	v_mov_b32_e32 v4, 0
	;; [unrolled: 1-line block ×3, first 2 shown]
	ds_add_u64 v4, v[2:3] offset:5136
.LBB119_37:
	s_or_b64 exec, exec, s[0:1]
	v_mov_b32_e32 v2, 0
	s_load_dword s0, s[4:5], 0x4f8
	s_waitcnt lgkmcnt(0)
	s_barrier
	ds_read_b64 v[2:3], v2 offset:5136
	s_bitcmp1_b32 s0, 0
	s_cselect_b64 s[0:1], -1, 0
	v_mov_b32_e32 v37, s21
	v_mov_b32_e32 v36, s20
	s_waitcnt lgkmcnt(0)
	v_cmp_gt_i64_e32 vcc, 1, v[2:3]
	s_or_b64 s[0:1], s[0:1], vcc
	s_andn2_b64 vcc, exec, s[0:1]
	s_cbranch_vccnz .LBB119_39
; %bb.38:
	v_not_b32_e32 v2, v2
	v_not_b32_e32 v3, v3
	v_mov_b32_e32 v4, s21
	v_add_co_u32_e32 v2, vcc, s20, v2
	v_addc_co_u32_e32 v3, vcc, v4, v3, vcc
	v_lshrrev_b64 v[2:3], 1, v[2:3]
	v_add_co_u32_e32 v36, vcc, 1, v2
	v_addc_co_u32_e32 v37, vcc, 0, v3, vcc
.LBB119_39:
	s_mov_b64 s[0:1], exec
	v_readlane_b32 s2, v58, 10
	v_readlane_b32 s3, v58, 11
	s_and_b64 s[2:3], s[0:1], s[2:3]
	s_mov_b64 exec, s[2:3]
	s_cbranch_execz .LBB119_41
; %bb.40:
	v_mov_b32_e32 v2, 0
	v_mov_b32_e32 v4, s20
	;; [unrolled: 1-line block ×4, first 2 shown]
	ds_write_b32 v2, v2 offset:5144
	ds_write_b128 v2, v[2:5] offset:5120
.LBB119_41:
	s_or_b64 exec, exec, s[0:1]
	v_mad_u64_u32 v[4:5], s[0:1], s24, v0, 0
	v_mbcnt_lo_u32_b32 v2, -1, 0
	v_cmp_gt_u32_e64 s[0:1], 2, v0
	v_mbcnt_hi_u32_b32 v46, -1, v2
	v_writelane_b32 v58, s0, 12
	v_mov_b32_e32 v2, v5
	v_writelane_b32 v58, s1, 13
	v_mad_u64_u32 v[2:3], s[0:1], s25, v0, v[2:3]
	s_lshl_b64 s[18:19], s[16:17], 3
	v_mov_b32_e32 v5, 0x180
	s_add_u32 s30, s14, s18
	v_mov_b32_e32 v6, 0
	s_addc_u32 s31, s15, s19
	s_lshl_b64 s[42:43], s[8:9], 3
	v_cmp_gt_u64_e64 s[0:1], s[20:21], v[5:6]
	v_mov_b32_e32 v5, v2
	s_add_u32 s62, s30, s42
	v_lshlrev_b64 v[2:3], 3, v[4:5]
	s_addc_u32 s63, s31, s43
	v_cmp_gt_u32_e32 vcc, 64, v0
	v_cmp_gt_i32_e64 s[8:9], 4, v46
	v_writelane_b32 v58, s0, 14
	s_waitcnt lgkmcnt(0)
	s_barrier
	s_and_b64 s[46:47], vcc, s[8:9]
	v_writelane_b32 v58, s1, 15
	v_mov_b32_e32 v6, s63
	v_add_co_u32_e32 v18, vcc, s62, v2
	s_load_dword s0, s[12:13], 0xc
	v_addc_co_u32_e32 v19, vcc, v6, v3, vcc
	v_lshlrev_b64 v[6:7], v46, -1
	v_lshlrev_b32_e32 v10, 5, v0
	v_not_b32_e32 v50, v7
	v_not_b32_e32 v51, v6
	v_mov_b32_e32 v6, s30
	v_or_b32_e32 v9, 24, v10
	v_mov_b32_e32 v7, s31
	s_waitcnt lgkmcnt(0)
	s_and_b32 s33, s0, 0xffff
	s_bfe_u32 s2, s0, 0xa0006
	v_mad_u64_u32 v[24:25], s[0:1], s24, v9, v[6:7]
	s_cmp_gt_u32 s33, 63
	v_lshlrev_b32_e32 v8, 2, v46
	s_cselect_b64 s[0:1], -1, 0
	v_and_b32_e32 v49, 0x100, v8
	v_writelane_b32 v58, s0, 16
	v_mov_b32_e32 v8, v25
	v_writelane_b32 v58, s1, 17
	v_mad_u64_u32 v[8:9], s[0:1], s25, v9, v[8:9]
	v_or_b32_e32 v9, 16, v10
	v_mad_u64_u32 v[26:27], s[0:1], s24, v9, v[6:7]
	s_add_u32 s65, s33, -1
	s_addc_u32 s3, 0, -1
	s_add_u32 s50, s65, s20
	s_addc_u32 s53, s3, s21
	v_mov_b32_e32 v25, v8
	v_mov_b32_e32 v8, v27
	v_mad_u64_u32 v[8:9], s[0:1], s25, v9, v[8:9]
	s_cmp_lt_u32 s6, s10
	s_cselect_b32 s0, 12, 18
	s_add_u32 s54, s12, s0
	s_addc_u32 s55, s13, 0
	s_add_i32 s0, s2, -1
	s_bfe_u32 s1, s33, 0x30006
	s_and_b32 s0, s0, 0xffff
	s_cmp_gt_u32 s0, 6
	v_writelane_b32 v58, s3, 18
	s_cselect_b64 s[6:7], -1, 0
	v_writelane_b32 v58, s6, 19
	s_and_b32 s51, s2, 0x3f8
	v_lshrrev_b32_e32 v9, 1, v0
	v_writelane_b32 v58, s7, 20
	s_cmp_lg_u32 s1, 0
	v_and_b32_e32 v9, 0x1e0, v9
	v_writelane_b32 v58, s1, 21
	s_cselect_b64 s[0:1], -1, 0
	v_or_b32_e32 v52, 0xc00, v9
	v_writelane_b32 v58, s0, 22
	v_or_b32_e32 v9, 8, v10
	v_writelane_b32 v58, s1, 23
	v_mad_u64_u32 v[28:29], s[0:1], s24, v9, v[6:7]
	s_add_u32 s2, s18, s42
	s_addc_u32 s3, s19, s43
	s_add_u32 s2, s14, s2
	v_mov_b32_e32 v6, v29
	s_addc_u32 s3, s15, s3
	v_mad_u64_u32 v[6:7], s[0:1], s25, v9, v[6:7]
	v_writelane_b32 v58, s2, 24
	v_writelane_b32 v58, s3, 25
	s_lshl_b64 s[0:1], s[24:25], 3
	v_writelane_b32 v58, s0, 26
	v_writelane_b32 v58, s1, 27
	s_lshl_b64 s[0:1], s[24:25], 5
	v_writelane_b32 v58, s0, 28
	s_lshl_b32 s16, s33, 3
	v_writelane_b32 v58, s1, 29
	v_lshlrev_b64 v[4:5], 5, v[4:5]
	s_add_u32 s0, s14, s42
	s_addc_u32 s1, s15, s43
	v_mov_b32_e32 v29, v6
	v_mov_b32_e32 v6, s31
	v_add_co_u32_e32 v30, vcc, s30, v4
	s_add_u32 s0, s0, s18
	v_addc_co_u32_e32 v31, vcc, v6, v5, vcc
	s_addc_u32 s1, s1, s19
	v_mov_b32_e32 v4, s1
	v_add_co_u32_e32 v16, vcc, s0, v2
	s_mul_i32 s0, s25, s33
	s_mul_hi_u32 s1, s24, s33
	v_lshlrev_b32_e32 v47, 3, v0
	v_mov_b32_e32 v23, 0
	v_mov_b32_e32 v2, 0xc00
	s_add_i32 s1, s1, s0
	s_mul_i32 s0, s24, s33
	v_mov_b32_e32 v32, 0
	v_mov_b32_e32 v34, 0
	;; [unrolled: 1-line block ×3, first 2 shown]
	s_mov_b32 s45, 0
	v_cmp_eq_u32_e64 s[4:5], 0, v46
	v_add_u32_e32 v48, 0xc00, v47
	v_lshlrev_b32_e32 v20, 2, v0
	v_mov_b32_e32 v21, v23
	v_mov_b32_e32 v27, v8
	v_addc_co_u32_e32 v17, vcc, v4, v3, vcc
	v_lshlrev_b32_e32 v53, 5, v0
	v_lshl_or_b32 v54, v46, 3, v2
	s_lshl_b64 s[48:49], s[0:1], 3
	s_mov_b32 s17, 62
	s_mov_b64 s[66:67], 0
	v_mov_b32_e32 v55, 0x4f800000
	s_mov_b32 s64, 0
	v_mov_b32_e32 v33, 0
	v_mov_b32_e32 v35, 0
	;; [unrolled: 1-line block ×4, first 2 shown]
                                        ; implicit-def: $sgpr68_sgpr69
                                        ; implicit-def: $sgpr72_sgpr73
                                        ; implicit-def: $sgpr70_sgpr71
                                        ; implicit-def: $sgpr76_sgpr77
                                        ; implicit-def: $sgpr78_sgpr79
                                        ; implicit-def: $sgpr74_sgpr75
	s_branch .LBB119_45
.LBB119_42:                             ;   in Loop: Header=BB119_45 Depth=1
	s_or_b64 exec, exec, s[10:11]
	s_and_b64 s[2:3], s[2:3], exec
	s_andn2_b64 s[84:85], s[84:85], exec
	s_andn2_b64 s[6:7], s[6:7], exec
	s_orn2_b64 s[18:19], s[8:9], exec
.LBB119_43:                             ;   in Loop: Header=BB119_45 Depth=1
	s_or_b64 exec, exec, s[0:1]
	s_andn2_b64 s[0:1], s[74:75], exec
	s_and_b64 s[2:3], s[2:3], exec
	s_or_b64 s[74:75], s[0:1], s[2:3]
	s_andn2_b64 s[0:1], s[78:79], exec
	s_and_b64 s[2:3], s[84:85], exec
	s_or_b64 s[78:79], s[0:1], s[2:3]
	;; [unrolled: 3-line block ×3, first 2 shown]
	s_orn2_b64 s[6:7], s[18:19], exec
.LBB119_44:                             ;   in Loop: Header=BB119_45 Depth=1
	s_or_b64 exec, exec, s[14:15]
	s_and_b64 s[0:1], exec, s[6:7]
	s_or_b64 s[66:67], s[0:1], s[66:67]
	s_andn2_b64 s[0:1], s[70:71], exec
	s_and_b64 s[2:3], s[74:75], exec
	s_or_b64 s[70:71], s[0:1], s[2:3]
	s_andn2_b64 s[0:1], s[72:73], exec
	s_and_b64 s[2:3], s[78:79], exec
	;; [unrolled: 3-line block ×3, first 2 shown]
	v_mov_b32_e32 v37, v13
	s_or_b64 s[68:69], s[0:1], s[2:3]
	v_mov_b32_e32 v36, v12
	s_andn2_b64 exec, exec, s[66:67]
	s_cbranch_execz .LBB119_311
.LBB119_45:                             ; =>This Loop Header: Depth=1
                                        ;     Child Loop BB119_51 Depth 2
                                        ;     Child Loop BB119_64 Depth 2
	;; [unrolled: 1-line block ×16, first 2 shown]
	ds_read_b128 v[8:11], v23 offset:5120
	s_waitcnt lgkmcnt(0)
	v_readfirstlane_b32 s19, v9
	v_readfirstlane_b32 s18, v8
	s_cmp_lg_u64 s[18:19], 0
	s_cbranch_scc1 .LBB119_72
; %bb.46:                               ;   in Loop: Header=BB119_45 Depth=1
	v_readlane_b32 s0, v58, 14
	v_readlane_b32 s1, v58, 15
	s_and_b64 vcc, exec, s[0:1]
	s_cbranch_vccz .LBB119_59
; %bb.47:                               ;   in Loop: Header=BB119_45 Depth=1
	s_mov_b64 s[0:1], 0x181
	v_cmp_gt_u64_e32 vcc, s[0:1], v[10:11]
	s_mov_b64 s[12:13], 0
	s_mov_b64 s[0:1], 0
	s_cbranch_vccz .LBB119_60
; %bb.48:                               ;   in Loop: Header=BB119_45 Depth=1
	s_mov_b64 s[14:15], exec
	v_readlane_b32 s0, v58, 8
	v_readlane_b32 s1, v58, 9
	s_and_b64 s[0:1], s[14:15], s[0:1]
	s_mov_b64 exec, s[0:1]
	s_cbranch_execz .LBB119_173
; %bb.49:                               ;   in Loop: Header=BB119_45 Depth=1
	global_load_ushort v2, v23, s[54:55]
	global_load_dwordx2 v[4:5], v[18:19], off
	v_readlane_b32 s0, v58, 24
	v_readlane_b32 s1, v58, 25
	v_mov_b32_e32 v9, s1
	v_mov_b32_e32 v8, s0
	v_readlane_b32 s6, v58, 26
	v_readlane_b32 s7, v58, 27
	s_mov_b64 s[18:19], 0
	s_waitcnt vmcnt(1)
	v_readfirstlane_b32 s0, v2
	s_and_b32 s2, 0xffff, s0
	v_add_u32_e32 v10, s2, v0
	v_mad_u64_u32 v[8:9], s[0:1], s6, v10, v[8:9]
	s_mul_i32 s3, s7, s2
	s_mul_i32 s30, s6, s2
	v_mad_u64_u32 v[9:10], s[0:1], s7, v10, v[9:10]
	s_mul_hi_u32 s0, s6, s2
	v_mov_b32_e32 v11, v1
	s_add_i32 s31, s0, s3
	v_mov_b32_e32 v10, v0
	s_branch .LBB119_51
.LBB119_50:                             ;   in Loop: Header=BB119_51 Depth=2
	s_or_b64 exec, exec, s[0:1]
	v_mov_b32_e32 v4, s31
	v_add_co_u32_e32 v8, vcc, s30, v8
	v_addc_co_u32_e32 v9, vcc, v9, v4, vcc
	v_mov_b32_e32 v4, v12
	v_mov_b32_e32 v5, v13
	s_andn2_b64 exec, exec, s[18:19]
	s_cbranch_execz .LBB119_173
.LBB119_51:                             ;   Parent Loop BB119_45 Depth=1
                                        ; =>  This Inner Loop Header: Depth=2
	v_add_co_u32_sdwa v10, vcc, v10, v2 dst_sel:DWORD dst_unused:UNUSED_PAD src0_sel:DWORD src1_sel:WORD_0
	v_addc_co_u32_e32 v11, vcc, 0, v11, vcc
	v_cmp_gt_u64_e64 s[6:7], s[20:21], v[10:11]
	v_cmp_le_u64_e32 vcc, s[20:21], v[10:11]
	v_mov_b32_e32 v12, 0
	v_mov_b32_e32 v13, 0
	s_and_saveexec_b64 s[0:1], s[6:7]
	s_cbranch_execz .LBB119_53
; %bb.52:                               ;   in Loop: Header=BB119_51 Depth=2
	global_load_dwordx2 v[12:13], v[8:9], off
.LBB119_53:                             ;   in Loop: Header=BB119_51 Depth=2
	s_or_b64 exec, exec, s[0:1]
	s_waitcnt vmcnt(0)
	v_cmp_o_f64_e64 s[6:7], v[4:5], v[4:5]
	s_waitcnt lgkmcnt(0)
	v_ashrrev_i32_e32 v14, 31, v5
	v_or_b32_e32 v15, 0x80000000, v14
	v_xor_b32_e32 v15, v15, v5
	v_xor_b32_e32 v14, v14, v4
	v_cndmask_b32_e64 v15, -1, v15, s[6:7]
	v_cndmask_b32_e64 v14, -1, v14, s[6:7]
	v_and_b32_e32 v15, v15, v35
	v_and_b32_e32 v14, v14, v34
	v_cmp_eq_u64_e64 s[10:11], v[14:15], v[32:33]
	v_mov_b32_e32 v14, 0
	s_cmp_lg_u64 s[10:11], 0
	s_cselect_b64 s[0:1], -1, 0
	s_and_b64 s[2:3], s[4:5], s[0:1]
	s_and_saveexec_b64 s[0:1], s[2:3]
	s_cbranch_execz .LBB119_57
; %bb.54:                               ;   in Loop: Header=BB119_51 Depth=2
	s_mov_b64 s[8:9], exec
	v_mbcnt_lo_u32_b32 v14, s8, 0
	v_mbcnt_hi_u32_b32 v14, s9, v14
	s_bcnt1_i32_b64 s36, s[10:11]
	v_cmp_eq_u32_e64 s[6:7], 0, v14
                                        ; implicit-def: $vgpr15
	s_and_saveexec_b64 s[2:3], s[6:7]
; %bb.55:                               ;   in Loop: Header=BB119_51 Depth=2
	s_bcnt1_i32_b64 s6, s[8:9]
	s_mul_i32 s6, s36, s6
	v_mov_b32_e32 v15, s6
	ds_add_rtn_u32 v15, v23, v15 offset:5144
; %bb.56:                               ;   in Loop: Header=BB119_51 Depth=2
	s_or_b64 exec, exec, s[2:3]
	s_waitcnt lgkmcnt(0)
	v_readfirstlane_b32 s2, v15
	v_mov_b32_e32 v15, s2
	v_mad_u32_u24 v14, s36, v14, v15
.LBB119_57:                             ;   in Loop: Header=BB119_51 Depth=2
	s_or_b64 exec, exec, s[0:1]
	ds_bpermute_b32 v14, v49, v14
	s_and_b64 s[0:1], exec, vcc
	s_or_b64 s[18:19], s[0:1], s[18:19]
	s_and_saveexec_b64 s[0:1], s[10:11]
	s_cbranch_execz .LBB119_50
; %bb.58:                               ;   in Loop: Header=BB119_51 Depth=2
	v_and_b32_e32 v22, s10, v51
	v_and_b32_e32 v15, s11, v50
	v_bcnt_u32_b32 v22, v22, 0
	v_bcnt_u32_b32 v15, v15, v22
	v_lshlrev_b32_e32 v15, 3, v15
	s_waitcnt lgkmcnt(0)
	v_lshl_add_u32 v14, v14, 3, v15
	ds_write_b64 v14, v[4:5]
	s_branch .LBB119_50
.LBB119_59:                             ;   in Loop: Header=BB119_45 Depth=1
	s_mov_b64 s[12:13], -1
	s_mov_b64 s[0:1], 0
.LBB119_60:                             ;   in Loop: Header=BB119_45 Depth=1
	s_and_b64 vcc, exec, s[12:13]
	s_cbranch_vccz .LBB119_70
.LBB119_61:                             ;   in Loop: Header=BB119_45 Depth=1
	s_mov_b64 s[0:1], exec
	v_readlane_b32 s2, v58, 8
	v_readlane_b32 s3, v58, 9
	s_and_b64 s[2:3], s[0:1], s[2:3]
	s_mov_b64 exec, s[2:3]
	s_cbranch_execz .LBB119_67
; %bb.62:                               ;   in Loop: Header=BB119_45 Depth=1
	global_load_ushort v2, v23, s[54:55]
	global_load_dwordx2 v[4:5], v[18:19], off
	s_waitcnt vmcnt(1)
	v_add_u32_sdwa v22, v2, v0 dst_sel:DWORD dst_unused:UNUSED_PAD src0_sel:WORD_0 src1_sel:DWORD
	v_cmp_gt_u64_e32 vcc, s[20:21], v[22:23]
	v_readfirstlane_b32 s6, v2
	v_mov_b32_e32 v2, v0
	s_and_saveexec_b64 s[2:3], vcc
	s_cbranch_execz .LBB119_66
; %bb.63:                               ;   in Loop: Header=BB119_45 Depth=1
	v_readlane_b32 s8, v58, 24
	v_readlane_b32 s9, v58, 25
	v_mov_b32_e32 v8, s8
	v_mov_b32_e32 v9, s9
	v_readlane_b32 s12, v58, 26
	v_mad_u64_u32 v[8:9], s[8:9], s12, v22, v[8:9]
	v_readlane_b32 s13, v58, 27
	s_and_b32 s10, s6, 0xffff
	v_mov_b32_e32 v2, v9
	v_mad_u64_u32 v[9:10], s[6:7], s13, v22, v[2:3]
	s_mul_i32 s6, s13, s10
	s_mul_hi_u32 s7, s12, s10
	v_mov_b32_e32 v12, v22
	v_mov_b32_e32 v15, v1
	s_add_i32 s11, s7, s6
	s_mul_i32 s12, s12, s10
	s_mov_b64 s[8:9], 0
	v_mov_b32_e32 v13, v23
	v_mov_b32_e32 v14, v0
.LBB119_64:                             ;   Parent Loop BB119_45 Depth=1
                                        ; =>  This Inner Loop Header: Depth=2
	global_load_dwordx2 v[10:11], v[8:9], off
	v_mov_b32_e32 v39, v13
	v_mov_b32_e32 v38, v12
	v_lshlrev_b32_e32 v2, 3, v14
	v_mov_b32_e32 v14, s11
	v_add_co_u32_e32 v8, vcc, s12, v8
	v_add_co_u32_e64 v12, s[6:7], s10, v38
	v_addc_co_u32_e64 v13, s[6:7], 0, v39, s[6:7]
	v_addc_co_u32_e32 v9, vcc, v9, v14, vcc
	v_cmp_le_u64_e32 vcc, s[20:21], v[12:13]
	s_waitcnt vmcnt(1)
	ds_write_b64 v2, v[4:5]
	v_mov_b32_e32 v14, v38
	s_or_b64 s[8:9], vcc, s[8:9]
	v_mov_b32_e32 v15, v39
	s_waitcnt vmcnt(0)
	v_mov_b32_e32 v4, v10
	v_mov_b32_e32 v5, v11
	s_andn2_b64 exec, exec, s[8:9]
	s_cbranch_execnz .LBB119_64
; %bb.65:                               ;   in Loop: Header=BB119_45 Depth=1
	s_or_b64 exec, exec, s[8:9]
	v_mov_b32_e32 v4, v10
	v_subrev_u32_e32 v2, s10, v12
	v_mov_b32_e32 v5, v11
.LBB119_66:                             ;   in Loop: Header=BB119_45 Depth=1
	s_or_b64 exec, exec, s[2:3]
	v_lshlrev_b32_e32 v2, 3, v2
	s_waitcnt vmcnt(0)
	ds_write_b64 v2, v[4:5]
.LBB119_67:                             ;   in Loop: Header=BB119_45 Depth=1
	s_or_b64 exec, exec, s[0:1]
	s_waitcnt lgkmcnt(0)
	s_barrier
	s_mov_b64 s[0:1], exec
	v_readlane_b32 s2, v58, 10
	v_readlane_b32 s3, v58, 11
	s_and_b64 s[2:3], s[0:1], s[2:3]
	s_mov_b64 exec, s[2:3]
; %bb.68:                               ;   in Loop: Header=BB119_45 Depth=1
	v_mov_b32_e32 v4, s20
	v_mov_b32_e32 v5, s21
	ds_write_b64 v23, v[4:5] offset:5120
; %bb.69:                               ;   in Loop: Header=BB119_45 Depth=1
	s_or_b64 exec, exec, s[0:1]
	s_mov_b64 s[0:1], -1
	s_waitcnt lgkmcnt(0)
	s_barrier
.LBB119_70:                             ;   in Loop: Header=BB119_45 Depth=1
	s_mov_b64 s[18:19], 0
	s_and_b64 vcc, exec, s[0:1]
	s_cbranch_vccz .LBB119_72
; %bb.71:                               ;   in Loop: Header=BB119_45 Depth=1
	ds_read_b64 v[4:5], v23 offset:5120
	s_waitcnt lgkmcnt(0)
	v_readfirstlane_b32 s18, v4
.LBB119_72:                             ;   in Loop: Header=BB119_45 Depth=1
	s_cmp_lt_i32 s18, 1
	s_mov_b64 s[0:1], -1
                                        ; implicit-def: $vgpr8_vgpr9
                                        ; implicit-def: $vgpr12_vgpr13
	s_cbranch_scc1 .LBB119_82
; %bb.73:                               ;   in Loop: Header=BB119_45 Depth=1
	s_and_b64 vcc, exec, s[0:1]
	s_cbranch_vccnz .LBB119_96
.LBB119_74:                             ;   in Loop: Header=BB119_45 Depth=1
	s_lshl_b32 s2, s64, 6
	s_and_saveexec_b64 s[0:1], s[4:5]
	s_cbranch_execz .LBB119_76
.LBB119_75:                             ;   in Loop: Header=BB119_45 Depth=1
	v_lshl_add_u32 v2, s2, 3, v52
	ds_write_b128 v2, v[8:11]
	ds_write_b128 v2, v[12:15] offset:16
.LBB119_76:                             ;   in Loop: Header=BB119_45 Depth=1
	s_or_b64 exec, exec, s[0:1]
	s_waitcnt lgkmcnt(0)
	s_barrier
	s_and_saveexec_b64 s[6:7], s[46:47]
	s_cbranch_execz .LBB119_111
; %bb.77:                               ;   in Loop: Header=BB119_45 Depth=1
	v_readlane_b32 s0, v58, 16
	v_mov_b32_e32 v4, 0
	v_readlane_b32 s1, v58, 17
	v_mov_b32_e32 v5, 0
	s_andn2_b64 vcc, exec, s[0:1]
	s_cbranch_vccnz .LBB119_110
; %bb.78:                               ;   in Loop: Header=BB119_45 Depth=1
	v_readlane_b32 s0, v58, 19
	v_readlane_b32 s1, v58, 20
	s_andn2_b64 vcc, exec, s[0:1]
	s_cbranch_vccnz .LBB119_106
; %bb.79:                               ;   in Loop: Header=BB119_45 Depth=1
	v_mov_b32_e32 v4, 0
	v_lshl_add_u32 v2, s64, 9, v54
	v_mov_b32_e32 v5, 0
	s_mov_b32 s0, 0
.LBB119_80:                             ;   Parent Loop BB119_45 Depth=1
                                        ; =>  This Inner Loop Header: Depth=2
	ds_read2_b64 v[8:11], v2 offset1:4
	ds_read2_b64 v[12:15], v2 offset0:8 offset1:12
	ds_read2_b64 v[38:41], v2 offset0:16 offset1:20
	;; [unrolled: 1-line block ×3, first 2 shown]
	s_add_i32 s0, s0, 8
	s_waitcnt lgkmcnt(3)
	v_add_co_u32_e32 v4, vcc, v8, v4
	v_addc_co_u32_e32 v5, vcc, v9, v5, vcc
	v_add_co_u32_e32 v4, vcc, v10, v4
	v_addc_co_u32_e32 v5, vcc, v11, v5, vcc
	s_waitcnt lgkmcnt(2)
	v_add_co_u32_e32 v4, vcc, v12, v4
	v_addc_co_u32_e32 v5, vcc, v13, v5, vcc
	v_add_co_u32_e32 v4, vcc, v14, v4
	v_addc_co_u32_e32 v5, vcc, v15, v5, vcc
	;; [unrolled: 5-line block ×3, first 2 shown]
	s_waitcnt lgkmcnt(0)
	v_add_co_u32_e32 v4, vcc, v42, v4
	v_addc_co_u32_e32 v5, vcc, v43, v5, vcc
	v_add_co_u32_e32 v4, vcc, v44, v4
	v_add_u32_e32 v2, 0x100, v2
	s_cmp_eq_u32 s51, s0
	v_addc_co_u32_e32 v5, vcc, v45, v5, vcc
	s_cbranch_scc0 .LBB119_80
; %bb.81:                               ;   in Loop: Header=BB119_45 Depth=1
	s_mov_b32 s0, s51
	s_branch .LBB119_107
.LBB119_82:                             ;   in Loop: Header=BB119_45 Depth=1
	global_load_ushort v2, v23, s[54:55]
	s_mov_b32 s0, s45
	s_waitcnt vmcnt(0)
	v_readfirstlane_b32 s1, v2
	s_and_b32 s8, s1, 0xffff
	s_lshl_b32 s9, s8, 2
	s_mov_b32 s1, s21
	s_cmp_lg_u64 s[0:1], 0
	s_cbranch_scc0 .LBB119_105
; %bb.83:                               ;   in Loop: Header=BB119_45 Depth=1
	v_cvt_f32_u32_e32 v2, s9
	s_sub_u32 s2, 0, s9
	s_subb_u32 s3, 0, 0
	v_mac_f32_e32 v2, 0, v55
	v_rcp_f32_e32 v2, v2
	v_mul_f32_e32 v2, 0x5f7ffffc, v2
	v_mul_f32_e32 v4, 0x2f800000, v2
	v_trunc_f32_e32 v4, v4
	v_mac_f32_e32 v2, 0xcf800000, v4
	v_cvt_u32_f32_e32 v4, v4
	v_cvt_u32_f32_e32 v2, v2
	v_readfirstlane_b32 s6, v4
	v_readfirstlane_b32 s0, v2
	s_mul_i32 s1, s2, s6
	s_mul_hi_u32 s10, s2, s0
	s_mul_i32 s7, s3, s0
	s_add_i32 s1, s10, s1
	s_mul_i32 s11, s2, s0
	s_add_i32 s1, s1, s7
	s_mul_hi_u32 s10, s0, s11
	s_mul_i32 s12, s0, s1
	s_mul_hi_u32 s7, s0, s1
	s_add_u32 s10, s10, s12
	s_addc_u32 s7, 0, s7
	s_mul_hi_u32 s13, s6, s11
	s_mul_i32 s11, s6, s11
	s_add_u32 s10, s10, s11
	s_mul_hi_u32 s12, s6, s1
	s_addc_u32 s7, s7, s13
	s_addc_u32 s10, s12, 0
	s_mul_i32 s1, s6, s1
	s_add_u32 s1, s7, s1
	s_addc_u32 s7, 0, s10
	s_add_u32 s10, s0, s1
	s_cselect_b64 s[0:1], -1, 0
	s_cmp_lg_u64 s[0:1], 0
	s_addc_u32 s6, s6, s7
	s_mul_i32 s0, s2, s6
	s_mul_hi_u32 s1, s2, s10
	s_add_i32 s0, s1, s0
	s_mul_i32 s3, s3, s10
	s_add_i32 s0, s0, s3
	s_mul_i32 s2, s2, s10
	s_mul_hi_u32 s3, s6, s2
	s_mul_i32 s7, s6, s2
	s_mul_i32 s12, s10, s0
	s_mul_hi_u32 s2, s10, s2
	s_mul_hi_u32 s11, s10, s0
	s_add_u32 s2, s2, s12
	s_addc_u32 s11, 0, s11
	s_add_u32 s2, s2, s7
	s_mul_hi_u32 s1, s6, s0
	s_addc_u32 s2, s11, s3
	s_addc_u32 s1, s1, 0
	s_mul_i32 s0, s6, s0
	s_add_u32 s0, s2, s0
	s_addc_u32 s2, 0, s1
	s_add_u32 s3, s10, s0
	s_cselect_b64 s[0:1], -1, 0
	s_cmp_lg_u64 s[0:1], 0
	s_addc_u32 s0, s6, s2
	s_mul_i32 s2, s20, s0
	s_mul_hi_u32 s6, s20, s3
	s_mul_hi_u32 s1, s20, s0
	s_add_u32 s2, s6, s2
	s_addc_u32 s1, 0, s1
	s_mul_hi_u32 s7, s21, s3
	s_mul_i32 s3, s21, s3
	s_add_u32 s2, s2, s3
	s_mul_hi_u32 s6, s21, s0
	s_addc_u32 s1, s1, s7
	s_addc_u32 s2, s6, 0
	s_mul_i32 s0, s21, s0
	s_add_u32 s0, s1, s0
	s_addc_u32 s1, 0, s2
	s_mul_i32 s1, s9, s1
	s_mul_hi_u32 s2, s9, s0
	s_add_i32 s2, s2, s1
	s_mul_i32 s0, s9, s0
	s_sub_u32 s3, s20, s0
	s_cselect_b64 s[0:1], -1, 0
	s_cmp_lg_u64 s[0:1], 0
	s_subb_u32 s2, s21, s2
	s_sub_u32 s6, s3, s9
	s_cselect_b64 s[0:1], -1, 0
	s_cmp_lg_u64 s[0:1], 0
	s_subb_u32 s7, s2, 0
	;; [unrolled: 4-line block ×3, first 2 shown]
	s_cmp_ge_u32 s6, s9
	s_cselect_b32 s1, -1, 0
	s_cmp_eq_u32 s7, 0
	s_cselect_b32 s1, s1, -1
	s_cmp_lg_u32 s1, 0
	s_cselect_b32 s0, s0, s7
	s_cselect_b32 s6, s10, s6
	s_cmp_ge_u32 s3, s9
	s_cselect_b32 s1, -1, 0
	s_cmp_eq_u32 s2, 0
	s_cselect_b32 s1, s1, -1
	s_cmp_lg_u32 s1, 0
	s_cselect_b32 s1, s0, s2
	s_cselect_b32 s0, s6, s3
	s_cbranch_execnz .LBB119_85
.LBB119_84:                             ;   in Loop: Header=BB119_45 Depth=1
	v_cvt_f32_u32_e32 v2, s9
	s_sub_i32 s0, 0, s9
	v_rcp_iflag_f32_e32 v2, v2
	v_mul_f32_e32 v2, 0x4f7ffffe, v2
	v_cvt_u32_f32_e32 v2, v2
	v_readfirstlane_b32 s1, v2
	s_mul_i32 s0, s0, s1
	s_mul_hi_u32 s0, s1, s0
	s_add_i32 s1, s1, s0
	s_mul_hi_u32 s0, s20, s1
	s_mul_i32 s0, s0, s9
	s_sub_i32 s0, s20, s0
	s_sub_i32 s1, s0, s9
	s_cmp_ge_u32 s0, s9
	s_cselect_b32 s0, s1, s0
	s_sub_i32 s1, s0, s9
	s_cmp_ge_u32 s0, s9
	s_cselect_b32 s44, s1, s0
	s_mov_b64 s[0:1], s[44:45]
.LBB119_85:                             ;   in Loop: Header=BB119_45 Depth=1
	s_sub_u32 s80, s20, s0
	s_subb_u32 s81, s21, s1
	v_cmp_gt_u64_e32 vcc, s[80:81], v[20:21]
	v_mov_b32_e32 v8, 0
	v_mov_b32_e32 v10, 0
	;; [unrolled: 1-line block ×8, first 2 shown]
	s_and_saveexec_b64 s[82:83], vcc
	s_cbranch_execz .LBB119_89
; %bb.86:                               ;   in Loop: Header=BB119_45 Depth=1
	v_readlane_b32 s2, v58, 28
	v_readlane_b32 s3, v58, 29
	s_mul_i32 s0, s3, s8
	s_mul_hi_u32 s1, s2, s8
	v_mov_b32_e32 v4, v30
	v_mov_b32_e32 v39, v29
	;; [unrolled: 1-line block ×5, first 2 shown]
	s_add_i32 s0, s1, s0
	s_mul_i32 s1, s2, s8
	s_mov_b64 s[84:85], 0
	v_mov_b32_e32 v5, v31
	v_mov_b32_e32 v38, v28
	;; [unrolled: 1-line block ×4, first 2 shown]
	s_mov_b64 s[86:87], 0
	s_mov_b64 s[88:89], 0
	;; [unrolled: 1-line block ×4, first 2 shown]
	v_mov_b32_e32 v44, v20
.LBB119_87:                             ;   Parent Loop BB119_45 Depth=1
                                        ; =>  This Inner Loop Header: Depth=2
	v_add_co_u32_e32 v8, vcc, s42, v4
	v_mov_b32_e32 v2, s43
	v_addc_co_u32_e32 v9, vcc, v5, v2, vcc
	global_load_dwordx2 v[8:9], v[8:9], off
	v_add_co_u32_e32 v10, vcc, s42, v38
	v_addc_co_u32_e32 v11, vcc, v39, v2, vcc
	global_load_dwordx2 v[10:11], v[10:11], off
	v_add_co_u32_e32 v12, vcc, s42, v40
	;; [unrolled: 3-line block ×3, first 2 shown]
	v_addc_co_u32_e32 v15, vcc, v43, v2, vcc
	global_load_dwordx2 v[14:15], v[14:15], off
	s_waitcnt vmcnt(3)
	v_cmp_o_f64_e32 vcc, v[8:9], v[8:9]
	v_ashrrev_i32_e32 v2, 31, v9
	v_or_b32_e32 v22, 0x80000000, v2
	v_xor_b32_e32 v9, v22, v9
	v_xor_b32_e32 v2, v2, v8
	v_cndmask_b32_e32 v9, -1, v9, vcc
	v_cndmask_b32_e32 v8, -1, v2, vcc
	s_waitcnt vmcnt(2)
	v_cmp_o_f64_e32 vcc, v[10:11], v[10:11]
	v_ashrrev_i32_e32 v2, 31, v11
	v_or_b32_e32 v22, 0x80000000, v2
	v_xor_b32_e32 v11, v22, v11
	v_xor_b32_e32 v2, v2, v10
	v_cndmask_b32_e32 v57, -1, v11, vcc
	v_cndmask_b32_e32 v56, -1, v2, vcc
	;; [unrolled: 8-line block ×3, first 2 shown]
	s_waitcnt vmcnt(0)
	v_cmp_o_f64_e32 vcc, v[14:15], v[14:15]
	v_ashrrev_i32_e32 v2, 31, v15
	v_or_b32_e32 v10, 0x80000000, v2
	v_xor_b32_e32 v10, v10, v15
	v_xor_b32_e32 v2, v2, v14
	v_and_b32_e32 v15, v9, v35
	v_and_b32_e32 v14, v8, v34
	v_lshrrev_b64 v[8:9], s17, v[8:9]
	v_cndmask_b32_e32 v11, -1, v10, vcc
	v_and_b32_e32 v22, 3, v8
	v_lshrrev_b64 v[8:9], s17, v[56:57]
	v_cndmask_b32_e32 v10, -1, v2, vcc
	v_cmp_eq_u64_e32 vcc, v[14:15], v[32:33]
	v_and_b32_e32 v15, v57, v35
	v_and_b32_e32 v14, v56, v34
	v_cmp_eq_u64_e64 s[6:7], 0, v[22:23]
	v_cmp_eq_u64_e64 s[10:11], v[14:15], v[32:33]
	v_and_b32_e32 v15, v13, v35
	v_and_b32_e32 v14, v12, v34
	;; [unrolled: 1-line block ×3, first 2 shown]
	v_mov_b32_e32 v9, v23
	v_lshrrev_b64 v[12:13], s17, v[12:13]
	s_and_b64 s[2:3], vcc, s[6:7]
	v_cmp_eq_u64_e64 s[6:7], 0, v[8:9]
	v_cmp_eq_u64_e64 s[12:13], v[14:15], v[32:33]
	v_and_b32_e32 v15, v11, v35
	v_and_b32_e32 v14, v10, v34
	v_and_b32_e32 v12, 3, v12
	v_mov_b32_e32 v13, v23
	v_lshrrev_b64 v[10:11], s17, v[10:11]
	s_and_b64 s[30:31], s[10:11], s[6:7]
	v_cmp_eq_u64_e64 s[6:7], 0, v[12:13]
	v_and_b32_e32 v10, 3, v10
	v_mov_b32_e32 v11, v23
	v_cmp_eq_u64_e64 s[14:15], v[14:15], v[32:33]
	s_and_b64 s[36:37], s[12:13], s[6:7]
	v_cmp_eq_u64_e64 s[6:7], 0, v[10:11]
	v_cndmask_b32_e64 v2, 0, 1, s[2:3]
	s_and_b64 s[38:39], s[14:15], s[6:7]
	v_cmp_ne_u32_e64 s[6:7], 0, v2
	v_cndmask_b32_e64 v2, 0, 1, s[30:31]
	s_bcnt1_i32_b64 s2, s[6:7]
	v_cmp_ne_u32_e64 s[6:7], 0, v2
	v_cndmask_b32_e64 v2, 0, 1, s[36:37]
	s_bcnt1_i32_b64 s3, s[6:7]
	v_cmp_ne_u32_e64 s[6:7], 0, v2
	v_cndmask_b32_e64 v2, 0, 1, s[38:39]
	s_bcnt1_i32_b64 s19, s[6:7]
	v_cmp_ne_u32_e64 s[6:7], 0, v2
	s_bcnt1_i32_b64 s6, s[6:7]
	s_add_u32 s2, s2, s92
	s_addc_u32 s7, 0, s93
	s_add_u32 s2, s2, s3
	s_addc_u32 s3, s7, 0
	;; [unrolled: 2-line block ×3, first 2 shown]
	s_add_u32 s92, s2, s6
	v_cmp_eq_u64_e64 s[6:7], 1, v[22:23]
	s_addc_u32 s93, s3, 0
	s_and_b64 s[2:3], vcc, s[6:7]
	v_cmp_eq_u64_e64 s[6:7], 1, v[8:9]
	v_cndmask_b32_e64 v2, 0, 1, s[2:3]
	s_and_b64 s[30:31], s[10:11], s[6:7]
	v_cmp_eq_u64_e64 s[6:7], 1, v[12:13]
	s_and_b64 s[36:37], s[12:13], s[6:7]
	v_cmp_eq_u64_e64 s[6:7], 1, v[10:11]
	s_and_b64 s[38:39], s[14:15], s[6:7]
	v_cmp_ne_u32_e64 s[6:7], 0, v2
	v_cndmask_b32_e64 v2, 0, 1, s[30:31]
	s_bcnt1_i32_b64 s2, s[6:7]
	v_cmp_ne_u32_e64 s[6:7], 0, v2
	v_cndmask_b32_e64 v2, 0, 1, s[36:37]
	s_bcnt1_i32_b64 s3, s[6:7]
	;; [unrolled: 3-line block ×3, first 2 shown]
	v_cmp_ne_u32_e64 s[6:7], 0, v2
	s_bcnt1_i32_b64 s6, s[6:7]
	s_add_u32 s2, s2, s90
	s_addc_u32 s7, 0, s91
	s_add_u32 s2, s2, s3
	s_addc_u32 s3, s7, 0
	s_add_u32 s2, s2, s19
	s_addc_u32 s3, s3, 0
	s_add_u32 s90, s2, s6
	v_cmp_eq_u64_e64 s[6:7], 2, v[22:23]
	s_addc_u32 s91, s3, 0
	s_and_b64 s[2:3], vcc, s[6:7]
	v_cmp_eq_u64_e64 s[6:7], 2, v[8:9]
	v_cndmask_b32_e64 v2, 0, 1, s[2:3]
	s_and_b64 s[30:31], s[10:11], s[6:7]
	v_cmp_eq_u64_e64 s[6:7], 2, v[12:13]
	s_and_b64 s[36:37], s[12:13], s[6:7]
	v_cmp_eq_u64_e64 s[6:7], 2, v[10:11]
	s_and_b64 s[38:39], s[14:15], s[6:7]
	v_cmp_ne_u32_e64 s[6:7], 0, v2
	v_cndmask_b32_e64 v2, 0, 1, s[30:31]
	s_bcnt1_i32_b64 s2, s[6:7]
	v_cmp_ne_u32_e64 s[6:7], 0, v2
	v_cndmask_b32_e64 v2, 0, 1, s[36:37]
	s_bcnt1_i32_b64 s3, s[6:7]
	v_cmp_ne_u32_e64 s[6:7], 0, v2
	v_cndmask_b32_e64 v2, 0, 1, s[38:39]
	s_bcnt1_i32_b64 s19, s[6:7]
	v_cmp_ne_u32_e64 s[6:7], 0, v2
	s_bcnt1_i32_b64 s6, s[6:7]
	s_add_u32 s2, s2, s88
	s_addc_u32 s7, 0, s89
	s_add_u32 s2, s2, s3
	s_addc_u32 s3, s7, 0
	;; [unrolled: 2-line block ×3, first 2 shown]
	s_add_u32 s88, s2, s6
	v_cmp_eq_u64_e64 s[6:7], 3, v[22:23]
	s_addc_u32 s89, s3, 0
	s_and_b64 s[2:3], vcc, s[6:7]
	v_cmp_eq_u64_e32 vcc, 3, v[8:9]
	v_cndmask_b32_e64 v2, 0, 1, s[2:3]
	s_and_b64 s[6:7], s[10:11], vcc
	v_cmp_eq_u64_e32 vcc, 3, v[12:13]
	v_mov_b32_e32 v8, s92
	s_and_b64 s[10:11], s[12:13], vcc
	v_cmp_eq_u64_e32 vcc, 3, v[10:11]
	v_mov_b32_e32 v10, s90
	s_and_b64 s[12:13], s[14:15], vcc
	v_cmp_ne_u32_e32 vcc, 0, v2
	v_cndmask_b32_e64 v2, 0, 1, s[6:7]
	s_bcnt1_i32_b64 s2, vcc
	v_cmp_ne_u32_e32 vcc, 0, v2
	v_cndmask_b32_e64 v2, 0, 1, s[10:11]
	s_bcnt1_i32_b64 s3, vcc
	;; [unrolled: 3-line block ×3, first 2 shown]
	v_cmp_ne_u32_e32 vcc, 0, v2
	s_bcnt1_i32_b64 s7, vcc
	v_add_co_u32_e32 v44, vcc, s9, v44
	v_addc_co_u32_e32 v45, vcc, 0, v45, vcc
	v_add_co_u32_e32 v42, vcc, s1, v42
	v_mov_b32_e32 v2, s0
	v_addc_co_u32_e32 v43, vcc, v43, v2, vcc
	s_add_u32 s2, s2, s86
	v_add_co_u32_e32 v40, vcc, s1, v40
	s_addc_u32 s10, 0, s87
	v_addc_co_u32_e32 v41, vcc, v41, v2, vcc
	s_add_u32 s2, s2, s3
	v_add_co_u32_e32 v38, vcc, s1, v38
	s_addc_u32 s3, s10, 0
	v_addc_co_u32_e32 v39, vcc, v39, v2, vcc
	s_add_u32 s2, s2, s6
	v_add_co_u32_e32 v4, vcc, s1, v4
	s_addc_u32 s3, s3, 0
	v_addc_co_u32_e32 v5, vcc, v5, v2, vcc
	s_add_u32 s86, s2, s7
	v_cmp_le_u64_e32 vcc, s[80:81], v[44:45]
	s_addc_u32 s87, s3, 0
	v_mov_b32_e32 v12, s88
	v_mov_b32_e32 v14, s86
	s_or_b64 s[84:85], vcc, s[84:85]
	v_mov_b32_e32 v9, s93
	v_mov_b32_e32 v11, s91
	;; [unrolled: 1-line block ×4, first 2 shown]
	s_andn2_b64 exec, exec, s[84:85]
	s_cbranch_execnz .LBB119_87
; %bb.88:                               ;   in Loop: Header=BB119_45 Depth=1
	s_or_b64 exec, exec, s[84:85]
.LBB119_89:                             ;   in Loop: Header=BB119_45 Depth=1
	s_or_b64 exec, exec, s[82:83]
	v_mov_b32_e32 v2, s81
	v_add_co_u32_e32 v4, vcc, s80, v0
	v_addc_co_u32_e32 v5, vcc, 0, v2, vcc
	v_cmp_gt_u64_e32 vcc, s[20:21], v[4:5]
	s_and_saveexec_b64 s[12:13], vcc
	s_cbranch_execz .LBB119_95
; %bb.90:                               ;   in Loop: Header=BB119_45 Depth=1
	v_mul_lo_u32 v2, v5, s24
	v_mul_lo_u32 v22, v4, s25
	v_mad_u64_u32 v[38:39], s[0:1], v4, s24, 0
	s_mov_b64 s[14:15], 0
	v_add3_u32 v39, v39, v22, v2
	v_lshlrev_b64 v[38:39], 3, v[38:39]
	v_mov_b32_e32 v2, s63
	v_add_co_u32_e32 v38, vcc, s62, v38
	v_addc_co_u32_e32 v39, vcc, v2, v39, vcc
	global_load_dwordx2 v[40:41], v[38:39], off
	s_branch .LBB119_92
.LBB119_91:                             ;   in Loop: Header=BB119_92 Depth=2
	s_or_b64 exec, exec, s[0:1]
	s_waitcnt vmcnt(0)
	v_cmp_o_f64_e64 s[6:7], v[40:41], v[40:41]
	v_ashrrev_i32_e32 v2, 31, v41
	v_or_b32_e32 v22, 0x80000000, v2
	v_xor_b32_e32 v22, v22, v41
	v_xor_b32_e32 v2, v2, v40
	s_and_b64 s[0:1], exec, vcc
	s_or_b64 s[14:15], s[0:1], s[14:15]
	v_cndmask_b32_e64 v41, -1, v22, s[6:7]
	v_cndmask_b32_e64 v40, -1, v2, s[6:7]
	v_and_b32_e32 v43, v41, v35
	v_and_b32_e32 v42, v40, v34
	v_lshrrev_b64 v[40:41], s17, v[40:41]
	v_cmp_eq_u64_e32 vcc, v[42:43], v[32:33]
	v_and_b32_e32 v22, 3, v40
	v_cmp_eq_u64_e64 s[6:7], 0, v[22:23]
	v_mov_b32_e32 v41, v39
	s_and_b64 s[0:1], vcc, s[6:7]
	v_cndmask_b32_e64 v2, 0, 1, s[0:1]
	v_cmp_ne_u32_e64 s[6:7], 0, v2
	s_bcnt1_i32_b64 s0, s[6:7]
	v_cmp_eq_u64_e64 s[6:7], 1, v[22:23]
	v_add_co_u32_e64 v8, s[10:11], s0, v8
	s_and_b64 s[0:1], vcc, s[6:7]
	v_cndmask_b32_e64 v2, 0, 1, s[0:1]
	v_cmp_ne_u32_e64 s[6:7], 0, v2
	s_bcnt1_i32_b64 s0, s[6:7]
	v_cmp_eq_u64_e64 s[6:7], 2, v[22:23]
	v_addc_co_u32_e64 v9, s[10:11], 0, v9, s[10:11]
	v_add_co_u32_e64 v10, s[10:11], s0, v10
	s_and_b64 s[0:1], vcc, s[6:7]
	v_cndmask_b32_e64 v2, 0, 1, s[0:1]
	v_cmp_ne_u32_e64 s[6:7], 0, v2
	s_bcnt1_i32_b64 s0, s[6:7]
	v_cmp_eq_u64_e64 s[6:7], 3, v[22:23]
	v_addc_co_u32_e64 v11, s[10:11], 0, v11, s[10:11]
	v_add_co_u32_e64 v12, s[10:11], s0, v12
	s_and_b64 s[0:1], vcc, s[6:7]
	v_cndmask_b32_e64 v2, 0, 1, s[0:1]
	v_cmp_ne_u32_e32 vcc, 0, v2
	s_bcnt1_i32_b64 s0, vcc
	v_add_co_u32_e32 v14, vcc, s0, v14
	v_addc_co_u32_e64 v13, s[10:11], 0, v13, s[10:11]
	v_addc_co_u32_e32 v15, vcc, 0, v15, vcc
	v_mov_b32_e32 v40, v38
	s_andn2_b64 exec, exec, s[14:15]
	s_cbranch_execz .LBB119_94
.LBB119_92:                             ;   Parent Loop BB119_45 Depth=1
                                        ; =>  This Inner Loop Header: Depth=2
	v_add_co_u32_e32 v4, vcc, s8, v4
	v_addc_co_u32_e32 v5, vcc, 0, v5, vcc
	v_cmp_gt_u64_e64 s[6:7], s[20:21], v[4:5]
	v_cmp_le_u64_e32 vcc, s[20:21], v[4:5]
	v_mov_b32_e32 v38, 0
	v_mov_b32_e32 v39, 0
	s_and_saveexec_b64 s[0:1], s[6:7]
	s_cbranch_execz .LBB119_91
; %bb.93:                               ;   in Loop: Header=BB119_92 Depth=2
	v_mul_lo_u32 v2, v5, s24
	v_mul_lo_u32 v22, v4, s25
	v_mad_u64_u32 v[38:39], s[2:3], v4, s24, 0
	v_add3_u32 v39, v39, v22, v2
	v_lshlrev_b64 v[38:39], 3, v[38:39]
	v_mov_b32_e32 v2, s63
	v_add_co_u32_e64 v38, s[6:7], s62, v38
	v_addc_co_u32_e64 v39, s[6:7], v2, v39, s[6:7]
	global_load_dwordx2 v[38:39], v[38:39], off
	s_branch .LBB119_91
.LBB119_94:                             ;   in Loop: Header=BB119_45 Depth=1
	s_or_b64 exec, exec, s[14:15]
.LBB119_95:                             ;   in Loop: Header=BB119_45 Depth=1
	s_or_b64 exec, exec, s[12:13]
	s_branch .LBB119_74
.LBB119_96:                             ;   in Loop: Header=BB119_45 Depth=1
	global_load_ushort v2, v23, s[54:55]
	v_mov_b32_e32 v8, 0
	v_mov_b32_e32 v10, 0
	;; [unrolled: 1-line block ×8, first 2 shown]
	s_waitcnt vmcnt(0)
	v_readfirstlane_b32 s0, v2
	s_and_b32 s0, 0xffff, s0
	s_lshl_b32 s1, s0, 2
	v_cvt_f32_u32_e32 v4, s1
	s_sub_i32 s2, 0, s1
	v_rcp_iflag_f32_e32 v4, v4
	v_mul_f32_e32 v4, 0x4f7ffffe, v4
	v_cvt_u32_f32_e32 v4, v4
	v_readfirstlane_b32 s3, v4
	s_mul_i32 s2, s2, s3
	s_mul_hi_u32 s2, s3, s2
	s_add_i32 s3, s3, s2
	s_mul_hi_u32 s2, s18, s3
	s_mul_i32 s3, s2, s1
	s_sub_i32 s3, s18, s3
	s_add_i32 s6, s2, 1
	s_sub_i32 s7, s3, s1
	s_cmp_ge_u32 s3, s1
	s_cselect_b32 s2, s6, s2
	s_cselect_b32 s3, s7, s3
	s_add_i32 s6, s2, 1
	s_cmp_ge_u32 s3, s1
	s_cselect_b32 s2, s6, s2
	s_mul_hi_u32 s81, s0, s2
	s_mul_i32 s80, s0, s2
	s_lshl_b64 s[82:83], s[80:81], 2
	v_cmp_gt_u64_e32 vcc, s[82:83], v[20:21]
	s_and_saveexec_b64 s[84:85], vcc
	s_cbranch_execz .LBB119_100
; %bb.97:                               ;   in Loop: Header=BB119_45 Depth=1
	v_mov_b32_e32 v4, v20
	s_lshl_b32 s2, s0, 5
	s_mov_b64 s[86:87], 0
	v_mov_b32_e32 v38, v53
	s_mov_b64 s[88:89], 0
	s_mov_b64 s[90:91], 0
	;; [unrolled: 1-line block ×4, first 2 shown]
	v_mov_b32_e32 v5, v21
.LBB119_98:                             ;   Parent Loop BB119_45 Depth=1
                                        ; =>  This Inner Loop Header: Depth=2
	ds_read_b128 v[8:11], v38
	ds_read_b128 v[12:15], v38 offset:16
	v_add_u32_e32 v38, s2, v38
	s_waitcnt lgkmcnt(1)
	v_cmp_o_f64_e32 vcc, v[8:9], v[8:9]
	v_ashrrev_i32_e32 v22, 31, v9
	v_or_b32_e32 v39, 0x80000000, v22
	v_xor_b32_e32 v9, v39, v9
	v_xor_b32_e32 v8, v22, v8
	v_ashrrev_i32_e32 v22, 31, v11
	v_or_b32_e32 v39, 0x80000000, v22
	v_cndmask_b32_e32 v9, -1, v9, vcc
	v_cndmask_b32_e32 v8, -1, v8, vcc
	v_cmp_o_f64_e32 vcc, v[10:11], v[10:11]
	v_xor_b32_e32 v11, v39, v11
	v_xor_b32_e32 v10, v22, v10
	v_cndmask_b32_e32 v40, -1, v11, vcc
	v_cndmask_b32_e32 v39, -1, v10, vcc
	s_waitcnt lgkmcnt(0)
	v_cmp_o_f64_e32 vcc, v[12:13], v[12:13]
	v_ashrrev_i32_e32 v10, 31, v13
	v_or_b32_e32 v11, 0x80000000, v10
	v_xor_b32_e32 v11, v11, v13
	v_xor_b32_e32 v10, v10, v12
	v_cndmask_b32_e32 v13, -1, v11, vcc
	v_cndmask_b32_e32 v12, -1, v10, vcc
	v_cmp_o_f64_e32 vcc, v[14:15], v[14:15]
	v_ashrrev_i32_e32 v10, 31, v15
	v_or_b32_e32 v11, 0x80000000, v10
	v_xor_b32_e32 v11, v11, v15
	v_xor_b32_e32 v10, v10, v14
	v_and_b32_e32 v15, v9, v35
	v_and_b32_e32 v14, v8, v34
	v_lshrrev_b64 v[8:9], s17, v[8:9]
	v_cndmask_b32_e32 v11, -1, v11, vcc
	v_and_b32_e32 v22, 3, v8
	v_lshrrev_b64 v[8:9], s17, v[39:40]
	v_cndmask_b32_e32 v10, -1, v10, vcc
	v_cmp_eq_u64_e32 vcc, v[14:15], v[32:33]
	v_and_b32_e32 v15, v40, v35
	v_and_b32_e32 v14, v39, v34
	v_cmp_eq_u64_e64 s[6:7], 0, v[22:23]
	v_cmp_eq_u64_e64 s[10:11], v[14:15], v[32:33]
	v_and_b32_e32 v15, v13, v35
	v_and_b32_e32 v14, v12, v34
	;; [unrolled: 1-line block ×3, first 2 shown]
	v_mov_b32_e32 v9, v23
	v_lshrrev_b64 v[12:13], s17, v[12:13]
	s_and_b64 s[8:9], vcc, s[6:7]
	v_cmp_eq_u64_e64 s[6:7], 0, v[8:9]
	v_cmp_eq_u64_e64 s[12:13], v[14:15], v[32:33]
	v_and_b32_e32 v15, v11, v35
	v_and_b32_e32 v14, v10, v34
	;; [unrolled: 1-line block ×3, first 2 shown]
	v_mov_b32_e32 v13, v23
	v_lshrrev_b64 v[10:11], s17, v[10:11]
	s_and_b64 s[30:31], s[10:11], s[6:7]
	v_cmp_eq_u64_e64 s[6:7], 0, v[12:13]
	v_and_b32_e32 v10, 3, v10
	v_mov_b32_e32 v11, v23
	v_cmp_eq_u64_e64 s[14:15], v[14:15], v[32:33]
	s_and_b64 s[36:37], s[12:13], s[6:7]
	v_cmp_eq_u64_e64 s[6:7], 0, v[10:11]
	v_cndmask_b32_e64 v14, 0, 1, s[8:9]
	s_and_b64 s[38:39], s[14:15], s[6:7]
	v_cmp_ne_u32_e64 s[6:7], 0, v14
	v_cndmask_b32_e64 v14, 0, 1, s[30:31]
	s_bcnt1_i32_b64 s3, s[6:7]
	v_cmp_ne_u32_e64 s[6:7], 0, v14
	v_cndmask_b32_e64 v14, 0, 1, s[36:37]
	s_bcnt1_i32_b64 s8, s[6:7]
	;; [unrolled: 3-line block ×3, first 2 shown]
	v_cmp_ne_u32_e64 s[6:7], 0, v14
	s_bcnt1_i32_b64 s6, s[6:7]
	s_add_u32 s3, s3, s94
	s_addc_u32 s7, 0, s95
	s_add_u32 s3, s3, s8
	s_addc_u32 s7, s7, 0
	;; [unrolled: 2-line block ×4, first 2 shown]
	v_cmp_eq_u64_e64 s[6:7], 1, v[22:23]
	s_and_b64 s[8:9], vcc, s[6:7]
	v_cmp_eq_u64_e64 s[6:7], 1, v[8:9]
	v_cndmask_b32_e64 v14, 0, 1, s[8:9]
	s_and_b64 s[30:31], s[10:11], s[6:7]
	v_cmp_eq_u64_e64 s[6:7], 1, v[12:13]
	s_and_b64 s[36:37], s[12:13], s[6:7]
	v_cmp_eq_u64_e64 s[6:7], 1, v[10:11]
	s_and_b64 s[38:39], s[14:15], s[6:7]
	v_cmp_ne_u32_e64 s[6:7], 0, v14
	v_cndmask_b32_e64 v14, 0, 1, s[30:31]
	s_bcnt1_i32_b64 s3, s[6:7]
	v_cmp_ne_u32_e64 s[6:7], 0, v14
	v_cndmask_b32_e64 v14, 0, 1, s[36:37]
	s_bcnt1_i32_b64 s8, s[6:7]
	;; [unrolled: 3-line block ×3, first 2 shown]
	v_cmp_ne_u32_e64 s[6:7], 0, v14
	s_bcnt1_i32_b64 s6, s[6:7]
	s_add_u32 s3, s3, s92
	s_addc_u32 s7, 0, s93
	s_add_u32 s3, s3, s8
	s_addc_u32 s7, s7, 0
	;; [unrolled: 2-line block ×4, first 2 shown]
	v_cmp_eq_u64_e64 s[6:7], 2, v[22:23]
	s_and_b64 s[8:9], vcc, s[6:7]
	v_cmp_eq_u64_e64 s[6:7], 2, v[8:9]
	v_cndmask_b32_e64 v14, 0, 1, s[8:9]
	s_and_b64 s[30:31], s[10:11], s[6:7]
	v_cmp_eq_u64_e64 s[6:7], 2, v[12:13]
	s_and_b64 s[36:37], s[12:13], s[6:7]
	v_cmp_eq_u64_e64 s[6:7], 2, v[10:11]
	s_and_b64 s[38:39], s[14:15], s[6:7]
	v_cmp_ne_u32_e64 s[6:7], 0, v14
	v_cndmask_b32_e64 v14, 0, 1, s[30:31]
	s_bcnt1_i32_b64 s3, s[6:7]
	v_cmp_ne_u32_e64 s[6:7], 0, v14
	v_cndmask_b32_e64 v14, 0, 1, s[36:37]
	s_bcnt1_i32_b64 s8, s[6:7]
	;; [unrolled: 3-line block ×3, first 2 shown]
	v_cmp_ne_u32_e64 s[6:7], 0, v14
	s_bcnt1_i32_b64 s6, s[6:7]
	s_add_u32 s3, s3, s90
	s_addc_u32 s7, 0, s91
	s_add_u32 s3, s3, s8
	s_addc_u32 s7, s7, 0
	;; [unrolled: 2-line block ×4, first 2 shown]
	v_cmp_eq_u64_e64 s[6:7], 3, v[22:23]
	s_and_b64 s[6:7], vcc, s[6:7]
	v_cmp_eq_u64_e32 vcc, 3, v[8:9]
	v_cndmask_b32_e64 v8, 0, 1, s[6:7]
	s_and_b64 s[8:9], s[10:11], vcc
	v_cmp_eq_u64_e32 vcc, 3, v[12:13]
	v_mov_b32_e32 v12, s90
	s_and_b64 s[10:11], s[12:13], vcc
	v_cmp_eq_u64_e32 vcc, 3, v[10:11]
	v_mov_b32_e32 v10, s92
	s_and_b64 s[12:13], s[14:15], vcc
	v_cmp_ne_u32_e32 vcc, 0, v8
	v_cndmask_b32_e64 v8, 0, 1, s[8:9]
	s_bcnt1_i32_b64 s3, vcc
	v_cmp_ne_u32_e32 vcc, 0, v8
	v_cndmask_b32_e64 v8, 0, 1, s[10:11]
	s_bcnt1_i32_b64 s6, vcc
	;; [unrolled: 3-line block ×3, first 2 shown]
	v_cmp_ne_u32_e32 vcc, 0, v8
	s_bcnt1_i32_b64 s8, vcc
	s_add_u32 s3, s3, s88
	s_addc_u32 s9, 0, s89
	s_add_u32 s3, s3, s6
	s_addc_u32 s6, s9, 0
	s_add_u32 s3, s3, s7
	v_add_co_u32_e32 v4, vcc, s1, v4
	s_addc_u32 s6, s6, 0
	v_addc_co_u32_e32 v5, vcc, 0, v5, vcc
	s_add_u32 s88, s3, s8
	v_cmp_le_u64_e32 vcc, s[82:83], v[4:5]
	s_addc_u32 s89, s6, 0
	v_mov_b32_e32 v8, s94
	v_mov_b32_e32 v14, s88
	s_or_b64 s[86:87], vcc, s[86:87]
	v_mov_b32_e32 v9, s95
	v_mov_b32_e32 v11, s93
	;; [unrolled: 1-line block ×4, first 2 shown]
	s_andn2_b64 exec, exec, s[86:87]
	s_cbranch_execnz .LBB119_98
; %bb.99:                               ;   in Loop: Header=BB119_45 Depth=1
	s_or_b64 exec, exec, s[86:87]
.LBB119_100:                            ;   in Loop: Header=BB119_45 Depth=1
	s_or_b64 exec, exec, s[84:85]
	v_mov_b32_e32 v5, s83
	v_add_co_u32_e32 v4, vcc, s82, v0
	s_and_b32 s44, s18, 0x7fffffff
	v_addc_co_u32_e32 v5, vcc, 0, v5, vcc
	v_cmp_gt_u64_e32 vcc, s[44:45], v[4:5]
	s_and_saveexec_b64 s[30:31], vcc
	s_cbranch_execz .LBB119_104
; %bb.101:                              ;   in Loop: Header=BB119_45 Depth=1
	v_lshl_add_u32 v38, s80, 5, v47
	s_lshl_b32 s0, s0, 3
	s_mov_b64 s[36:37], 0
.LBB119_102:                            ;   Parent Loop BB119_45 Depth=1
                                        ; =>  This Inner Loop Header: Depth=2
	ds_read_b64 v[39:40], v38
	v_add_co_u32_sdwa v4, vcc, v4, v2 dst_sel:DWORD dst_unused:UNUSED_PAD src0_sel:DWORD src1_sel:WORD_0
	v_addc_co_u32_e32 v5, vcc, 0, v5, vcc
	s_waitcnt lgkmcnt(0)
	v_cmp_o_f64_e64 s[6:7], v[39:40], v[39:40]
	v_ashrrev_i32_e32 v22, 31, v40
	v_or_b32_e32 v41, 0x80000000, v22
	v_xor_b32_e32 v22, v22, v39
	v_xor_b32_e32 v41, v41, v40
	v_cmp_le_u64_e32 vcc, s[44:45], v[4:5]
	v_add_u32_e32 v38, s0, v38
	v_cndmask_b32_e64 v40, -1, v41, s[6:7]
	v_cndmask_b32_e64 v39, -1, v22, s[6:7]
	v_and_b32_e32 v42, v40, v35
	v_and_b32_e32 v41, v39, v34
	v_lshrrev_b64 v[39:40], s17, v[39:40]
	v_cmp_eq_u64_e64 s[6:7], v[41:42], v[32:33]
	v_and_b32_e32 v22, 3, v39
	v_cmp_eq_u64_e64 s[10:11], 0, v[22:23]
	v_cmp_eq_u64_e64 s[12:13], 1, v[22:23]
	;; [unrolled: 1-line block ×3, first 2 shown]
	s_and_b64 s[2:3], s[6:7], s[10:11]
	v_cmp_eq_u64_e64 s[18:19], 3, v[22:23]
	v_cndmask_b32_e64 v22, 0, 1, s[2:3]
	s_and_b64 s[2:3], s[6:7], s[12:13]
	v_cndmask_b32_e64 v39, 0, 1, s[2:3]
	s_and_b64 s[2:3], s[6:7], s[14:15]
	;; [unrolled: 2-line block ×3, first 2 shown]
	v_cmp_ne_u32_e64 s[6:7], 0, v22
	s_bcnt1_i32_b64 s1, s[6:7]
	v_cmp_ne_u32_e64 s[10:11], 0, v39
	v_add_co_u32_e64 v8, s[6:7], s1, v8
	v_cndmask_b32_e64 v41, 0, 1, s[2:3]
	s_bcnt1_i32_b64 s2, s[10:11]
	v_addc_co_u32_e64 v9, s[6:7], 0, v9, s[6:7]
	v_cmp_ne_u32_e64 s[12:13], 0, v40
	v_cmp_ne_u32_e64 s[14:15], 0, v41
	v_add_co_u32_e64 v10, s[6:7], s2, v10
	s_bcnt1_i32_b64 s3, s[12:13]
	s_bcnt1_i32_b64 s8, s[14:15]
	v_addc_co_u32_e64 v11, s[6:7], 0, v11, s[6:7]
	v_add_co_u32_e64 v12, s[6:7], s3, v12
	s_or_b64 s[36:37], vcc, s[36:37]
	v_add_co_u32_e32 v14, vcc, s8, v14
	v_addc_co_u32_e64 v13, s[6:7], 0, v13, s[6:7]
	v_addc_co_u32_e32 v15, vcc, 0, v15, vcc
	s_andn2_b64 exec, exec, s[36:37]
	s_cbranch_execnz .LBB119_102
; %bb.103:                              ;   in Loop: Header=BB119_45 Depth=1
	s_or_b64 exec, exec, s[36:37]
.LBB119_104:                            ;   in Loop: Header=BB119_45 Depth=1
	s_or_b64 exec, exec, s[30:31]
	s_lshl_b32 s2, s64, 6
	s_and_saveexec_b64 s[0:1], s[4:5]
	s_cbranch_execnz .LBB119_75
	s_branch .LBB119_76
.LBB119_105:                            ;   in Loop: Header=BB119_45 Depth=1
                                        ; implicit-def: $sgpr0_sgpr1
	s_branch .LBB119_84
.LBB119_106:                            ;   in Loop: Header=BB119_45 Depth=1
	v_mov_b32_e32 v4, 0
	v_mov_b32_e32 v5, 0
	s_mov_b32 s0, 0
.LBB119_107:                            ;   in Loop: Header=BB119_45 Depth=1
	v_readlane_b32 s8, v58, 22
	v_readlane_b32 s9, v58, 23
	s_andn2_b64 vcc, exec, s[8:9]
	s_cbranch_vccnz .LBB119_110
; %bb.108:                              ;   in Loop: Header=BB119_45 Depth=1
	s_lshl_b32 s1, s64, 9
	s_lshl_b32 s0, s0, 5
	s_add_i32 s1, s1, s0
	v_add_u32_e32 v2, s1, v54
	v_readlane_b32 s0, v58, 21
.LBB119_109:                            ;   Parent Loop BB119_45 Depth=1
                                        ; =>  This Inner Loop Header: Depth=2
	ds_read_b64 v[8:9], v2
	s_add_i32 s0, s0, -1
	v_add_u32_e32 v2, 32, v2
	s_cmp_lg_u32 s0, 0
	s_waitcnt lgkmcnt(0)
	v_add_co_u32_e32 v4, vcc, v8, v4
	v_addc_co_u32_e32 v5, vcc, v9, v5, vcc
	s_cbranch_scc1 .LBB119_109
.LBB119_110:                            ;   in Loop: Header=BB119_45 Depth=1
	v_add_lshl_u32 v2, s2, v46, 3
	ds_write_b64 v2, v[4:5] offset:3072
.LBB119_111:                            ;   in Loop: Header=BB119_45 Depth=1
	s_or_b64 exec, exec, s[6:7]
	s_lshl_b32 s0, s2, 3
	v_mov_b32_e32 v2, s0
	s_waitcnt lgkmcnt(0)
	s_barrier
	ds_read_b128 v[12:15], v2 offset:3088
	ds_read_b128 v[8:11], v2 offset:3072
	v_cmp_eq_u64_e64 s[6:7], 1, v[36:37]
	s_lshl_b64 s[12:13], 3, s17
	s_not_b64 s[86:87], s[12:13]
	s_waitcnt lgkmcnt(1)
	v_readfirstlane_b32 s82, v12
	s_waitcnt lgkmcnt(0)
	v_cmp_eq_u64_e32 vcc, 1, v[8:9]
	v_readfirstlane_b32 s83, v13
	v_readfirstlane_b32 s10, v14
	v_readfirstlane_b32 s11, v15
	s_and_b64 s[18:19], vcc, s[6:7]
	s_mov_b64 s[6:7], -1
	s_mov_b64 s[0:1], -1
                                        ; implicit-def: $sgpr36_sgpr37
                                        ; implicit-def: $sgpr30_sgpr31
	s_and_saveexec_b64 s[14:15], s[18:19]
	s_cbranch_execz .LBB119_145
; %bb.112:                              ;   in Loop: Header=BB119_45 Depth=1
	ds_read_b64 v[4:5], v23 offset:5120
	s_waitcnt lgkmcnt(0)
	s_barrier
	v_readfirstlane_b32 s40, v4
	v_readfirstlane_b32 s41, v5
	s_mov_b64 s[0:1], exec
	v_readlane_b32 s2, v58, 12
	v_readlane_b32 s3, v58, 13
	s_and_b64 s[2:3], s[0:1], s[2:3]
	s_mov_b64 exec, s[2:3]
; %bb.113:                              ;   in Loop: Header=BB119_45 Depth=1
	v_mov_b32_e32 v22, v23
	ds_write_b64 v48, v[22:23]
; %bb.114:                              ;   in Loop: Header=BB119_45 Depth=1
	s_or_b64 exec, exec, s[0:1]
	v_and_b32_e32 v33, s87, v33
	v_and_b32_e32 v32, s86, v32
	v_or_b32_e32 v35, s13, v35
	v_or_b32_e32 v34, s12, v34
	s_mov_b64 s[30:31], -1
	s_mov_b64 s[36:37], 0
	s_cmp_eq_u64 s[40:41], 0
	s_mov_b64 s[38:39], 0
	s_mov_b64 s[56:57], -1
	s_waitcnt lgkmcnt(0)
	s_barrier
                                        ; implicit-def: $vgpr6_vgpr7
	s_cbranch_scc1 .LBB119_129
; %bb.115:                              ;   in Loop: Header=BB119_45 Depth=1
	s_add_u32 s8, s40, s65
	v_readlane_b32 s0, v58, 18
	s_addc_u32 s39, s41, s0
	s_mov_b32 s38, s45
	s_cmp_lg_u64 s[38:39], 0
	s_cbranch_scc0 .LBB119_172
; %bb.116:                              ;   in Loop: Header=BB119_45 Depth=1
	v_cvt_f32_u32_e32 v2, s33
	s_sub_u32 s2, 0, s33
	s_subb_u32 s3, 0, 0
	v_mac_f32_e32 v2, 0, v55
	v_rcp_f32_e32 v2, v2
	v_mul_f32_e32 v2, 0x5f7ffffc, v2
	v_mul_f32_e32 v4, 0x2f800000, v2
	v_trunc_f32_e32 v4, v4
	v_mac_f32_e32 v2, 0xcf800000, v4
	v_cvt_u32_f32_e32 v4, v4
	v_cvt_u32_f32_e32 v2, v2
	v_readfirstlane_b32 s9, v4
	v_readfirstlane_b32 s0, v2
	s_mul_i32 s1, s2, s9
	s_mul_hi_u32 s44, s2, s0
	s_mul_i32 s38, s3, s0
	s_add_i32 s1, s44, s1
	s_mul_i32 s52, s2, s0
	s_add_i32 s1, s1, s38
	s_mul_hi_u32 s44, s0, s52
	s_mul_i32 s56, s0, s1
	s_mul_hi_u32 s38, s0, s1
	s_add_u32 s44, s44, s56
	s_addc_u32 s38, 0, s38
	s_mul_hi_u32 s57, s9, s52
	s_mul_i32 s52, s9, s52
	s_add_u32 s44, s44, s52
	s_mul_hi_u32 s56, s9, s1
	s_addc_u32 s38, s38, s57
	s_addc_u32 s44, s56, 0
	s_mul_i32 s1, s9, s1
	s_add_u32 s1, s38, s1
	s_addc_u32 s38, 0, s44
	s_add_u32 s44, s0, s1
	s_cselect_b64 s[0:1], -1, 0
	s_cmp_lg_u64 s[0:1], 0
	s_addc_u32 s9, s9, s38
	s_mul_i32 s0, s2, s9
	s_mul_hi_u32 s1, s2, s44
	s_add_i32 s0, s1, s0
	s_mul_i32 s3, s3, s44
	s_add_i32 s0, s0, s3
	s_mul_i32 s2, s2, s44
	s_mul_hi_u32 s3, s9, s2
	s_mul_i32 s38, s9, s2
	s_mul_i32 s56, s44, s0
	s_mul_hi_u32 s2, s44, s2
	s_mul_hi_u32 s52, s44, s0
	s_add_u32 s2, s2, s56
	s_addc_u32 s52, 0, s52
	s_add_u32 s2, s2, s38
	s_mul_hi_u32 s1, s9, s0
	s_addc_u32 s2, s52, s3
	s_addc_u32 s1, s1, 0
	s_mul_i32 s0, s9, s0
	s_add_u32 s0, s2, s0
	s_addc_u32 s2, 0, s1
	s_add_u32 s3, s44, s0
	s_cselect_b64 s[0:1], -1, 0
	s_cmp_lg_u64 s[0:1], 0
	s_addc_u32 s0, s9, s2
	s_mul_i32 s2, s8, s0
	s_mul_hi_u32 s9, s8, s3
	s_mul_hi_u32 s1, s8, s0
	s_add_u32 s2, s9, s2
	s_addc_u32 s1, 0, s1
	s_mul_hi_u32 s38, s39, s3
	s_mul_i32 s3, s39, s3
	s_add_u32 s2, s2, s3
	s_mul_hi_u32 s9, s39, s0
	s_addc_u32 s1, s1, s38
	s_addc_u32 s2, s9, 0
	s_mul_i32 s0, s39, s0
	s_add_u32 s0, s1, s0
	s_addc_u32 s1, 0, s2
	s_mul_i32 s1, s33, s1
	s_mul_hi_u32 s2, s33, s0
	s_add_i32 s2, s2, s1
	s_mul_i32 s0, s33, s0
	s_sub_u32 s3, s8, s0
	s_cselect_b64 s[0:1], -1, 0
	s_cmp_lg_u64 s[0:1], 0
	s_subb_u32 s2, s39, s2
	s_sub_u32 s9, s3, s33
	s_cselect_b64 s[0:1], -1, 0
	s_cmp_lg_u64 s[0:1], 0
	s_subb_u32 s38, s2, 0
	;; [unrolled: 4-line block ×3, first 2 shown]
	s_cmp_ge_u32 s9, s33
	s_cselect_b32 s1, -1, 0
	s_cmp_eq_u32 s38, 0
	s_cselect_b32 s1, s1, -1
	s_cmp_lg_u32 s1, 0
	s_cselect_b32 s0, s0, s38
	s_cselect_b32 s9, s44, s9
	s_cmp_ge_u32 s3, s33
	s_cselect_b32 s1, -1, 0
	s_cmp_eq_u32 s2, 0
	s_cselect_b32 s1, s1, -1
	s_cmp_lg_u32 s1, 0
	s_cselect_b32 s1, s0, s2
	s_cselect_b32 s0, s9, s3
	s_cbranch_execnz .LBB119_118
.LBB119_117:                            ;   in Loop: Header=BB119_45 Depth=1
	v_cvt_f32_u32_e32 v2, s33
	s_sub_i32 s0, 0, s33
	v_rcp_iflag_f32_e32 v2, v2
	v_mul_f32_e32 v2, 0x4f7ffffe, v2
	v_cvt_u32_f32_e32 v2, v2
	v_readfirstlane_b32 s1, v2
	s_mul_i32 s0, s0, s1
	s_mul_hi_u32 s0, s1, s0
	s_add_i32 s1, s1, s0
	s_mul_hi_u32 s0, s8, s1
	s_mul_i32 s0, s0, s33
	s_sub_i32 s0, s8, s0
	s_sub_i32 s1, s0, s33
	s_cmp_ge_u32 s0, s33
	s_cselect_b32 s0, s1, s0
	s_sub_i32 s1, s0, s33
	s_cmp_ge_u32 s0, s33
	s_cselect_b32 s44, s1, s0
	s_mov_b64 s[0:1], s[44:45]
.LBB119_118:                            ;   in Loop: Header=BB119_45 Depth=1
	s_sub_u32 s8, s8, s0
	s_subb_u32 s9, s39, s1
	v_cmp_gt_u64_e32 vcc, s[8:9], v[0:1]
	s_mov_b64 s[56:57], 0
	s_mov_b64 s[38:39], 0
                                        ; implicit-def: $vgpr6_vgpr7
	s_and_saveexec_b64 s[0:1], vcc
	s_cbranch_execz .LBB119_128
; %bb.119:                              ;   in Loop: Header=BB119_45 Depth=1
	v_mov_b32_e32 v13, v1
	v_mov_b32_e32 v14, v47
	;; [unrolled: 1-line block ×3, first 2 shown]
                                        ; implicit-def: $sgpr2_sgpr3
	s_branch .LBB119_123
.LBB119_120:                            ;   in Loop: Header=BB119_123 Depth=2
	s_or_b64 exec, exec, s[58:59]
	s_waitcnt lgkmcnt(0)
	s_barrier
	ds_read_b128 v[4:7], v23 offset:3072
	s_waitcnt lgkmcnt(0)
	s_barrier
	v_cmp_neq_f64_e32 vcc, 0, v[4:5]
	s_cbranch_vccnz .LBB119_126
; %bb.121:                              ;   in Loop: Header=BB119_123 Depth=2
	v_add_co_u32_e32 v12, vcc, s33, v12
	v_addc_co_u32_e32 v13, vcc, 0, v13, vcc
	v_cmp_le_u64_e32 vcc, s[8:9], v[12:13]
	v_add_u32_e32 v14, s16, v14
	s_mov_b64 s[58:59], 0
	s_orn2_b64 s[60:61], vcc, exec
.LBB119_122:                            ;   in Loop: Header=BB119_123 Depth=2
	s_and_b64 s[60:61], exec, s[60:61]
	s_or_b64 s[38:39], s[60:61], s[38:39]
	s_andn2_b64 s[2:3], s[2:3], exec
	s_and_b64 s[58:59], s[58:59], exec
	s_or_b64 s[2:3], s[2:3], s[58:59]
	s_andn2_b64 exec, exec, s[38:39]
	s_cbranch_execz .LBB119_127
.LBB119_123:                            ;   Parent Loop BB119_45 Depth=1
                                        ; =>  This Inner Loop Header: Depth=2
	v_cmp_gt_u64_e32 vcc, s[40:41], v[12:13]
	s_and_saveexec_b64 s[58:59], vcc
	s_cbranch_execz .LBB119_120
; %bb.124:                              ;   in Loop: Header=BB119_123 Depth=2
	ds_read_b64 v[4:5], v14
	s_waitcnt lgkmcnt(0)
	v_cmp_o_f64_e32 vcc, v[4:5], v[4:5]
	v_ashrrev_i32_e32 v2, 31, v5
	v_or_b32_e32 v6, 0x80000000, v2
	v_xor_b32_e32 v6, v6, v5
	v_xor_b32_e32 v2, v2, v4
	v_cndmask_b32_e32 v6, -1, v6, vcc
	v_cndmask_b32_e32 v2, -1, v2, vcc
	v_and_b32_e32 v7, v6, v35
	v_and_b32_e32 v6, v2, v34
	v_cmp_eq_u64_e32 vcc, v[6:7], v[32:33]
	s_and_b64 exec, exec, vcc
	s_cbranch_execz .LBB119_120
; %bb.125:                              ;   in Loop: Header=BB119_123 Depth=2
	v_mov_b32_e32 v2, v23
	ds_write_b128 v23, v[2:5] offset:3072
	s_branch .LBB119_120
.LBB119_126:                            ;   in Loop: Header=BB119_123 Depth=2
	s_mov_b64 s[60:61], -1
                                        ; implicit-def: $vgpr12_vgpr13
                                        ; implicit-def: $vgpr14
	s_mov_b64 s[58:59], -1
	s_branch .LBB119_122
.LBB119_127:                            ;   in Loop: Header=BB119_45 Depth=1
	s_or_b64 exec, exec, s[38:39]
	s_and_b64 s[38:39], s[2:3], exec
.LBB119_128:                            ;   in Loop: Header=BB119_45 Depth=1
	s_or_b64 exec, exec, s[0:1]
.LBB119_129:                            ;   in Loop: Header=BB119_45 Depth=1
	s_and_b64 vcc, exec, s[56:57]
	s_cbranch_vccz .LBB119_144
; %bb.130:                              ;   in Loop: Header=BB119_45 Depth=1
	s_mov_b32 s52, s45
	s_cmp_lg_u64 s[52:53], 0
	s_cbranch_scc0 .LBB119_176
; %bb.131:                              ;   in Loop: Header=BB119_45 Depth=1
	v_cvt_f32_u32_e32 v2, s33
	s_sub_u32 s2, 0, s33
	s_subb_u32 s3, 0, 0
	v_mac_f32_e32 v2, 0, v55
	v_rcp_f32_e32 v2, v2
	v_mul_f32_e32 v2, 0x5f7ffffc, v2
	v_mul_f32_e32 v4, 0x2f800000, v2
	v_trunc_f32_e32 v4, v4
	v_mac_f32_e32 v2, 0xcf800000, v4
	v_cvt_u32_f32_e32 v4, v4
	v_cvt_u32_f32_e32 v2, v2
	v_readfirstlane_b32 s8, v4
	v_readfirstlane_b32 s0, v2
	s_mul_i32 s1, s2, s8
	s_mul_hi_u32 s30, s2, s0
	s_mul_i32 s9, s3, s0
	s_add_i32 s1, s30, s1
	s_mul_i32 s31, s2, s0
	s_add_i32 s1, s1, s9
	s_mul_hi_u32 s30, s0, s31
	s_mul_i32 s36, s0, s1
	s_mul_hi_u32 s9, s0, s1
	s_add_u32 s30, s30, s36
	s_addc_u32 s9, 0, s9
	s_mul_hi_u32 s37, s8, s31
	s_mul_i32 s31, s8, s31
	s_add_u32 s30, s30, s31
	s_mul_hi_u32 s36, s8, s1
	s_addc_u32 s9, s9, s37
	s_addc_u32 s30, s36, 0
	s_mul_i32 s1, s8, s1
	s_add_u32 s1, s9, s1
	s_addc_u32 s9, 0, s30
	s_add_u32 s30, s0, s1
	s_cselect_b64 s[0:1], -1, 0
	s_cmp_lg_u64 s[0:1], 0
	s_addc_u32 s8, s8, s9
	s_mul_i32 s0, s2, s8
	s_mul_hi_u32 s1, s2, s30
	s_add_i32 s0, s1, s0
	s_mul_i32 s3, s3, s30
	s_add_i32 s0, s0, s3
	s_mul_i32 s2, s2, s30
	s_mul_hi_u32 s3, s8, s2
	s_mul_i32 s9, s8, s2
	s_mul_i32 s36, s30, s0
	s_mul_hi_u32 s2, s30, s2
	s_mul_hi_u32 s31, s30, s0
	s_add_u32 s2, s2, s36
	s_addc_u32 s31, 0, s31
	s_add_u32 s2, s2, s9
	s_mul_hi_u32 s1, s8, s0
	s_addc_u32 s2, s31, s3
	s_addc_u32 s1, s1, 0
	s_mul_i32 s0, s8, s0
	s_add_u32 s0, s2, s0
	s_addc_u32 s2, 0, s1
	s_add_u32 s3, s30, s0
	s_cselect_b64 s[0:1], -1, 0
	s_cmp_lg_u64 s[0:1], 0
	s_addc_u32 s0, s8, s2
	s_mul_i32 s2, s50, s0
	s_mul_hi_u32 s8, s50, s3
	s_mul_hi_u32 s1, s50, s0
	s_add_u32 s2, s8, s2
	s_addc_u32 s1, 0, s1
	s_mul_hi_u32 s9, s53, s3
	s_mul_i32 s3, s53, s3
	s_add_u32 s2, s2, s3
	s_mul_hi_u32 s8, s53, s0
	s_addc_u32 s1, s1, s9
	s_addc_u32 s2, s8, 0
	s_mul_i32 s0, s53, s0
	s_add_u32 s0, s1, s0
	s_addc_u32 s1, 0, s2
	s_mul_i32 s1, s33, s1
	s_mul_hi_u32 s2, s33, s0
	s_add_i32 s2, s2, s1
	s_mul_i32 s0, s33, s0
	s_sub_u32 s3, s50, s0
	s_cselect_b64 s[0:1], -1, 0
	s_cmp_lg_u64 s[0:1], 0
	s_subb_u32 s2, s53, s2
	s_sub_u32 s8, s3, s33
	s_cselect_b64 s[0:1], -1, 0
	s_cmp_lg_u64 s[0:1], 0
	s_subb_u32 s9, s2, 0
	;; [unrolled: 4-line block ×3, first 2 shown]
	s_cmp_ge_u32 s8, s33
	s_cselect_b32 s1, -1, 0
	s_cmp_eq_u32 s9, 0
	s_cselect_b32 s1, s1, -1
	s_cmp_lg_u32 s1, 0
	s_cselect_b32 s0, s0, s9
	s_cselect_b32 s8, s30, s8
	s_cmp_ge_u32 s3, s33
	s_cselect_b32 s1, -1, 0
	s_cmp_eq_u32 s2, 0
	s_cselect_b32 s1, s1, -1
	s_cmp_lg_u32 s1, 0
	s_cselect_b32 s1, s0, s2
	s_cselect_b32 s0, s8, s3
	s_cbranch_execnz .LBB119_133
.LBB119_132:                            ;   in Loop: Header=BB119_45 Depth=1
	v_cvt_f32_u32_e32 v2, s33
	s_sub_i32 s0, 0, s33
	v_rcp_iflag_f32_e32 v2, v2
	v_mul_f32_e32 v2, 0x4f7ffffe, v2
	v_cvt_u32_f32_e32 v2, v2
	v_readfirstlane_b32 s1, v2
	s_mul_i32 s0, s0, s1
	s_mul_hi_u32 s0, s1, s0
	s_add_i32 s1, s1, s0
	s_mul_hi_u32 s0, s50, s1
	s_mul_i32 s0, s0, s33
	s_sub_i32 s0, s50, s0
	s_sub_i32 s1, s0, s33
	s_cmp_ge_u32 s0, s33
	s_cselect_b32 s0, s1, s0
	s_sub_i32 s1, s0, s33
	s_cmp_ge_u32 s0, s33
	s_cselect_b32 s44, s1, s0
	s_mov_b64 s[0:1], s[44:45]
.LBB119_133:                            ;   in Loop: Header=BB119_45 Depth=1
	s_sub_u32 s36, s50, s0
	s_subb_u32 s37, s53, s1
	v_cmp_gt_u64_e32 vcc, s[36:37], v[0:1]
                                        ; implicit-def: $vgpr6_vgpr7
	s_and_saveexec_b64 s[30:31], vcc
	s_cbranch_execz .LBB119_143
; %bb.134:                              ;   in Loop: Header=BB119_45 Depth=1
	v_mov_b32_e32 v12, v16
	v_mov_b32_e32 v15, v1
	s_mov_b64 s[8:9], 0
	v_mov_b32_e32 v13, v17
	v_mov_b32_e32 v14, v0
                                        ; implicit-def: $sgpr0_sgpr1
	s_branch .LBB119_138
.LBB119_135:                            ;   in Loop: Header=BB119_138 Depth=2
	s_or_b64 exec, exec, s[2:3]
	s_waitcnt lgkmcnt(0)
	s_barrier
	ds_read_b128 v[4:7], v23 offset:3072
	s_waitcnt lgkmcnt(0)
	s_barrier
	v_cmp_neq_f64_e32 vcc, 0, v[4:5]
	s_cbranch_vccnz .LBB119_141
; %bb.136:                              ;   in Loop: Header=BB119_138 Depth=2
	v_add_co_u32_e32 v14, vcc, s33, v14
	v_addc_co_u32_e32 v15, vcc, 0, v15, vcc
	v_mov_b32_e32 v2, s49
	v_add_co_u32_e32 v12, vcc, s48, v12
	v_addc_co_u32_e32 v13, vcc, v13, v2, vcc
	v_cmp_le_u64_e32 vcc, s[36:37], v[14:15]
	s_mov_b64 s[2:3], 0
	s_orn2_b64 s[40:41], vcc, exec
.LBB119_137:                            ;   in Loop: Header=BB119_138 Depth=2
	s_and_b64 s[40:41], exec, s[40:41]
	s_or_b64 s[8:9], s[40:41], s[8:9]
	s_andn2_b64 s[0:1], s[0:1], exec
	s_and_b64 s[2:3], s[2:3], exec
	s_or_b64 s[0:1], s[0:1], s[2:3]
	s_andn2_b64 exec, exec, s[8:9]
	s_cbranch_execz .LBB119_142
.LBB119_138:                            ;   Parent Loop BB119_45 Depth=1
                                        ; =>  This Inner Loop Header: Depth=2
	v_cmp_gt_u64_e32 vcc, s[20:21], v[14:15]
	s_and_saveexec_b64 s[2:3], vcc
	s_cbranch_execz .LBB119_135
; %bb.139:                              ;   in Loop: Header=BB119_138 Depth=2
	global_load_dwordx2 v[4:5], v[12:13], off
	s_waitcnt vmcnt(0)
	v_cmp_o_f64_e32 vcc, v[4:5], v[4:5]
	v_ashrrev_i32_e32 v2, 31, v5
	v_or_b32_e32 v6, 0x80000000, v2
	v_xor_b32_e32 v6, v6, v5
	v_xor_b32_e32 v2, v2, v4
	v_cndmask_b32_e32 v6, -1, v6, vcc
	v_cndmask_b32_e32 v2, -1, v2, vcc
	v_and_b32_e32 v7, v6, v35
	v_and_b32_e32 v6, v2, v34
	v_cmp_eq_u64_e32 vcc, v[6:7], v[32:33]
	s_and_b64 exec, exec, vcc
	s_cbranch_execz .LBB119_135
; %bb.140:                              ;   in Loop: Header=BB119_138 Depth=2
	v_mov_b32_e32 v2, v23
	ds_write_b128 v23, v[2:5] offset:3072
	s_branch .LBB119_135
.LBB119_141:                            ;   in Loop: Header=BB119_138 Depth=2
	s_mov_b64 s[40:41], -1
                                        ; implicit-def: $vgpr14_vgpr15
                                        ; implicit-def: $vgpr12_vgpr13
	s_mov_b64 s[2:3], -1
	s_branch .LBB119_137
.LBB119_142:                            ;   in Loop: Header=BB119_45 Depth=1
	s_or_b64 exec, exec, s[8:9]
	s_andn2_b64 s[2:3], s[38:39], exec
	s_and_b64 s[0:1], s[0:1], exec
	s_or_b64 s[38:39], s[2:3], s[0:1]
.LBB119_143:                            ;   in Loop: Header=BB119_45 Depth=1
	s_or_b64 exec, exec, s[30:31]
	s_mov_b64 s[30:31], 0
	s_mov_b64 s[36:37], -1
.LBB119_144:                            ;   in Loop: Header=BB119_45 Depth=1
	s_orn2_b64 s[0:1], s[38:39], exec
.LBB119_145:                            ;   in Loop: Header=BB119_45 Depth=1
	s_or_b64 exec, exec, s[14:15]
	s_andn2_b64 s[2:3], s[78:79], exec
	s_and_b64 s[8:9], s[36:37], exec
	s_or_b64 s[78:79], s[2:3], s[8:9]
	s_andn2_b64 s[2:3], s[76:77], exec
	s_and_b64 s[8:9], s[30:31], exec
	s_andn2_b64 s[74:75], s[74:75], exec
	s_or_b64 s[76:77], s[2:3], s[8:9]
                                        ; implicit-def: $vgpr12_vgpr13
	s_and_saveexec_b64 s[14:15], s[0:1]
	s_cbranch_execz .LBB119_44
; %bb.146:                              ;   in Loop: Header=BB119_45 Depth=1
	v_mov_b32_e32 v12, 1
	s_xor_b64 s[6:7], s[18:19], -1
	v_mov_b32_e32 v38, 1
	v_mov_b32_e32 v13, 0
	s_mov_b64 s[2:3], 0
	s_and_saveexec_b64 s[0:1], s[6:7]
	s_cbranch_execz .LBB119_155
; %bb.147:                              ;   in Loop: Header=BB119_45 Depth=1
	v_cmp_le_u64_e32 vcc, v[36:37], v[8:9]
	s_and_saveexec_b64 s[2:3], vcc
	s_xor_b64 s[2:3], exec, s[2:3]
	s_cbranch_execz .LBB119_152
; %bb.148:                              ;   in Loop: Header=BB119_45 Depth=1
	ds_read_b64 v[4:5], v23 offset:5120
	v_and_b32_e32 v33, s87, v33
	v_and_b32_e32 v32, s86, v32
	v_or_b32_e32 v35, s13, v35
	v_or_b32_e32 v34, s12, v34
	s_waitcnt lgkmcnt(0)
	v_cmp_ne_u64_e32 vcc, 0, v[4:5]
	s_cbranch_vccnz .LBB119_152
; %bb.149:                              ;   in Loop: Header=BB119_45 Depth=1
	s_mov_b64 s[6:7], exec
	v_readlane_b32 s8, v58, 10
	v_readlane_b32 s9, v58, 11
	s_and_b64 s[8:9], s[6:7], s[8:9]
	s_mov_b64 exec, s[8:9]
; %bb.150:                              ;   in Loop: Header=BB119_45 Depth=1
	ds_write_b64 v23, v[8:9] offset:5128
; %bb.151:                              ;   in Loop: Header=BB119_45 Depth=1
	s_or_b64 exec, exec, s[6:7]
	s_waitcnt lgkmcnt(0)
	s_barrier
.LBB119_152:                            ;   in Loop: Header=BB119_45 Depth=1
	s_or_saveexec_b64 s[2:3], s[2:3]
	s_mov_b64 s[6:7], 0
	v_mov_b32_e32 v38, 8
	s_xor_b64 exec, exec, s[2:3]
; %bb.153:                              ;   in Loop: Header=BB119_45 Depth=1
	v_sub_co_u32_e32 v36, vcc, v36, v8
	s_mov_b64 s[6:7], exec
	v_subb_co_u32_e32 v37, vcc, v37, v9, vcc
	v_mov_b32_e32 v38, 0
; %bb.154:                              ;   in Loop: Header=BB119_45 Depth=1
	s_or_b64 exec, exec, s[2:3]
	v_mov_b32_e32 v12, v36
	s_and_b64 s[2:3], s[6:7], exec
	v_mov_b32_e32 v13, v37
.LBB119_155:                            ;   in Loop: Header=BB119_45 Depth=1
	s_or_b64 exec, exec, s[0:1]
	s_mov_b64 s[18:19], -1
	s_mov_b64 s[0:1], -1
                                        ; implicit-def: $sgpr6_sgpr7
                                        ; implicit-def: $sgpr84_sgpr85
	s_and_saveexec_b64 s[8:9], s[2:3]
	s_xor_b64 s[80:81], exec, s[8:9]
	s_cbranch_execz .LBB119_306
; %bb.156:                              ;   in Loop: Header=BB119_45 Depth=1
	v_cmp_eq_u64_e32 vcc, 1, v[10:11]
	v_cmp_eq_u64_e64 s[6:7], 1, v[12:13]
                                        ; implicit-def: $sgpr84_sgpr85
	s_and_b64 s[38:39], vcc, s[6:7]
                                        ; implicit-def: $sgpr6_sgpr7
	s_and_saveexec_b64 s[36:37], s[38:39]
	s_cbranch_execz .LBB119_195
; %bb.157:                              ;   in Loop: Header=BB119_45 Depth=1
	ds_read_b64 v[4:5], v23 offset:5120
	s_waitcnt lgkmcnt(0)
	s_barrier
	v_readfirstlane_b32 s40, v4
	v_readfirstlane_b32 s41, v5
	s_mov_b64 s[0:1], exec
	v_readlane_b32 s2, v58, 12
	v_readlane_b32 s3, v58, 13
	s_and_b64 s[2:3], s[0:1], s[2:3]
	s_mov_b64 exec, s[2:3]
; %bb.158:                              ;   in Loop: Header=BB119_45 Depth=1
	v_mov_b32_e32 v22, v23
	ds_write_b64 v48, v[22:23]
; %bb.159:                              ;   in Loop: Header=BB119_45 Depth=1
	s_or_b64 exec, exec, s[0:1]
	s_lshl_b64 s[0:1], 1, s17
	v_and_b32_e32 v2, s87, v33
	v_and_b32_e32 v4, s86, v32
	v_or_b32_e32 v33, s1, v2
	v_or_b32_e32 v32, s0, v4
	;; [unrolled: 1-line block ×4, first 2 shown]
	s_mov_b64 s[6:7], -1
	s_mov_b64 s[84:85], 0
	s_cmp_eq_u64 s[40:41], 0
	s_mov_b64 s[30:31], 0
	s_mov_b64 s[56:57], -1
	s_waitcnt lgkmcnt(0)
	s_barrier
                                        ; implicit-def: $vgpr6_vgpr7
	s_cbranch_scc1 .LBB119_179
; %bb.160:                              ;   in Loop: Header=BB119_45 Depth=1
	s_add_u32 s8, s40, s65
	v_readlane_b32 s0, v58, 18
	s_addc_u32 s31, s41, s0
	s_mov_b32 s30, s45
	s_cmp_lg_u64 s[30:31], 0
	s_cbranch_scc0 .LBB119_223
; %bb.161:                              ;   in Loop: Header=BB119_45 Depth=1
	v_cvt_f32_u32_e32 v2, s33
	s_sub_u32 s2, 0, s33
	s_subb_u32 s3, 0, 0
	v_mac_f32_e32 v2, 0, v55
	v_rcp_f32_e32 v2, v2
	v_mul_f32_e32 v2, 0x5f7ffffc, v2
	v_mul_f32_e32 v4, 0x2f800000, v2
	v_trunc_f32_e32 v4, v4
	v_mac_f32_e32 v2, 0xcf800000, v4
	v_cvt_u32_f32_e32 v4, v4
	v_cvt_u32_f32_e32 v2, v2
	v_readfirstlane_b32 s9, v4
	v_readfirstlane_b32 s0, v2
	s_mul_i32 s1, s2, s9
	s_mul_hi_u32 s44, s2, s0
	s_mul_i32 s30, s3, s0
	s_add_i32 s1, s44, s1
	s_mul_i32 s52, s2, s0
	s_add_i32 s1, s1, s30
	s_mul_hi_u32 s44, s0, s52
	s_mul_i32 s56, s0, s1
	s_mul_hi_u32 s30, s0, s1
	s_add_u32 s44, s44, s56
	s_addc_u32 s30, 0, s30
	s_mul_hi_u32 s57, s9, s52
	s_mul_i32 s52, s9, s52
	s_add_u32 s44, s44, s52
	s_mul_hi_u32 s56, s9, s1
	s_addc_u32 s30, s30, s57
	s_addc_u32 s44, s56, 0
	s_mul_i32 s1, s9, s1
	s_add_u32 s1, s30, s1
	s_addc_u32 s30, 0, s44
	s_add_u32 s44, s0, s1
	s_cselect_b64 s[0:1], -1, 0
	s_cmp_lg_u64 s[0:1], 0
	s_addc_u32 s9, s9, s30
	s_mul_i32 s0, s2, s9
	s_mul_hi_u32 s1, s2, s44
	s_add_i32 s0, s1, s0
	s_mul_i32 s3, s3, s44
	s_add_i32 s0, s0, s3
	s_mul_i32 s2, s2, s44
	s_mul_hi_u32 s3, s9, s2
	s_mul_i32 s30, s9, s2
	s_mul_i32 s56, s44, s0
	s_mul_hi_u32 s2, s44, s2
	s_mul_hi_u32 s52, s44, s0
	s_add_u32 s2, s2, s56
	s_addc_u32 s52, 0, s52
	s_add_u32 s2, s2, s30
	s_mul_hi_u32 s1, s9, s0
	s_addc_u32 s2, s52, s3
	s_addc_u32 s1, s1, 0
	s_mul_i32 s0, s9, s0
	s_add_u32 s0, s2, s0
	s_addc_u32 s2, 0, s1
	s_add_u32 s3, s44, s0
	s_cselect_b64 s[0:1], -1, 0
	s_cmp_lg_u64 s[0:1], 0
	s_addc_u32 s0, s9, s2
	s_mul_i32 s2, s8, s0
	s_mul_hi_u32 s9, s8, s3
	s_mul_hi_u32 s1, s8, s0
	s_add_u32 s2, s9, s2
	s_addc_u32 s1, 0, s1
	s_mul_hi_u32 s30, s31, s3
	s_mul_i32 s3, s31, s3
	s_add_u32 s2, s2, s3
	s_mul_hi_u32 s9, s31, s0
	s_addc_u32 s1, s1, s30
	s_addc_u32 s2, s9, 0
	s_mul_i32 s0, s31, s0
	s_add_u32 s0, s1, s0
	s_addc_u32 s1, 0, s2
	s_mul_i32 s1, s33, s1
	s_mul_hi_u32 s2, s33, s0
	s_add_i32 s2, s2, s1
	s_mul_i32 s0, s33, s0
	s_sub_u32 s3, s8, s0
	s_cselect_b64 s[0:1], -1, 0
	s_cmp_lg_u64 s[0:1], 0
	s_subb_u32 s2, s31, s2
	s_sub_u32 s9, s3, s33
	s_cselect_b64 s[0:1], -1, 0
	s_cmp_lg_u64 s[0:1], 0
	s_subb_u32 s30, s2, 0
	;; [unrolled: 4-line block ×3, first 2 shown]
	s_cmp_ge_u32 s9, s33
	s_cselect_b32 s1, -1, 0
	s_cmp_eq_u32 s30, 0
	s_cselect_b32 s1, s1, -1
	s_cmp_lg_u32 s1, 0
	s_cselect_b32 s0, s0, s30
	s_cselect_b32 s9, s44, s9
	s_cmp_ge_u32 s3, s33
	s_cselect_b32 s1, -1, 0
	s_cmp_eq_u32 s2, 0
	s_cselect_b32 s1, s1, -1
	s_cmp_lg_u32 s1, 0
	s_cselect_b32 s1, s0, s2
	s_cselect_b32 s0, s9, s3
	s_cbranch_execnz .LBB119_163
.LBB119_162:                            ;   in Loop: Header=BB119_45 Depth=1
	v_cvt_f32_u32_e32 v2, s33
	s_sub_i32 s0, 0, s33
	v_rcp_iflag_f32_e32 v2, v2
	v_mul_f32_e32 v2, 0x4f7ffffe, v2
	v_cvt_u32_f32_e32 v2, v2
	v_readfirstlane_b32 s1, v2
	s_mul_i32 s0, s0, s1
	s_mul_hi_u32 s0, s1, s0
	s_add_i32 s1, s1, s0
	s_mul_hi_u32 s0, s8, s1
	s_mul_i32 s0, s0, s33
	s_sub_i32 s0, s8, s0
	s_sub_i32 s1, s0, s33
	s_cmp_ge_u32 s0, s33
	s_cselect_b32 s0, s1, s0
	s_sub_i32 s1, s0, s33
	s_cmp_ge_u32 s0, s33
	s_cselect_b32 s44, s1, s0
	s_mov_b64 s[0:1], s[44:45]
.LBB119_163:                            ;   in Loop: Header=BB119_45 Depth=1
	s_sub_u32 s0, s8, s0
	s_subb_u32 s1, s31, s1
	v_cmp_gt_u64_e32 vcc, s[0:1], v[0:1]
	s_mov_b64 s[56:57], 0
	s_mov_b64 s[30:31], 0
                                        ; implicit-def: $vgpr6_vgpr7
	s_and_saveexec_b64 s[58:59], vcc
	s_cbranch_execz .LBB119_178
; %bb.164:                              ;   in Loop: Header=BB119_45 Depth=1
	v_mov_b32_e32 v9, v1
	s_mov_b64 s[8:9], 0
	v_mov_b32_e32 v14, v47
	v_mov_b32_e32 v8, v0
                                        ; implicit-def: $sgpr30_sgpr31
	s_branch .LBB119_168
.LBB119_165:                            ;   in Loop: Header=BB119_168 Depth=2
	s_or_b64 exec, exec, s[2:3]
	s_waitcnt lgkmcnt(0)
	s_barrier
	ds_read_b128 v[4:7], v23 offset:3072
	s_waitcnt lgkmcnt(0)
	s_barrier
	v_cmp_neq_f64_e32 vcc, 0, v[4:5]
	s_cbranch_vccnz .LBB119_171
; %bb.166:                              ;   in Loop: Header=BB119_168 Depth=2
	v_add_co_u32_e32 v8, vcc, s33, v8
	v_addc_co_u32_e32 v9, vcc, 0, v9, vcc
	v_cmp_le_u64_e32 vcc, s[0:1], v[8:9]
	v_add_u32_e32 v14, s16, v14
	s_mov_b64 s[2:3], 0
	s_orn2_b64 s[60:61], vcc, exec
.LBB119_167:                            ;   in Loop: Header=BB119_168 Depth=2
	s_and_b64 s[60:61], exec, s[60:61]
	s_or_b64 s[8:9], s[60:61], s[8:9]
	s_andn2_b64 s[30:31], s[30:31], exec
	s_and_b64 s[2:3], s[2:3], exec
	s_or_b64 s[30:31], s[30:31], s[2:3]
	s_andn2_b64 exec, exec, s[8:9]
	s_cbranch_execz .LBB119_177
.LBB119_168:                            ;   Parent Loop BB119_45 Depth=1
                                        ; =>  This Inner Loop Header: Depth=2
	v_cmp_gt_u64_e32 vcc, s[40:41], v[8:9]
	s_and_saveexec_b64 s[2:3], vcc
	s_cbranch_execz .LBB119_165
; %bb.169:                              ;   in Loop: Header=BB119_168 Depth=2
	ds_read_b64 v[4:5], v14
	s_waitcnt lgkmcnt(0)
	v_cmp_o_f64_e32 vcc, v[4:5], v[4:5]
	v_ashrrev_i32_e32 v2, 31, v5
	v_or_b32_e32 v6, 0x80000000, v2
	v_xor_b32_e32 v6, v6, v5
	v_xor_b32_e32 v2, v2, v4
	v_cndmask_b32_e32 v6, -1, v6, vcc
	v_cndmask_b32_e32 v2, -1, v2, vcc
	v_and_b32_e32 v7, v6, v35
	v_and_b32_e32 v6, v2, v34
	v_cmp_eq_u64_e32 vcc, v[6:7], v[32:33]
	s_and_b64 exec, exec, vcc
	s_cbranch_execz .LBB119_165
; %bb.170:                              ;   in Loop: Header=BB119_168 Depth=2
	v_mov_b32_e32 v2, v23
	ds_write_b128 v23, v[2:5] offset:3072
	s_branch .LBB119_165
.LBB119_171:                            ;   in Loop: Header=BB119_168 Depth=2
	s_mov_b64 s[60:61], -1
                                        ; implicit-def: $vgpr8_vgpr9
                                        ; implicit-def: $vgpr14
	s_mov_b64 s[2:3], -1
	s_branch .LBB119_167
.LBB119_172:                            ;   in Loop: Header=BB119_45 Depth=1
                                        ; implicit-def: $sgpr0_sgpr1
	s_branch .LBB119_117
.LBB119_173:                            ;   in Loop: Header=BB119_45 Depth=1
	s_or_b64 exec, exec, s[14:15]
	s_waitcnt lgkmcnt(0)
	s_barrier
	s_mov_b64 s[0:1], exec
	v_readlane_b32 s2, v58, 10
	v_readlane_b32 s3, v58, 11
	s_and_b64 s[2:3], s[0:1], s[2:3]
	s_mov_b64 exec, s[2:3]
	s_cbranch_execz .LBB119_175
; %bb.174:                              ;   in Loop: Header=BB119_45 Depth=1
	ds_read_b32 v4, v23 offset:5144
	s_waitcnt lgkmcnt(0)
	v_ashrrev_i32_e32 v5, 31, v4
	ds_write_b64 v23, v[4:5] offset:5120
.LBB119_175:                            ;   in Loop: Header=BB119_45 Depth=1
	s_or_b64 exec, exec, s[0:1]
	s_waitcnt lgkmcnt(0)
	s_barrier
	s_mov_b64 s[0:1], -1
	s_and_b64 vcc, exec, s[12:13]
	s_cbranch_vccnz .LBB119_61
	s_branch .LBB119_70
.LBB119_176:                            ;   in Loop: Header=BB119_45 Depth=1
                                        ; implicit-def: $sgpr0_sgpr1
	s_branch .LBB119_132
.LBB119_177:                            ;   in Loop: Header=BB119_45 Depth=1
	s_or_b64 exec, exec, s[8:9]
	s_and_b64 s[30:31], s[30:31], exec
.LBB119_178:                            ;   in Loop: Header=BB119_45 Depth=1
	s_or_b64 exec, exec, s[58:59]
.LBB119_179:                            ;   in Loop: Header=BB119_45 Depth=1
	s_and_b64 vcc, exec, s[56:57]
	s_cbranch_vccz .LBB119_194
; %bb.180:                              ;   in Loop: Header=BB119_45 Depth=1
	s_mov_b32 s52, s45
	s_cmp_lg_u64 s[52:53], 0
	s_cbranch_scc0 .LBB119_224
; %bb.181:                              ;   in Loop: Header=BB119_45 Depth=1
	v_cvt_f32_u32_e32 v2, s33
	s_sub_u32 s2, 0, s33
	s_subb_u32 s3, 0, 0
	v_mac_f32_e32 v2, 0, v55
	v_rcp_f32_e32 v2, v2
	v_mul_f32_e32 v2, 0x5f7ffffc, v2
	v_mul_f32_e32 v4, 0x2f800000, v2
	v_trunc_f32_e32 v4, v4
	v_mac_f32_e32 v2, 0xcf800000, v4
	v_cvt_u32_f32_e32 v4, v4
	v_cvt_u32_f32_e32 v2, v2
	v_readfirstlane_b32 s6, v4
	v_readfirstlane_b32 s0, v2
	s_mul_i32 s1, s2, s6
	s_mul_hi_u32 s8, s2, s0
	s_mul_i32 s7, s3, s0
	s_add_i32 s1, s8, s1
	s_mul_i32 s9, s2, s0
	s_add_i32 s1, s1, s7
	s_mul_hi_u32 s8, s0, s9
	s_mul_i32 s40, s0, s1
	s_mul_hi_u32 s7, s0, s1
	s_add_u32 s8, s8, s40
	s_addc_u32 s7, 0, s7
	s_mul_hi_u32 s41, s6, s9
	s_mul_i32 s9, s6, s9
	s_add_u32 s8, s8, s9
	s_mul_hi_u32 s40, s6, s1
	s_addc_u32 s7, s7, s41
	s_addc_u32 s8, s40, 0
	s_mul_i32 s1, s6, s1
	s_add_u32 s1, s7, s1
	s_addc_u32 s7, 0, s8
	s_add_u32 s8, s0, s1
	s_cselect_b64 s[0:1], -1, 0
	s_cmp_lg_u64 s[0:1], 0
	s_addc_u32 s6, s6, s7
	s_mul_i32 s0, s2, s6
	s_mul_hi_u32 s1, s2, s8
	s_add_i32 s0, s1, s0
	s_mul_i32 s3, s3, s8
	s_add_i32 s0, s0, s3
	s_mul_i32 s2, s2, s8
	s_mul_hi_u32 s3, s6, s2
	s_mul_i32 s7, s6, s2
	s_mul_i32 s40, s8, s0
	s_mul_hi_u32 s2, s8, s2
	s_mul_hi_u32 s9, s8, s0
	s_add_u32 s2, s2, s40
	s_addc_u32 s9, 0, s9
	s_add_u32 s2, s2, s7
	s_mul_hi_u32 s1, s6, s0
	s_addc_u32 s2, s9, s3
	s_addc_u32 s1, s1, 0
	s_mul_i32 s0, s6, s0
	s_add_u32 s0, s2, s0
	s_addc_u32 s2, 0, s1
	s_add_u32 s3, s8, s0
	s_cselect_b64 s[0:1], -1, 0
	s_cmp_lg_u64 s[0:1], 0
	s_addc_u32 s0, s6, s2
	s_mul_i32 s2, s50, s0
	s_mul_hi_u32 s6, s50, s3
	s_mul_hi_u32 s1, s50, s0
	s_add_u32 s2, s6, s2
	s_addc_u32 s1, 0, s1
	s_mul_hi_u32 s7, s53, s3
	s_mul_i32 s3, s53, s3
	s_add_u32 s2, s2, s3
	s_mul_hi_u32 s6, s53, s0
	s_addc_u32 s1, s1, s7
	s_addc_u32 s2, s6, 0
	s_mul_i32 s0, s53, s0
	s_add_u32 s0, s1, s0
	s_addc_u32 s1, 0, s2
	s_mul_i32 s1, s33, s1
	s_mul_hi_u32 s2, s33, s0
	s_add_i32 s2, s2, s1
	s_mul_i32 s0, s33, s0
	s_sub_u32 s3, s50, s0
	s_cselect_b64 s[0:1], -1, 0
	s_cmp_lg_u64 s[0:1], 0
	s_subb_u32 s2, s53, s2
	s_sub_u32 s6, s3, s33
	s_cselect_b64 s[0:1], -1, 0
	s_cmp_lg_u64 s[0:1], 0
	s_subb_u32 s7, s2, 0
	s_sub_u32 s8, s6, s33
	s_cselect_b64 s[0:1], -1, 0
	s_cmp_lg_u64 s[0:1], 0
	s_subb_u32 s0, s7, 0
	s_cmp_ge_u32 s6, s33
	s_cselect_b32 s1, -1, 0
	s_cmp_eq_u32 s7, 0
	s_cselect_b32 s1, s1, -1
	s_cmp_lg_u32 s1, 0
	s_cselect_b32 s0, s0, s7
	s_cselect_b32 s6, s8, s6
	s_cmp_ge_u32 s3, s33
	s_cselect_b32 s1, -1, 0
	s_cmp_eq_u32 s2, 0
	s_cselect_b32 s1, s1, -1
	s_cmp_lg_u32 s1, 0
	s_cselect_b32 s1, s0, s2
	s_cselect_b32 s0, s6, s3
	s_cbranch_execnz .LBB119_183
.LBB119_182:                            ;   in Loop: Header=BB119_45 Depth=1
	v_cvt_f32_u32_e32 v2, s33
	s_sub_i32 s0, 0, s33
	v_rcp_iflag_f32_e32 v2, v2
	v_mul_f32_e32 v2, 0x4f7ffffe, v2
	v_cvt_u32_f32_e32 v2, v2
	v_readfirstlane_b32 s1, v2
	s_mul_i32 s0, s0, s1
	s_mul_hi_u32 s0, s1, s0
	s_add_i32 s1, s1, s0
	s_mul_hi_u32 s0, s50, s1
	s_mul_i32 s0, s0, s33
	s_sub_i32 s0, s50, s0
	s_sub_i32 s1, s0, s33
	s_cmp_ge_u32 s0, s33
	s_cselect_b32 s0, s1, s0
	s_sub_i32 s1, s0, s33
	s_cmp_ge_u32 s0, s33
	s_cselect_b32 s44, s1, s0
	s_mov_b64 s[0:1], s[44:45]
.LBB119_183:                            ;   in Loop: Header=BB119_45 Depth=1
	s_sub_u32 s40, s50, s0
	s_subb_u32 s41, s53, s1
	v_cmp_gt_u64_e32 vcc, s[40:41], v[0:1]
                                        ; implicit-def: $vgpr6_vgpr7
	s_and_saveexec_b64 s[6:7], vcc
	s_cbranch_execz .LBB119_193
; %bb.184:                              ;   in Loop: Header=BB119_45 Depth=1
	v_mov_b32_e32 v8, v16
	v_mov_b32_e32 v15, v1
	s_mov_b64 s[0:1], 0
	v_mov_b32_e32 v9, v17
	v_mov_b32_e32 v14, v0
                                        ; implicit-def: $sgpr8_sgpr9
	s_branch .LBB119_188
.LBB119_185:                            ;   in Loop: Header=BB119_188 Depth=2
	s_or_b64 exec, exec, s[2:3]
	s_waitcnt lgkmcnt(0)
	s_barrier
	ds_read_b128 v[4:7], v23 offset:3072
	s_waitcnt lgkmcnt(0)
	s_barrier
	v_cmp_eq_f64_e32 vcc, 0, v[4:5]
	s_cbranch_vccz .LBB119_191
; %bb.186:                              ;   in Loop: Header=BB119_188 Depth=2
	v_add_co_u32_e32 v14, vcc, s33, v14
	v_addc_co_u32_e32 v15, vcc, 0, v15, vcc
	v_mov_b32_e32 v2, s49
	v_add_co_u32_e32 v8, vcc, s48, v8
	v_addc_co_u32_e32 v9, vcc, v9, v2, vcc
	v_cmp_le_u64_e32 vcc, s[40:41], v[14:15]
	s_mov_b64 s[2:3], 0
	s_orn2_b64 s[56:57], vcc, exec
.LBB119_187:                            ;   in Loop: Header=BB119_188 Depth=2
	s_and_b64 s[56:57], exec, s[56:57]
	s_or_b64 s[0:1], s[56:57], s[0:1]
	s_andn2_b64 s[8:9], s[8:9], exec
	s_and_b64 s[2:3], s[2:3], exec
	s_or_b64 s[8:9], s[8:9], s[2:3]
	s_andn2_b64 exec, exec, s[0:1]
	s_cbranch_execz .LBB119_192
.LBB119_188:                            ;   Parent Loop BB119_45 Depth=1
                                        ; =>  This Inner Loop Header: Depth=2
	v_cmp_gt_u64_e32 vcc, s[20:21], v[14:15]
	s_and_saveexec_b64 s[2:3], vcc
	s_cbranch_execz .LBB119_185
; %bb.189:                              ;   in Loop: Header=BB119_188 Depth=2
	global_load_dwordx2 v[4:5], v[8:9], off
	s_waitcnt vmcnt(0)
	v_cmp_o_f64_e32 vcc, v[4:5], v[4:5]
	v_ashrrev_i32_e32 v2, 31, v5
	v_or_b32_e32 v6, 0x80000000, v2
	v_xor_b32_e32 v6, v6, v5
	v_xor_b32_e32 v2, v2, v4
	v_cndmask_b32_e32 v6, -1, v6, vcc
	v_cndmask_b32_e32 v2, -1, v2, vcc
	v_and_b32_e32 v7, v6, v35
	v_and_b32_e32 v6, v2, v34
	v_cmp_eq_u64_e32 vcc, v[6:7], v[32:33]
	s_and_b64 exec, exec, vcc
	s_cbranch_execz .LBB119_185
; %bb.190:                              ;   in Loop: Header=BB119_188 Depth=2
	v_mov_b32_e32 v2, v23
	ds_write_b128 v23, v[2:5] offset:3072
	s_branch .LBB119_185
.LBB119_191:                            ;   in Loop: Header=BB119_188 Depth=2
	s_mov_b64 s[56:57], -1
                                        ; implicit-def: $vgpr14_vgpr15
                                        ; implicit-def: $vgpr8_vgpr9
	s_mov_b64 s[2:3], -1
	s_branch .LBB119_187
.LBB119_192:                            ;   in Loop: Header=BB119_45 Depth=1
	s_or_b64 exec, exec, s[0:1]
	s_andn2_b64 s[0:1], s[30:31], exec
	s_and_b64 s[2:3], s[8:9], exec
	s_or_b64 s[30:31], s[0:1], s[2:3]
.LBB119_193:                            ;   in Loop: Header=BB119_45 Depth=1
	s_or_b64 exec, exec, s[6:7]
	s_mov_b64 s[6:7], 0
	s_mov_b64 s[84:85], -1
.LBB119_194:                            ;   in Loop: Header=BB119_45 Depth=1
	s_orn2_b64 s[0:1], s[30:31], exec
.LBB119_195:                            ;   in Loop: Header=BB119_45 Depth=1
	s_or_b64 exec, exec, s[36:37]
	s_mov_b64 s[2:3], 0
	s_and_saveexec_b64 s[88:89], s[0:1]
	s_cbranch_execz .LBB119_305
; %bb.196:                              ;   in Loop: Header=BB119_45 Depth=1
	v_mov_b32_e32 v8, 1
	s_xor_b64 s[0:1], s[38:39], -1
	v_mov_b32_e32 v38, 1
	v_mov_b32_e32 v9, 0
	s_and_saveexec_b64 s[30:31], s[0:1]
	s_cbranch_execz .LBB119_206
; %bb.197:                              ;   in Loop: Header=BB119_45 Depth=1
	v_cmp_le_u64_e32 vcc, v[12:13], v[10:11]
	s_and_saveexec_b64 s[0:1], vcc
	s_xor_b64 s[0:1], exec, s[0:1]
	s_cbranch_execz .LBB119_203
; %bb.198:                              ;   in Loop: Header=BB119_45 Depth=1
	s_lshl_b64 s[2:3], 1, s17
	v_and_b32_e32 v4, s86, v32
	v_or_b32_e32 v32, s2, v4
	ds_read_b64 v[4:5], v23 offset:5120
	v_and_b32_e32 v2, s87, v33
	v_or_b32_e32 v33, s3, v2
	v_or_b32_e32 v35, s13, v35
	;; [unrolled: 1-line block ×3, first 2 shown]
	s_waitcnt lgkmcnt(0)
	v_cmp_ne_u64_e32 vcc, 0, v[4:5]
	s_cbranch_vccnz .LBB119_202
; %bb.199:                              ;   in Loop: Header=BB119_45 Depth=1
	s_mov_b64 s[2:3], exec
	v_readlane_b32 s8, v58, 10
	v_readlane_b32 s9, v58, 11
	s_and_b64 s[8:9], s[2:3], s[8:9]
	s_mov_b64 exec, s[8:9]
; %bb.200:                              ;   in Loop: Header=BB119_45 Depth=1
	ds_write_b64 v23, v[10:11] offset:5128
; %bb.201:                              ;   in Loop: Header=BB119_45 Depth=1
	s_or_b64 exec, exec, s[2:3]
	s_waitcnt lgkmcnt(0)
	s_barrier
.LBB119_202:                            ;   in Loop: Header=BB119_45 Depth=1
                                        ; implicit-def: $vgpr8_vgpr9_vgpr10_vgpr11
.LBB119_203:                            ;   in Loop: Header=BB119_45 Depth=1
	s_or_saveexec_b64 s[0:1], s[0:1]
	s_mov_b64 s[2:3], 0
	v_mov_b32_e32 v38, 8
	s_xor_b64 exec, exec, s[0:1]
; %bb.204:                              ;   in Loop: Header=BB119_45 Depth=1
	v_sub_co_u32_e32 v12, vcc, v12, v10
	v_subb_co_u32_e32 v13, vcc, v13, v11, vcc
	v_mov_b32_e32 v38, 0
	s_mov_b64 s[2:3], exec
; %bb.205:                              ;   in Loop: Header=BB119_45 Depth=1
	s_or_b64 exec, exec, s[0:1]
	v_mov_b32_e32 v8, v12
	s_and_b64 s[2:3], s[2:3], exec
	v_mov_b32_e32 v9, v13
.LBB119_206:                            ;   in Loop: Header=BB119_45 Depth=1
	s_or_b64 exec, exec, s[30:31]
	s_mov_b64 s[0:1], -1
                                        ; implicit-def: $sgpr92_sgpr93
                                        ; implicit-def: $sgpr94_sgpr95
	s_and_saveexec_b64 s[90:91], s[2:3]
	s_cbranch_execz .LBB119_304
; %bb.207:                              ;   in Loop: Header=BB119_45 Depth=1
	s_cmp_eq_u64 s[82:83], 1
	v_cmp_eq_u64_e32 vcc, 1, v[8:9]
	s_cselect_b64 s[0:1], -1, 0
	s_and_b64 s[36:37], s[0:1], vcc
	s_mov_b64 s[0:1], -1
                                        ; implicit-def: $sgpr94_sgpr95
                                        ; implicit-def: $sgpr92_sgpr93
	s_and_saveexec_b64 s[38:39], s[36:37]
	s_cbranch_execz .LBB119_243
; %bb.208:                              ;   in Loop: Header=BB119_45 Depth=1
	ds_read_b64 v[4:5], v23 offset:5120
	s_waitcnt lgkmcnt(0)
	s_barrier
	v_readfirstlane_b32 s40, v4
	v_readfirstlane_b32 s41, v5
	s_mov_b64 s[0:1], exec
	v_readlane_b32 s2, v58, 12
	v_readlane_b32 s3, v58, 13
	s_and_b64 s[2:3], s[0:1], s[2:3]
	s_mov_b64 exec, s[2:3]
; %bb.209:                              ;   in Loop: Header=BB119_45 Depth=1
	v_mov_b32_e32 v22, v23
	ds_write_b64 v48, v[22:23]
; %bb.210:                              ;   in Loop: Header=BB119_45 Depth=1
	s_or_b64 exec, exec, s[0:1]
	s_lshl_b64 s[0:1], 2, s17
	v_and_b32_e32 v2, s87, v33
	v_and_b32_e32 v4, s86, v32
	v_or_b32_e32 v33, s1, v2
	v_or_b32_e32 v32, s0, v4
	;; [unrolled: 1-line block ×4, first 2 shown]
	s_mov_b64 s[92:93], -1
	s_mov_b64 s[94:95], 0
	s_cmp_eq_u64 s[40:41], 0
	s_mov_b64 s[30:31], 0
	s_mov_b64 s[56:57], -1
	s_waitcnt lgkmcnt(0)
	s_barrier
                                        ; implicit-def: $vgpr6_vgpr7
	s_cbranch_scc1 .LBB119_227
; %bb.211:                              ;   in Loop: Header=BB119_45 Depth=1
	s_add_u32 s8, s40, s65
	v_readlane_b32 s0, v58, 18
	s_addc_u32 s31, s41, s0
	s_mov_b32 s30, s45
	s_cmp_lg_u64 s[30:31], 0
	s_cbranch_scc0 .LBB119_270
; %bb.212:                              ;   in Loop: Header=BB119_45 Depth=1
	v_cvt_f32_u32_e32 v2, s33
	s_sub_u32 s2, 0, s33
	s_subb_u32 s3, 0, 0
	v_mac_f32_e32 v2, 0, v55
	v_rcp_f32_e32 v2, v2
	v_mul_f32_e32 v2, 0x5f7ffffc, v2
	v_mul_f32_e32 v4, 0x2f800000, v2
	v_trunc_f32_e32 v4, v4
	v_mac_f32_e32 v2, 0xcf800000, v4
	v_cvt_u32_f32_e32 v4, v4
	v_cvt_u32_f32_e32 v2, v2
	v_readfirstlane_b32 s9, v4
	v_readfirstlane_b32 s0, v2
	s_mul_i32 s1, s2, s9
	s_mul_hi_u32 s44, s2, s0
	s_mul_i32 s30, s3, s0
	s_add_i32 s1, s44, s1
	s_mul_i32 s52, s2, s0
	s_add_i32 s1, s1, s30
	s_mul_hi_u32 s44, s0, s52
	s_mul_i32 s56, s0, s1
	s_mul_hi_u32 s30, s0, s1
	s_add_u32 s44, s44, s56
	s_addc_u32 s30, 0, s30
	s_mul_hi_u32 s57, s9, s52
	s_mul_i32 s52, s9, s52
	s_add_u32 s44, s44, s52
	s_mul_hi_u32 s56, s9, s1
	s_addc_u32 s30, s30, s57
	s_addc_u32 s44, s56, 0
	s_mul_i32 s1, s9, s1
	s_add_u32 s1, s30, s1
	s_addc_u32 s30, 0, s44
	s_add_u32 s44, s0, s1
	s_cselect_b64 s[0:1], -1, 0
	s_cmp_lg_u64 s[0:1], 0
	s_addc_u32 s9, s9, s30
	s_mul_i32 s0, s2, s9
	s_mul_hi_u32 s1, s2, s44
	s_add_i32 s0, s1, s0
	s_mul_i32 s3, s3, s44
	s_add_i32 s0, s0, s3
	s_mul_i32 s2, s2, s44
	s_mul_hi_u32 s3, s9, s2
	s_mul_i32 s30, s9, s2
	s_mul_i32 s56, s44, s0
	s_mul_hi_u32 s2, s44, s2
	s_mul_hi_u32 s52, s44, s0
	s_add_u32 s2, s2, s56
	s_addc_u32 s52, 0, s52
	s_add_u32 s2, s2, s30
	s_mul_hi_u32 s1, s9, s0
	s_addc_u32 s2, s52, s3
	s_addc_u32 s1, s1, 0
	s_mul_i32 s0, s9, s0
	s_add_u32 s0, s2, s0
	s_addc_u32 s2, 0, s1
	s_add_u32 s3, s44, s0
	s_cselect_b64 s[0:1], -1, 0
	s_cmp_lg_u64 s[0:1], 0
	s_addc_u32 s0, s9, s2
	s_mul_i32 s2, s8, s0
	s_mul_hi_u32 s9, s8, s3
	s_mul_hi_u32 s1, s8, s0
	s_add_u32 s2, s9, s2
	s_addc_u32 s1, 0, s1
	s_mul_hi_u32 s30, s31, s3
	s_mul_i32 s3, s31, s3
	s_add_u32 s2, s2, s3
	s_mul_hi_u32 s9, s31, s0
	s_addc_u32 s1, s1, s30
	s_addc_u32 s2, s9, 0
	s_mul_i32 s0, s31, s0
	s_add_u32 s0, s1, s0
	s_addc_u32 s1, 0, s2
	s_mul_i32 s1, s33, s1
	s_mul_hi_u32 s2, s33, s0
	s_add_i32 s2, s2, s1
	s_mul_i32 s0, s33, s0
	s_sub_u32 s3, s8, s0
	s_cselect_b64 s[0:1], -1, 0
	s_cmp_lg_u64 s[0:1], 0
	s_subb_u32 s2, s31, s2
	s_sub_u32 s9, s3, s33
	s_cselect_b64 s[0:1], -1, 0
	s_cmp_lg_u64 s[0:1], 0
	s_subb_u32 s30, s2, 0
	;; [unrolled: 4-line block ×3, first 2 shown]
	s_cmp_ge_u32 s9, s33
	s_cselect_b32 s1, -1, 0
	s_cmp_eq_u32 s30, 0
	s_cselect_b32 s1, s1, -1
	s_cmp_lg_u32 s1, 0
	s_cselect_b32 s0, s0, s30
	s_cselect_b32 s9, s44, s9
	s_cmp_ge_u32 s3, s33
	s_cselect_b32 s1, -1, 0
	s_cmp_eq_u32 s2, 0
	s_cselect_b32 s1, s1, -1
	s_cmp_lg_u32 s1, 0
	s_cselect_b32 s1, s0, s2
	s_cselect_b32 s0, s9, s3
	s_cbranch_execnz .LBB119_214
.LBB119_213:                            ;   in Loop: Header=BB119_45 Depth=1
	v_cvt_f32_u32_e32 v2, s33
	s_sub_i32 s0, 0, s33
	v_rcp_iflag_f32_e32 v2, v2
	v_mul_f32_e32 v2, 0x4f7ffffe, v2
	v_cvt_u32_f32_e32 v2, v2
	v_readfirstlane_b32 s1, v2
	s_mul_i32 s0, s0, s1
	s_mul_hi_u32 s0, s1, s0
	s_add_i32 s1, s1, s0
	s_mul_hi_u32 s0, s8, s1
	s_mul_i32 s0, s0, s33
	s_sub_i32 s0, s8, s0
	s_sub_i32 s1, s0, s33
	s_cmp_ge_u32 s0, s33
	s_cselect_b32 s0, s1, s0
	s_sub_i32 s1, s0, s33
	s_cmp_ge_u32 s0, s33
	s_cselect_b32 s44, s1, s0
	s_mov_b64 s[0:1], s[44:45]
.LBB119_214:                            ;   in Loop: Header=BB119_45 Depth=1
	s_sub_u32 s0, s8, s0
	s_subb_u32 s1, s31, s1
	v_cmp_gt_u64_e32 vcc, s[0:1], v[0:1]
	s_mov_b64 s[56:57], 0
	s_mov_b64 s[30:31], 0
                                        ; implicit-def: $vgpr6_vgpr7
	s_and_saveexec_b64 s[58:59], vcc
	s_cbranch_execz .LBB119_226
; %bb.215:                              ;   in Loop: Header=BB119_45 Depth=1
	v_mov_b32_e32 v11, v1
	s_mov_b64 s[8:9], 0
	v_mov_b32_e32 v12, v47
	v_mov_b32_e32 v10, v0
                                        ; implicit-def: $sgpr30_sgpr31
	s_branch .LBB119_219
.LBB119_216:                            ;   in Loop: Header=BB119_219 Depth=2
	s_or_b64 exec, exec, s[2:3]
	s_waitcnt lgkmcnt(0)
	s_barrier
	ds_read_b128 v[4:7], v23 offset:3072
	s_waitcnt lgkmcnt(0)
	s_barrier
	v_cmp_neq_f64_e32 vcc, 0, v[4:5]
	s_cbranch_vccnz .LBB119_222
; %bb.217:                              ;   in Loop: Header=BB119_219 Depth=2
	v_add_co_u32_e32 v10, vcc, s33, v10
	v_addc_co_u32_e32 v11, vcc, 0, v11, vcc
	v_cmp_le_u64_e32 vcc, s[0:1], v[10:11]
	v_add_u32_e32 v12, s16, v12
	s_mov_b64 s[2:3], 0
	s_orn2_b64 s[60:61], vcc, exec
.LBB119_218:                            ;   in Loop: Header=BB119_219 Depth=2
	s_and_b64 s[60:61], exec, s[60:61]
	s_or_b64 s[8:9], s[60:61], s[8:9]
	s_andn2_b64 s[30:31], s[30:31], exec
	s_and_b64 s[2:3], s[2:3], exec
	s_or_b64 s[30:31], s[30:31], s[2:3]
	s_andn2_b64 exec, exec, s[8:9]
	s_cbranch_execz .LBB119_225
.LBB119_219:                            ;   Parent Loop BB119_45 Depth=1
                                        ; =>  This Inner Loop Header: Depth=2
	v_cmp_gt_u64_e32 vcc, s[40:41], v[10:11]
	s_and_saveexec_b64 s[2:3], vcc
	s_cbranch_execz .LBB119_216
; %bb.220:                              ;   in Loop: Header=BB119_219 Depth=2
	ds_read_b64 v[4:5], v12
	s_waitcnt lgkmcnt(0)
	v_cmp_o_f64_e32 vcc, v[4:5], v[4:5]
	v_ashrrev_i32_e32 v2, 31, v5
	v_or_b32_e32 v6, 0x80000000, v2
	v_xor_b32_e32 v6, v6, v5
	v_xor_b32_e32 v2, v2, v4
	v_cndmask_b32_e32 v6, -1, v6, vcc
	v_cndmask_b32_e32 v2, -1, v2, vcc
	v_and_b32_e32 v7, v6, v35
	v_and_b32_e32 v6, v2, v34
	v_cmp_eq_u64_e32 vcc, v[6:7], v[32:33]
	s_and_b64 exec, exec, vcc
	s_cbranch_execz .LBB119_216
; %bb.221:                              ;   in Loop: Header=BB119_219 Depth=2
	v_mov_b32_e32 v2, v23
	ds_write_b128 v23, v[2:5] offset:3072
	s_branch .LBB119_216
.LBB119_222:                            ;   in Loop: Header=BB119_219 Depth=2
	s_mov_b64 s[60:61], -1
                                        ; implicit-def: $vgpr10_vgpr11
                                        ; implicit-def: $vgpr12
	s_mov_b64 s[2:3], -1
	s_branch .LBB119_218
.LBB119_223:                            ;   in Loop: Header=BB119_45 Depth=1
                                        ; implicit-def: $sgpr0_sgpr1
	s_branch .LBB119_162
.LBB119_224:                            ;   in Loop: Header=BB119_45 Depth=1
                                        ; implicit-def: $sgpr0_sgpr1
	s_branch .LBB119_182
.LBB119_225:                            ;   in Loop: Header=BB119_45 Depth=1
	s_or_b64 exec, exec, s[8:9]
	s_and_b64 s[30:31], s[30:31], exec
.LBB119_226:                            ;   in Loop: Header=BB119_45 Depth=1
	s_or_b64 exec, exec, s[58:59]
.LBB119_227:                            ;   in Loop: Header=BB119_45 Depth=1
	s_and_b64 vcc, exec, s[56:57]
	s_cbranch_vccz .LBB119_242
; %bb.228:                              ;   in Loop: Header=BB119_45 Depth=1
	s_mov_b32 s52, s45
	s_cmp_lg_u64 s[52:53], 0
	s_cbranch_scc0 .LBB119_271
; %bb.229:                              ;   in Loop: Header=BB119_45 Depth=1
	v_cvt_f32_u32_e32 v2, s33
	s_sub_u32 s2, 0, s33
	s_subb_u32 s3, 0, 0
	v_mac_f32_e32 v2, 0, v55
	v_rcp_f32_e32 v2, v2
	v_mul_f32_e32 v2, 0x5f7ffffc, v2
	v_mul_f32_e32 v4, 0x2f800000, v2
	v_trunc_f32_e32 v4, v4
	v_mac_f32_e32 v2, 0xcf800000, v4
	v_cvt_u32_f32_e32 v4, v4
	v_cvt_u32_f32_e32 v2, v2
	v_readfirstlane_b32 s8, v4
	v_readfirstlane_b32 s0, v2
	s_mul_i32 s1, s2, s8
	s_mul_hi_u32 s40, s2, s0
	s_mul_i32 s9, s3, s0
	s_add_i32 s1, s40, s1
	s_mul_i32 s41, s2, s0
	s_add_i32 s1, s1, s9
	s_mul_hi_u32 s40, s0, s41
	s_mul_i32 s44, s0, s1
	s_mul_hi_u32 s9, s0, s1
	s_add_u32 s40, s40, s44
	s_addc_u32 s9, 0, s9
	s_mul_hi_u32 s52, s8, s41
	s_mul_i32 s41, s8, s41
	s_add_u32 s40, s40, s41
	s_mul_hi_u32 s44, s8, s1
	s_addc_u32 s9, s9, s52
	s_addc_u32 s40, s44, 0
	s_mul_i32 s1, s8, s1
	s_add_u32 s1, s9, s1
	s_addc_u32 s9, 0, s40
	s_add_u32 s40, s0, s1
	s_cselect_b64 s[0:1], -1, 0
	s_cmp_lg_u64 s[0:1], 0
	s_addc_u32 s8, s8, s9
	s_mul_i32 s0, s2, s8
	s_mul_hi_u32 s1, s2, s40
	s_add_i32 s0, s1, s0
	s_mul_i32 s3, s3, s40
	s_add_i32 s0, s0, s3
	s_mul_i32 s2, s2, s40
	s_mul_hi_u32 s3, s8, s2
	s_mul_i32 s9, s8, s2
	s_mul_i32 s44, s40, s0
	s_mul_hi_u32 s2, s40, s2
	s_mul_hi_u32 s41, s40, s0
	s_add_u32 s2, s2, s44
	s_addc_u32 s41, 0, s41
	s_add_u32 s2, s2, s9
	s_mul_hi_u32 s1, s8, s0
	s_addc_u32 s2, s41, s3
	s_addc_u32 s1, s1, 0
	s_mul_i32 s0, s8, s0
	s_add_u32 s0, s2, s0
	s_addc_u32 s2, 0, s1
	s_add_u32 s3, s40, s0
	s_cselect_b64 s[0:1], -1, 0
	s_cmp_lg_u64 s[0:1], 0
	s_addc_u32 s0, s8, s2
	s_mul_i32 s2, s50, s0
	s_mul_hi_u32 s8, s50, s3
	s_mul_hi_u32 s1, s50, s0
	s_add_u32 s2, s8, s2
	s_addc_u32 s1, 0, s1
	s_mul_hi_u32 s9, s53, s3
	s_mul_i32 s3, s53, s3
	s_add_u32 s2, s2, s3
	s_mul_hi_u32 s8, s53, s0
	s_addc_u32 s1, s1, s9
	s_addc_u32 s2, s8, 0
	s_mul_i32 s0, s53, s0
	s_add_u32 s0, s1, s0
	s_addc_u32 s1, 0, s2
	s_mul_i32 s1, s33, s1
	s_mul_hi_u32 s2, s33, s0
	s_add_i32 s2, s2, s1
	s_mul_i32 s0, s33, s0
	s_sub_u32 s3, s50, s0
	s_cselect_b64 s[0:1], -1, 0
	s_cmp_lg_u64 s[0:1], 0
	s_subb_u32 s2, s53, s2
	s_sub_u32 s8, s3, s33
	s_cselect_b64 s[0:1], -1, 0
	s_cmp_lg_u64 s[0:1], 0
	s_subb_u32 s9, s2, 0
	;; [unrolled: 4-line block ×3, first 2 shown]
	s_cmp_ge_u32 s8, s33
	s_cselect_b32 s1, -1, 0
	s_cmp_eq_u32 s9, 0
	s_cselect_b32 s1, s1, -1
	s_cmp_lg_u32 s1, 0
	s_cselect_b32 s0, s0, s9
	s_cselect_b32 s8, s40, s8
	s_cmp_ge_u32 s3, s33
	s_cselect_b32 s1, -1, 0
	s_cmp_eq_u32 s2, 0
	s_cselect_b32 s1, s1, -1
	s_cmp_lg_u32 s1, 0
	s_cselect_b32 s1, s0, s2
	s_cselect_b32 s0, s8, s3
	s_cbranch_execnz .LBB119_231
.LBB119_230:                            ;   in Loop: Header=BB119_45 Depth=1
	v_cvt_f32_u32_e32 v2, s33
	s_sub_i32 s0, 0, s33
	v_rcp_iflag_f32_e32 v2, v2
	v_mul_f32_e32 v2, 0x4f7ffffe, v2
	v_cvt_u32_f32_e32 v2, v2
	v_readfirstlane_b32 s1, v2
	s_mul_i32 s0, s0, s1
	s_mul_hi_u32 s0, s1, s0
	s_add_i32 s1, s1, s0
	s_mul_hi_u32 s0, s50, s1
	s_mul_i32 s0, s0, s33
	s_sub_i32 s0, s50, s0
	s_sub_i32 s1, s0, s33
	s_cmp_ge_u32 s0, s33
	s_cselect_b32 s0, s1, s0
	s_sub_i32 s1, s0, s33
	s_cmp_ge_u32 s0, s33
	s_cselect_b32 s44, s1, s0
	s_mov_b64 s[0:1], s[44:45]
.LBB119_231:                            ;   in Loop: Header=BB119_45 Depth=1
	s_sub_u32 s56, s50, s0
	s_subb_u32 s57, s53, s1
	v_cmp_gt_u64_e32 vcc, s[56:57], v[0:1]
                                        ; implicit-def: $vgpr6_vgpr7
	s_and_saveexec_b64 s[40:41], vcc
	s_cbranch_execz .LBB119_241
; %bb.232:                              ;   in Loop: Header=BB119_45 Depth=1
	v_mov_b32_e32 v10, v16
	v_mov_b32_e32 v13, v1
	s_mov_b64 s[0:1], 0
	v_mov_b32_e32 v11, v17
	v_mov_b32_e32 v12, v0
                                        ; implicit-def: $sgpr8_sgpr9
	s_branch .LBB119_236
.LBB119_233:                            ;   in Loop: Header=BB119_236 Depth=2
	s_or_b64 exec, exec, s[2:3]
	s_waitcnt lgkmcnt(0)
	s_barrier
	ds_read_b128 v[4:7], v23 offset:3072
	s_waitcnt lgkmcnt(0)
	s_barrier
	v_cmp_eq_f64_e32 vcc, 0, v[4:5]
	s_cbranch_vccz .LBB119_239
; %bb.234:                              ;   in Loop: Header=BB119_236 Depth=2
	v_add_co_u32_e32 v12, vcc, s33, v12
	v_addc_co_u32_e32 v13, vcc, 0, v13, vcc
	v_mov_b32_e32 v2, s49
	v_add_co_u32_e32 v10, vcc, s48, v10
	v_addc_co_u32_e32 v11, vcc, v11, v2, vcc
	v_cmp_le_u64_e32 vcc, s[56:57], v[12:13]
	s_mov_b64 s[2:3], 0
	s_orn2_b64 s[58:59], vcc, exec
.LBB119_235:                            ;   in Loop: Header=BB119_236 Depth=2
	s_and_b64 s[58:59], exec, s[58:59]
	s_or_b64 s[0:1], s[58:59], s[0:1]
	s_andn2_b64 s[8:9], s[8:9], exec
	s_and_b64 s[2:3], s[2:3], exec
	s_or_b64 s[8:9], s[8:9], s[2:3]
	s_andn2_b64 exec, exec, s[0:1]
	s_cbranch_execz .LBB119_240
.LBB119_236:                            ;   Parent Loop BB119_45 Depth=1
                                        ; =>  This Inner Loop Header: Depth=2
	v_cmp_gt_u64_e32 vcc, s[20:21], v[12:13]
	s_and_saveexec_b64 s[2:3], vcc
	s_cbranch_execz .LBB119_233
; %bb.237:                              ;   in Loop: Header=BB119_236 Depth=2
	global_load_dwordx2 v[4:5], v[10:11], off
	s_waitcnt vmcnt(0)
	v_cmp_o_f64_e32 vcc, v[4:5], v[4:5]
	v_ashrrev_i32_e32 v2, 31, v5
	v_or_b32_e32 v6, 0x80000000, v2
	v_xor_b32_e32 v6, v6, v5
	v_xor_b32_e32 v2, v2, v4
	v_cndmask_b32_e32 v6, -1, v6, vcc
	v_cndmask_b32_e32 v2, -1, v2, vcc
	v_and_b32_e32 v7, v6, v35
	v_and_b32_e32 v6, v2, v34
	v_cmp_eq_u64_e32 vcc, v[6:7], v[32:33]
	s_and_b64 exec, exec, vcc
	s_cbranch_execz .LBB119_233
; %bb.238:                              ;   in Loop: Header=BB119_236 Depth=2
	v_mov_b32_e32 v2, v23
	ds_write_b128 v23, v[2:5] offset:3072
	s_branch .LBB119_233
.LBB119_239:                            ;   in Loop: Header=BB119_236 Depth=2
	s_mov_b64 s[58:59], -1
                                        ; implicit-def: $vgpr12_vgpr13
                                        ; implicit-def: $vgpr10_vgpr11
	s_mov_b64 s[2:3], -1
	s_branch .LBB119_235
.LBB119_240:                            ;   in Loop: Header=BB119_45 Depth=1
	s_or_b64 exec, exec, s[0:1]
	s_andn2_b64 s[0:1], s[30:31], exec
	s_and_b64 s[2:3], s[8:9], exec
	s_or_b64 s[30:31], s[0:1], s[2:3]
.LBB119_241:                            ;   in Loop: Header=BB119_45 Depth=1
	s_or_b64 exec, exec, s[40:41]
	s_mov_b64 s[92:93], 0
	s_mov_b64 s[94:95], -1
.LBB119_242:                            ;   in Loop: Header=BB119_45 Depth=1
	s_orn2_b64 s[0:1], s[30:31], exec
.LBB119_243:                            ;   in Loop: Header=BB119_45 Depth=1
	s_or_b64 exec, exec, s[38:39]
	s_mov_b64 s[2:3], 0
	s_and_saveexec_b64 s[38:39], s[0:1]
	s_cbranch_execz .LBB119_303
; %bb.244:                              ;   in Loop: Header=BB119_45 Depth=1
	v_mov_b32_e32 v10, 1
	s_xor_b64 s[0:1], s[36:37], -1
	v_mov_b32_e32 v38, 1
	v_mov_b32_e32 v11, 0
	s_and_saveexec_b64 s[30:31], s[0:1]
	s_cbranch_execz .LBB119_253
; %bb.245:                              ;   in Loop: Header=BB119_45 Depth=1
	v_cmp_ge_u64_e32 vcc, s[82:83], v[8:9]
	s_and_saveexec_b64 s[0:1], vcc
	s_xor_b64 s[0:1], exec, s[0:1]
	s_cbranch_execz .LBB119_250
; %bb.246:                              ;   in Loop: Header=BB119_45 Depth=1
	s_lshl_b64 s[2:3], 2, s17
	v_and_b32_e32 v4, s86, v32
	v_or_b32_e32 v32, s2, v4
	ds_read_b64 v[4:5], v23 offset:5120
	v_and_b32_e32 v2, s87, v33
	v_or_b32_e32 v33, s3, v2
	v_or_b32_e32 v35, s13, v35
	;; [unrolled: 1-line block ×3, first 2 shown]
	s_waitcnt lgkmcnt(0)
	v_cmp_ne_u64_e32 vcc, 0, v[4:5]
	s_cbranch_vccnz .LBB119_250
; %bb.247:                              ;   in Loop: Header=BB119_45 Depth=1
	s_mov_b64 s[2:3], exec
	v_readlane_b32 s8, v58, 10
	v_readlane_b32 s9, v58, 11
	s_and_b64 s[8:9], s[2:3], s[8:9]
	s_mov_b64 exec, s[8:9]
; %bb.248:                              ;   in Loop: Header=BB119_45 Depth=1
	v_mov_b32_e32 v4, s82
	v_mov_b32_e32 v5, s83
	ds_write_b64 v23, v[4:5] offset:5128
; %bb.249:                              ;   in Loop: Header=BB119_45 Depth=1
	s_or_b64 exec, exec, s[2:3]
	s_waitcnt lgkmcnt(0)
	s_barrier
.LBB119_250:                            ;   in Loop: Header=BB119_45 Depth=1
	s_or_saveexec_b64 s[0:1], s[0:1]
	s_mov_b64 s[2:3], 0
	v_mov_b32_e32 v38, 8
	s_xor_b64 exec, exec, s[0:1]
; %bb.251:                              ;   in Loop: Header=BB119_45 Depth=1
	v_subrev_co_u32_e32 v8, vcc, s82, v8
	v_mov_b32_e32 v2, s83
	v_subb_co_u32_e32 v9, vcc, v9, v2, vcc
	v_mov_b32_e32 v38, 0
	s_mov_b64 s[2:3], exec
; %bb.252:                              ;   in Loop: Header=BB119_45 Depth=1
	s_or_b64 exec, exec, s[0:1]
	v_mov_b32_e32 v11, v9
	s_and_b64 s[2:3], s[2:3], exec
	v_mov_b32_e32 v10, v8
.LBB119_253:                            ;   in Loop: Header=BB119_45 Depth=1
	s_or_b64 exec, exec, s[30:31]
	s_mov_b64 s[0:1], -1
                                        ; implicit-def: $sgpr30_sgpr31
                                        ; implicit-def: $sgpr40_sgpr41
	s_and_saveexec_b64 s[82:83], s[2:3]
	s_cbranch_execz .LBB119_302
; %bb.254:                              ;   in Loop: Header=BB119_45 Depth=1
	s_cmp_eq_u64 s[10:11], 1
	v_cmp_eq_u64_e32 vcc, 1, v[10:11]
	s_cselect_b64 s[0:1], -1, 0
	s_and_b64 s[36:37], s[0:1], vcc
	s_mov_b64 s[0:1], -1
                                        ; implicit-def: $sgpr30_sgpr31
                                        ; implicit-def: $sgpr40_sgpr41
	s_and_saveexec_b64 s[86:87], s[36:37]
	s_cbranch_execz .LBB119_290
; %bb.255:                              ;   in Loop: Header=BB119_45 Depth=1
	ds_read_b64 v[4:5], v23 offset:5120
	s_waitcnt lgkmcnt(0)
	s_barrier
	v_readfirstlane_b32 s56, v4
	v_readfirstlane_b32 s57, v5
	s_mov_b64 s[0:1], exec
	v_readlane_b32 s2, v58, 12
	v_readlane_b32 s3, v58, 13
	s_and_b64 s[2:3], s[0:1], s[2:3]
	s_mov_b64 exec, s[2:3]
; %bb.256:                              ;   in Loop: Header=BB119_45 Depth=1
	v_mov_b32_e32 v22, v23
	ds_write_b64 v48, v[22:23]
; %bb.257:                              ;   in Loop: Header=BB119_45 Depth=1
	s_or_b64 exec, exec, s[0:1]
	v_or_b32_e32 v33, s13, v33
	v_or_b32_e32 v32, s12, v32
	;; [unrolled: 1-line block ×4, first 2 shown]
	s_mov_b64 s[40:41], -1
	s_mov_b64 s[30:31], 0
	s_cmp_eq_u64 s[56:57], 0
	s_mov_b64 s[60:61], 0
	s_mov_b64 s[58:59], -1
	s_waitcnt lgkmcnt(0)
	s_barrier
                                        ; implicit-def: $vgpr6_vgpr7
	s_cbranch_scc1 .LBB119_274
; %bb.258:                              ;   in Loop: Header=BB119_45 Depth=1
	v_writelane_b32 v58, s36, 30
	v_writelane_b32 v58, s37, 31
	s_add_u32 s8, s56, s65
	v_readlane_b32 s0, v58, 18
	s_addc_u32 s61, s57, s0
	s_mov_b32 s60, s45
	s_cmp_lg_u64 s[60:61], 0
	s_cbranch_scc0 .LBB119_309
; %bb.259:                              ;   in Loop: Header=BB119_45 Depth=1
	v_cvt_f32_u32_e32 v2, s33
	s_sub_u32 s2, 0, s33
	s_subb_u32 s3, 0, 0
	v_mac_f32_e32 v2, 0, v55
	v_rcp_f32_e32 v2, v2
	v_mul_f32_e32 v2, 0x5f7ffffc, v2
	v_mul_f32_e32 v4, 0x2f800000, v2
	v_trunc_f32_e32 v4, v4
	v_mac_f32_e32 v2, 0xcf800000, v4
	v_cvt_u32_f32_e32 v4, v4
	v_cvt_u32_f32_e32 v2, v2
	v_readfirstlane_b32 s9, v4
	v_readfirstlane_b32 s0, v2
	s_mul_i32 s1, s2, s9
	s_mul_hi_u32 s37, s2, s0
	s_mul_i32 s36, s3, s0
	s_add_i32 s1, s37, s1
	s_mul_i32 s44, s2, s0
	s_add_i32 s1, s1, s36
	s_mul_hi_u32 s37, s0, s44
	s_mul_i32 s52, s0, s1
	s_mul_hi_u32 s36, s0, s1
	s_add_u32 s37, s37, s52
	s_addc_u32 s36, 0, s36
	s_mul_hi_u32 s58, s9, s44
	s_mul_i32 s44, s9, s44
	s_add_u32 s37, s37, s44
	s_mul_hi_u32 s52, s9, s1
	s_addc_u32 s36, s36, s58
	s_addc_u32 s37, s52, 0
	s_mul_i32 s1, s9, s1
	s_add_u32 s1, s36, s1
	s_addc_u32 s36, 0, s37
	s_add_u32 s37, s0, s1
	s_cselect_b64 s[0:1], -1, 0
	s_cmp_lg_u64 s[0:1], 0
	s_addc_u32 s9, s9, s36
	s_mul_i32 s0, s2, s9
	s_mul_hi_u32 s1, s2, s37
	s_add_i32 s0, s1, s0
	s_mul_i32 s3, s3, s37
	s_add_i32 s0, s0, s3
	s_mul_i32 s2, s2, s37
	s_mul_hi_u32 s3, s9, s2
	s_mul_i32 s36, s9, s2
	s_mul_i32 s52, s37, s0
	s_mul_hi_u32 s2, s37, s2
	s_mul_hi_u32 s44, s37, s0
	s_add_u32 s2, s2, s52
	s_addc_u32 s44, 0, s44
	s_add_u32 s2, s2, s36
	s_mul_hi_u32 s1, s9, s0
	s_addc_u32 s2, s44, s3
	s_addc_u32 s1, s1, 0
	s_mul_i32 s0, s9, s0
	s_add_u32 s0, s2, s0
	s_addc_u32 s2, 0, s1
	s_add_u32 s3, s37, s0
	s_cselect_b64 s[0:1], -1, 0
	s_cmp_lg_u64 s[0:1], 0
	s_addc_u32 s0, s9, s2
	s_mul_i32 s2, s8, s0
	s_mul_hi_u32 s9, s8, s3
	s_mul_hi_u32 s1, s8, s0
	s_add_u32 s2, s9, s2
	s_addc_u32 s1, 0, s1
	s_mul_hi_u32 s36, s61, s3
	s_mul_i32 s3, s61, s3
	s_add_u32 s2, s2, s3
	s_mul_hi_u32 s9, s61, s0
	s_addc_u32 s1, s1, s36
	s_addc_u32 s2, s9, 0
	s_mul_i32 s0, s61, s0
	s_add_u32 s0, s1, s0
	s_addc_u32 s1, 0, s2
	s_mul_i32 s1, s33, s1
	s_mul_hi_u32 s2, s33, s0
	s_add_i32 s2, s2, s1
	s_mul_i32 s0, s33, s0
	s_sub_u32 s3, s8, s0
	s_cselect_b64 s[0:1], -1, 0
	s_cmp_lg_u64 s[0:1], 0
	s_subb_u32 s2, s61, s2
	s_sub_u32 s9, s3, s33
	s_cselect_b64 s[0:1], -1, 0
	s_cmp_lg_u64 s[0:1], 0
	s_subb_u32 s36, s2, 0
	;; [unrolled: 4-line block ×3, first 2 shown]
	s_cmp_ge_u32 s9, s33
	s_cselect_b32 s1, -1, 0
	s_cmp_eq_u32 s36, 0
	s_cselect_b32 s1, s1, -1
	s_cmp_lg_u32 s1, 0
	s_cselect_b32 s0, s0, s36
	s_cselect_b32 s9, s37, s9
	s_cmp_ge_u32 s3, s33
	s_cselect_b32 s1, -1, 0
	s_cmp_eq_u32 s2, 0
	s_cselect_b32 s1, s1, -1
	s_cmp_lg_u32 s1, 0
	s_cselect_b32 s1, s0, s2
	s_cselect_b32 s0, s9, s3
	s_cbranch_execnz .LBB119_261
.LBB119_260:                            ;   in Loop: Header=BB119_45 Depth=1
	v_cvt_f32_u32_e32 v2, s33
	s_sub_i32 s0, 0, s33
	v_rcp_iflag_f32_e32 v2, v2
	v_mul_f32_e32 v2, 0x4f7ffffe, v2
	v_cvt_u32_f32_e32 v2, v2
	v_readfirstlane_b32 s1, v2
	s_mul_i32 s0, s0, s1
	s_mul_hi_u32 s0, s1, s0
	s_add_i32 s1, s1, s0
	s_mul_hi_u32 s0, s8, s1
	s_mul_i32 s0, s0, s33
	s_sub_i32 s0, s8, s0
	s_sub_i32 s1, s0, s33
	s_cmp_ge_u32 s0, s33
	s_cselect_b32 s0, s1, s0
	s_sub_i32 s1, s0, s33
	s_cmp_ge_u32 s0, s33
	s_cselect_b32 s44, s1, s0
	s_mov_b64 s[0:1], s[44:45]
.LBB119_261:                            ;   in Loop: Header=BB119_45 Depth=1
	s_sub_u32 s8, s8, s0
	s_subb_u32 s9, s61, s1
	v_cmp_gt_u64_e32 vcc, s[8:9], v[0:1]
	s_mov_b64 s[58:59], 0
	s_mov_b64 s[60:61], 0
                                        ; implicit-def: $vgpr6_vgpr7
	s_and_saveexec_b64 s[0:1], vcc
	s_cbranch_execz .LBB119_273
; %bb.262:                              ;   in Loop: Header=BB119_45 Depth=1
	v_mov_b32_e32 v9, v1
	v_mov_b32_e32 v12, v47
	;; [unrolled: 1-line block ×3, first 2 shown]
                                        ; implicit-def: $sgpr2_sgpr3
	s_branch .LBB119_266
.LBB119_263:                            ;   in Loop: Header=BB119_266 Depth=2
	s_or_b64 exec, exec, s[36:37]
	s_waitcnt lgkmcnt(0)
	s_barrier
	ds_read_b128 v[4:7], v23 offset:3072
	s_waitcnt lgkmcnt(0)
	s_barrier
	v_cmp_neq_f64_e32 vcc, 0, v[4:5]
	s_cbranch_vccnz .LBB119_269
; %bb.264:                              ;   in Loop: Header=BB119_266 Depth=2
	v_add_co_u32_e32 v8, vcc, s33, v8
	v_addc_co_u32_e32 v9, vcc, 0, v9, vcc
	v_cmp_le_u64_e32 vcc, s[8:9], v[8:9]
	v_add_u32_e32 v12, s16, v12
	s_mov_b64 s[36:37], 0
	s_orn2_b64 vcc, vcc, exec
.LBB119_265:                            ;   in Loop: Header=BB119_266 Depth=2
	s_and_b64 vcc, exec, vcc
	s_or_b64 s[60:61], vcc, s[60:61]
	s_andn2_b64 s[2:3], s[2:3], exec
	s_and_b64 s[36:37], s[36:37], exec
	s_or_b64 s[2:3], s[2:3], s[36:37]
	s_andn2_b64 exec, exec, s[60:61]
	s_cbranch_execz .LBB119_272
.LBB119_266:                            ;   Parent Loop BB119_45 Depth=1
                                        ; =>  This Inner Loop Header: Depth=2
	v_cmp_gt_u64_e32 vcc, s[56:57], v[8:9]
	s_and_saveexec_b64 s[36:37], vcc
	s_cbranch_execz .LBB119_263
; %bb.267:                              ;   in Loop: Header=BB119_266 Depth=2
	ds_read_b64 v[4:5], v12
	s_waitcnt lgkmcnt(0)
	v_cmp_o_f64_e32 vcc, v[4:5], v[4:5]
	v_ashrrev_i32_e32 v2, 31, v5
	v_or_b32_e32 v6, 0x80000000, v2
	v_xor_b32_e32 v6, v6, v5
	v_xor_b32_e32 v2, v2, v4
	v_cndmask_b32_e32 v6, -1, v6, vcc
	v_cndmask_b32_e32 v2, -1, v2, vcc
	v_and_b32_e32 v7, v6, v35
	v_and_b32_e32 v6, v2, v34
	v_cmp_eq_u64_e32 vcc, v[6:7], v[32:33]
	s_and_b64 exec, exec, vcc
	s_cbranch_execz .LBB119_263
; %bb.268:                              ;   in Loop: Header=BB119_266 Depth=2
	v_mov_b32_e32 v2, v23
	ds_write_b128 v23, v[2:5] offset:3072
	s_branch .LBB119_263
.LBB119_269:                            ;   in Loop: Header=BB119_266 Depth=2
	s_mov_b64 vcc, -1
                                        ; implicit-def: $vgpr8_vgpr9
                                        ; implicit-def: $vgpr12
	s_mov_b64 s[36:37], -1
	s_branch .LBB119_265
.LBB119_270:                            ;   in Loop: Header=BB119_45 Depth=1
                                        ; implicit-def: $sgpr0_sgpr1
	s_branch .LBB119_213
.LBB119_271:                            ;   in Loop: Header=BB119_45 Depth=1
                                        ; implicit-def: $sgpr0_sgpr1
	s_branch .LBB119_230
.LBB119_272:                            ;   in Loop: Header=BB119_45 Depth=1
	s_or_b64 exec, exec, s[60:61]
	s_and_b64 s[60:61], s[2:3], exec
.LBB119_273:                            ;   in Loop: Header=BB119_45 Depth=1
	s_or_b64 exec, exec, s[0:1]
	v_readlane_b32 s36, v58, 30
	v_readlane_b32 s37, v58, 31
.LBB119_274:                            ;   in Loop: Header=BB119_45 Depth=1
	s_and_b64 vcc, exec, s[58:59]
	s_cbranch_vccz .LBB119_289
; %bb.275:                              ;   in Loop: Header=BB119_45 Depth=1
	s_mov_b32 s52, s45
	s_cmp_lg_u64 s[52:53], 0
	s_cbranch_scc0 .LBB119_310
; %bb.276:                              ;   in Loop: Header=BB119_45 Depth=1
	v_cvt_f32_u32_e32 v2, s33
	s_sub_u32 s2, 0, s33
	s_subb_u32 s3, 0, 0
	s_mov_b64 s[40:41], s[36:37]
	v_mac_f32_e32 v2, 0, v55
	v_rcp_f32_e32 v2, v2
	v_mul_f32_e32 v2, 0x5f7ffffc, v2
	v_mul_f32_e32 v4, 0x2f800000, v2
	v_trunc_f32_e32 v4, v4
	v_mac_f32_e32 v2, 0xcf800000, v4
	v_cvt_u32_f32_e32 v4, v4
	v_cvt_u32_f32_e32 v2, v2
	v_readfirstlane_b32 s8, v4
	v_readfirstlane_b32 s0, v2
	s_mul_i32 s1, s2, s8
	s_mul_hi_u32 s30, s2, s0
	s_mul_i32 s9, s3, s0
	s_add_i32 s1, s30, s1
	s_mul_i32 s31, s2, s0
	s_add_i32 s1, s1, s9
	s_mul_hi_u32 s30, s0, s31
	s_mul_i32 s36, s0, s1
	s_mul_hi_u32 s9, s0, s1
	s_add_u32 s30, s30, s36
	s_addc_u32 s9, 0, s9
	s_mul_hi_u32 s37, s8, s31
	s_mul_i32 s31, s8, s31
	s_add_u32 s30, s30, s31
	s_mul_hi_u32 s36, s8, s1
	s_addc_u32 s9, s9, s37
	s_addc_u32 s30, s36, 0
	s_mul_i32 s1, s8, s1
	s_add_u32 s1, s9, s1
	s_addc_u32 s9, 0, s30
	s_add_u32 s30, s0, s1
	s_cselect_b64 s[0:1], -1, 0
	s_cmp_lg_u64 s[0:1], 0
	s_addc_u32 s8, s8, s9
	s_mul_i32 s0, s2, s8
	s_mul_hi_u32 s1, s2, s30
	s_add_i32 s0, s1, s0
	s_mul_i32 s3, s3, s30
	s_add_i32 s0, s0, s3
	s_mul_i32 s2, s2, s30
	s_mul_hi_u32 s3, s8, s2
	s_mul_i32 s9, s8, s2
	s_mul_i32 s36, s30, s0
	s_mul_hi_u32 s2, s30, s2
	s_mul_hi_u32 s31, s30, s0
	s_add_u32 s2, s2, s36
	s_addc_u32 s31, 0, s31
	s_add_u32 s2, s2, s9
	s_mul_hi_u32 s1, s8, s0
	s_addc_u32 s2, s31, s3
	s_addc_u32 s1, s1, 0
	s_mul_i32 s0, s8, s0
	s_add_u32 s0, s2, s0
	s_addc_u32 s2, 0, s1
	s_add_u32 s3, s30, s0
	s_cselect_b64 s[0:1], -1, 0
	s_cmp_lg_u64 s[0:1], 0
	s_addc_u32 s0, s8, s2
	s_mul_i32 s2, s50, s0
	s_mul_hi_u32 s8, s50, s3
	s_mul_hi_u32 s1, s50, s0
	s_add_u32 s2, s8, s2
	s_addc_u32 s1, 0, s1
	s_mul_hi_u32 s9, s53, s3
	s_mul_i32 s3, s53, s3
	s_add_u32 s2, s2, s3
	s_mul_hi_u32 s8, s53, s0
	s_addc_u32 s1, s1, s9
	s_addc_u32 s2, s8, 0
	s_mul_i32 s0, s53, s0
	s_add_u32 s0, s1, s0
	s_addc_u32 s1, 0, s2
	s_mul_i32 s1, s33, s1
	s_mul_hi_u32 s2, s33, s0
	s_add_i32 s2, s2, s1
	s_mul_i32 s0, s33, s0
	s_sub_u32 s3, s50, s0
	s_cselect_b64 s[0:1], -1, 0
	s_cmp_lg_u64 s[0:1], 0
	s_subb_u32 s2, s53, s2
	s_sub_u32 s8, s3, s33
	s_cselect_b64 s[0:1], -1, 0
	s_cmp_lg_u64 s[0:1], 0
	s_subb_u32 s9, s2, 0
	s_sub_u32 s30, s8, s33
	s_cselect_b64 s[0:1], -1, 0
	s_cmp_lg_u64 s[0:1], 0
	s_subb_u32 s0, s9, 0
	s_cmp_ge_u32 s8, s33
	s_cselect_b32 s1, -1, 0
	s_cmp_eq_u32 s9, 0
	s_cselect_b32 s1, s1, -1
	s_cmp_lg_u32 s1, 0
	s_cselect_b32 s0, s0, s9
	s_cselect_b32 s8, s30, s8
	s_cmp_ge_u32 s3, s33
	s_cselect_b32 s1, -1, 0
	s_cmp_eq_u32 s2, 0
	s_cselect_b32 s1, s1, -1
	s_cmp_lg_u32 s1, 0
	s_mov_b64 s[36:37], s[40:41]
	s_cselect_b32 s1, s0, s2
	s_cselect_b32 s0, s8, s3
	s_cbranch_execnz .LBB119_278
.LBB119_277:                            ;   in Loop: Header=BB119_45 Depth=1
	v_cvt_f32_u32_e32 v2, s33
	s_sub_i32 s0, 0, s33
	v_rcp_iflag_f32_e32 v2, v2
	v_mul_f32_e32 v2, 0x4f7ffffe, v2
	v_cvt_u32_f32_e32 v2, v2
	v_readfirstlane_b32 s1, v2
	s_mul_i32 s0, s0, s1
	s_mul_hi_u32 s0, s1, s0
	s_add_i32 s1, s1, s0
	s_mul_hi_u32 s0, s50, s1
	s_mul_i32 s0, s0, s33
	s_sub_i32 s0, s50, s0
	s_sub_i32 s1, s0, s33
	s_cmp_ge_u32 s0, s33
	s_cselect_b32 s0, s1, s0
	s_sub_i32 s1, s0, s33
	s_cmp_ge_u32 s0, s33
	s_cselect_b32 s44, s1, s0
	s_mov_b64 s[0:1], s[44:45]
.LBB119_278:                            ;   in Loop: Header=BB119_45 Depth=1
	s_sub_u32 s40, s50, s0
	s_subb_u32 s41, s53, s1
	v_cmp_gt_u64_e32 vcc, s[40:41], v[0:1]
                                        ; implicit-def: $vgpr6_vgpr7
	s_and_saveexec_b64 s[30:31], vcc
	s_cbranch_execz .LBB119_288
; %bb.279:                              ;   in Loop: Header=BB119_45 Depth=1
	v_mov_b32_e32 v8, v16
	v_mov_b32_e32 v13, v1
	s_mov_b64 s[56:57], s[36:37]
	s_mov_b64 s[0:1], 0
	v_mov_b32_e32 v9, v17
	v_mov_b32_e32 v12, v0
                                        ; implicit-def: $sgpr8_sgpr9
	s_branch .LBB119_283
.LBB119_280:                            ;   in Loop: Header=BB119_283 Depth=2
	s_or_b64 exec, exec, s[2:3]
	s_waitcnt lgkmcnt(0)
	s_barrier
	ds_read_b128 v[4:7], v23 offset:3072
	s_waitcnt lgkmcnt(0)
	s_barrier
	v_cmp_eq_f64_e32 vcc, 0, v[4:5]
	s_cbranch_vccz .LBB119_286
; %bb.281:                              ;   in Loop: Header=BB119_283 Depth=2
	v_add_co_u32_e32 v12, vcc, s33, v12
	v_addc_co_u32_e32 v13, vcc, 0, v13, vcc
	v_mov_b32_e32 v2, s49
	v_add_co_u32_e32 v8, vcc, s48, v8
	v_addc_co_u32_e32 v9, vcc, v9, v2, vcc
	v_cmp_le_u64_e32 vcc, s[40:41], v[12:13]
	s_mov_b64 s[2:3], 0
	s_orn2_b64 s[36:37], vcc, exec
.LBB119_282:                            ;   in Loop: Header=BB119_283 Depth=2
	s_and_b64 s[36:37], exec, s[36:37]
	s_or_b64 s[0:1], s[36:37], s[0:1]
	s_andn2_b64 s[8:9], s[8:9], exec
	s_and_b64 s[2:3], s[2:3], exec
	s_or_b64 s[8:9], s[8:9], s[2:3]
	s_andn2_b64 exec, exec, s[0:1]
	s_cbranch_execz .LBB119_287
.LBB119_283:                            ;   Parent Loop BB119_45 Depth=1
                                        ; =>  This Inner Loop Header: Depth=2
	v_cmp_gt_u64_e32 vcc, s[20:21], v[12:13]
	s_and_saveexec_b64 s[2:3], vcc
	s_cbranch_execz .LBB119_280
; %bb.284:                              ;   in Loop: Header=BB119_283 Depth=2
	global_load_dwordx2 v[4:5], v[8:9], off
	s_waitcnt vmcnt(0)
	v_cmp_o_f64_e32 vcc, v[4:5], v[4:5]
	v_ashrrev_i32_e32 v2, 31, v5
	v_or_b32_e32 v6, 0x80000000, v2
	v_xor_b32_e32 v6, v6, v5
	v_xor_b32_e32 v2, v2, v4
	v_cndmask_b32_e32 v6, -1, v6, vcc
	v_cndmask_b32_e32 v2, -1, v2, vcc
	v_and_b32_e32 v7, v6, v35
	v_and_b32_e32 v6, v2, v34
	v_cmp_eq_u64_e32 vcc, v[6:7], v[32:33]
	s_and_b64 exec, exec, vcc
	s_cbranch_execz .LBB119_280
; %bb.285:                              ;   in Loop: Header=BB119_283 Depth=2
	v_mov_b32_e32 v2, v23
	ds_write_b128 v23, v[2:5] offset:3072
	s_branch .LBB119_280
.LBB119_286:                            ;   in Loop: Header=BB119_283 Depth=2
	s_mov_b64 s[36:37], -1
                                        ; implicit-def: $vgpr12_vgpr13
                                        ; implicit-def: $vgpr8_vgpr9
	s_mov_b64 s[2:3], -1
	s_branch .LBB119_282
.LBB119_287:                            ;   in Loop: Header=BB119_45 Depth=1
	s_or_b64 exec, exec, s[0:1]
	s_andn2_b64 s[0:1], s[60:61], exec
	s_and_b64 s[2:3], s[8:9], exec
	s_or_b64 s[60:61], s[0:1], s[2:3]
	s_mov_b64 s[36:37], s[56:57]
.LBB119_288:                            ;   in Loop: Header=BB119_45 Depth=1
	s_or_b64 exec, exec, s[30:31]
	s_mov_b64 s[40:41], 0
	s_mov_b64 s[30:31], -1
.LBB119_289:                            ;   in Loop: Header=BB119_45 Depth=1
	s_orn2_b64 s[0:1], s[60:61], exec
.LBB119_290:                            ;   in Loop: Header=BB119_45 Depth=1
	s_or_b64 exec, exec, s[86:87]
	s_mov_b64 s[2:3], 0
	s_and_saveexec_b64 s[56:57], s[0:1]
	s_cbranch_execz .LBB119_301
; %bb.291:                              ;   in Loop: Header=BB119_45 Depth=1
	v_mov_b32_e32 v4, 1
	s_xor_b64 s[0:1], s[36:37], -1
	v_mov_b32_e32 v5, 0
	v_mov_b32_e32 v38, 1
	s_and_saveexec_b64 s[36:37], s[0:1]
	s_cbranch_execz .LBB119_300
; %bb.292:                              ;   in Loop: Header=BB119_45 Depth=1
	v_cmp_ge_u64_e32 vcc, s[10:11], v[10:11]
	s_and_saveexec_b64 s[0:1], vcc
	s_xor_b64 s[0:1], exec, s[0:1]
	s_cbranch_execz .LBB119_297
; %bb.293:                              ;   in Loop: Header=BB119_45 Depth=1
	ds_read_b64 v[4:5], v23 offset:5120
	v_or_b32_e32 v33, s13, v33
	v_or_b32_e32 v32, s12, v32
	;; [unrolled: 1-line block ×4, first 2 shown]
	s_waitcnt lgkmcnt(0)
	v_cmp_ne_u64_e32 vcc, 0, v[4:5]
	s_cbranch_vccnz .LBB119_297
; %bb.294:                              ;   in Loop: Header=BB119_45 Depth=1
	s_mov_b64 s[2:3], exec
	v_readlane_b32 s8, v58, 10
	v_readlane_b32 s9, v58, 11
	s_and_b64 s[8:9], s[2:3], s[8:9]
	s_mov_b64 exec, s[8:9]
; %bb.295:                              ;   in Loop: Header=BB119_45 Depth=1
	v_mov_b32_e32 v4, s10
	v_mov_b32_e32 v5, s11
	ds_write_b64 v23, v[4:5] offset:5128
; %bb.296:                              ;   in Loop: Header=BB119_45 Depth=1
	s_or_b64 exec, exec, s[2:3]
	s_waitcnt lgkmcnt(0)
	s_barrier
.LBB119_297:                            ;   in Loop: Header=BB119_45 Depth=1
	s_andn2_saveexec_b64 s[0:1], s[0:1]
; %bb.298:                              ;   in Loop: Header=BB119_45 Depth=1
	v_mov_b32_e32 v2, s11
	v_subrev_co_u32_e32 v10, vcc, s10, v10
	v_subb_co_u32_e32 v11, vcc, v11, v2, vcc
; %bb.299:                              ;   in Loop: Header=BB119_45 Depth=1
	s_or_b64 exec, exec, s[0:1]
	v_mov_b32_e32 v4, v10
	v_mov_b32_e32 v38, 8
	;; [unrolled: 1-line block ×3, first 2 shown]
.LBB119_300:                            ;   in Loop: Header=BB119_45 Depth=1
	s_or_b64 exec, exec, s[36:37]
	v_mov_b32_e32 v11, v5
	s_mov_b64 s[2:3], exec
	v_mov_b32_e32 v10, v4
.LBB119_301:                            ;   in Loop: Header=BB119_45 Depth=1
	s_or_b64 exec, exec, s[56:57]
	s_orn2_b64 s[0:1], s[2:3], exec
.LBB119_302:                            ;   in Loop: Header=BB119_45 Depth=1
	s_or_b64 exec, exec, s[82:83]
	s_andn2_b64 s[2:3], s[94:95], exec
	s_and_b64 s[8:9], s[30:31], exec
	s_or_b64 s[94:95], s[2:3], s[8:9]
	s_andn2_b64 s[2:3], s[92:93], exec
	s_and_b64 s[8:9], s[40:41], exec
	v_mov_b32_e32 v8, v10
	s_or_b64 s[92:93], s[2:3], s[8:9]
	s_and_b64 s[2:3], s[0:1], exec
	v_mov_b32_e32 v9, v11
.LBB119_303:                            ;   in Loop: Header=BB119_45 Depth=1
	s_or_b64 exec, exec, s[38:39]
	s_orn2_b64 s[0:1], s[2:3], exec
.LBB119_304:                            ;   in Loop: Header=BB119_45 Depth=1
	s_or_b64 exec, exec, s[90:91]
	s_andn2_b64 s[2:3], s[84:85], exec
	s_and_b64 s[8:9], s[94:95], exec
	s_or_b64 s[84:85], s[2:3], s[8:9]
	s_andn2_b64 s[2:3], s[6:7], exec
	s_and_b64 s[6:7], s[92:93], exec
	v_mov_b32_e32 v13, v9
	s_or_b64 s[6:7], s[2:3], s[6:7]
	s_and_b64 s[2:3], s[0:1], exec
	v_mov_b32_e32 v12, v8
.LBB119_305:                            ;   in Loop: Header=BB119_45 Depth=1
	s_or_b64 exec, exec, s[88:89]
	s_orn2_b64 s[0:1], s[2:3], exec
.LBB119_306:                            ;   in Loop: Header=BB119_45 Depth=1
	s_or_b64 exec, exec, s[80:81]
	s_mov_b64 s[2:3], 0
	s_and_saveexec_b64 s[8:9], s[0:1]
	s_xor_b64 s[0:1], exec, s[8:9]
	s_cbranch_execz .LBB119_43
; %bb.307:                              ;   in Loop: Header=BB119_45 Depth=1
	v_and_b32_e32 v2, 7, v38
	v_cmp_eq_u32_e32 vcc, 0, v2
	s_mov_b64 s[8:9], -1
	s_mov_b64 s[2:3], -1
	s_and_saveexec_b64 s[10:11], vcc
	s_cbranch_execz .LBB119_42
; %bb.308:                              ;   in Loop: Header=BB119_45 Depth=1
	s_xor_b32 s64, s64, 1
	s_add_i32 s12, s17, -2
	s_cmp_eq_u32 s17, 0
	s_cselect_b64 s[8:9], -1, 0
	s_xor_b64 s[2:3], exec, -1
	s_orn2_b64 s[8:9], s[8:9], exec
	s_mov_b32 s17, s12
	s_branch .LBB119_42
.LBB119_309:                            ;   in Loop: Header=BB119_45 Depth=1
                                        ; implicit-def: $sgpr0_sgpr1
	s_branch .LBB119_260
.LBB119_310:                            ;   in Loop: Header=BB119_45 Depth=1
                                        ; implicit-def: $sgpr0_sgpr1
	s_branch .LBB119_277
.LBB119_311:
	s_or_b64 exec, exec, s[66:67]
	s_xor_b64 s[4:5], s[72:73], -1
	s_xor_b64 s[2:3], s[68:69], -1
	;; [unrolled: 1-line block ×3, first 2 shown]
	s_mov_b64 s[0:1], 0
	s_and_saveexec_b64 s[8:9], s[2:3]
	s_xor_b64 s[2:3], exec, s[8:9]
	s_cbranch_execnz .LBB119_316
; %bb.312:
	s_andn2_saveexec_b64 s[2:3], s[2:3]
	s_cbranch_execnz .LBB119_329
.LBB119_313:
	s_or_b64 exec, exec, s[2:3]
	s_and_saveexec_b64 s[2:3], s[0:1]
.LBB119_314:
	; divergent unreachable
.LBB119_315:
	s_endpgm
.LBB119_316:
	s_and_saveexec_b64 s[0:1], s[4:5]
	s_xor_b64 s[4:5], exec, s[0:1]
	s_cbranch_execz .LBB119_327
; %bb.317:
	s_and_saveexec_b64 s[0:1], s[6:7]
	s_xor_b64 s[0:1], exec, s[0:1]
; %bb.318:
	v_lshrrev_b32_e32 v2, 31, v33
	v_add_co_u32_e32 v2, vcc, -1, v2
	v_addc_co_u32_e64 v3, s[6:7], 0, -1, vcc
	v_or_b32_e32 v3, 0x80000000, v3
	v_xor_b32_e32 v7, v3, v33
	v_xor_b32_e32 v6, v2, v32
; %bb.319:
	s_or_b64 exec, exec, s[0:1]
	v_readlane_b32 s6, v58, 0
	v_readlane_b32 s7, v58, 1
	s_mul_i32 s0, s6, s29
	s_mul_hi_u32 s1, s6, s28
	s_add_i32 s0, s1, s0
	s_mul_i32 s1, s7, s28
	s_add_i32 s1, s0, s1
	s_mul_i32 s0, s6, s28
	s_lshl_b64 s[0:1], s[0:1], 3
	v_readlane_b32 s6, v58, 4
	v_readlane_b32 s7, v58, 5
	s_add_u32 s6, s6, s0
	s_addc_u32 s7, s7, s1
	s_lshl_b64 s[0:1], s[22:23], 3
	s_add_u32 s0, s6, s0
	s_addc_u32 s1, s7, s1
	v_mov_b32_e32 v2, 0
	global_store_dwordx2 v2, v[6:7], s[0:1]
	s_mov_b64 s[6:7], exec
	v_readlane_b32 s0, v58, 8
	v_readlane_b32 s1, v58, 9
	s_and_b64 s[0:1], s[6:7], s[0:1]
	s_mov_b64 exec, s[0:1]
	s_cbranch_execz .LBB119_326
; %bb.320:
	v_cmp_u_f64_e32 vcc, v[6:7], v[6:7]
	s_mov_b64 s[8:9], 0
                                        ; implicit-def: $sgpr10_sgpr11
                                        ; implicit-def: $sgpr16_sgpr17
                                        ; implicit-def: $sgpr14_sgpr15
	s_xor_b64 s[12:13], vcc, -1
	s_branch .LBB119_322
.LBB119_321:                            ;   in Loop: Header=BB119_322 Depth=1
	s_or_b64 exec, exec, s[0:1]
	s_and_b64 s[0:1], exec, s[16:17]
	s_or_b64 s[8:9], s[0:1], s[8:9]
	s_andn2_b64 s[0:1], s[10:11], exec
	s_and_b64 s[10:11], s[14:15], exec
	s_or_b64 s[10:11], s[0:1], s[10:11]
	s_andn2_b64 exec, exec, s[8:9]
	s_cbranch_execz .LBB119_324
.LBB119_322:                            ; =>This Inner Loop Header: Depth=1
	global_load_dwordx2 v[2:3], v[16:17], off
	s_or_b64 s[14:15], s[14:15], exec
	s_or_b64 s[16:17], s[16:17], exec
	s_waitcnt vmcnt(0)
	v_cmp_o_f64_e32 vcc, v[2:3], v[2:3]
	v_cmp_neq_f64_e64 s[0:1], v[2:3], v[6:7]
	v_mov_b32_e32 v3, v1
	v_mov_b32_e32 v2, v0
                                        ; implicit-def: $vgpr0_vgpr1
	s_or_b64 s[18:19], vcc, s[12:13]
	s_and_b64 s[18:19], s[0:1], s[18:19]
	s_and_saveexec_b64 s[0:1], s[18:19]
	s_cbranch_execz .LBB119_321
; %bb.323:                              ;   in Loop: Header=BB119_322 Depth=1
	v_add_co_u32_e32 v0, vcc, s33, v2
	v_addc_co_u32_e32 v1, vcc, 0, v3, vcc
	v_mov_b32_e32 v4, s49
	v_add_co_u32_e32 v16, vcc, s48, v16
	v_addc_co_u32_e32 v17, vcc, v17, v4, vcc
	v_cmp_le_u64_e32 vcc, s[20:21], v[0:1]
	s_andn2_b64 s[16:17], s[16:17], exec
	s_and_b64 s[18:19], vcc, exec
	s_andn2_b64 s[14:15], s[14:15], exec
	s_or_b64 s[16:17], s[16:17], s[18:19]
	s_branch .LBB119_321
.LBB119_324:
	s_or_b64 exec, exec, s[8:9]
	s_and_saveexec_b64 s[0:1], s[10:11]
	s_xor_b64 s[0:1], exec, s[0:1]
	s_cbranch_execz .LBB119_326
; %bb.325:
	v_readlane_b32 s8, v58, 2
	v_readlane_b32 s9, v58, 3
	s_mul_i32 s0, s8, s35
	s_mul_hi_u32 s1, s8, s34
	s_add_i32 s0, s1, s0
	s_mul_i32 s1, s9, s34
	s_add_i32 s1, s0, s1
	s_mul_i32 s0, s8, s34
	s_lshl_b64 s[0:1], s[0:1], 3
	v_readlane_b32 s8, v58, 6
	v_readlane_b32 s9, v58, 7
	s_add_u32 s8, s8, s0
	s_addc_u32 s9, s9, s1
	s_lshl_b64 s[0:1], s[26:27], 3
	s_add_u32 s0, s8, s0
	s_addc_u32 s1, s9, s1
	v_mov_b32_e32 v0, 0
	global_store_dwordx2 v0, v[2:3], s[0:1]
.LBB119_326:
	s_or_b64 exec, exec, s[6:7]
.LBB119_327:
	s_or_saveexec_b64 s[0:1], s[4:5]
	s_mov_b64 s[4:5], 0
	s_xor_b64 exec, exec, s[0:1]
	s_cbranch_execnz .LBB119_330
.LBB119_328:
	s_or_b64 exec, exec, s[0:1]
	s_and_b64 s[0:1], s[4:5], exec
	s_andn2_saveexec_b64 s[2:3], s[2:3]
	s_cbranch_execz .LBB119_313
.LBB119_329:
	s_or_b64 s[0:1], s[0:1], exec
	s_trap 2
	s_or_b64 exec, exec, s[2:3]
	s_and_saveexec_b64 s[2:3], s[0:1]
	s_cbranch_execnz .LBB119_314
	s_branch .LBB119_315
.LBB119_330:
	s_mov_b64 s[4:5], exec
	s_trap 2
	s_branch .LBB119_328
	.section	.rodata,"a",@progbits
	.p2align	6, 0x0
	.amdhsa_kernel _ZN2at6native12_GLOBAL__N_112gatherMedianIdmLin1EEEvNS_4cuda6detail10TensorInfoIT_T0_EENS5_IlS7_EENS5_IKS6_S7_EES7_S7_S7_b
		.amdhsa_group_segment_fixed_size 5152
		.amdhsa_private_segment_fixed_size 0
		.amdhsa_kernarg_size 1536
		.amdhsa_user_sgpr_count 6
		.amdhsa_user_sgpr_private_segment_buffer 1
		.amdhsa_user_sgpr_dispatch_ptr 0
		.amdhsa_user_sgpr_queue_ptr 0
		.amdhsa_user_sgpr_kernarg_segment_ptr 1
		.amdhsa_user_sgpr_dispatch_id 0
		.amdhsa_user_sgpr_flat_scratch_init 0
		.amdhsa_user_sgpr_private_segment_size 0
		.amdhsa_uses_dynamic_stack 0
		.amdhsa_system_sgpr_private_segment_wavefront_offset 0
		.amdhsa_system_sgpr_workgroup_id_x 1
		.amdhsa_system_sgpr_workgroup_id_y 1
		.amdhsa_system_sgpr_workgroup_id_z 1
		.amdhsa_system_sgpr_workgroup_info 0
		.amdhsa_system_vgpr_workitem_id 0
		.amdhsa_next_free_vgpr 59
		.amdhsa_next_free_sgpr 96
		.amdhsa_reserve_vcc 1
		.amdhsa_reserve_flat_scratch 0
		.amdhsa_float_round_mode_32 0
		.amdhsa_float_round_mode_16_64 0
		.amdhsa_float_denorm_mode_32 3
		.amdhsa_float_denorm_mode_16_64 3
		.amdhsa_dx10_clamp 1
		.amdhsa_ieee_mode 1
		.amdhsa_fp16_overflow 0
		.amdhsa_exception_fp_ieee_invalid_op 0
		.amdhsa_exception_fp_denorm_src 0
		.amdhsa_exception_fp_ieee_div_zero 0
		.amdhsa_exception_fp_ieee_overflow 0
		.amdhsa_exception_fp_ieee_underflow 0
		.amdhsa_exception_fp_ieee_inexact 0
		.amdhsa_exception_int_div_zero 0
	.end_amdhsa_kernel
	.section	.text._ZN2at6native12_GLOBAL__N_112gatherMedianIdmLin1EEEvNS_4cuda6detail10TensorInfoIT_T0_EENS5_IlS7_EENS5_IKS6_S7_EES7_S7_S7_b,"axG",@progbits,_ZN2at6native12_GLOBAL__N_112gatherMedianIdmLin1EEEvNS_4cuda6detail10TensorInfoIT_T0_EENS5_IlS7_EENS5_IKS6_S7_EES7_S7_S7_b,comdat
.Lfunc_end119:
	.size	_ZN2at6native12_GLOBAL__N_112gatherMedianIdmLin1EEEvNS_4cuda6detail10TensorInfoIT_T0_EENS5_IlS7_EENS5_IKS6_S7_EES7_S7_S7_b, .Lfunc_end119-_ZN2at6native12_GLOBAL__N_112gatherMedianIdmLin1EEEvNS_4cuda6detail10TensorInfoIT_T0_EENS5_IlS7_EENS5_IKS6_S7_EES7_S7_S7_b
                                        ; -- End function
	.set _ZN2at6native12_GLOBAL__N_112gatherMedianIdmLin1EEEvNS_4cuda6detail10TensorInfoIT_T0_EENS5_IlS7_EENS5_IKS6_S7_EES7_S7_S7_b.num_vgpr, 59
	.set _ZN2at6native12_GLOBAL__N_112gatherMedianIdmLin1EEEvNS_4cuda6detail10TensorInfoIT_T0_EENS5_IlS7_EENS5_IKS6_S7_EES7_S7_S7_b.num_agpr, 0
	.set _ZN2at6native12_GLOBAL__N_112gatherMedianIdmLin1EEEvNS_4cuda6detail10TensorInfoIT_T0_EENS5_IlS7_EENS5_IKS6_S7_EES7_S7_S7_b.numbered_sgpr, 96
	.set _ZN2at6native12_GLOBAL__N_112gatherMedianIdmLin1EEEvNS_4cuda6detail10TensorInfoIT_T0_EENS5_IlS7_EENS5_IKS6_S7_EES7_S7_S7_b.num_named_barrier, 0
	.set _ZN2at6native12_GLOBAL__N_112gatherMedianIdmLin1EEEvNS_4cuda6detail10TensorInfoIT_T0_EENS5_IlS7_EENS5_IKS6_S7_EES7_S7_S7_b.private_seg_size, 0
	.set _ZN2at6native12_GLOBAL__N_112gatherMedianIdmLin1EEEvNS_4cuda6detail10TensorInfoIT_T0_EENS5_IlS7_EENS5_IKS6_S7_EES7_S7_S7_b.uses_vcc, 1
	.set _ZN2at6native12_GLOBAL__N_112gatherMedianIdmLin1EEEvNS_4cuda6detail10TensorInfoIT_T0_EENS5_IlS7_EENS5_IKS6_S7_EES7_S7_S7_b.uses_flat_scratch, 0
	.set _ZN2at6native12_GLOBAL__N_112gatherMedianIdmLin1EEEvNS_4cuda6detail10TensorInfoIT_T0_EENS5_IlS7_EENS5_IKS6_S7_EES7_S7_S7_b.has_dyn_sized_stack, 0
	.set _ZN2at6native12_GLOBAL__N_112gatherMedianIdmLin1EEEvNS_4cuda6detail10TensorInfoIT_T0_EENS5_IlS7_EENS5_IKS6_S7_EES7_S7_S7_b.has_recursion, 0
	.set _ZN2at6native12_GLOBAL__N_112gatherMedianIdmLin1EEEvNS_4cuda6detail10TensorInfoIT_T0_EENS5_IlS7_EENS5_IKS6_S7_EES7_S7_S7_b.has_indirect_call, 0
	.section	.AMDGPU.csdata,"",@progbits
; Kernel info:
; codeLenInByte = 18092
; TotalNumSgprs: 100
; NumVgprs: 59
; ScratchSize: 0
; MemoryBound: 0
; FloatMode: 240
; IeeeMode: 1
; LDSByteSize: 5152 bytes/workgroup (compile time only)
; SGPRBlocks: 12
; VGPRBlocks: 14
; NumSGPRsForWavesPerEU: 100
; NumVGPRsForWavesPerEU: 59
; Occupancy: 4
; WaveLimiterHint : 1
; COMPUTE_PGM_RSRC2:SCRATCH_EN: 0
; COMPUTE_PGM_RSRC2:USER_SGPR: 6
; COMPUTE_PGM_RSRC2:TRAP_HANDLER: 0
; COMPUTE_PGM_RSRC2:TGID_X_EN: 1
; COMPUTE_PGM_RSRC2:TGID_Y_EN: 1
; COMPUTE_PGM_RSRC2:TGID_Z_EN: 1
; COMPUTE_PGM_RSRC2:TIDIG_COMP_CNT: 0
	.section	.text._ZN2at6native12_GLOBAL__N_112gatherMedianIfjLi1EEEvNS_4cuda6detail10TensorInfoIT_T0_EENS5_IlS7_EENS5_IKS6_S7_EES7_S7_S7_b,"axG",@progbits,_ZN2at6native12_GLOBAL__N_112gatherMedianIfjLi1EEEvNS_4cuda6detail10TensorInfoIT_T0_EENS5_IlS7_EENS5_IKS6_S7_EES7_S7_S7_b,comdat
	.globl	_ZN2at6native12_GLOBAL__N_112gatherMedianIfjLi1EEEvNS_4cuda6detail10TensorInfoIT_T0_EENS5_IlS7_EENS5_IKS6_S7_EES7_S7_S7_b ; -- Begin function _ZN2at6native12_GLOBAL__N_112gatherMedianIfjLi1EEEvNS_4cuda6detail10TensorInfoIT_T0_EENS5_IlS7_EENS5_IKS6_S7_EES7_S7_S7_b
	.p2align	8
	.type	_ZN2at6native12_GLOBAL__N_112gatherMedianIfjLi1EEEvNS_4cuda6detail10TensorInfoIT_T0_EENS5_IlS7_EENS5_IKS6_S7_EES7_S7_S7_b,@function
_ZN2at6native12_GLOBAL__N_112gatherMedianIfjLi1EEEvNS_4cuda6detail10TensorInfoIT_T0_EENS5_IlS7_EENS5_IKS6_S7_EES7_S7_S7_b: ; @_ZN2at6native12_GLOBAL__N_112gatherMedianIfjLi1EEEvNS_4cuda6detail10TensorInfoIT_T0_EENS5_IlS7_EENS5_IKS6_S7_EES7_S7_S7_b
; %bb.0:
	s_load_dwordx2 s[12:13], s[4:5], 0x298
	s_load_dwordx4 s[56:59], s[4:5], 0x288
	s_add_u32 s10, s4, 0x298
	s_addc_u32 s11, s5, 0
	s_waitcnt lgkmcnt(0)
	s_mul_i32 s0, s13, s8
	s_add_i32 s0, s0, s7
	s_mul_i32 s0, s0, s12
	s_add_i32 s7, s0, s6
	s_cmp_ge_u32 s7, s57
	s_cbranch_scc1 .LBB120_253
; %bb.1:
	s_load_dword s2, s[4:5], 0x21c
	s_load_dwordx2 s[0:1], s[4:5], 0x1b0
	s_load_dwordx2 s[8:9], s[4:5], 0xd8
                                        ; implicit-def: $vgpr48 : SGPR spill to VGPR lane
	s_mov_b32 s3, 0
	v_mov_b32_e32 v3, 0
	s_waitcnt lgkmcnt(0)
	s_mul_i32 s2, s2, s7
	s_lshl_b64 s[2:3], s[2:3], 2
	v_writelane_b32 v48, s8, 0
	v_writelane_b32 v48, s9, 1
	s_load_dwordx2 s[8:9], s[4:5], 0x0
	s_add_u32 s57, s0, s2
	s_addc_u32 s95, s1, s3
	v_cmp_gt_u32_e64 s[0:1], s56, v0
	s_waitcnt lgkmcnt(0)
	v_writelane_b32 v48, s8, 2
	v_writelane_b32 v48, s9, 3
	;; [unrolled: 1-line block ×3, first 2 shown]
	s_mov_b64 s[2:3], exec
	v_writelane_b32 v48, s0, 5
	v_writelane_b32 v48, s1, 6
	s_and_b64 s[0:1], s[2:3], s[0:1]
	s_mov_b64 exec, s[0:1]
	s_cbranch_execz .LBB120_5
; %bb.2:
	s_load_dword s0, s[10:11], 0xc
	v_mul_lo_u32 v1, v0, s58
	v_mov_b32_e32 v2, 0
	s_mov_b64 s[8:9], 0
	v_mov_b32_e32 v4, s95
	s_waitcnt lgkmcnt(0)
	s_and_b32 s0, s0, 0xffff
	s_mul_i32 s1, s58, s0
	v_mov_b32_e32 v3, v2
	v_mov_b32_e32 v5, v0
.LBB120_3:                              ; =>This Inner Loop Header: Depth=1
	v_lshlrev_b64 v[6:7], 2, v[1:2]
	v_add_u32_e32 v5, s0, v5
	v_add_co_u32_e32 v6, vcc, s57, v6
	v_addc_co_u32_e32 v7, vcc, v4, v7, vcc
	global_load_dword v6, v[6:7], off
	v_cmp_le_u32_e32 vcc, s56, v5
	s_or_b64 s[8:9], vcc, s[8:9]
	v_add_u32_e32 v1, s1, v1
	s_waitcnt vmcnt(0)
	v_cmp_u_f32_e32 vcc, v6, v6
	v_addc_co_u32_e32 v3, vcc, 0, v3, vcc
	s_andn2_b64 exec, exec, s[8:9]
	s_cbranch_execnz .LBB120_3
; %bb.4:
	s_or_b64 exec, exec, s[8:9]
.LBB120_5:
	s_or_b64 exec, exec, s[2:3]
	s_load_dword s0, s[4:5], 0x144
	v_cmp_eq_u32_e64 s[2:3], 0, v0
                                        ; kill: killed $sgpr4 killed $sgpr5
	s_waitcnt lgkmcnt(0)
	v_writelane_b32 v48, s0, 7
	s_load_dword s0, s[4:5], 0x6c
	s_waitcnt lgkmcnt(0)
	v_writelane_b32 v48, s0, 8
	s_and_saveexec_b64 s[4:5], s[2:3]
; %bb.6:
	v_mov_b32_e32 v1, 0
	v_mov_b32_e32 v2, v1
	ds_write_b64 v1, v[1:2] offset:4096
; %bb.7:
	s_or_b64 exec, exec, s[4:5]
	v_cmp_ne_u32_e32 vcc, 0, v3
	s_waitcnt lgkmcnt(0)
	s_barrier
	s_and_saveexec_b64 s[4:5], vcc
	s_cbranch_execz .LBB120_12
; %bb.8:
	s_mov_b64 s[14:15], exec
	v_mov_b32_e32 v1, 0
	s_mov_b64 s[8:9], 0
.LBB120_9:                              ; =>This Inner Loop Header: Depth=1
	s_ff1_i32_b64 s0, s[14:15]
	v_readlane_b32 s7, v3, s0
	v_readlane_b32 s1, v1, s0
	s_add_u32 s8, s8, s7
	s_addc_u32 s9, s9, s1
	s_lshl_b64 s[0:1], 1, s0
	s_andn2_b64 s[14:15], s[14:15], s[0:1]
	s_cmp_lg_u64 s[14:15], 0
	s_cbranch_scc1 .LBB120_9
; %bb.10:
	v_mbcnt_lo_u32_b32 v1, exec_lo, 0
	v_mbcnt_hi_u32_b32 v1, exec_hi, v1
	v_cmp_eq_u32_e32 vcc, 0, v1
	s_and_saveexec_b64 s[0:1], vcc
	s_xor_b64 s[0:1], exec, s[0:1]
; %bb.11:
	v_mov_b32_e32 v1, s8
	v_mov_b32_e32 v3, 0
	;; [unrolled: 1-line block ×3, first 2 shown]
	ds_add_u64 v3, v[1:2] offset:4096
.LBB120_12:
	s_or_b64 exec, exec, s[4:5]
	v_mov_b32_e32 v1, 0
	s_waitcnt lgkmcnt(0)
	s_barrier
	ds_read_b64 v[1:2], v1 offset:4096
	s_bitcmp1_b32 s59, 0
	s_cselect_b64 s[8:9], -1, 0
	s_waitcnt lgkmcnt(0)
	v_readfirstlane_b32 s4, v1
	v_readfirstlane_b32 s5, v2
	v_cmp_lt_i64_e64 s[0:1], s[4:5], 1
	s_or_b64 s[0:1], s[8:9], s[0:1]
	s_andn2_b64 vcc, exec, s[0:1]
	s_mov_b32 s0, s56
	s_cbranch_vccnz .LBB120_14
; %bb.13:
	s_not_b64 s[0:1], s[4:5]
	s_add_u32 s0, s0, s56
	s_addc_u32 s1, s1, 0
	s_lshr_b32 s4, s1, 31
	s_add_u32 s0, s0, s4
	s_addc_u32 s1, s1, 0
	s_lshr_b64 s[0:1], s[0:1], 1
	s_add_i32 s0, s0, 1
.LBB120_14:
	s_and_saveexec_b64 s[4:5], s[2:3]
	s_cbranch_execz .LBB120_16
; %bb.15:
	v_mov_b32_e32 v1, 0
	v_mov_b32_e32 v2, s56
	ds_write_b32 v1, v1 offset:4112
	ds_write_b64 v1, v[1:2] offset:4104
.LBB120_16:
	s_or_b64 exec, exec, s[4:5]
	v_mul_lo_u32 v5, s58, v0
	v_mov_b32_e32 v7, 0
	v_mbcnt_lo_u32_b32 v1, -1, 0
	v_mov_b32_e32 v6, v7
	s_waitcnt lgkmcnt(0)
	s_barrier
	s_load_dword s1, s[10:11], 0xc
	v_mbcnt_hi_u32_b32 v16, -1, v1
	v_lshlrev_b64 v[1:2], 2, v[5:6]
	v_cmp_gt_u32_e32 vcc, 64, v0
	v_cmp_gt_i32_e64 s[8:9], 4, v16
	s_and_b64 s[64:65], vcc, s[8:9]
	v_mov_b32_e32 v18, s95
	v_add_co_u32_e32 v8, vcc, s57, v1
	v_addc_co_u32_e32 v9, vcc, v18, v2, vcc
	v_lshlrev_b64 v[1:2], v16, -1
	s_waitcnt lgkmcnt(0)
	s_and_b32 s59, s1, 0xffff
	v_not_b32_e32 v21, v1
	v_lshrrev_b32_e32 v1, 2, v0
	s_lshl_b32 s61, s59, 2
	v_and_b32_e32 v1, 0xf0, v1
	v_or_b32_e32 v22, 0xc00, v1
	v_cvt_f32_u32_e32 v1, s61
	s_add_i32 s94, s59, -1
	s_bfe_u32 s1, s1, 0xa0006
	s_add_i32 s7, s94, s56
	s_cmpk_gt_u32 s56, 0x300
	s_cselect_b64 s[8:9], -1, 0
	s_cmp_gt_u32 s59, 63
	v_rcp_iflag_f32_e32 v1, v1
	s_cselect_b64 s[68:69], -1, 0
	s_cmp_lt_u32 s6, s12
	v_writelane_b32 v48, s8, 9
	s_cselect_b32 s6, 12, 18
	v_writelane_b32 v48, s9, 10
	s_add_u32 s8, s10, s6
	s_addc_u32 s9, s11, 0
	v_mul_f32_e32 v1, 0x4f7ffffe, v1
	v_writelane_b32 v48, s8, 11
	s_add_i32 s6, s1, -1
	v_cvt_u32_f32_e32 v1, v1
	v_writelane_b32 v48, s9, 12
	s_bfe_u32 s8, s59, 0x30006
	s_and_b32 s6, s6, 0xffff
	s_cmp_gt_u32 s6, 6
	s_cselect_b64 s[10:11], -1, 0
	s_and_b32 s63, s1, 0x3f8
	s_cmp_lg_u32 s8, 0
	v_readfirstlane_b32 s6, v1
	v_cvt_f32_u32_e32 v1, s59
	s_mov_b32 s67, s8
	s_cselect_b64 s[8:9], -1, 0
	s_sub_i32 s1, 0, s61
	s_mul_i32 s1, s1, s6
	s_mul_hi_u32 s1, s6, s1
	s_add_i32 s33, s6, s1
	v_rcp_iflag_f32_e32 v4, v1
	s_mul_hi_u32 s1, s56, s33
	s_mul_i32 s1, s1, s61
	s_sub_i32 s1, s56, s1
	s_sub_i32 s6, s1, s61
	v_mul_f32_e32 v4, 0x4f7ffffe, v4
	s_cmp_ge_u32 s1, s61
	v_cvt_u32_f32_e32 v4, v4
	s_cselect_b32 s1, s6, s1
	s_sub_i32 s6, s1, s61
	s_cmp_ge_u32 s1, s61
	s_cselect_b32 s1, s6, s1
	s_sub_i32 s6, 0, s59
	v_readfirstlane_b32 s12, v4
	s_mul_i32 s6, s6, s12
	s_mul_hi_u32 s6, s12, s6
	s_sub_i32 s62, s56, s1
	s_add_i32 s71, s12, s6
	v_add_u32_e32 v23, s62, v0
	s_mul_hi_u32 s6, s7, s71
	v_mul_lo_u32 v6, v23, s58
	s_mul_i32 s6, s6, s59
	s_sub_i32 s6, s7, s6
	s_sub_i32 s12, s6, s59
	s_cmp_ge_u32 s6, s59
	v_not_b32_e32 v20, v2
	v_lshlrev_b64 v[1:2], 2, v[6:7]
	s_cselect_b32 s6, s12, s6
	v_lshlrev_b32_e32 v15, 2, v0
	s_sub_i32 s12, s6, s59
	v_writelane_b32 v48, s10, 13
	v_add_co_u32_e32 v10, vcc, s57, v1
	s_cmp_ge_u32 s6, s59
	v_mul_lo_u32 v1, s58, v15
	v_writelane_b32 v48, s11, 14
	s_cselect_b32 s6, s12, s6
	v_writelane_b32 v48, s8, 15
	s_sub_i32 s72, s7, s6
	v_writelane_b32 v48, s9, 16
	v_cmp_gt_u32_e64 s[6:7], s72, v0
	v_writelane_b32 v48, s6, 17
	v_add_u32_e32 v24, s58, v1
	v_or_b32_e32 v1, 2, v15
	v_writelane_b32 v48, s7, 18
	v_mul_lo_u32 v26, s58, v1
	v_or_b32_e32 v1, 3, v15
	s_add_i32 s6, s59, s56
	v_mul_lo_u32 v27, s58, v1
	v_add_u32_e32 v1, s6, v0
	v_subrev_u32_e32 v1, s1, v1
	v_mul_lo_u32 v29, s58, v1
	v_lshlrev_b32_e32 v3, 2, v16
	v_mov_b32_e32 v6, s95
	s_mul_i32 s60, s58, s59
	s_mov_b32 s70, 0
	v_cmp_eq_u32_e64 s[4:5], 0, v16
	v_cmp_gt_u32_e64 s[16:17], 2, v0
	v_add_u32_e32 v17, 0xc00, v15
	v_and_b32_e32 v19, 0x100, v3
	v_cmp_gt_u32_e64 s[8:9], s62, v15
	v_cmp_gt_u32_e64 s[10:11], s56, v23
	v_addc_co_u32_e32 v11, vcc, v6, v2, vcc
	s_lshl_b32 s73, s60, 2
	v_lshlrev_b32_e32 v28, 2, v5
	v_lshlrev_b32_e32 v30, 4, v0
	s_lshl_b32 s74, s59, 4
	v_or_b32_e32 v31, 0xc00, v3
	s_mov_b64 s[76:77], 0
	v_mov_b32_e32 v33, 30
	v_mov_b32_e32 v35, s0
	v_bfrev_b32_e32 v32, 1
	v_mov_b32_e32 v25, 0
	v_mov_b32_e32 v34, 0
	v_mov_b32_e32 v12, 1.0
	v_mov_b32_e32 v14, 0
                                        ; implicit-def: $sgpr78_sgpr79
                                        ; implicit-def: $sgpr82_sgpr83
                                        ; implicit-def: $sgpr80_sgpr81
                                        ; implicit-def: $sgpr86_sgpr87
                                        ; implicit-def: $sgpr88_sgpr89
                                        ; implicit-def: $sgpr84_sgpr85
	s_branch .LBB120_20
.LBB120_17:                             ;   in Loop: Header=BB120_20 Depth=1
	s_or_b64 exec, exec, s[26:27]
	s_and_b64 s[26:27], s[24:25], exec
	s_andn2_b64 s[22:23], s[22:23], exec
	s_andn2_b64 s[20:21], s[20:21], exec
	s_orn2_b64 s[14:15], s[14:15], exec
.LBB120_18:                             ;   in Loop: Header=BB120_20 Depth=1
	s_or_b64 exec, exec, s[18:19]
	s_andn2_b64 s[12:13], s[84:85], exec
	s_and_b64 s[18:19], s[26:27], exec
	s_or_b64 s[84:85], s[12:13], s[18:19]
	s_andn2_b64 s[12:13], s[88:89], exec
	s_and_b64 s[18:19], s[22:23], exec
	s_or_b64 s[88:89], s[12:13], s[18:19]
	;; [unrolled: 3-line block ×3, first 2 shown]
	s_orn2_b64 s[14:15], s[14:15], exec
.LBB120_19:                             ;   in Loop: Header=BB120_20 Depth=1
	s_or_b64 exec, exec, s[6:7]
	s_and_b64 s[6:7], exec, s[14:15]
	s_or_b64 s[76:77], s[6:7], s[76:77]
	s_andn2_b64 s[6:7], s[80:81], exec
	s_and_b64 s[12:13], s[84:85], exec
	s_or_b64 s[80:81], s[6:7], s[12:13]
	s_andn2_b64 s[6:7], s[82:83], exec
	s_and_b64 s[12:13], s[88:89], exec
	s_or_b64 s[82:83], s[6:7], s[12:13]
	s_andn2_b64 s[6:7], s[78:79], exec
	s_and_b64 s[12:13], s[86:87], exec
	s_or_b64 s[78:79], s[6:7], s[12:13]
	s_mov_b32 s70, s0
	v_mov_b32_e32 v35, v4
	s_andn2_b64 exec, exec, s[76:77]
	s_cbranch_execz .LBB120_249
.LBB120_20:                             ; =>This Loop Header: Depth=1
                                        ;     Child Loop BB120_26 Depth 2
                                        ;     Child Loop BB120_39 Depth 2
	;; [unrolled: 1-line block ×16, first 2 shown]
	ds_read_b64 v[1:2], v7 offset:4104
	s_waitcnt lgkmcnt(0)
	v_readfirstlane_b32 s75, v1
	s_cmp_lg_u32 s75, 0
	s_cbranch_scc1 .LBB120_47
; %bb.21:                               ;   in Loop: Header=BB120_20 Depth=1
	v_readlane_b32 s0, v48, 9
	v_readlane_b32 s1, v48, 10
	s_and_b64 vcc, exec, s[0:1]
	s_cbranch_vccz .LBB120_34
; %bb.22:                               ;   in Loop: Header=BB120_20 Depth=1
	s_movk_i32 s0, 0x301
	v_cmp_gt_u32_e32 vcc, s0, v2
	s_mov_b64 s[18:19], 0
	s_mov_b64 s[6:7], 0
	s_cbranch_vccz .LBB120_35
; %bb.23:                               ;   in Loop: Header=BB120_20 Depth=1
	s_mov_b64 s[20:21], exec
	v_readlane_b32 s0, v48, 5
	v_readlane_b32 s1, v48, 6
	s_and_b64 s[0:1], s[20:21], s[0:1]
	s_mov_b64 exec, s[0:1]
	s_cbranch_execz .LBB120_134
; %bb.24:                               ;   in Loop: Header=BB120_20 Depth=1
	v_readlane_b32 s0, v48, 11
	v_readlane_b32 s1, v48, 12
	s_nop 4
	global_load_ushort v1, v7, s[0:1]
	global_load_dword v3, v[8:9], off
	s_mov_b64 s[22:23], 0
	v_mov_b32_e32 v4, v0
	s_waitcnt vmcnt(1)
	v_add_u32_e32 v2, v0, v1
	v_mul_lo_u32 v6, s58, v2
	v_mul_lo_u32 v2, s58, v1
	s_branch .LBB120_26
.LBB120_25:                             ;   in Loop: Header=BB120_26 Depth=2
	s_or_b64 exec, exec, s[6:7]
	v_add_u32_e32 v6, v6, v2
	v_mov_b32_e32 v3, v13
	s_andn2_b64 exec, exec, s[22:23]
	s_cbranch_execz .LBB120_134
.LBB120_26:                             ;   Parent Loop BB120_20 Depth=1
                                        ; =>  This Inner Loop Header: Depth=2
	v_add_u32_e32 v4, v4, v1
	v_cmp_gt_u32_e64 s[6:7], s56, v4
	v_cmp_le_u32_e32 vcc, s56, v4
	s_waitcnt lgkmcnt(0)
	v_mov_b32_e32 v36, 0
	v_mov_b32_e32 v13, 0
	s_and_saveexec_b64 s[14:15], s[6:7]
	s_cbranch_execz .LBB120_28
; %bb.27:                               ;   in Loop: Header=BB120_26 Depth=2
	v_lshlrev_b64 v[37:38], 2, v[6:7]
	v_add_co_u32_e64 v37, s[6:7], s57, v37
	v_addc_co_u32_e64 v38, s[6:7], v18, v38, s[6:7]
	global_load_dword v13, v[37:38], off
.LBB120_28:                             ;   in Loop: Header=BB120_26 Depth=2
	s_or_b64 exec, exec, s[14:15]
	s_waitcnt vmcnt(0)
	v_cmp_lt_i32_e64 s[6:7], -1, v3
	v_cndmask_b32_e64 v37, -1, v32, s[6:7]
	v_xor_b32_e32 v37, v37, v3
	v_cmp_o_f32_e64 s[6:7], v3, v3
	v_cndmask_b32_e64 v37, -1, v37, s[6:7]
	v_and_b32_e32 v37, v37, v34
	v_cmp_eq_u32_e64 s[14:15], v37, v25
	s_cmp_lg_u64 s[14:15], 0
	s_cselect_b64 s[0:1], -1, 0
	s_and_b64 s[0:1], s[4:5], s[0:1]
	s_and_saveexec_b64 s[24:25], s[0:1]
	s_cbranch_execz .LBB120_32
; %bb.29:                               ;   in Loop: Header=BB120_26 Depth=2
	s_mov_b64 s[28:29], exec
	v_mbcnt_lo_u32_b32 v36, s28, 0
	v_mbcnt_hi_u32_b32 v36, s29, v36
	s_bcnt1_i32_b64 s0, s[14:15]
	v_cmp_eq_u32_e64 s[6:7], 0, v36
                                        ; implicit-def: $vgpr37
	s_and_saveexec_b64 s[26:27], s[6:7]
; %bb.30:                               ;   in Loop: Header=BB120_26 Depth=2
	s_bcnt1_i32_b64 s1, s[28:29]
	s_mul_i32 s1, s0, s1
	v_mov_b32_e32 v37, s1
	ds_add_rtn_u32 v37, v7, v37 offset:4112
; %bb.31:                               ;   in Loop: Header=BB120_26 Depth=2
	s_or_b64 exec, exec, s[26:27]
	s_waitcnt lgkmcnt(0)
	v_readfirstlane_b32 s1, v37
	v_mov_b32_e32 v37, s1
	v_mad_u32_u24 v36, s0, v36, v37
.LBB120_32:                             ;   in Loop: Header=BB120_26 Depth=2
	s_or_b64 exec, exec, s[24:25]
	ds_bpermute_b32 v36, v19, v36
	s_and_b64 s[0:1], exec, vcc
	s_or_b64 s[22:23], s[0:1], s[22:23]
	s_and_saveexec_b64 s[6:7], s[14:15]
	s_cbranch_execz .LBB120_25
; %bb.33:                               ;   in Loop: Header=BB120_26 Depth=2
	v_and_b32_e32 v38, s14, v21
	v_and_b32_e32 v37, s15, v20
	v_bcnt_u32_b32 v38, v38, 0
	v_bcnt_u32_b32 v37, v37, v38
	v_lshlrev_b32_e32 v37, 2, v37
	s_waitcnt lgkmcnt(0)
	v_lshl_add_u32 v36, v36, 2, v37
	ds_write_b32 v36, v3
	s_branch .LBB120_25
.LBB120_34:                             ;   in Loop: Header=BB120_20 Depth=1
	s_mov_b64 s[18:19], -1
	s_mov_b64 s[6:7], 0
.LBB120_35:                             ;   in Loop: Header=BB120_20 Depth=1
	s_and_b64 vcc, exec, s[18:19]
	s_cbranch_vccz .LBB120_45
.LBB120_36:                             ;   in Loop: Header=BB120_20 Depth=1
	s_mov_b64 s[6:7], exec
	v_readlane_b32 s0, v48, 5
	v_readlane_b32 s1, v48, 6
	s_and_b64 s[0:1], s[6:7], s[0:1]
	s_mov_b64 exec, s[0:1]
	s_cbranch_execz .LBB120_42
; %bb.37:                               ;   in Loop: Header=BB120_20 Depth=1
	v_readlane_b32 s0, v48, 11
	v_readlane_b32 s1, v48, 12
	s_nop 4
	global_load_ushort v1, v7, s[0:1]
	global_load_dword v3, v[8:9], off
	v_mov_b32_e32 v2, v0
	s_waitcnt vmcnt(1)
	v_add_u32_e32 v6, v0, v1
	v_cmp_gt_u32_e32 vcc, s56, v6
	s_and_saveexec_b64 s[14:15], vcc
	s_cbranch_execz .LBB120_41
; %bb.38:                               ;   in Loop: Header=BB120_20 Depth=1
	v_mul_lo_u32 v6, s58, v6
	v_mul_lo_u32 v13, s58, v1
	v_lshlrev_b32_e32 v4, 2, v1
	s_mov_b64 s[18:19], 0
	v_mov_b32_e32 v36, v15
	v_mov_b32_e32 v2, v0
.LBB120_39:                             ;   Parent Loop BB120_20 Depth=1
                                        ; =>  This Inner Loop Header: Depth=2
	v_lshlrev_b64 v[37:38], 2, v[6:7]
	v_mov_b32_e32 v39, s95
	v_add_co_u32_e32 v37, vcc, s57, v37
	v_addc_co_u32_e32 v38, vcc, v39, v38, vcc
	global_load_dword v37, v[37:38], off
	v_add_u32_e32 v2, v2, v1
	s_waitcnt vmcnt(1)
	ds_write_b32 v36, v3
	v_add_u32_e32 v3, v1, v2
	v_cmp_le_u32_e32 vcc, s56, v3
	v_add_u32_e32 v36, v36, v4
	v_add_u32_e32 v6, v6, v13
	s_or_b64 s[18:19], vcc, s[18:19]
	s_waitcnt vmcnt(0)
	v_mov_b32_e32 v3, v37
	s_andn2_b64 exec, exec, s[18:19]
	s_cbranch_execnz .LBB120_39
; %bb.40:                               ;   in Loop: Header=BB120_20 Depth=1
	s_or_b64 exec, exec, s[18:19]
	v_mov_b32_e32 v3, v37
.LBB120_41:                             ;   in Loop: Header=BB120_20 Depth=1
	s_or_b64 exec, exec, s[14:15]
	v_lshlrev_b32_e32 v1, 2, v2
	s_waitcnt vmcnt(0)
	ds_write_b32 v1, v3
.LBB120_42:                             ;   in Loop: Header=BB120_20 Depth=1
	s_or_b64 exec, exec, s[6:7]
	s_waitcnt lgkmcnt(0)
	s_barrier
	s_and_saveexec_b64 s[6:7], s[2:3]
; %bb.43:                               ;   in Loop: Header=BB120_20 Depth=1
	v_mov_b32_e32 v1, s56
	ds_write_b32 v7, v1 offset:4104
; %bb.44:                               ;   in Loop: Header=BB120_20 Depth=1
	s_or_b64 exec, exec, s[6:7]
	s_mov_b64 s[6:7], -1
	s_waitcnt lgkmcnt(0)
	s_barrier
.LBB120_45:                             ;   in Loop: Header=BB120_20 Depth=1
	s_mov_b32 s75, 0
	s_and_b64 vcc, exec, s[6:7]
	s_cbranch_vccz .LBB120_47
; %bb.46:                               ;   in Loop: Header=BB120_20 Depth=1
	ds_read_b32 v1, v7 offset:4104
	s_waitcnt lgkmcnt(0)
	v_readfirstlane_b32 s75, v1
.LBB120_47:                             ;   in Loop: Header=BB120_20 Depth=1
	s_cmp_lt_i32 s75, 1
	s_mov_b64 s[6:7], -1
                                        ; implicit-def: $vgpr1
	s_cbranch_scc1 .LBB120_57
; %bb.48:                               ;   in Loop: Header=BB120_20 Depth=1
	s_and_b64 vcc, exec, s[6:7]
	s_cbranch_vccnz .LBB120_68
.LBB120_49:                             ;   in Loop: Header=BB120_20 Depth=1
	s_lshl_b32 s0, s70, 6
	s_and_saveexec_b64 s[6:7], s[4:5]
.LBB120_50:                             ;   in Loop: Header=BB120_20 Depth=1
	v_lshl_add_u32 v6, s0, 2, v22
	ds_write_b128 v6, v[1:4]
.LBB120_51:                             ;   in Loop: Header=BB120_20 Depth=1
	s_or_b64 exec, exec, s[6:7]
	s_waitcnt lgkmcnt(0)
	s_barrier
	s_and_saveexec_b64 s[6:7], s[64:65]
	s_cbranch_execz .LBB120_82
; %bb.52:                               ;   in Loop: Header=BB120_20 Depth=1
	s_andn2_b64 vcc, exec, s[68:69]
	v_mov_b32_e32 v1, 0
	s_cbranch_vccnz .LBB120_81
; %bb.53:                               ;   in Loop: Header=BB120_20 Depth=1
	v_readlane_b32 s12, v48, 13
	v_readlane_b32 s13, v48, 14
	s_andn2_b64 vcc, exec, s[12:13]
	s_cbranch_vccnz .LBB120_77
; %bb.54:                               ;   in Loop: Header=BB120_20 Depth=1
	v_lshl_add_u32 v2, s70, 8, v31
	s_mov_b32 s1, 0
	v_mov_b32_e32 v1, 0
.LBB120_55:                             ;   Parent Loop BB120_20 Depth=1
                                        ; =>  This Inner Loop Header: Depth=2
	ds_read2_b32 v[3:4], v2 offset1:4
	ds_read2_b32 v[36:37], v2 offset0:8 offset1:12
	ds_read2_b32 v[38:39], v2 offset0:16 offset1:20
	;; [unrolled: 1-line block ×3, first 2 shown]
	s_add_i32 s1, s1, 8
	s_waitcnt lgkmcnt(3)
	v_add3_u32 v1, v3, v1, v4
	s_waitcnt lgkmcnt(2)
	v_add3_u32 v1, v36, v1, v37
	;; [unrolled: 2-line block ×3, first 2 shown]
	v_add_u32_e32 v2, 0x80, v2
	s_cmp_eq_u32 s63, s1
	s_waitcnt lgkmcnt(0)
	v_add3_u32 v1, v40, v1, v41
	s_cbranch_scc0 .LBB120_55
; %bb.56:                               ;   in Loop: Header=BB120_20 Depth=1
	s_mov_b32 s1, s63
	s_branch .LBB120_78
.LBB120_57:                             ;   in Loop: Header=BB120_20 Depth=1
	v_mov_b32_e32 v1, 0
	v_mov_b32_e32 v2, 0
	;; [unrolled: 1-line block ×4, first 2 shown]
	s_and_saveexec_b64 s[44:45], s[8:9]
	s_cbranch_execz .LBB120_61
; %bb.58:                               ;   in Loop: Header=BB120_20 Depth=1
	s_mov_b32 s48, 0
	s_mov_b64 s[46:47], 0
	s_mov_b32 s49, 0
	s_mov_b32 s50, 0
	;; [unrolled: 1-line block ×4, first 2 shown]
	v_mov_b32_e32 v13, v15
.LBB120_59:                             ;   Parent Loop BB120_20 Depth=1
                                        ; =>  This Inner Loop Header: Depth=2
	v_add_u32_e32 v6, s48, v28
	v_lshlrev_b64 v[2:3], 2, v[6:7]
	v_add_u32_e32 v6, s48, v24
	v_mov_b32_e32 v1, s95
	v_lshlrev_b64 v[36:37], 2, v[6:7]
	v_add_co_u32_e64 v2, s[6:7], s57, v2
	v_add_u32_e32 v6, s48, v26
	v_addc_co_u32_e64 v3, s[6:7], v1, v3, s[6:7]
	v_lshlrev_b64 v[38:39], 2, v[6:7]
	global_load_dword v4, v[2:3], off
	v_add_co_u32_e64 v2, s[6:7], s57, v36
	v_add_u32_e32 v6, s48, v27
	v_addc_co_u32_e64 v3, s[6:7], v1, v37, s[6:7]
	v_lshlrev_b64 v[40:41], 2, v[6:7]
	global_load_dword v6, v[2:3], off
	v_add_co_u32_e64 v2, s[6:7], s57, v38
	v_addc_co_u32_e64 v3, s[6:7], v1, v39, s[6:7]
	global_load_dword v36, v[2:3], off
	v_add_co_u32_e64 v2, s[6:7], s57, v40
	v_addc_co_u32_e64 v3, s[6:7], v1, v41, s[6:7]
	global_load_dword v1, v[2:3], off
	v_add_u32_e32 v13, s61, v13
	v_cmp_le_u32_e32 vcc, s62, v13
	s_add_i32 s48, s48, s73
	s_waitcnt vmcnt(3)
	v_cmp_lt_i32_e64 s[6:7], -1, v4
	v_cndmask_b32_e64 v2, -1, v32, s[6:7]
	v_xor_b32_e32 v2, v2, v4
	s_waitcnt vmcnt(2)
	v_cmp_lt_i32_e64 s[6:7], -1, v6
	v_cndmask_b32_e64 v3, -1, v32, s[6:7]
	v_cmp_o_f32_e64 s[6:7], v4, v4
	v_cndmask_b32_e64 v2, -1, v2, s[6:7]
	v_xor_b32_e32 v3, v3, v6
	s_waitcnt vmcnt(1)
	v_cmp_lt_i32_e64 s[6:7], -1, v36
	v_cndmask_b32_e64 v4, -1, v32, s[6:7]
	v_cmp_o_f32_e64 s[6:7], v6, v6
	v_cndmask_b32_e64 v3, -1, v3, s[6:7]
	v_xor_b32_e32 v4, v4, v36
	s_waitcnt vmcnt(0)
	v_cmp_lt_i32_e64 s[6:7], -1, v1
	v_cndmask_b32_e64 v6, -1, v32, s[6:7]
	v_and_b32_e32 v37, v2, v34
	v_bfe_u32 v2, v2, v33, 2
	v_cmp_o_f32_e64 s[6:7], v36, v36
	v_cndmask_b32_e64 v4, -1, v4, s[6:7]
	v_cmp_eq_u32_e64 s[6:7], v37, v25
	v_cmp_eq_u32_e64 s[14:15], 0, v2
	v_and_b32_e32 v36, v3, v34
	v_bfe_u32 v3, v3, v33, 2
	v_cmp_eq_u32_e64 s[18:19], 1, v2
	s_and_b64 s[0:1], s[6:7], s[14:15]
	v_xor_b32_e32 v6, v6, v1
	v_cmp_eq_u32_e64 s[20:21], 2, v2
	v_cmp_o_f32_e64 s[24:25], v1, v1
	v_cmp_eq_u32_e64 s[26:27], 0, v3
	v_cmp_eq_u32_e64 s[28:29], 1, v3
	;; [unrolled: 1-line block ×4, first 2 shown]
	v_cndmask_b32_e64 v3, 0, 1, s[0:1]
	s_and_b64 s[0:1], s[6:7], s[18:19]
	v_cmp_eq_u32_e64 s[22:23], 3, v2
	v_cndmask_b32_e64 v1, -1, v6, s[24:25]
	v_cndmask_b32_e64 v6, 0, 1, s[0:1]
	s_and_b64 s[0:1], s[6:7], s[20:21]
	v_cmp_eq_u32_e64 s[24:25], v36, v25
	v_cndmask_b32_e64 v36, 0, 1, s[0:1]
	s_and_b64 s[0:1], s[6:7], s[22:23]
	v_cndmask_b32_e64 v37, 0, 1, s[0:1]
	s_and_b64 s[0:1], s[24:25], s[26:27]
	v_and_b32_e32 v2, v4, v34
	v_bfe_u32 v4, v4, v33, 2
	v_cmp_ne_u32_e64 s[36:37], 0, v3
	v_cndmask_b32_e64 v3, 0, 1, s[0:1]
	s_and_b64 s[0:1], s[24:25], s[28:29]
	v_cmp_eq_u32_e64 s[14:15], 0, v4
	v_cmp_eq_u32_e64 s[18:19], 1, v4
	;; [unrolled: 1-line block ×4, first 2 shown]
	v_cndmask_b32_e64 v4, 0, 1, s[0:1]
	s_and_b64 s[0:1], s[24:25], s[30:31]
	v_cmp_eq_u32_e64 s[6:7], v2, v25
	v_cmp_ne_u32_e64 s[26:27], 0, v6
	v_cndmask_b32_e64 v6, 0, 1, s[0:1]
	s_and_b64 s[0:1], s[24:25], s[34:35]
	v_and_b32_e32 v2, v1, v34
	v_bfe_u32 v1, v1, v33, 2
	v_cmp_ne_u32_e64 s[28:29], 0, v36
	v_cndmask_b32_e64 v36, 0, 1, s[0:1]
	s_and_b64 s[0:1], s[6:7], s[14:15]
	v_cmp_eq_u32_e64 s[34:35], 0, v1
	v_cmp_eq_u32_e64 s[38:39], 1, v1
	;; [unrolled: 1-line block ×4, first 2 shown]
	v_cndmask_b32_e64 v1, 0, 1, s[0:1]
	s_and_b64 s[0:1], s[6:7], s[18:19]
	v_cmp_eq_u32_e64 s[24:25], v2, v25
	v_cndmask_b32_e64 v2, 0, 1, s[0:1]
	s_and_b64 s[0:1], s[6:7], s[20:21]
	s_bcnt1_i32_b64 s12, s[36:37]
	v_cmp_ne_u32_e64 s[36:37], 0, v3
	v_cndmask_b32_e64 v3, 0, 1, s[0:1]
	s_and_b64 s[0:1], s[6:7], s[22:23]
	v_cmp_ne_u32_e64 s[14:15], 0, v4
	v_cndmask_b32_e64 v4, 0, 1, s[0:1]
	s_and_b64 s[0:1], s[24:25], s[34:35]
	;; [unrolled: 3-line block ×3, first 2 shown]
	v_cmp_ne_u32_e64 s[30:31], 0, v37
	v_cmp_ne_u32_e64 s[18:19], 0, v6
	s_bcnt1_i32_b64 s23, s[14:15]
	v_cmp_ne_u32_e64 s[14:15], 0, v2
	v_cndmask_b32_e64 v2, 0, 1, s[0:1]
	s_and_b64 s[0:1], s[24:25], s[40:41]
	s_bcnt1_i32_b64 s13, s[26:27]
	s_bcnt1_i32_b64 s26, s[28:29]
	;; [unrolled: 1-line block ×3, first 2 shown]
	v_cmp_ne_u32_e64 s[20:21], 0, v36
	s_bcnt1_i32_b64 s28, s[18:19]
	v_cmp_ne_u32_e64 s[18:19], 0, v3
	v_cndmask_b32_e64 v3, 0, 1, s[0:1]
	s_and_b64 s[0:1], s[24:25], s[42:43]
	s_bcnt1_i32_b64 s22, s[36:37]
	s_add_i32 s12, s52, s12
	s_add_i32 s13, s51, s13
	;; [unrolled: 1-line block ×3, first 2 shown]
	s_bcnt1_i32_b64 s29, s[20:21]
	v_cmp_ne_u32_e64 s[20:21], 0, v4
	v_cndmask_b32_e64 v4, 0, 1, s[0:1]
	s_add_i32 s0, s49, s27
	s_bcnt1_i32_b64 s1, s[6:7]
	v_cmp_ne_u32_e64 s[6:7], 0, v1
	s_add_i32 s12, s12, s22
	s_bcnt1_i32_b64 s22, s[14:15]
	v_cmp_ne_u32_e64 s[14:15], 0, v2
	;; [unrolled: 3-line block ×4, first 2 shown]
	s_add_i32 s0, s0, s29
	s_bcnt1_i32_b64 s6, s[6:7]
	s_add_i32 s1, s12, s1
	s_bcnt1_i32_b64 s7, s[14:15]
	;; [unrolled: 2-line block ×4, first 2 shown]
	s_add_i32 s0, s0, s25
	s_add_i32 s52, s1, s6
	;; [unrolled: 1-line block ×5, first 2 shown]
	s_or_b64 s[46:47], vcc, s[46:47]
	v_mov_b32_e32 v1, s52
	v_mov_b32_e32 v2, s51
	;; [unrolled: 1-line block ×4, first 2 shown]
	s_andn2_b64 exec, exec, s[46:47]
	s_cbranch_execnz .LBB120_59
; %bb.60:                               ;   in Loop: Header=BB120_20 Depth=1
	s_or_b64 exec, exec, s[46:47]
.LBB120_61:                             ;   in Loop: Header=BB120_20 Depth=1
	s_or_b64 exec, exec, s[44:45]
	s_and_saveexec_b64 s[14:15], s[10:11]
	s_cbranch_execz .LBB120_67
; %bb.62:                               ;   in Loop: Header=BB120_20 Depth=1
	global_load_dword v36, v[10:11], off
	s_mov_b64 s[18:19], 0
	v_mov_b32_e32 v6, v29
	v_mov_b32_e32 v13, v23
	s_branch .LBB120_64
.LBB120_63:                             ;   in Loop: Header=BB120_64 Depth=2
	s_or_b64 exec, exec, s[20:21]
	s_and_b64 s[0:1], exec, vcc
	s_waitcnt vmcnt(0)
	v_cmp_lt_i32_e32 vcc, -1, v36
	v_cndmask_b32_e32 v38, -1, v32, vcc
	v_xor_b32_e32 v38, v38, v36
	v_cmp_o_f32_e32 vcc, v36, v36
	v_cndmask_b32_e32 v36, -1, v38, vcc
	v_and_b32_e32 v38, v36, v34
	v_bfe_u32 v36, v36, v33, 2
	s_or_b64 s[18:19], s[0:1], s[18:19]
	v_cmp_eq_u32_e32 vcc, v38, v25
	v_cmp_eq_u32_e64 s[6:7], 0, v36
	s_and_b64 s[0:1], vcc, s[6:7]
	v_cndmask_b32_e64 v38, 0, 1, s[0:1]
	v_cmp_ne_u32_e64 s[6:7], 0, v38
	s_bcnt1_i32_b64 s0, s[6:7]
	v_cmp_eq_u32_e64 s[6:7], 1, v36
	v_add_u32_e32 v1, s0, v1
	s_and_b64 s[0:1], vcc, s[6:7]
	v_cndmask_b32_e64 v38, 0, 1, s[0:1]
	v_cmp_ne_u32_e64 s[6:7], 0, v38
	s_bcnt1_i32_b64 s0, s[6:7]
	v_cmp_eq_u32_e64 s[6:7], 2, v36
	v_add_u32_e32 v2, s0, v2
	s_and_b64 s[0:1], vcc, s[6:7]
	v_cndmask_b32_e64 v38, 0, 1, s[0:1]
	v_cmp_ne_u32_e64 s[6:7], 0, v38
	s_bcnt1_i32_b64 s0, s[6:7]
	v_cmp_eq_u32_e64 s[6:7], 3, v36
	v_add_u32_e32 v3, s0, v3
	s_and_b64 s[0:1], vcc, s[6:7]
	v_cndmask_b32_e64 v36, 0, 1, s[0:1]
	v_cmp_ne_u32_e32 vcc, 0, v36
	s_bcnt1_i32_b64 s0, vcc
	v_add_u32_e32 v4, s0, v4
	v_add_u32_e32 v6, s60, v6
	v_mov_b32_e32 v36, v37
	s_andn2_b64 exec, exec, s[18:19]
	s_cbranch_execz .LBB120_66
.LBB120_64:                             ;   Parent Loop BB120_20 Depth=1
                                        ; =>  This Inner Loop Header: Depth=2
	v_add_u32_e32 v13, s59, v13
	v_cmp_gt_u32_e64 s[6:7], s56, v13
	v_cmp_le_u32_e32 vcc, s56, v13
	v_mov_b32_e32 v37, 0
	s_and_saveexec_b64 s[20:21], s[6:7]
	s_cbranch_execz .LBB120_63
; %bb.65:                               ;   in Loop: Header=BB120_64 Depth=2
	v_lshlrev_b64 v[37:38], 2, v[6:7]
	v_mov_b32_e32 v39, s95
	v_add_co_u32_e64 v37, s[6:7], s57, v37
	v_addc_co_u32_e64 v38, s[6:7], v39, v38, s[6:7]
	global_load_dword v37, v[37:38], off
	s_branch .LBB120_63
.LBB120_66:                             ;   in Loop: Header=BB120_20 Depth=1
	s_or_b64 exec, exec, s[18:19]
.LBB120_67:                             ;   in Loop: Header=BB120_20 Depth=1
	s_or_b64 exec, exec, s[14:15]
	s_branch .LBB120_49
.LBB120_68:                             ;   in Loop: Header=BB120_20 Depth=1
	s_mul_hi_u32 s0, s75, s33
	s_mul_i32 s0, s0, s61
	s_sub_i32 s0, s75, s0
	s_sub_i32 s1, s0, s61
	s_cmp_ge_u32 s0, s61
	s_cselect_b32 s0, s1, s0
	s_sub_i32 s1, s0, s61
	s_cmp_ge_u32 s0, s61
	s_cselect_b32 s0, s1, s0
	s_sub_i32 s0, s75, s0
	v_cmp_gt_u32_e32 vcc, s0, v15
	v_mov_b32_e32 v1, 0
	v_mov_b32_e32 v2, 0
	;; [unrolled: 1-line block ×4, first 2 shown]
	s_and_saveexec_b64 s[90:91], vcc
	s_cbranch_execz .LBB120_72
; %bb.69:                               ;   in Loop: Header=BB120_20 Depth=1
	s_mov_b32 s1, 0
	s_mov_b64 s[92:93], 0
	v_mov_b32_e32 v6, v30
	s_mov_b32 s12, 0
	s_mov_b32 s13, 0
	;; [unrolled: 1-line block ×3, first 2 shown]
	v_mov_b32_e32 v13, v15
.LBB120_70:                             ;   Parent Loop BB120_20 Depth=1
                                        ; =>  This Inner Loop Header: Depth=2
	ds_read_b128 v[1:4], v6
	v_add_u32_e32 v13, s61, v13
	v_cmp_le_u32_e32 vcc, s0, v13
	v_add_u32_e32 v6, s74, v6
	s_waitcnt lgkmcnt(0)
	v_cmp_lt_i32_e64 s[6:7], -1, v1
	v_cndmask_b32_e64 v36, -1, v32, s[6:7]
	v_cmp_lt_i32_e64 s[6:7], -1, v2
	v_cndmask_b32_e64 v37, -1, v32, s[6:7]
	;; [unrolled: 2-line block ×4, first 2 shown]
	v_xor_b32_e32 v37, v37, v2
	v_cmp_o_f32_e64 s[6:7], v2, v2
	v_xor_b32_e32 v2, v38, v3
	v_cmp_o_f32_e64 s[14:15], v3, v3
	;; [unrolled: 2-line block ×4, first 2 shown]
	v_cndmask_b32_e64 v1, -1, v4, s[20:21]
	v_cndmask_b32_e64 v4, -1, v37, s[6:7]
	v_and_b32_e32 v36, v1, v34
	v_bfe_u32 v1, v1, v33, 2
	v_cndmask_b32_e64 v2, -1, v2, s[14:15]
	v_and_b32_e32 v37, v4, v34
	v_bfe_u32 v4, v4, v33, 2
	v_cmp_eq_u32_e64 s[6:7], v36, v25
	v_cmp_eq_u32_e64 s[22:23], 0, v1
	v_cndmask_b32_e64 v3, -1, v3, s[18:19]
	v_and_b32_e32 v38, v2, v34
	v_bfe_u32 v2, v2, v33, 2
	v_cmp_eq_u32_e64 s[14:15], v37, v25
	v_cmp_eq_u32_e64 s[24:25], 0, v4
	s_and_b64 s[22:23], s[6:7], s[22:23]
	v_and_b32_e32 v39, v3, v34
	v_bfe_u32 v3, v3, v33, 2
	v_cmp_eq_u32_e64 s[18:19], v38, v25
	v_cmp_eq_u32_e64 s[26:27], 0, v2
	;; [unrolled: 1-line block ×5, first 2 shown]
	v_cndmask_b32_e64 v1, 0, 1, s[22:23]
	s_and_b64 s[22:23], s[14:15], s[24:25]
	v_cmp_eq_u32_e64 s[20:21], v39, v25
	v_cmp_eq_u32_e64 s[28:29], 0, v3
	;; [unrolled: 1-line block ×5, first 2 shown]
	v_cndmask_b32_e64 v2, 0, 1, s[22:23]
	s_and_b64 s[22:23], s[18:19], s[26:27]
	v_cmp_eq_u32_e64 s[38:39], 1, v3
	v_cmp_eq_u32_e64 s[46:47], 2, v3
	;; [unrolled: 1-line block ×3, first 2 shown]
	v_cndmask_b32_e64 v3, 0, 1, s[22:23]
	s_and_b64 s[22:23], s[20:21], s[28:29]
	v_cmp_eq_u32_e64 s[34:35], 1, v4
	v_cmp_eq_u32_e64 s[42:43], 2, v4
	;; [unrolled: 1-line block ×3, first 2 shown]
	v_cndmask_b32_e64 v4, 0, 1, s[22:23]
	s_and_b64 s[22:23], s[6:7], s[30:31]
	v_cndmask_b32_e64 v36, 0, 1, s[22:23]
	s_and_b64 s[22:23], s[14:15], s[34:35]
	v_cndmask_b32_e64 v37, 0, 1, s[22:23]
	s_and_b64 s[22:23], s[18:19], s[36:37]
	v_cndmask_b32_e64 v38, 0, 1, s[22:23]
	s_and_b64 s[22:23], s[20:21], s[38:39]
	v_cndmask_b32_e64 v39, 0, 1, s[22:23]
	s_and_b64 s[22:23], s[6:7], s[40:41]
	s_and_b64 s[6:7], s[6:7], s[48:49]
	v_cndmask_b32_e64 v40, 0, 1, s[22:23]
	s_and_b64 s[22:23], s[14:15], s[42:43]
	v_cndmask_b32_e64 v44, 0, 1, s[6:7]
	;; [unrolled: 2-line block ×7, first 2 shown]
	v_cndmask_b32_e64 v47, 0, 1, s[6:7]
	v_cmp_ne_u32_e64 s[6:7], 0, v1
	v_cmp_ne_u32_e64 s[14:15], 0, v2
	;; [unrolled: 1-line block ×11, first 2 shown]
	s_bcnt1_i32_b64 s6, s[6:7]
	s_bcnt1_i32_b64 s7, s[14:15]
	;; [unrolled: 1-line block ×8, first 2 shown]
	v_cmp_ne_u32_e64 s[28:29], 0, v39
	v_cmp_ne_u32_e64 s[36:37], 0, v42
	;; [unrolled: 1-line block ×3, first 2 shown]
	s_bcnt1_i32_b64 s19, s[24:25]
	s_bcnt1_i32_b64 s23, s[34:35]
	;; [unrolled: 1-line block ×3, first 2 shown]
	s_add_i32 s6, s66, s6
	s_add_i32 s13, s13, s18
	s_add_i32 s12, s12, s22
	s_add_i32 s1, s1, s26
	v_cmp_ne_u32_e64 s[38:39], 0, v43
	v_cmp_ne_u32_e64 s[46:47], 0, v47
	s_bcnt1_i32_b64 s21, s[28:29]
	s_bcnt1_i32_b64 s24, s[36:37]
	;; [unrolled: 1-line block ×3, first 2 shown]
	s_add_i32 s6, s6, s7
	s_add_i32 s7, s13, s19
	;; [unrolled: 1-line block ×4, first 2 shown]
	s_bcnt1_i32_b64 s25, s[38:39]
	s_bcnt1_i32_b64 s29, s[46:47]
	s_add_i32 s6, s6, s14
	s_add_i32 s7, s7, s20
	;; [unrolled: 1-line block ×8, first 2 shown]
	s_or_b64 s[92:93], vcc, s[92:93]
	v_mov_b32_e32 v1, s66
	v_mov_b32_e32 v2, s13
	;; [unrolled: 1-line block ×4, first 2 shown]
	s_andn2_b64 exec, exec, s[92:93]
	s_cbranch_execnz .LBB120_70
; %bb.71:                               ;   in Loop: Header=BB120_20 Depth=1
	s_or_b64 exec, exec, s[92:93]
.LBB120_72:                             ;   in Loop: Header=BB120_20 Depth=1
	s_or_b64 exec, exec, s[90:91]
	v_add_u32_e32 v6, s0, v0
	v_cmp_gt_u32_e32 vcc, s75, v6
	s_and_saveexec_b64 s[24:25], vcc
	s_cbranch_execz .LBB120_76
; %bb.73:                               ;   in Loop: Header=BB120_20 Depth=1
	v_lshlrev_b32_e32 v13, 2, v6
	s_mov_b64 s[26:27], 0
.LBB120_74:                             ;   Parent Loop BB120_20 Depth=1
                                        ; =>  This Inner Loop Header: Depth=2
	ds_read_b32 v36, v13
	v_add_u32_e32 v6, s59, v6
	v_cmp_le_u32_e32 vcc, s75, v6
	v_add_u32_e32 v13, s61, v13
	s_waitcnt lgkmcnt(0)
	v_cmp_lt_i32_e64 s[6:7], -1, v36
	v_cndmask_b32_e64 v37, -1, v32, s[6:7]
	v_xor_b32_e32 v37, v37, v36
	v_cmp_o_f32_e64 s[6:7], v36, v36
	v_cndmask_b32_e64 v36, -1, v37, s[6:7]
	v_and_b32_e32 v37, v36, v34
	v_bfe_u32 v36, v36, v33, 2
	v_cmp_eq_u32_e64 s[6:7], v37, v25
	v_cmp_eq_u32_e64 s[14:15], 0, v36
	;; [unrolled: 1-line block ×3, first 2 shown]
	s_and_b64 s[0:1], s[6:7], s[14:15]
	v_cmp_eq_u32_e64 s[20:21], 2, v36
	v_cmp_eq_u32_e64 s[22:23], 3, v36
	v_cndmask_b32_e64 v36, 0, 1, s[0:1]
	s_and_b64 s[0:1], s[6:7], s[18:19]
	v_cndmask_b32_e64 v37, 0, 1, s[0:1]
	s_and_b64 s[0:1], s[6:7], s[20:21]
	;; [unrolled: 2-line block ×3, first 2 shown]
	v_cndmask_b32_e64 v39, 0, 1, s[0:1]
	v_cmp_ne_u32_e64 s[6:7], 0, v36
	v_cmp_ne_u32_e64 s[14:15], 0, v37
	;; [unrolled: 1-line block ×4, first 2 shown]
	s_bcnt1_i32_b64 s0, s[6:7]
	s_bcnt1_i32_b64 s1, s[14:15]
	;; [unrolled: 1-line block ×4, first 2 shown]
	v_add_u32_e32 v1, s0, v1
	v_add_u32_e32 v2, s1, v2
	;; [unrolled: 1-line block ×3, first 2 shown]
	s_or_b64 s[26:27], vcc, s[26:27]
	v_add_u32_e32 v4, s7, v4
	s_andn2_b64 exec, exec, s[26:27]
	s_cbranch_execnz .LBB120_74
; %bb.75:                               ;   in Loop: Header=BB120_20 Depth=1
	s_or_b64 exec, exec, s[26:27]
.LBB120_76:                             ;   in Loop: Header=BB120_20 Depth=1
	s_or_b64 exec, exec, s[24:25]
	s_lshl_b32 s0, s70, 6
	s_and_saveexec_b64 s[6:7], s[4:5]
	s_cbranch_execnz .LBB120_50
	s_branch .LBB120_51
.LBB120_77:                             ;   in Loop: Header=BB120_20 Depth=1
	v_mov_b32_e32 v1, 0
	s_mov_b32 s1, 0
.LBB120_78:                             ;   in Loop: Header=BB120_20 Depth=1
	v_readlane_b32 s12, v48, 15
	v_readlane_b32 s13, v48, 16
	s_andn2_b64 vcc, exec, s[12:13]
	s_cbranch_vccnz .LBB120_81
; %bb.79:                               ;   in Loop: Header=BB120_20 Depth=1
	s_lshl_b32 s12, s70, 8
	s_lshl_b32 s1, s1, 4
	s_add_i32 s12, s12, s1
	v_add_u32_e32 v2, s12, v31
	s_mov_b32 s1, s67
.LBB120_80:                             ;   Parent Loop BB120_20 Depth=1
                                        ; =>  This Inner Loop Header: Depth=2
	ds_read_b32 v3, v2
	s_add_i32 s1, s1, -1
	v_add_u32_e32 v2, 16, v2
	s_cmp_lg_u32 s1, 0
	s_waitcnt lgkmcnt(0)
	v_add_u32_e32 v1, v3, v1
	s_cbranch_scc1 .LBB120_80
.LBB120_81:                             ;   in Loop: Header=BB120_20 Depth=1
	v_add_lshl_u32 v2, s0, v16, 2
	ds_write_b32 v2, v1 offset:3072
.LBB120_82:                             ;   in Loop: Header=BB120_20 Depth=1
	s_or_b64 exec, exec, s[6:7]
	s_lshl_b32 s0, s0, 2
	v_mov_b32_e32 v1, s0
	s_waitcnt lgkmcnt(0)
	s_barrier
	ds_read_b128 v[1:4], v1 offset:3072
	v_cmp_eq_u32_e32 vcc, 1, v35
	s_mov_b64 s[14:15], -1
	s_mov_b64 s[24:25], -1
                                        ; implicit-def: $sgpr22_sgpr23
                                        ; implicit-def: $sgpr20_sgpr21
	s_waitcnt lgkmcnt(0)
	v_readfirstlane_b32 s38, v1
	s_cmp_eq_u32 s38, 1
	v_lshlrev_b32_e64 v1, v33, 3
	s_cselect_b64 s[0:1], -1, 0
	v_readfirstlane_b32 s42, v2
	v_readfirstlane_b32 s50, v3
	;; [unrolled: 1-line block ×3, first 2 shown]
	v_not_b32_e32 v3, v1
	s_and_b64 s[18:19], s[0:1], vcc
	s_and_saveexec_b64 s[6:7], s[18:19]
	s_cbranch_execz .LBB120_110
; %bb.83:                               ;   in Loop: Header=BB120_20 Depth=1
	ds_read_b32 v2, v7 offset:4104
	s_waitcnt lgkmcnt(0)
	s_barrier
	v_readfirstlane_b32 s0, v2
	s_and_saveexec_b64 s[20:21], s[16:17]
; %bb.84:                               ;   in Loop: Header=BB120_20 Depth=1
	ds_write_b32 v17, v7
; %bb.85:                               ;   in Loop: Header=BB120_20 Depth=1
	s_or_b64 exec, exec, s[20:21]
	v_and_b32_e32 v25, v25, v3
	v_or_b32_e32 v34, v34, v1
	s_mov_b64 s[20:21], -1
	s_mov_b64 s[22:23], 0
	s_cmp_eq_u32 s0, 0
	s_mov_b64 s[24:25], 0
	s_mov_b64 s[26:27], -1
	s_waitcnt lgkmcnt(0)
	s_barrier
                                        ; implicit-def: $vgpr14
	s_cbranch_scc1 .LBB120_97
; %bb.86:                               ;   in Loop: Header=BB120_20 Depth=1
	s_add_i32 s1, s0, s94
	s_mul_hi_u32 s12, s1, s71
	s_mul_i32 s12, s12, s59
	s_sub_i32 s12, s1, s12
	s_sub_i32 s13, s12, s59
	s_cmp_ge_u32 s12, s59
	s_cselect_b32 s12, s13, s12
	s_sub_i32 s13, s12, s59
	s_cmp_ge_u32 s12, s59
	s_cselect_b32 s12, s13, s12
	s_sub_i32 s1, s1, s12
	v_cmp_gt_u32_e32 vcc, s1, v0
	s_mov_b64 s[26:27], 0
                                        ; implicit-def: $vgpr14
	s_and_saveexec_b64 s[28:29], vcc
	s_cbranch_execz .LBB120_96
; %bb.87:                               ;   in Loop: Header=BB120_20 Depth=1
	v_mov_b32_e32 v2, v15
	v_mov_b32_e32 v4, v0
                                        ; implicit-def: $sgpr30_sgpr31
	s_branch .LBB120_91
.LBB120_88:                             ;   in Loop: Header=BB120_91 Depth=2
	s_or_b64 exec, exec, s[34:35]
	s_waitcnt lgkmcnt(0)
	s_barrier
	ds_read_b64 v[13:14], v7 offset:3072
	s_waitcnt lgkmcnt(0)
	s_barrier
	v_cmp_neq_f32_e32 vcc, 0, v13
	s_cbranch_vccnz .LBB120_94
; %bb.89:                               ;   in Loop: Header=BB120_91 Depth=2
	v_add_u32_e32 v4, s59, v4
	v_cmp_le_u32_e32 vcc, s1, v4
	v_add_u32_e32 v2, s61, v2
	s_mov_b64 s[34:35], 0
	s_orn2_b64 s[36:37], vcc, exec
.LBB120_90:                             ;   in Loop: Header=BB120_91 Depth=2
	s_and_b64 s[12:13], exec, s[36:37]
	s_or_b64 s[24:25], s[12:13], s[24:25]
	s_andn2_b64 s[12:13], s[30:31], exec
	s_and_b64 s[30:31], s[34:35], exec
	s_or_b64 s[30:31], s[12:13], s[30:31]
	s_andn2_b64 exec, exec, s[24:25]
	s_cbranch_execz .LBB120_95
.LBB120_91:                             ;   Parent Loop BB120_20 Depth=1
                                        ; =>  This Inner Loop Header: Depth=2
	v_cmp_gt_u32_e32 vcc, s0, v4
	s_and_saveexec_b64 s[34:35], vcc
	s_cbranch_execz .LBB120_88
; %bb.92:                               ;   in Loop: Header=BB120_91 Depth=2
	ds_read_b32 v13, v2
	s_waitcnt lgkmcnt(0)
	v_cmp_lt_i32_e32 vcc, -1, v13
	v_cndmask_b32_e32 v6, -1, v32, vcc
	v_xor_b32_e32 v6, v6, v13
	v_cmp_o_f32_e32 vcc, v13, v13
	v_cndmask_b32_e32 v6, -1, v6, vcc
	v_and_b32_e32 v6, v6, v34
	v_cmp_eq_u32_e32 vcc, v6, v25
	s_and_b64 exec, exec, vcc
	s_cbranch_execz .LBB120_88
; %bb.93:                               ;   in Loop: Header=BB120_91 Depth=2
	ds_write_b64 v7, v[12:13] offset:3072
	s_branch .LBB120_88
.LBB120_94:                             ;   in Loop: Header=BB120_91 Depth=2
	s_mov_b64 s[36:37], -1
                                        ; implicit-def: $vgpr4
                                        ; implicit-def: $vgpr2
	s_mov_b64 s[34:35], -1
	s_branch .LBB120_90
.LBB120_95:                             ;   in Loop: Header=BB120_20 Depth=1
	s_or_b64 exec, exec, s[24:25]
	s_and_b64 s[24:25], s[30:31], exec
.LBB120_96:                             ;   in Loop: Header=BB120_20 Depth=1
	s_or_b64 exec, exec, s[28:29]
.LBB120_97:                             ;   in Loop: Header=BB120_20 Depth=1
	s_and_b64 vcc, exec, s[26:27]
	s_cbranch_vccz .LBB120_109
; %bb.98:                               ;   in Loop: Header=BB120_20 Depth=1
                                        ; implicit-def: $vgpr14
	s_mov_b64 s[20:21], exec
	v_readlane_b32 s0, v48, 17
	v_readlane_b32 s1, v48, 18
	s_and_b64 s[0:1], s[20:21], s[0:1]
	s_mov_b64 exec, s[0:1]
	s_cbranch_execz .LBB120_108
; %bb.99:                               ;   in Loop: Header=BB120_20 Depth=1
	s_mov_b64 s[22:23], 0
	v_mov_b32_e32 v6, v5
	v_mov_b32_e32 v2, v0
                                        ; implicit-def: $sgpr26_sgpr27
	s_branch .LBB120_103
.LBB120_100:                            ;   in Loop: Header=BB120_103 Depth=2
	s_or_b64 exec, exec, s[28:29]
	s_waitcnt lgkmcnt(0)
	s_barrier
	ds_read_b64 v[13:14], v7 offset:3072
	s_waitcnt lgkmcnt(0)
	s_barrier
	v_cmp_neq_f32_e32 vcc, 0, v13
	s_cbranch_vccnz .LBB120_106
; %bb.101:                              ;   in Loop: Header=BB120_103 Depth=2
	v_add_u32_e32 v2, s59, v2
	v_cmp_le_u32_e32 vcc, s72, v2
	v_add_u32_e32 v6, s60, v6
	s_mov_b64 s[28:29], 0
	s_orn2_b64 s[30:31], vcc, exec
.LBB120_102:                            ;   in Loop: Header=BB120_103 Depth=2
	s_and_b64 s[0:1], exec, s[30:31]
	s_or_b64 s[22:23], s[0:1], s[22:23]
	s_andn2_b64 s[0:1], s[26:27], exec
	s_and_b64 s[12:13], s[28:29], exec
	s_or_b64 s[26:27], s[0:1], s[12:13]
	s_andn2_b64 exec, exec, s[22:23]
	s_cbranch_execz .LBB120_107
.LBB120_103:                            ;   Parent Loop BB120_20 Depth=1
                                        ; =>  This Inner Loop Header: Depth=2
	v_cmp_gt_u32_e32 vcc, s56, v2
	s_and_saveexec_b64 s[28:29], vcc
	s_cbranch_execz .LBB120_100
; %bb.104:                              ;   in Loop: Header=BB120_103 Depth=2
	v_lshlrev_b64 v[13:14], 2, v[6:7]
	v_mov_b32_e32 v4, s95
	v_add_co_u32_e32 v13, vcc, s57, v13
	v_addc_co_u32_e32 v14, vcc, v4, v14, vcc
	global_load_dword v13, v[13:14], off
	s_waitcnt vmcnt(0)
	v_cmp_lt_i32_e32 vcc, -1, v13
	v_cndmask_b32_e32 v4, -1, v32, vcc
	v_xor_b32_e32 v4, v4, v13
	v_cmp_o_f32_e32 vcc, v13, v13
	v_cndmask_b32_e32 v4, -1, v4, vcc
	v_and_b32_e32 v4, v4, v34
	v_cmp_eq_u32_e32 vcc, v4, v25
	s_and_b64 exec, exec, vcc
	s_cbranch_execz .LBB120_100
; %bb.105:                              ;   in Loop: Header=BB120_103 Depth=2
	ds_write_b64 v7, v[12:13] offset:3072
	s_branch .LBB120_100
.LBB120_106:                            ;   in Loop: Header=BB120_103 Depth=2
	s_mov_b64 s[30:31], -1
                                        ; implicit-def: $vgpr2
	s_mov_b64 s[28:29], -1
	s_branch .LBB120_102
.LBB120_107:                            ;   in Loop: Header=BB120_20 Depth=1
	s_or_b64 exec, exec, s[22:23]
	s_andn2_b64 s[0:1], s[24:25], exec
	s_and_b64 s[12:13], s[26:27], exec
	s_or_b64 s[24:25], s[0:1], s[12:13]
.LBB120_108:                            ;   in Loop: Header=BB120_20 Depth=1
	s_or_b64 exec, exec, s[20:21]
	s_mov_b64 s[20:21], 0
	s_mov_b64 s[22:23], -1
.LBB120_109:                            ;   in Loop: Header=BB120_20 Depth=1
	s_orn2_b64 s[24:25], s[24:25], exec
.LBB120_110:                            ;   in Loop: Header=BB120_20 Depth=1
	s_or_b64 exec, exec, s[6:7]
	s_andn2_b64 s[6:7], s[88:89], exec
	s_and_b64 s[12:13], s[22:23], exec
	s_or_b64 s[88:89], s[6:7], s[12:13]
	s_andn2_b64 s[6:7], s[86:87], exec
	s_and_b64 s[12:13], s[20:21], exec
	v_readfirstlane_b32 s0, v0
	s_andn2_b64 s[84:85], s[84:85], exec
	s_or_b64 s[86:87], s[6:7], s[12:13]
                                        ; implicit-def: $vgpr4
	s_and_saveexec_b64 s[6:7], s[24:25]
	s_cbranch_execz .LBB120_19
; %bb.111:                              ;   in Loop: Header=BB120_20 Depth=1
	s_xor_b64 s[0:1], s[18:19], -1
	s_mov_b64 s[18:19], 0
	v_mov_b32_e32 v4, 1
	v_mov_b32_e32 v2, 1
	s_and_saveexec_b64 s[14:15], s[0:1]
	s_cbranch_execz .LBB120_120
; %bb.112:                              ;   in Loop: Header=BB120_20 Depth=1
	v_cmp_ge_u32_e32 vcc, s38, v35
	s_and_saveexec_b64 s[0:1], vcc
	s_xor_b64 s[18:19], exec, s[0:1]
	s_cbranch_execz .LBB120_117
; %bb.113:                              ;   in Loop: Header=BB120_20 Depth=1
	ds_read_b32 v2, v7 offset:4104
	v_and_b32_e32 v25, v25, v3
	v_or_b32_e32 v34, v34, v1
	s_waitcnt lgkmcnt(0)
	v_cmp_ne_u32_e32 vcc, 0, v2
	s_cbranch_vccnz .LBB120_117
; %bb.114:                              ;   in Loop: Header=BB120_20 Depth=1
	s_and_saveexec_b64 s[20:21], s[2:3]
; %bb.115:                              ;   in Loop: Header=BB120_20 Depth=1
	v_mov_b32_e32 v2, s38
	ds_write_b32 v7, v2 offset:4108
; %bb.116:                              ;   in Loop: Header=BB120_20 Depth=1
	s_or_b64 exec, exec, s[20:21]
	s_waitcnt lgkmcnt(0)
	s_barrier
.LBB120_117:                            ;   in Loop: Header=BB120_20 Depth=1
	s_or_saveexec_b64 s[18:19], s[18:19]
	s_mov_b64 s[20:21], 0
	v_mov_b32_e32 v2, 8
	s_xor_b64 exec, exec, s[18:19]
; %bb.118:                              ;   in Loop: Header=BB120_20 Depth=1
	s_mov_b64 s[20:21], exec
	v_subrev_u32_e32 v35, s38, v35
	v_mov_b32_e32 v2, 0
; %bb.119:                              ;   in Loop: Header=BB120_20 Depth=1
	s_or_b64 exec, exec, s[18:19]
	s_and_b64 s[18:19], s[20:21], exec
	v_mov_b32_e32 v4, v35
.LBB120_120:                            ;   in Loop: Header=BB120_20 Depth=1
	s_or_b64 exec, exec, s[14:15]
	s_mov_b64 s[14:15], -1
	s_mov_b64 s[24:25], -1
                                        ; implicit-def: $sgpr20_sgpr21
                                        ; implicit-def: $sgpr22_sgpr23
	s_and_saveexec_b64 s[0:1], s[18:19]
	s_xor_b64 s[18:19], exec, s[0:1]
	s_cbranch_execz .LBB120_246
; %bb.121:                              ;   in Loop: Header=BB120_20 Depth=1
	s_cmp_eq_u32 s42, 1
	s_cselect_b64 s[0:1], -1, 0
	v_cmp_eq_u32_e32 vcc, 1, v4
	s_and_b64 s[26:27], s[0:1], vcc
	s_mov_b64 s[28:29], -1
                                        ; implicit-def: $sgpr22_sgpr23
                                        ; implicit-def: $sgpr20_sgpr21
	s_and_saveexec_b64 s[24:25], s[26:27]
	s_cbranch_execz .LBB120_152
; %bb.122:                              ;   in Loop: Header=BB120_20 Depth=1
	ds_read_b32 v6, v7 offset:4104
	s_waitcnt lgkmcnt(0)
	s_barrier
	v_readfirstlane_b32 s0, v6
	s_and_saveexec_b64 s[20:21], s[16:17]
; %bb.123:                              ;   in Loop: Header=BB120_20 Depth=1
	ds_write_b32 v17, v7
; %bb.124:                              ;   in Loop: Header=BB120_20 Depth=1
	s_or_b64 exec, exec, s[20:21]
	v_and_b32_e32 v6, v25, v3
	v_lshl_or_b32 v25, 1, v33, v6
	v_or_b32_e32 v34, v34, v1
	s_mov_b64 s[20:21], -1
	s_mov_b64 s[22:23], 0
	s_cmp_eq_u32 s0, 0
	s_mov_b64 s[28:29], 0
	s_mov_b64 s[30:31], -1
	s_waitcnt lgkmcnt(0)
	s_barrier
                                        ; implicit-def: $vgpr14
	s_cbranch_scc1 .LBB120_139
; %bb.125:                              ;   in Loop: Header=BB120_20 Depth=1
	s_add_i32 s1, s0, s94
	s_mul_hi_u32 s12, s1, s71
	s_mul_i32 s12, s12, s59
	s_sub_i32 s12, s1, s12
	s_sub_i32 s13, s12, s59
	s_cmp_ge_u32 s12, s59
	s_cselect_b32 s12, s13, s12
	s_sub_i32 s13, s12, s59
	s_cmp_ge_u32 s12, s59
	s_cselect_b32 s12, s13, s12
	s_sub_i32 s1, s1, s12
	v_cmp_gt_u32_e32 vcc, s1, v0
	s_mov_b64 s[30:31], 0
                                        ; implicit-def: $vgpr14
	s_and_saveexec_b64 s[34:35], vcc
	s_cbranch_execz .LBB120_138
; %bb.126:                              ;   in Loop: Header=BB120_20 Depth=1
	v_mov_b32_e32 v6, v15
	v_mov_b32_e32 v35, v0
                                        ; implicit-def: $sgpr36_sgpr37
	s_branch .LBB120_130
.LBB120_127:                            ;   in Loop: Header=BB120_130 Depth=2
	s_or_b64 exec, exec, s[38:39]
	s_waitcnt lgkmcnt(0)
	s_barrier
	ds_read_b64 v[13:14], v7 offset:3072
	s_waitcnt lgkmcnt(0)
	s_barrier
	v_cmp_neq_f32_e32 vcc, 0, v13
	s_cbranch_vccnz .LBB120_133
; %bb.128:                              ;   in Loop: Header=BB120_130 Depth=2
	v_add_u32_e32 v35, s59, v35
	v_cmp_le_u32_e32 vcc, s1, v35
	v_add_u32_e32 v6, s61, v6
	s_mov_b64 s[38:39], 0
	s_orn2_b64 s[40:41], vcc, exec
.LBB120_129:                            ;   in Loop: Header=BB120_130 Depth=2
	s_and_b64 s[12:13], exec, s[40:41]
	s_or_b64 s[28:29], s[12:13], s[28:29]
	s_andn2_b64 s[12:13], s[36:37], exec
	s_and_b64 s[36:37], s[38:39], exec
	s_or_b64 s[36:37], s[12:13], s[36:37]
	s_andn2_b64 exec, exec, s[28:29]
	s_cbranch_execz .LBB120_137
.LBB120_130:                            ;   Parent Loop BB120_20 Depth=1
                                        ; =>  This Inner Loop Header: Depth=2
	v_cmp_gt_u32_e32 vcc, s0, v35
	s_and_saveexec_b64 s[38:39], vcc
	s_cbranch_execz .LBB120_127
; %bb.131:                              ;   in Loop: Header=BB120_130 Depth=2
	ds_read_b32 v13, v6
	s_waitcnt lgkmcnt(0)
	v_cmp_lt_i32_e32 vcc, -1, v13
	v_cndmask_b32_e32 v14, -1, v32, vcc
	v_xor_b32_e32 v14, v14, v13
	v_cmp_o_f32_e32 vcc, v13, v13
	v_cndmask_b32_e32 v14, -1, v14, vcc
	v_and_b32_e32 v14, v14, v34
	v_cmp_eq_u32_e32 vcc, v14, v25
	s_and_b64 exec, exec, vcc
	s_cbranch_execz .LBB120_127
; %bb.132:                              ;   in Loop: Header=BB120_130 Depth=2
	ds_write_b64 v7, v[12:13] offset:3072
	s_branch .LBB120_127
.LBB120_133:                            ;   in Loop: Header=BB120_130 Depth=2
	s_mov_b64 s[40:41], -1
                                        ; implicit-def: $vgpr35
                                        ; implicit-def: $vgpr6
	s_mov_b64 s[38:39], -1
	s_branch .LBB120_129
.LBB120_134:                            ;   in Loop: Header=BB120_20 Depth=1
	s_or_b64 exec, exec, s[20:21]
	s_waitcnt lgkmcnt(0)
	s_barrier
	s_and_saveexec_b64 s[6:7], s[2:3]
	s_cbranch_execz .LBB120_136
; %bb.135:                              ;   in Loop: Header=BB120_20 Depth=1
	ds_read_b32 v1, v7 offset:4112
	s_waitcnt lgkmcnt(0)
	ds_write_b32 v7, v1 offset:4104
.LBB120_136:                            ;   in Loop: Header=BB120_20 Depth=1
	s_or_b64 exec, exec, s[6:7]
	s_waitcnt lgkmcnt(0)
	s_barrier
	s_mov_b64 s[6:7], -1
	s_and_b64 vcc, exec, s[18:19]
	s_cbranch_vccnz .LBB120_36
	s_branch .LBB120_45
.LBB120_137:                            ;   in Loop: Header=BB120_20 Depth=1
	s_or_b64 exec, exec, s[28:29]
	s_and_b64 s[28:29], s[36:37], exec
.LBB120_138:                            ;   in Loop: Header=BB120_20 Depth=1
	s_or_b64 exec, exec, s[34:35]
.LBB120_139:                            ;   in Loop: Header=BB120_20 Depth=1
	s_and_b64 vcc, exec, s[30:31]
	s_cbranch_vccz .LBB120_151
; %bb.140:                              ;   in Loop: Header=BB120_20 Depth=1
                                        ; implicit-def: $vgpr14
	s_mov_b64 s[20:21], exec
	v_readlane_b32 s0, v48, 17
	v_readlane_b32 s1, v48, 18
	s_and_b64 s[0:1], s[20:21], s[0:1]
	s_mov_b64 exec, s[0:1]
	s_cbranch_execz .LBB120_150
; %bb.141:                              ;   in Loop: Header=BB120_20 Depth=1
	s_mov_b64 s[22:23], 0
	v_mov_b32_e32 v6, v5
	v_mov_b32_e32 v35, v0
                                        ; implicit-def: $sgpr30_sgpr31
	s_branch .LBB120_145
.LBB120_142:                            ;   in Loop: Header=BB120_145 Depth=2
	s_or_b64 exec, exec, s[34:35]
	s_waitcnt lgkmcnt(0)
	s_barrier
	ds_read_b64 v[13:14], v7 offset:3072
	s_waitcnt lgkmcnt(0)
	s_barrier
	v_cmp_eq_f32_e32 vcc, 0, v13
	s_cbranch_vccz .LBB120_148
; %bb.143:                              ;   in Loop: Header=BB120_145 Depth=2
	v_add_u32_e32 v35, s59, v35
	v_cmp_le_u32_e32 vcc, s72, v35
	v_add_u32_e32 v6, s60, v6
	s_mov_b64 s[34:35], 0
	s_orn2_b64 s[36:37], vcc, exec
.LBB120_144:                            ;   in Loop: Header=BB120_145 Depth=2
	s_and_b64 s[0:1], exec, s[36:37]
	s_or_b64 s[22:23], s[0:1], s[22:23]
	s_andn2_b64 s[0:1], s[30:31], exec
	s_and_b64 s[12:13], s[34:35], exec
	s_or_b64 s[30:31], s[0:1], s[12:13]
	s_andn2_b64 exec, exec, s[22:23]
	s_cbranch_execz .LBB120_149
.LBB120_145:                            ;   Parent Loop BB120_20 Depth=1
                                        ; =>  This Inner Loop Header: Depth=2
	v_cmp_gt_u32_e32 vcc, s56, v35
	s_and_saveexec_b64 s[34:35], vcc
	s_cbranch_execz .LBB120_142
; %bb.146:                              ;   in Loop: Header=BB120_145 Depth=2
	v_lshlrev_b64 v[13:14], 2, v[6:7]
	v_mov_b32_e32 v36, s95
	v_add_co_u32_e32 v13, vcc, s57, v13
	v_addc_co_u32_e32 v14, vcc, v36, v14, vcc
	global_load_dword v13, v[13:14], off
	s_waitcnt vmcnt(0)
	v_cmp_lt_i32_e32 vcc, -1, v13
	v_cndmask_b32_e32 v14, -1, v32, vcc
	v_xor_b32_e32 v14, v14, v13
	v_cmp_o_f32_e32 vcc, v13, v13
	v_cndmask_b32_e32 v14, -1, v14, vcc
	v_and_b32_e32 v14, v14, v34
	v_cmp_eq_u32_e32 vcc, v14, v25
	s_and_b64 exec, exec, vcc
	s_cbranch_execz .LBB120_142
; %bb.147:                              ;   in Loop: Header=BB120_145 Depth=2
	ds_write_b64 v7, v[12:13] offset:3072
	s_branch .LBB120_142
.LBB120_148:                            ;   in Loop: Header=BB120_145 Depth=2
	s_mov_b64 s[36:37], -1
                                        ; implicit-def: $vgpr35
	s_mov_b64 s[34:35], -1
	s_branch .LBB120_144
.LBB120_149:                            ;   in Loop: Header=BB120_20 Depth=1
	s_or_b64 exec, exec, s[22:23]
	s_andn2_b64 s[0:1], s[28:29], exec
	s_and_b64 s[12:13], s[30:31], exec
	s_or_b64 s[28:29], s[0:1], s[12:13]
.LBB120_150:                            ;   in Loop: Header=BB120_20 Depth=1
	s_or_b64 exec, exec, s[20:21]
	s_mov_b64 s[20:21], 0
	s_mov_b64 s[22:23], -1
.LBB120_151:                            ;   in Loop: Header=BB120_20 Depth=1
	s_orn2_b64 s[28:29], s[28:29], exec
.LBB120_152:                            ;   in Loop: Header=BB120_20 Depth=1
	s_or_b64 exec, exec, s[24:25]
	s_mov_b64 s[30:31], 0
	s_and_saveexec_b64 s[24:25], s[28:29]
	s_cbranch_execz .LBB120_245
; %bb.153:                              ;   in Loop: Header=BB120_20 Depth=1
	s_xor_b64 s[0:1], s[26:27], -1
	s_mov_b64 s[36:37], 0
	v_mov_b32_e32 v35, 1
	v_mov_b32_e32 v2, 1
	s_and_saveexec_b64 s[26:27], s[0:1]
	s_cbranch_execz .LBB120_162
; %bb.154:                              ;   in Loop: Header=BB120_20 Depth=1
	v_cmp_ge_u32_e32 vcc, s42, v4
	s_and_saveexec_b64 s[0:1], vcc
	s_xor_b64 s[28:29], exec, s[0:1]
	s_cbranch_execz .LBB120_159
; %bb.155:                              ;   in Loop: Header=BB120_20 Depth=1
	ds_read_b32 v2, v7 offset:4104
	v_and_b32_e32 v6, v25, v3
	v_lshl_or_b32 v25, 1, v33, v6
	v_or_b32_e32 v34, v34, v1
	s_waitcnt lgkmcnt(0)
	v_cmp_ne_u32_e32 vcc, 0, v2
	s_cbranch_vccnz .LBB120_159
; %bb.156:                              ;   in Loop: Header=BB120_20 Depth=1
	s_and_saveexec_b64 s[30:31], s[2:3]
; %bb.157:                              ;   in Loop: Header=BB120_20 Depth=1
	v_mov_b32_e32 v2, s42
	ds_write_b32 v7, v2 offset:4108
; %bb.158:                              ;   in Loop: Header=BB120_20 Depth=1
	s_or_b64 exec, exec, s[30:31]
	s_waitcnt lgkmcnt(0)
	s_barrier
.LBB120_159:                            ;   in Loop: Header=BB120_20 Depth=1
	s_or_saveexec_b64 s[28:29], s[28:29]
	s_mov_b64 s[30:31], 0
	v_mov_b32_e32 v2, 8
	s_xor_b64 exec, exec, s[28:29]
; %bb.160:                              ;   in Loop: Header=BB120_20 Depth=1
	s_mov_b64 s[30:31], exec
	v_subrev_u32_e32 v4, s42, v4
	v_mov_b32_e32 v2, 0
; %bb.161:                              ;   in Loop: Header=BB120_20 Depth=1
	s_or_b64 exec, exec, s[28:29]
	s_and_b64 s[36:37], s[30:31], exec
	v_mov_b32_e32 v35, v4
.LBB120_162:                            ;   in Loop: Header=BB120_20 Depth=1
	s_or_b64 exec, exec, s[26:27]
	s_mov_b64 s[34:35], -1
                                        ; implicit-def: $sgpr28_sgpr29
                                        ; implicit-def: $sgpr30_sgpr31
	s_and_saveexec_b64 s[26:27], s[36:37]
	s_cbranch_execz .LBB120_244
; %bb.163:                              ;   in Loop: Header=BB120_20 Depth=1
	s_cmp_eq_u32 s50, 1
	s_cselect_b64 s[0:1], -1, 0
	v_cmp_eq_u32_e32 vcc, 1, v35
	s_and_b64 s[36:37], s[0:1], vcc
	s_mov_b64 s[38:39], -1
                                        ; implicit-def: $sgpr30_sgpr31
                                        ; implicit-def: $sgpr28_sgpr29
	s_and_saveexec_b64 s[34:35], s[36:37]
	s_cbranch_execz .LBB120_191
; %bb.164:                              ;   in Loop: Header=BB120_20 Depth=1
	ds_read_b32 v4, v7 offset:4104
	s_waitcnt lgkmcnt(0)
	s_barrier
	v_readfirstlane_b32 s0, v4
	s_and_saveexec_b64 s[28:29], s[16:17]
; %bb.165:                              ;   in Loop: Header=BB120_20 Depth=1
	ds_write_b32 v17, v7
; %bb.166:                              ;   in Loop: Header=BB120_20 Depth=1
	s_or_b64 exec, exec, s[28:29]
	v_and_b32_e32 v4, v25, v3
	v_lshl_or_b32 v25, 2, v33, v4
	v_or_b32_e32 v34, v34, v1
	s_mov_b64 s[28:29], -1
	s_mov_b64 s[30:31], 0
	s_cmp_eq_u32 s0, 0
	s_mov_b64 s[38:39], 0
	s_mov_b64 s[40:41], -1
	s_waitcnt lgkmcnt(0)
	s_barrier
                                        ; implicit-def: $vgpr14
	s_cbranch_scc1 .LBB120_178
; %bb.167:                              ;   in Loop: Header=BB120_20 Depth=1
	s_add_i32 s1, s0, s94
	s_mul_hi_u32 s12, s1, s71
	s_mul_i32 s12, s12, s59
	s_sub_i32 s12, s1, s12
	s_sub_i32 s13, s12, s59
	s_cmp_ge_u32 s12, s59
	s_cselect_b32 s12, s13, s12
	s_sub_i32 s13, s12, s59
	s_cmp_ge_u32 s12, s59
	s_cselect_b32 s12, s13, s12
	s_sub_i32 s1, s1, s12
	v_cmp_gt_u32_e32 vcc, s1, v0
	s_mov_b64 s[40:41], 0
                                        ; implicit-def: $vgpr14
	s_and_saveexec_b64 s[42:43], vcc
	s_cbranch_execz .LBB120_177
; %bb.168:                              ;   in Loop: Header=BB120_20 Depth=1
	v_mov_b32_e32 v4, v15
	v_mov_b32_e32 v6, v0
                                        ; implicit-def: $sgpr44_sgpr45
	s_branch .LBB120_172
.LBB120_169:                            ;   in Loop: Header=BB120_172 Depth=2
	s_or_b64 exec, exec, s[46:47]
	s_waitcnt lgkmcnt(0)
	s_barrier
	ds_read_b64 v[13:14], v7 offset:3072
	s_waitcnt lgkmcnt(0)
	s_barrier
	v_cmp_neq_f32_e32 vcc, 0, v13
	s_cbranch_vccnz .LBB120_175
; %bb.170:                              ;   in Loop: Header=BB120_172 Depth=2
	v_add_u32_e32 v6, s59, v6
	v_cmp_le_u32_e32 vcc, s1, v6
	v_add_u32_e32 v4, s61, v4
	s_mov_b64 s[46:47], 0
	s_orn2_b64 s[48:49], vcc, exec
.LBB120_171:                            ;   in Loop: Header=BB120_172 Depth=2
	s_and_b64 s[12:13], exec, s[48:49]
	s_or_b64 s[38:39], s[12:13], s[38:39]
	s_andn2_b64 s[12:13], s[44:45], exec
	s_and_b64 s[44:45], s[46:47], exec
	s_or_b64 s[44:45], s[12:13], s[44:45]
	s_andn2_b64 exec, exec, s[38:39]
	s_cbranch_execz .LBB120_176
.LBB120_172:                            ;   Parent Loop BB120_20 Depth=1
                                        ; =>  This Inner Loop Header: Depth=2
	v_cmp_gt_u32_e32 vcc, s0, v6
	s_and_saveexec_b64 s[46:47], vcc
	s_cbranch_execz .LBB120_169
; %bb.173:                              ;   in Loop: Header=BB120_172 Depth=2
	ds_read_b32 v13, v4
	s_waitcnt lgkmcnt(0)
	v_cmp_lt_i32_e32 vcc, -1, v13
	v_cndmask_b32_e32 v14, -1, v32, vcc
	v_xor_b32_e32 v14, v14, v13
	v_cmp_o_f32_e32 vcc, v13, v13
	v_cndmask_b32_e32 v14, -1, v14, vcc
	v_and_b32_e32 v14, v14, v34
	v_cmp_eq_u32_e32 vcc, v14, v25
	s_and_b64 exec, exec, vcc
	s_cbranch_execz .LBB120_169
; %bb.174:                              ;   in Loop: Header=BB120_172 Depth=2
	ds_write_b64 v7, v[12:13] offset:3072
	s_branch .LBB120_169
.LBB120_175:                            ;   in Loop: Header=BB120_172 Depth=2
	s_mov_b64 s[48:49], -1
                                        ; implicit-def: $vgpr6
                                        ; implicit-def: $vgpr4
	s_mov_b64 s[46:47], -1
	s_branch .LBB120_171
.LBB120_176:                            ;   in Loop: Header=BB120_20 Depth=1
	s_or_b64 exec, exec, s[38:39]
	s_and_b64 s[38:39], s[44:45], exec
.LBB120_177:                            ;   in Loop: Header=BB120_20 Depth=1
	s_or_b64 exec, exec, s[42:43]
.LBB120_178:                            ;   in Loop: Header=BB120_20 Depth=1
	s_and_b64 vcc, exec, s[40:41]
	s_cbranch_vccz .LBB120_190
; %bb.179:                              ;   in Loop: Header=BB120_20 Depth=1
                                        ; implicit-def: $vgpr14
	s_mov_b64 s[28:29], exec
	v_readlane_b32 s0, v48, 17
	v_readlane_b32 s1, v48, 18
	s_and_b64 s[0:1], s[28:29], s[0:1]
	s_mov_b64 exec, s[0:1]
	s_cbranch_execz .LBB120_189
; %bb.180:                              ;   in Loop: Header=BB120_20 Depth=1
	s_mov_b64 s[30:31], 0
	v_mov_b32_e32 v6, v5
	v_mov_b32_e32 v4, v0
                                        ; implicit-def: $sgpr40_sgpr41
	s_branch .LBB120_184
.LBB120_181:                            ;   in Loop: Header=BB120_184 Depth=2
	s_or_b64 exec, exec, s[42:43]
	s_waitcnt lgkmcnt(0)
	s_barrier
	ds_read_b64 v[13:14], v7 offset:3072
	s_waitcnt lgkmcnt(0)
	s_barrier
	v_cmp_eq_f32_e32 vcc, 0, v13
	s_cbranch_vccz .LBB120_187
; %bb.182:                              ;   in Loop: Header=BB120_184 Depth=2
	v_add_u32_e32 v4, s59, v4
	v_cmp_le_u32_e32 vcc, s72, v4
	v_add_u32_e32 v6, s60, v6
	s_mov_b64 s[42:43], 0
	s_orn2_b64 s[44:45], vcc, exec
.LBB120_183:                            ;   in Loop: Header=BB120_184 Depth=2
	s_and_b64 s[0:1], exec, s[44:45]
	s_or_b64 s[30:31], s[0:1], s[30:31]
	s_andn2_b64 s[0:1], s[40:41], exec
	s_and_b64 s[12:13], s[42:43], exec
	s_or_b64 s[40:41], s[0:1], s[12:13]
	s_andn2_b64 exec, exec, s[30:31]
	s_cbranch_execz .LBB120_188
.LBB120_184:                            ;   Parent Loop BB120_20 Depth=1
                                        ; =>  This Inner Loop Header: Depth=2
	v_cmp_gt_u32_e32 vcc, s56, v4
	s_and_saveexec_b64 s[42:43], vcc
	s_cbranch_execz .LBB120_181
; %bb.185:                              ;   in Loop: Header=BB120_184 Depth=2
	v_lshlrev_b64 v[13:14], 2, v[6:7]
	v_mov_b32_e32 v36, s95
	v_add_co_u32_e32 v13, vcc, s57, v13
	v_addc_co_u32_e32 v14, vcc, v36, v14, vcc
	global_load_dword v13, v[13:14], off
	s_waitcnt vmcnt(0)
	v_cmp_lt_i32_e32 vcc, -1, v13
	v_cndmask_b32_e32 v14, -1, v32, vcc
	v_xor_b32_e32 v14, v14, v13
	v_cmp_o_f32_e32 vcc, v13, v13
	v_cndmask_b32_e32 v14, -1, v14, vcc
	v_and_b32_e32 v14, v14, v34
	v_cmp_eq_u32_e32 vcc, v14, v25
	s_and_b64 exec, exec, vcc
	s_cbranch_execz .LBB120_181
; %bb.186:                              ;   in Loop: Header=BB120_184 Depth=2
	ds_write_b64 v7, v[12:13] offset:3072
	s_branch .LBB120_181
.LBB120_187:                            ;   in Loop: Header=BB120_184 Depth=2
	s_mov_b64 s[44:45], -1
                                        ; implicit-def: $vgpr4
	s_mov_b64 s[42:43], -1
	s_branch .LBB120_183
.LBB120_188:                            ;   in Loop: Header=BB120_20 Depth=1
	s_or_b64 exec, exec, s[30:31]
	s_andn2_b64 s[0:1], s[38:39], exec
	s_and_b64 s[12:13], s[40:41], exec
	s_or_b64 s[38:39], s[0:1], s[12:13]
.LBB120_189:                            ;   in Loop: Header=BB120_20 Depth=1
	s_or_b64 exec, exec, s[28:29]
	s_mov_b64 s[28:29], 0
	s_mov_b64 s[30:31], -1
.LBB120_190:                            ;   in Loop: Header=BB120_20 Depth=1
	s_orn2_b64 s[38:39], s[38:39], exec
.LBB120_191:                            ;   in Loop: Header=BB120_20 Depth=1
	s_or_b64 exec, exec, s[34:35]
	s_mov_b64 s[40:41], 0
	s_and_saveexec_b64 s[34:35], s[38:39]
	s_cbranch_execz .LBB120_243
; %bb.192:                              ;   in Loop: Header=BB120_20 Depth=1
	s_xor_b64 s[0:1], s[36:37], -1
	s_mov_b64 s[44:45], 0
	v_mov_b32_e32 v4, 1
	v_mov_b32_e32 v2, 1
	s_and_saveexec_b64 s[36:37], s[0:1]
	s_cbranch_execz .LBB120_201
; %bb.193:                              ;   in Loop: Header=BB120_20 Depth=1
	v_cmp_ge_u32_e32 vcc, s50, v35
	s_and_saveexec_b64 s[0:1], vcc
	s_xor_b64 s[38:39], exec, s[0:1]
	s_cbranch_execz .LBB120_198
; %bb.194:                              ;   in Loop: Header=BB120_20 Depth=1
	ds_read_b32 v2, v7 offset:4104
	v_and_b32_e32 v3, v25, v3
	v_lshl_or_b32 v25, 2, v33, v3
	v_or_b32_e32 v34, v34, v1
	s_waitcnt lgkmcnt(0)
	v_cmp_ne_u32_e32 vcc, 0, v2
	s_cbranch_vccnz .LBB120_198
; %bb.195:                              ;   in Loop: Header=BB120_20 Depth=1
	s_and_saveexec_b64 s[40:41], s[2:3]
; %bb.196:                              ;   in Loop: Header=BB120_20 Depth=1
	v_mov_b32_e32 v2, s50
	ds_write_b32 v7, v2 offset:4108
; %bb.197:                              ;   in Loop: Header=BB120_20 Depth=1
	s_or_b64 exec, exec, s[40:41]
	s_waitcnt lgkmcnt(0)
	s_barrier
.LBB120_198:                            ;   in Loop: Header=BB120_20 Depth=1
	s_or_saveexec_b64 s[38:39], s[38:39]
	s_mov_b64 s[40:41], 0
	v_mov_b32_e32 v2, 8
	s_xor_b64 exec, exec, s[38:39]
; %bb.199:                              ;   in Loop: Header=BB120_20 Depth=1
	s_mov_b64 s[40:41], exec
	v_subrev_u32_e32 v35, s50, v35
	v_mov_b32_e32 v2, 0
; %bb.200:                              ;   in Loop: Header=BB120_20 Depth=1
	s_or_b64 exec, exec, s[38:39]
	s_and_b64 s[44:45], s[40:41], exec
	v_mov_b32_e32 v4, v35
.LBB120_201:                            ;   in Loop: Header=BB120_20 Depth=1
	s_or_b64 exec, exec, s[36:37]
	s_mov_b64 s[38:39], -1
                                        ; implicit-def: $sgpr42_sgpr43
                                        ; implicit-def: $sgpr40_sgpr41
	s_and_saveexec_b64 s[36:37], s[44:45]
	s_cbranch_execz .LBB120_242
; %bb.202:                              ;   in Loop: Header=BB120_20 Depth=1
	s_cmp_eq_u32 s75, 1
	s_cselect_b64 s[0:1], -1, 0
	v_cmp_eq_u32_e32 vcc, 1, v4
	s_and_b64 s[38:39], s[0:1], vcc
	s_mov_b64 s[46:47], -1
                                        ; implicit-def: $sgpr42_sgpr43
                                        ; implicit-def: $sgpr40_sgpr41
	s_and_saveexec_b64 s[44:45], s[38:39]
	s_cbranch_execz .LBB120_230
; %bb.203:                              ;   in Loop: Header=BB120_20 Depth=1
	ds_read_b32 v3, v7 offset:4104
	s_waitcnt lgkmcnt(0)
	s_barrier
	v_readfirstlane_b32 s0, v3
	s_and_saveexec_b64 s[40:41], s[16:17]
; %bb.204:                              ;   in Loop: Header=BB120_20 Depth=1
	ds_write_b32 v17, v7
; %bb.205:                              ;   in Loop: Header=BB120_20 Depth=1
	s_or_b64 exec, exec, s[40:41]
	v_or_b32_e32 v25, v25, v1
	v_or_b32_e32 v34, v34, v1
	s_mov_b64 s[40:41], -1
	s_mov_b64 s[42:43], 0
	s_cmp_eq_u32 s0, 0
	s_mov_b64 s[46:47], 0
	s_mov_b64 s[48:49], -1
	s_waitcnt lgkmcnt(0)
	s_barrier
                                        ; implicit-def: $vgpr14
	s_cbranch_scc1 .LBB120_217
; %bb.206:                              ;   in Loop: Header=BB120_20 Depth=1
	s_add_i32 s1, s0, s94
	s_mul_hi_u32 s12, s1, s71
	s_mul_i32 s12, s12, s59
	s_sub_i32 s12, s1, s12
	s_sub_i32 s13, s12, s59
	s_cmp_ge_u32 s12, s59
	s_cselect_b32 s12, s13, s12
	s_sub_i32 s13, s12, s59
	s_cmp_ge_u32 s12, s59
	s_cselect_b32 s12, s13, s12
	s_sub_i32 s1, s1, s12
	v_cmp_gt_u32_e32 vcc, s1, v0
	s_mov_b64 s[48:49], 0
                                        ; implicit-def: $vgpr14
	s_and_saveexec_b64 s[50:51], vcc
	s_cbranch_execz .LBB120_216
; %bb.207:                              ;   in Loop: Header=BB120_20 Depth=1
	v_mov_b32_e32 v3, v15
	v_mov_b32_e32 v6, v0
                                        ; implicit-def: $sgpr52_sgpr53
	s_branch .LBB120_211
.LBB120_208:                            ;   in Loop: Header=BB120_211 Depth=2
	s_or_b64 exec, exec, s[54:55]
	s_waitcnt lgkmcnt(0)
	s_barrier
	ds_read_b64 v[13:14], v7 offset:3072
	s_waitcnt lgkmcnt(0)
	s_barrier
	v_cmp_neq_f32_e32 vcc, 0, v13
	s_cbranch_vccnz .LBB120_214
; %bb.209:                              ;   in Loop: Header=BB120_211 Depth=2
	v_add_u32_e32 v6, s59, v6
	v_cmp_le_u32_e32 vcc, s1, v6
	v_add_u32_e32 v3, s61, v3
	s_mov_b64 s[54:55], 0
	s_orn2_b64 s[90:91], vcc, exec
.LBB120_210:                            ;   in Loop: Header=BB120_211 Depth=2
	s_and_b64 s[12:13], exec, s[90:91]
	s_or_b64 s[46:47], s[12:13], s[46:47]
	s_andn2_b64 s[12:13], s[52:53], exec
	s_and_b64 s[52:53], s[54:55], exec
	s_or_b64 s[52:53], s[12:13], s[52:53]
	s_andn2_b64 exec, exec, s[46:47]
	s_cbranch_execz .LBB120_215
.LBB120_211:                            ;   Parent Loop BB120_20 Depth=1
                                        ; =>  This Inner Loop Header: Depth=2
	v_cmp_gt_u32_e32 vcc, s0, v6
	s_and_saveexec_b64 s[54:55], vcc
	s_cbranch_execz .LBB120_208
; %bb.212:                              ;   in Loop: Header=BB120_211 Depth=2
	ds_read_b32 v13, v3
	s_waitcnt lgkmcnt(0)
	v_cmp_lt_i32_e32 vcc, -1, v13
	v_cndmask_b32_e32 v14, -1, v32, vcc
	v_xor_b32_e32 v14, v14, v13
	v_cmp_o_f32_e32 vcc, v13, v13
	v_cndmask_b32_e32 v14, -1, v14, vcc
	v_and_b32_e32 v14, v14, v34
	v_cmp_eq_u32_e32 vcc, v14, v25
	s_and_b64 exec, exec, vcc
	s_cbranch_execz .LBB120_208
; %bb.213:                              ;   in Loop: Header=BB120_211 Depth=2
	ds_write_b64 v7, v[12:13] offset:3072
	s_branch .LBB120_208
.LBB120_214:                            ;   in Loop: Header=BB120_211 Depth=2
	s_mov_b64 s[90:91], -1
                                        ; implicit-def: $vgpr6
                                        ; implicit-def: $vgpr3
	s_mov_b64 s[54:55], -1
	s_branch .LBB120_210
.LBB120_215:                            ;   in Loop: Header=BB120_20 Depth=1
	s_or_b64 exec, exec, s[46:47]
	s_and_b64 s[46:47], s[52:53], exec
.LBB120_216:                            ;   in Loop: Header=BB120_20 Depth=1
	s_or_b64 exec, exec, s[50:51]
.LBB120_217:                            ;   in Loop: Header=BB120_20 Depth=1
	s_and_b64 vcc, exec, s[48:49]
	s_cbranch_vccz .LBB120_229
; %bb.218:                              ;   in Loop: Header=BB120_20 Depth=1
                                        ; implicit-def: $vgpr14
	s_mov_b64 s[40:41], exec
	v_readlane_b32 s0, v48, 17
	v_readlane_b32 s1, v48, 18
	s_and_b64 s[0:1], s[40:41], s[0:1]
	s_mov_b64 exec, s[0:1]
	s_cbranch_execz .LBB120_228
; %bb.219:                              ;   in Loop: Header=BB120_20 Depth=1
	s_mov_b64 s[42:43], 0
	v_mov_b32_e32 v6, v5
	v_mov_b32_e32 v3, v0
                                        ; implicit-def: $sgpr48_sgpr49
	s_branch .LBB120_223
.LBB120_220:                            ;   in Loop: Header=BB120_223 Depth=2
	s_or_b64 exec, exec, s[50:51]
	s_waitcnt lgkmcnt(0)
	s_barrier
	ds_read_b64 v[13:14], v7 offset:3072
	s_waitcnt lgkmcnt(0)
	s_barrier
	v_cmp_eq_f32_e32 vcc, 0, v13
	s_cbranch_vccz .LBB120_226
; %bb.221:                              ;   in Loop: Header=BB120_223 Depth=2
	v_add_u32_e32 v3, s59, v3
	v_cmp_le_u32_e32 vcc, s72, v3
	v_add_u32_e32 v6, s60, v6
	s_mov_b64 s[50:51], 0
	s_orn2_b64 s[52:53], vcc, exec
.LBB120_222:                            ;   in Loop: Header=BB120_223 Depth=2
	s_and_b64 s[0:1], exec, s[52:53]
	s_or_b64 s[42:43], s[0:1], s[42:43]
	s_andn2_b64 s[0:1], s[48:49], exec
	s_and_b64 s[12:13], s[50:51], exec
	s_or_b64 s[48:49], s[0:1], s[12:13]
	s_andn2_b64 exec, exec, s[42:43]
	s_cbranch_execz .LBB120_227
.LBB120_223:                            ;   Parent Loop BB120_20 Depth=1
                                        ; =>  This Inner Loop Header: Depth=2
	v_cmp_gt_u32_e32 vcc, s56, v3
	s_and_saveexec_b64 s[50:51], vcc
	s_cbranch_execz .LBB120_220
; %bb.224:                              ;   in Loop: Header=BB120_223 Depth=2
	v_lshlrev_b64 v[13:14], 2, v[6:7]
	v_mov_b32_e32 v35, s95
	v_add_co_u32_e32 v13, vcc, s57, v13
	v_addc_co_u32_e32 v14, vcc, v35, v14, vcc
	global_load_dword v13, v[13:14], off
	s_waitcnt vmcnt(0)
	v_cmp_lt_i32_e32 vcc, -1, v13
	v_cndmask_b32_e32 v14, -1, v32, vcc
	v_xor_b32_e32 v14, v14, v13
	v_cmp_o_f32_e32 vcc, v13, v13
	v_cndmask_b32_e32 v14, -1, v14, vcc
	v_and_b32_e32 v14, v14, v34
	v_cmp_eq_u32_e32 vcc, v14, v25
	s_and_b64 exec, exec, vcc
	s_cbranch_execz .LBB120_220
; %bb.225:                              ;   in Loop: Header=BB120_223 Depth=2
	ds_write_b64 v7, v[12:13] offset:3072
	s_branch .LBB120_220
.LBB120_226:                            ;   in Loop: Header=BB120_223 Depth=2
	s_mov_b64 s[52:53], -1
                                        ; implicit-def: $vgpr3
	s_mov_b64 s[50:51], -1
	s_branch .LBB120_222
.LBB120_227:                            ;   in Loop: Header=BB120_20 Depth=1
	s_or_b64 exec, exec, s[42:43]
	s_andn2_b64 s[0:1], s[46:47], exec
	s_and_b64 s[12:13], s[48:49], exec
	s_or_b64 s[46:47], s[0:1], s[12:13]
.LBB120_228:                            ;   in Loop: Header=BB120_20 Depth=1
	s_or_b64 exec, exec, s[40:41]
	s_mov_b64 s[40:41], 0
	s_mov_b64 s[42:43], -1
.LBB120_229:                            ;   in Loop: Header=BB120_20 Depth=1
	s_orn2_b64 s[46:47], s[46:47], exec
.LBB120_230:                            ;   in Loop: Header=BB120_20 Depth=1
	s_or_b64 exec, exec, s[44:45]
	s_mov_b64 s[48:49], 0
	s_and_saveexec_b64 s[44:45], s[46:47]
	s_cbranch_execz .LBB120_241
; %bb.231:                              ;   in Loop: Header=BB120_20 Depth=1
	s_xor_b64 s[0:1], s[38:39], -1
	v_mov_b32_e32 v2, 1
	v_mov_b32_e32 v3, 1
	s_and_saveexec_b64 s[38:39], s[0:1]
	s_cbranch_execz .LBB120_240
; %bb.232:                              ;   in Loop: Header=BB120_20 Depth=1
	v_cmp_ge_u32_e32 vcc, s75, v4
	s_and_saveexec_b64 s[0:1], vcc
	s_xor_b64 s[46:47], exec, s[0:1]
	s_cbranch_execz .LBB120_237
; %bb.233:                              ;   in Loop: Header=BB120_20 Depth=1
	ds_read_b32 v2, v7 offset:4104
	v_or_b32_e32 v25, v25, v1
	v_or_b32_e32 v34, v34, v1
	s_waitcnt lgkmcnt(0)
	v_cmp_ne_u32_e32 vcc, 0, v2
	s_cbranch_vccnz .LBB120_237
; %bb.234:                              ;   in Loop: Header=BB120_20 Depth=1
	s_and_saveexec_b64 s[48:49], s[2:3]
; %bb.235:                              ;   in Loop: Header=BB120_20 Depth=1
	v_mov_b32_e32 v1, s75
	ds_write_b32 v7, v1 offset:4108
; %bb.236:                              ;   in Loop: Header=BB120_20 Depth=1
	s_or_b64 exec, exec, s[48:49]
	s_waitcnt lgkmcnt(0)
	s_barrier
.LBB120_237:                            ;   in Loop: Header=BB120_20 Depth=1
	s_andn2_saveexec_b64 s[46:47], s[46:47]
; %bb.238:                              ;   in Loop: Header=BB120_20 Depth=1
	v_subrev_u32_e32 v4, s75, v4
; %bb.239:                              ;   in Loop: Header=BB120_20 Depth=1
	s_or_b64 exec, exec, s[46:47]
	v_mov_b32_e32 v2, 8
	v_mov_b32_e32 v3, v4
.LBB120_240:                            ;   in Loop: Header=BB120_20 Depth=1
	s_or_b64 exec, exec, s[38:39]
	s_mov_b64 s[48:49], exec
	v_mov_b32_e32 v4, v3
.LBB120_241:                            ;   in Loop: Header=BB120_20 Depth=1
	s_or_b64 exec, exec, s[44:45]
	s_orn2_b64 s[38:39], s[48:49], exec
.LBB120_242:                            ;   in Loop: Header=BB120_20 Depth=1
	s_or_b64 exec, exec, s[36:37]
	s_andn2_b64 s[0:1], s[30:31], exec
	s_and_b64 s[12:13], s[42:43], exec
	s_or_b64 s[30:31], s[0:1], s[12:13]
	s_andn2_b64 s[0:1], s[28:29], exec
	s_and_b64 s[12:13], s[40:41], exec
	s_or_b64 s[28:29], s[0:1], s[12:13]
	s_and_b64 s[40:41], s[38:39], exec
	v_mov_b32_e32 v35, v4
.LBB120_243:                            ;   in Loop: Header=BB120_20 Depth=1
	s_or_b64 exec, exec, s[34:35]
	s_orn2_b64 s[34:35], s[40:41], exec
.LBB120_244:                            ;   in Loop: Header=BB120_20 Depth=1
	s_or_b64 exec, exec, s[26:27]
	s_andn2_b64 s[0:1], s[22:23], exec
	s_and_b64 s[12:13], s[30:31], exec
	s_or_b64 s[22:23], s[0:1], s[12:13]
	s_andn2_b64 s[0:1], s[20:21], exec
	s_and_b64 s[12:13], s[28:29], exec
	s_or_b64 s[20:21], s[0:1], s[12:13]
	s_and_b64 s[30:31], s[34:35], exec
	v_mov_b32_e32 v4, v35
.LBB120_245:                            ;   in Loop: Header=BB120_20 Depth=1
	s_or_b64 exec, exec, s[24:25]
	s_orn2_b64 s[24:25], s[30:31], exec
.LBB120_246:                            ;   in Loop: Header=BB120_20 Depth=1
	s_or_b64 exec, exec, s[18:19]
	s_mov_b64 s[26:27], 0
                                        ; implicit-def: $sgpr0
	s_and_saveexec_b64 s[12:13], s[24:25]
	s_xor_b64 s[18:19], exec, s[12:13]
	s_cbranch_execz .LBB120_18
; %bb.247:                              ;   in Loop: Header=BB120_20 Depth=1
	v_and_b32_e32 v1, 7, v2
	v_cmp_eq_u32_e32 vcc, 0, v1
	s_mov_b64 s[14:15], -1
	s_mov_b64 s[24:25], -1
                                        ; implicit-def: $sgpr0
	s_and_saveexec_b64 s[26:27], vcc
	s_cbranch_execz .LBB120_17
; %bb.248:                              ;   in Loop: Header=BB120_20 Depth=1
	v_add_u32_e32 v1, -2, v33
	v_cmp_eq_u32_e32 vcc, 0, v33
	s_xor_b32 s0, s70, 1
	s_xor_b64 s[24:25], exec, -1
	s_orn2_b64 s[14:15], vcc, exec
	v_mov_b32_e32 v33, v1
	s_branch .LBB120_17
.LBB120_249:
	s_or_b64 exec, exec, s[76:77]
	s_xor_b64 s[8:9], s[82:83], -1
	s_xor_b64 s[0:1], s[78:79], -1
	;; [unrolled: 1-line block ×3, first 2 shown]
	s_mov_b64 s[4:5], 0
	s_and_saveexec_b64 s[2:3], s[0:1]
	s_xor_b64 s[2:3], exec, s[2:3]
	s_cbranch_execnz .LBB120_254
; %bb.250:
	s_andn2_saveexec_b64 s[0:1], s[2:3]
	s_cbranch_execnz .LBB120_267
.LBB120_251:
	s_or_b64 exec, exec, s[0:1]
	s_and_saveexec_b64 s[0:1], s[4:5]
.LBB120_252:
	; divergent unreachable
.LBB120_253:
	s_endpgm
.LBB120_254:
	s_and_saveexec_b64 s[0:1], s[8:9]
	s_xor_b64 s[4:5], exec, s[0:1]
	s_cbranch_execz .LBB120_265
; %bb.255:
	s_and_saveexec_b64 s[0:1], s[6:7]
	s_xor_b64 s[6:7], exec, s[0:1]
; %bb.256:
	v_bfrev_b32_e32 v1, 1
	v_cmp_lt_i32_e32 vcc, -1, v25
	v_cndmask_b32_e64 v1, v1, -1, vcc
	v_xor_b32_e32 v14, v1, v25
; %bb.257:
	s_or_b64 exec, exec, s[6:7]
	v_readlane_b32 s0, v48, 8
	v_readlane_b32 s1, v48, 4
	s_mul_i32 s0, s0, s1
	s_mov_b32 s1, 0
	s_lshl_b64 s[0:1], s[0:1], 2
	v_readlane_b32 s6, v48, 2
	v_readlane_b32 s7, v48, 3
	s_add_u32 s0, s6, s0
	s_addc_u32 s1, s7, s1
	v_mov_b32_e32 v6, 0
	global_store_dword v6, v14, s[0:1]
	s_mov_b64 s[6:7], exec
	v_readlane_b32 s0, v48, 5
	v_readlane_b32 s1, v48, 6
	s_and_b64 s[0:1], s[6:7], s[0:1]
	s_mov_b64 exec, s[0:1]
	s_cbranch_execz .LBB120_264
; %bb.258:
	v_cmp_u_f32_e32 vcc, v14, v14
	s_mov_b64 s[8:9], 0
	v_mov_b32_e32 v2, s95
	s_xor_b64 s[12:13], vcc, -1
                                        ; implicit-def: $sgpr10_sgpr11
                                        ; implicit-def: $sgpr16_sgpr17
                                        ; implicit-def: $sgpr14_sgpr15
	s_branch .LBB120_260
.LBB120_259:                            ;   in Loop: Header=BB120_260 Depth=1
	s_or_b64 exec, exec, s[0:1]
	s_and_b64 s[0:1], exec, s[16:17]
	s_or_b64 s[8:9], s[0:1], s[8:9]
	s_andn2_b64 s[0:1], s[10:11], exec
	s_and_b64 s[10:11], s[14:15], exec
	s_or_b64 s[10:11], s[0:1], s[10:11]
	s_andn2_b64 exec, exec, s[8:9]
	s_cbranch_execz .LBB120_262
.LBB120_260:                            ; =>This Inner Loop Header: Depth=1
	v_lshlrev_b64 v[3:4], 2, v[5:6]
	v_mov_b32_e32 v1, v0
	v_add_co_u32_e32 v3, vcc, s57, v3
	v_addc_co_u32_e32 v4, vcc, v2, v4, vcc
	global_load_dword v3, v[3:4], off
	s_or_b64 s[14:15], s[14:15], exec
	s_or_b64 s[16:17], s[16:17], exec
                                        ; implicit-def: $vgpr0
	s_waitcnt vmcnt(0)
	v_cmp_o_f32_e64 s[0:1], v3, v3
	v_cmp_neq_f32_e32 vcc, v3, v14
	s_or_b64 s[0:1], s[0:1], s[12:13]
	s_and_b64 s[18:19], vcc, s[0:1]
	s_and_saveexec_b64 s[0:1], s[18:19]
	s_cbranch_execz .LBB120_259
; %bb.261:                              ;   in Loop: Header=BB120_260 Depth=1
	v_add_u32_e32 v0, s59, v1
	v_cmp_le_u32_e32 vcc, s56, v0
	s_andn2_b64 s[16:17], s[16:17], exec
	s_and_b64 s[18:19], vcc, exec
	v_add_u32_e32 v5, s60, v5
	s_andn2_b64 s[14:15], s[14:15], exec
	s_or_b64 s[16:17], s[16:17], s[18:19]
	s_branch .LBB120_259
.LBB120_262:
	s_or_b64 exec, exec, s[8:9]
	s_and_saveexec_b64 s[0:1], s[10:11]
	s_xor_b64 s[0:1], exec, s[0:1]
	s_cbranch_execz .LBB120_264
; %bb.263:
	v_readlane_b32 s0, v48, 7
	v_readlane_b32 s1, v48, 4
	s_mul_i32 s0, s0, s1
	s_mov_b32 s1, 0
	s_lshl_b64 s[0:1], s[0:1], 3
	v_readlane_b32 s8, v48, 0
	v_readlane_b32 s9, v48, 1
	s_add_u32 s0, s8, s0
	s_addc_u32 s1, s9, s1
	v_mov_b32_e32 v2, 0
	global_store_dwordx2 v2, v[1:2], s[0:1]
.LBB120_264:
	s_or_b64 exec, exec, s[6:7]
.LBB120_265:
	s_or_saveexec_b64 s[0:1], s[4:5]
	s_mov_b64 s[4:5], 0
	s_xor_b64 exec, exec, s[0:1]
	s_cbranch_execnz .LBB120_268
.LBB120_266:
	s_or_b64 exec, exec, s[0:1]
	s_and_b64 s[4:5], s[4:5], exec
	s_andn2_saveexec_b64 s[0:1], s[2:3]
	s_cbranch_execz .LBB120_251
.LBB120_267:
	s_or_b64 s[4:5], s[4:5], exec
	s_trap 2
	s_or_b64 exec, exec, s[0:1]
	s_and_saveexec_b64 s[0:1], s[4:5]
	s_cbranch_execnz .LBB120_252
	s_branch .LBB120_253
.LBB120_268:
	s_mov_b64 s[4:5], exec
	s_trap 2
	s_branch .LBB120_266
	.section	.rodata,"a",@progbits
	.p2align	6, 0x0
	.amdhsa_kernel _ZN2at6native12_GLOBAL__N_112gatherMedianIfjLi1EEEvNS_4cuda6detail10TensorInfoIT_T0_EENS5_IlS7_EENS5_IKS6_S7_EES7_S7_S7_b
		.amdhsa_group_segment_fixed_size 4120
		.amdhsa_private_segment_fixed_size 0
		.amdhsa_kernarg_size 920
		.amdhsa_user_sgpr_count 6
		.amdhsa_user_sgpr_private_segment_buffer 1
		.amdhsa_user_sgpr_dispatch_ptr 0
		.amdhsa_user_sgpr_queue_ptr 0
		.amdhsa_user_sgpr_kernarg_segment_ptr 1
		.amdhsa_user_sgpr_dispatch_id 0
		.amdhsa_user_sgpr_flat_scratch_init 0
		.amdhsa_user_sgpr_private_segment_size 0
		.amdhsa_uses_dynamic_stack 0
		.amdhsa_system_sgpr_private_segment_wavefront_offset 0
		.amdhsa_system_sgpr_workgroup_id_x 1
		.amdhsa_system_sgpr_workgroup_id_y 1
		.amdhsa_system_sgpr_workgroup_id_z 1
		.amdhsa_system_sgpr_workgroup_info 0
		.amdhsa_system_vgpr_workitem_id 0
		.amdhsa_next_free_vgpr 49
		.amdhsa_next_free_sgpr 96
		.amdhsa_reserve_vcc 1
		.amdhsa_reserve_flat_scratch 0
		.amdhsa_float_round_mode_32 0
		.amdhsa_float_round_mode_16_64 0
		.amdhsa_float_denorm_mode_32 3
		.amdhsa_float_denorm_mode_16_64 3
		.amdhsa_dx10_clamp 1
		.amdhsa_ieee_mode 1
		.amdhsa_fp16_overflow 0
		.amdhsa_exception_fp_ieee_invalid_op 0
		.amdhsa_exception_fp_denorm_src 0
		.amdhsa_exception_fp_ieee_div_zero 0
		.amdhsa_exception_fp_ieee_overflow 0
		.amdhsa_exception_fp_ieee_underflow 0
		.amdhsa_exception_fp_ieee_inexact 0
		.amdhsa_exception_int_div_zero 0
	.end_amdhsa_kernel
	.section	.text._ZN2at6native12_GLOBAL__N_112gatherMedianIfjLi1EEEvNS_4cuda6detail10TensorInfoIT_T0_EENS5_IlS7_EENS5_IKS6_S7_EES7_S7_S7_b,"axG",@progbits,_ZN2at6native12_GLOBAL__N_112gatherMedianIfjLi1EEEvNS_4cuda6detail10TensorInfoIT_T0_EENS5_IlS7_EENS5_IKS6_S7_EES7_S7_S7_b,comdat
.Lfunc_end120:
	.size	_ZN2at6native12_GLOBAL__N_112gatherMedianIfjLi1EEEvNS_4cuda6detail10TensorInfoIT_T0_EENS5_IlS7_EENS5_IKS6_S7_EES7_S7_S7_b, .Lfunc_end120-_ZN2at6native12_GLOBAL__N_112gatherMedianIfjLi1EEEvNS_4cuda6detail10TensorInfoIT_T0_EENS5_IlS7_EENS5_IKS6_S7_EES7_S7_S7_b
                                        ; -- End function
	.set _ZN2at6native12_GLOBAL__N_112gatherMedianIfjLi1EEEvNS_4cuda6detail10TensorInfoIT_T0_EENS5_IlS7_EENS5_IKS6_S7_EES7_S7_S7_b.num_vgpr, 49
	.set _ZN2at6native12_GLOBAL__N_112gatherMedianIfjLi1EEEvNS_4cuda6detail10TensorInfoIT_T0_EENS5_IlS7_EENS5_IKS6_S7_EES7_S7_S7_b.num_agpr, 0
	.set _ZN2at6native12_GLOBAL__N_112gatherMedianIfjLi1EEEvNS_4cuda6detail10TensorInfoIT_T0_EENS5_IlS7_EENS5_IKS6_S7_EES7_S7_S7_b.numbered_sgpr, 96
	.set _ZN2at6native12_GLOBAL__N_112gatherMedianIfjLi1EEEvNS_4cuda6detail10TensorInfoIT_T0_EENS5_IlS7_EENS5_IKS6_S7_EES7_S7_S7_b.num_named_barrier, 0
	.set _ZN2at6native12_GLOBAL__N_112gatherMedianIfjLi1EEEvNS_4cuda6detail10TensorInfoIT_T0_EENS5_IlS7_EENS5_IKS6_S7_EES7_S7_S7_b.private_seg_size, 0
	.set _ZN2at6native12_GLOBAL__N_112gatherMedianIfjLi1EEEvNS_4cuda6detail10TensorInfoIT_T0_EENS5_IlS7_EENS5_IKS6_S7_EES7_S7_S7_b.uses_vcc, 1
	.set _ZN2at6native12_GLOBAL__N_112gatherMedianIfjLi1EEEvNS_4cuda6detail10TensorInfoIT_T0_EENS5_IlS7_EENS5_IKS6_S7_EES7_S7_S7_b.uses_flat_scratch, 0
	.set _ZN2at6native12_GLOBAL__N_112gatherMedianIfjLi1EEEvNS_4cuda6detail10TensorInfoIT_T0_EENS5_IlS7_EENS5_IKS6_S7_EES7_S7_S7_b.has_dyn_sized_stack, 0
	.set _ZN2at6native12_GLOBAL__N_112gatherMedianIfjLi1EEEvNS_4cuda6detail10TensorInfoIT_T0_EENS5_IlS7_EENS5_IKS6_S7_EES7_S7_S7_b.has_recursion, 0
	.set _ZN2at6native12_GLOBAL__N_112gatherMedianIfjLi1EEEvNS_4cuda6detail10TensorInfoIT_T0_EENS5_IlS7_EENS5_IKS6_S7_EES7_S7_S7_b.has_indirect_call, 0
	.section	.AMDGPU.csdata,"",@progbits
; Kernel info:
; codeLenInByte = 9272
; TotalNumSgprs: 100
; NumVgprs: 49
; ScratchSize: 0
; MemoryBound: 0
; FloatMode: 240
; IeeeMode: 1
; LDSByteSize: 4120 bytes/workgroup (compile time only)
; SGPRBlocks: 12
; VGPRBlocks: 12
; NumSGPRsForWavesPerEU: 100
; NumVGPRsForWavesPerEU: 49
; Occupancy: 4
; WaveLimiterHint : 1
; COMPUTE_PGM_RSRC2:SCRATCH_EN: 0
; COMPUTE_PGM_RSRC2:USER_SGPR: 6
; COMPUTE_PGM_RSRC2:TRAP_HANDLER: 0
; COMPUTE_PGM_RSRC2:TGID_X_EN: 1
; COMPUTE_PGM_RSRC2:TGID_Y_EN: 1
; COMPUTE_PGM_RSRC2:TGID_Z_EN: 1
; COMPUTE_PGM_RSRC2:TIDIG_COMP_CNT: 0
	.section	.text._ZN2at6native12_GLOBAL__N_112gatherMedianIfjLi2EEEvNS_4cuda6detail10TensorInfoIT_T0_EENS5_IlS7_EENS5_IKS6_S7_EES7_S7_S7_b,"axG",@progbits,_ZN2at6native12_GLOBAL__N_112gatherMedianIfjLi2EEEvNS_4cuda6detail10TensorInfoIT_T0_EENS5_IlS7_EENS5_IKS6_S7_EES7_S7_S7_b,comdat
	.globl	_ZN2at6native12_GLOBAL__N_112gatherMedianIfjLi2EEEvNS_4cuda6detail10TensorInfoIT_T0_EENS5_IlS7_EENS5_IKS6_S7_EES7_S7_S7_b ; -- Begin function _ZN2at6native12_GLOBAL__N_112gatherMedianIfjLi2EEEvNS_4cuda6detail10TensorInfoIT_T0_EENS5_IlS7_EENS5_IKS6_S7_EES7_S7_S7_b
	.p2align	8
	.type	_ZN2at6native12_GLOBAL__N_112gatherMedianIfjLi2EEEvNS_4cuda6detail10TensorInfoIT_T0_EENS5_IlS7_EENS5_IKS6_S7_EES7_S7_S7_b,@function
_ZN2at6native12_GLOBAL__N_112gatherMedianIfjLi2EEEvNS_4cuda6detail10TensorInfoIT_T0_EENS5_IlS7_EENS5_IKS6_S7_EES7_S7_S7_b: ; @_ZN2at6native12_GLOBAL__N_112gatherMedianIfjLi2EEEvNS_4cuda6detail10TensorInfoIT_T0_EENS5_IlS7_EENS5_IKS6_S7_EES7_S7_S7_b
; %bb.0:
	s_load_dwordx2 s[12:13], s[4:5], 0x298
	s_load_dwordx4 s[56:59], s[4:5], 0x288
	s_add_u32 s10, s4, 0x298
	s_addc_u32 s11, s5, 0
	s_waitcnt lgkmcnt(0)
	s_mul_i32 s0, s13, s8
	s_add_i32 s0, s0, s7
	s_mul_i32 s0, s0, s12
	s_add_i32 s71, s0, s6
	s_cmp_ge_u32 s71, s57
	s_cbranch_scc1 .LBB121_253
; %bb.1:
	s_load_dword s8, s[4:5], 0xc
	s_load_dword s9, s[4:5], 0xe4
	;; [unrolled: 1-line block ×3, first 2 shown]
	s_load_dwordx2 s[0:1], s[4:5], 0x1b0
	s_load_dwordx2 s[2:3], s[4:5], 0x144
                                        ; implicit-def: $vgpr48 : SGPR spill to VGPR lane
                                        ; kill: killed $sgpr4 killed $sgpr5
	v_mov_b32_e32 v3, 0
	s_waitcnt lgkmcnt(0)
	v_cvt_f32_u32_e32 v1, s8
	v_cvt_f32_u32_e32 v2, s9
	v_writelane_b32 v48, s2, 0
	v_writelane_b32 v48, s3, 1
	s_load_dwordx2 s[2:3], s[4:5], 0xd8
	v_rcp_iflag_f32_e32 v1, v1
	v_rcp_iflag_f32_e32 v2, v2
	s_waitcnt lgkmcnt(0)
	v_writelane_b32 v48, s2, 2
	v_writelane_b32 v48, s3, 3
	s_load_dwordx2 s[2:3], s[4:5], 0x6c
	v_mul_f32_e32 v1, 0x4f7ffffe, v1
	v_cvt_u32_f32_e32 v1, v1
	v_mul_f32_e32 v2, 0x4f7ffffe, v2
	v_cvt_u32_f32_e32 v2, v2
	s_waitcnt lgkmcnt(0)
	v_writelane_b32 v48, s2, 4
	v_writelane_b32 v48, s3, 5
	s_load_dwordx2 s[2:3], s[4:5], 0x0
	s_waitcnt lgkmcnt(0)
	v_writelane_b32 v48, s2, 6
	v_writelane_b32 v48, s3, 7
	s_load_dwordx2 s[2:3], s[4:5], 0x21c
	v_writelane_b32 v48, s8, 8
	s_sub_i32 s4, 0, s8
	v_readfirstlane_b32 s8, v1
	v_cvt_f32_u32_e32 v1, s7
	s_mul_i32 s4, s4, s8
	s_mul_hi_u32 s4, s8, s4
	s_add_i32 s8, s8, s4
	v_rcp_iflag_f32_e32 v1, v1
	s_mul_hi_u32 s4, s71, s8
	v_writelane_b32 v48, s4, 9
	s_sub_i32 s4, 0, s9
	v_readfirstlane_b32 s8, v2
	v_mul_f32_e32 v1, 0x4f7ffffe, v1
	s_mul_i32 s4, s4, s8
	v_cvt_u32_f32_e32 v1, v1
	s_mul_hi_u32 s4, s8, s4
	s_add_i32 s8, s8, s4
	v_writelane_b32 v48, s9, 10
	s_mul_hi_u32 s4, s71, s8
	v_writelane_b32 v48, s4, 11
	s_sub_i32 s4, 0, s7
	v_readfirstlane_b32 s8, v1
	s_mul_i32 s4, s4, s8
	s_mul_hi_u32 s4, s8, s4
	s_add_i32 s8, s8, s4
	s_mul_hi_u32 s4, s71, s8
	s_mul_i32 s8, s4, s7
	s_sub_i32 s8, s71, s8
	s_add_i32 s9, s4, 1
	s_sub_i32 s13, s8, s7
	s_cmp_ge_u32 s8, s7
	s_cselect_b32 s4, s9, s4
	s_cselect_b32 s8, s13, s8
	s_add_i32 s9, s4, 1
	s_cmp_ge_u32 s8, s7
	s_cselect_b32 s4, s9, s4
	s_mul_i32 s7, s4, s7
	s_sub_i32 s7, s71, s7
	s_waitcnt lgkmcnt(0)
	s_mul_i32 s7, s7, s3
	s_mul_i32 s2, s4, s2
	s_mov_b32 s5, 0
	s_add_i32 s4, s2, s7
	s_lshl_b64 s[2:3], s[4:5], 2
	s_add_u32 s63, s0, s2
	s_addc_u32 s65, s1, s3
	v_cmp_gt_u32_e64 s[0:1], s56, v0
	s_mov_b64 s[2:3], exec
	v_writelane_b32 v48, s0, 12
	v_writelane_b32 v48, s1, 13
	s_and_b64 s[0:1], s[2:3], s[0:1]
	s_mov_b64 exec, s[0:1]
	s_cbranch_execz .LBB121_5
; %bb.2:
	s_load_dword s0, s[10:11], 0xc
	v_mul_lo_u32 v1, v0, s58
	v_mov_b32_e32 v2, 0
	s_mov_b64 s[4:5], 0
	v_mov_b32_e32 v4, s65
	s_waitcnt lgkmcnt(0)
	s_and_b32 s0, s0, 0xffff
	s_mul_i32 s1, s58, s0
	v_mov_b32_e32 v3, v2
	v_mov_b32_e32 v5, v0
.LBB121_3:                              ; =>This Inner Loop Header: Depth=1
	v_lshlrev_b64 v[6:7], 2, v[1:2]
	v_add_u32_e32 v5, s0, v5
	v_add_co_u32_e32 v6, vcc, s63, v6
	v_addc_co_u32_e32 v7, vcc, v4, v7, vcc
	global_load_dword v6, v[6:7], off
	v_cmp_le_u32_e32 vcc, s56, v5
	s_or_b64 s[4:5], vcc, s[4:5]
	v_add_u32_e32 v1, s1, v1
	s_waitcnt vmcnt(0)
	v_cmp_u_f32_e32 vcc, v6, v6
	v_addc_co_u32_e32 v3, vcc, 0, v3, vcc
	s_andn2_b64 exec, exec, s[4:5]
	s_cbranch_execnz .LBB121_3
; %bb.4:
	s_or_b64 exec, exec, s[4:5]
.LBB121_5:
	s_or_b64 exec, exec, s[2:3]
	v_cmp_eq_u32_e64 s[2:3], 0, v0
	s_and_saveexec_b64 s[4:5], s[2:3]
; %bb.6:
	v_mov_b32_e32 v1, 0
	v_mov_b32_e32 v2, v1
	ds_write_b64 v1, v[1:2] offset:4096
; %bb.7:
	s_or_b64 exec, exec, s[4:5]
	v_cmp_ne_u32_e32 vcc, 0, v3
	s_waitcnt lgkmcnt(0)
	s_barrier
	s_and_saveexec_b64 s[4:5], vcc
	s_cbranch_execz .LBB121_12
; %bb.8:
	s_mov_b64 s[14:15], exec
	v_mov_b32_e32 v1, 0
	s_mov_b64 s[8:9], 0
.LBB121_9:                              ; =>This Inner Loop Header: Depth=1
	s_ff1_i32_b64 s0, s[14:15]
	v_readlane_b32 s7, v3, s0
	v_readlane_b32 s1, v1, s0
	s_add_u32 s8, s8, s7
	s_addc_u32 s9, s9, s1
	s_lshl_b64 s[0:1], 1, s0
	s_andn2_b64 s[14:15], s[14:15], s[0:1]
	s_cmp_lg_u64 s[14:15], 0
	s_cbranch_scc1 .LBB121_9
; %bb.10:
	v_mbcnt_lo_u32_b32 v1, exec_lo, 0
	v_mbcnt_hi_u32_b32 v1, exec_hi, v1
	v_cmp_eq_u32_e32 vcc, 0, v1
	s_and_saveexec_b64 s[0:1], vcc
	s_xor_b64 s[0:1], exec, s[0:1]
; %bb.11:
	v_mov_b32_e32 v1, s8
	v_mov_b32_e32 v3, 0
	;; [unrolled: 1-line block ×3, first 2 shown]
	ds_add_u64 v3, v[1:2] offset:4096
.LBB121_12:
	s_or_b64 exec, exec, s[4:5]
	v_mov_b32_e32 v1, 0
	s_waitcnt lgkmcnt(0)
	s_barrier
	ds_read_b64 v[1:2], v1 offset:4096
	s_bitcmp1_b32 s59, 0
	s_cselect_b64 s[8:9], -1, 0
	s_waitcnt lgkmcnt(0)
	v_readfirstlane_b32 s4, v1
	v_readfirstlane_b32 s5, v2
	v_cmp_lt_i64_e64 s[0:1], s[4:5], 1
	s_or_b64 s[0:1], s[8:9], s[0:1]
	s_andn2_b64 vcc, exec, s[0:1]
	s_mov_b32 s0, s56
	s_cbranch_vccnz .LBB121_14
; %bb.13:
	s_not_b64 s[0:1], s[4:5]
	s_add_u32 s0, s0, s56
	s_addc_u32 s1, s1, 0
	s_lshr_b32 s4, s1, 31
	s_add_u32 s0, s0, s4
	s_addc_u32 s1, s1, 0
	s_lshr_b64 s[0:1], s[0:1], 1
	s_add_i32 s0, s0, 1
.LBB121_14:
	s_and_saveexec_b64 s[4:5], s[2:3]
	s_cbranch_execz .LBB121_16
; %bb.15:
	v_mov_b32_e32 v1, 0
	v_mov_b32_e32 v2, s56
	ds_write_b32 v1, v1 offset:4112
	ds_write_b64 v1, v[1:2] offset:4104
.LBB121_16:
	s_or_b64 exec, exec, s[4:5]
	v_mul_lo_u32 v5, s58, v0
	v_mov_b32_e32 v7, 0
	v_mbcnt_lo_u32_b32 v1, -1, 0
	v_mov_b32_e32 v6, v7
	s_waitcnt lgkmcnt(0)
	s_barrier
	s_load_dword s1, s[10:11], 0xc
	v_mbcnt_hi_u32_b32 v16, -1, v1
	v_lshlrev_b64 v[1:2], 2, v[5:6]
	v_cmp_gt_u32_e32 vcc, 64, v0
	v_cmp_gt_i32_e64 s[8:9], 4, v16
	s_and_b64 s[68:69], vcc, s[8:9]
	v_mov_b32_e32 v18, s65
	v_add_co_u32_e32 v8, vcc, s63, v1
	v_addc_co_u32_e32 v9, vcc, v18, v2, vcc
	v_lshlrev_b64 v[1:2], v16, -1
	s_waitcnt lgkmcnt(0)
	s_and_b32 s59, s1, 0xffff
	v_not_b32_e32 v21, v1
	v_lshrrev_b32_e32 v1, 2, v0
	s_lshl_b32 s67, s59, 2
	v_and_b32_e32 v1, 0xf0, v1
	s_add_i32 s64, s59, -1
	v_or_b32_e32 v22, 0xc00, v1
	v_cvt_f32_u32_e32 v1, s67
	s_bfe_u32 s1, s1, 0xa0006
	s_add_i32 s7, s64, s56
	s_cmpk_gt_u32 s56, 0x300
	s_cselect_b64 s[8:9], -1, 0
	s_cmp_gt_u32 s59, 63
	s_cselect_b64 s[72:73], -1, 0
	s_cmp_lt_u32 s6, s12
	v_rcp_iflag_f32_e32 v1, v1
	v_writelane_b32 v48, s8, 14
	s_cselect_b32 s6, 12, 18
	v_writelane_b32 v48, s9, 15
	s_add_u32 s8, s10, s6
	s_addc_u32 s9, s11, 0
	v_writelane_b32 v48, s8, 16
	s_add_i32 s6, s1, -1
	v_mul_f32_e32 v1, 0x4f7ffffe, v1
	v_writelane_b32 v48, s9, 17
	s_bfe_u32 s8, s59, 0x30006
	s_and_b32 s6, s6, 0xffff
	v_cvt_u32_f32_e32 v1, v1
	s_cmp_gt_u32 s6, 6
	s_cselect_b64 s[10:11], -1, 0
	v_writelane_b32 v48, s10, 18
	s_and_b32 s62, s1, 0x3f8
	v_writelane_b32 v48, s11, 19
	s_cmp_lg_u32 s8, 0
	v_readfirstlane_b32 s6, v1
	v_cvt_f32_u32_e32 v1, s59
	v_writelane_b32 v48, s8, 20
	s_cselect_b64 s[8:9], -1, 0
	s_sub_i32 s1, 0, s67
	s_mul_i32 s1, s1, s6
	s_mul_hi_u32 s1, s6, s1
	s_add_i32 s57, s6, s1
	v_rcp_iflag_f32_e32 v4, v1
	s_mul_hi_u32 s1, s56, s57
	s_mul_i32 s1, s1, s67
	s_sub_i32 s1, s56, s1
	s_sub_i32 s6, s1, s67
	v_mul_f32_e32 v4, 0x4f7ffffe, v4
	s_cmp_ge_u32 s1, s67
	v_cvt_u32_f32_e32 v4, v4
	s_cselect_b32 s1, s6, s1
	s_sub_i32 s6, s1, s67
	s_cmp_ge_u32 s1, s67
	s_cselect_b32 s1, s6, s1
	s_sub_i32 s6, 0, s59
	v_readfirstlane_b32 s12, v4
	s_mul_i32 s6, s6, s12
	s_mul_hi_u32 s6, s12, s6
	s_sub_i32 s74, s56, s1
	s_add_i32 s33, s12, s6
	v_add_u32_e32 v23, s74, v0
	s_mul_hi_u32 s6, s7, s33
	v_mul_lo_u32 v6, v23, s58
	s_mul_i32 s6, s6, s59
	s_sub_i32 s6, s7, s6
	s_sub_i32 s12, s6, s59
	s_cmp_ge_u32 s6, s59
	v_not_b32_e32 v20, v2
	v_lshlrev_b64 v[1:2], 2, v[6:7]
	s_cselect_b32 s6, s12, s6
	v_lshlrev_b32_e32 v15, 2, v0
	s_sub_i32 s12, s6, s59
	v_add_co_u32_e32 v10, vcc, s63, v1
	s_cmp_ge_u32 s6, s59
	v_mul_lo_u32 v1, s58, v15
	s_cselect_b32 s6, s12, s6
	v_writelane_b32 v48, s8, 21
	s_sub_i32 s76, s7, s6
	v_writelane_b32 v48, s9, 22
	v_cmp_gt_u32_e64 s[6:7], s76, v0
	v_writelane_b32 v48, s6, 23
	v_add_u32_e32 v24, s58, v1
	v_or_b32_e32 v1, 2, v15
	v_writelane_b32 v48, s7, 24
	v_mul_lo_u32 v26, s58, v1
	v_or_b32_e32 v1, 3, v15
	s_add_i32 s6, s59, s56
	v_mul_lo_u32 v27, s58, v1
	v_add_u32_e32 v1, s6, v0
	v_subrev_u32_e32 v1, s1, v1
	v_mul_lo_u32 v29, s58, v1
	v_lshlrev_b32_e32 v3, 2, v16
	v_mov_b32_e32 v6, s65
	s_mul_i32 s66, s58, s59
	s_mov_b32 s75, 0
	v_cmp_eq_u32_e64 s[4:5], 0, v16
	v_cmp_gt_u32_e64 s[16:17], 2, v0
	v_add_u32_e32 v17, 0xc00, v15
	v_and_b32_e32 v19, 0x100, v3
	v_cmp_gt_u32_e64 s[8:9], s74, v15
	v_cmp_gt_u32_e64 s[10:11], s56, v23
	v_addc_co_u32_e32 v11, vcc, v6, v2, vcc
	s_lshl_b32 s77, s66, 2
	v_lshlrev_b32_e32 v28, 2, v5
	v_lshlrev_b32_e32 v30, 4, v0
	s_lshl_b32 s78, s59, 4
	v_or_b32_e32 v31, 0xc00, v3
	s_mov_b64 s[80:81], 0
	v_mov_b32_e32 v33, 30
	v_mov_b32_e32 v35, s0
	v_bfrev_b32_e32 v32, 1
	v_mov_b32_e32 v25, 0
	v_mov_b32_e32 v34, 0
	v_mov_b32_e32 v12, 1.0
	v_mov_b32_e32 v14, 0
                                        ; implicit-def: $sgpr82_sgpr83
                                        ; implicit-def: $sgpr86_sgpr87
                                        ; implicit-def: $sgpr84_sgpr85
                                        ; implicit-def: $sgpr90_sgpr91
                                        ; implicit-def: $sgpr92_sgpr93
                                        ; implicit-def: $sgpr88_sgpr89
	s_branch .LBB121_20
.LBB121_17:                             ;   in Loop: Header=BB121_20 Depth=1
	s_or_b64 exec, exec, s[26:27]
	s_and_b64 s[26:27], s[24:25], exec
	s_andn2_b64 s[22:23], s[22:23], exec
	s_andn2_b64 s[20:21], s[20:21], exec
	s_orn2_b64 s[14:15], s[14:15], exec
.LBB121_18:                             ;   in Loop: Header=BB121_20 Depth=1
	s_or_b64 exec, exec, s[18:19]
	s_andn2_b64 s[12:13], s[88:89], exec
	s_and_b64 s[18:19], s[26:27], exec
	s_or_b64 s[88:89], s[12:13], s[18:19]
	s_andn2_b64 s[12:13], s[92:93], exec
	s_and_b64 s[18:19], s[22:23], exec
	s_or_b64 s[92:93], s[12:13], s[18:19]
	s_andn2_b64 s[12:13], s[90:91], exec
	s_and_b64 s[18:19], s[20:21], exec
	s_or_b64 s[90:91], s[12:13], s[18:19]
	s_orn2_b64 s[14:15], s[14:15], exec
.LBB121_19:                             ;   in Loop: Header=BB121_20 Depth=1
	s_or_b64 exec, exec, s[6:7]
	s_and_b64 s[6:7], exec, s[14:15]
	s_or_b64 s[80:81], s[6:7], s[80:81]
	s_andn2_b64 s[6:7], s[84:85], exec
	s_and_b64 s[12:13], s[88:89], exec
	s_or_b64 s[84:85], s[6:7], s[12:13]
	s_andn2_b64 s[6:7], s[86:87], exec
	s_and_b64 s[12:13], s[92:93], exec
	;; [unrolled: 3-line block ×3, first 2 shown]
	s_or_b64 s[82:83], s[6:7], s[12:13]
	s_mov_b32 s75, s0
	v_mov_b32_e32 v35, v4
	s_andn2_b64 exec, exec, s[80:81]
	s_cbranch_execz .LBB121_249
.LBB121_20:                             ; =>This Loop Header: Depth=1
                                        ;     Child Loop BB121_26 Depth 2
                                        ;     Child Loop BB121_39 Depth 2
	;; [unrolled: 1-line block ×16, first 2 shown]
	ds_read_b64 v[1:2], v7 offset:4104
	s_waitcnt lgkmcnt(0)
	v_readfirstlane_b32 s79, v1
	s_cmp_lg_u32 s79, 0
	s_cbranch_scc1 .LBB121_47
; %bb.21:                               ;   in Loop: Header=BB121_20 Depth=1
	v_readlane_b32 s0, v48, 14
	v_readlane_b32 s1, v48, 15
	s_and_b64 vcc, exec, s[0:1]
	s_cbranch_vccz .LBB121_34
; %bb.22:                               ;   in Loop: Header=BB121_20 Depth=1
	s_movk_i32 s0, 0x301
	v_cmp_gt_u32_e32 vcc, s0, v2
	s_mov_b64 s[18:19], 0
	s_mov_b64 s[6:7], 0
	s_cbranch_vccz .LBB121_35
; %bb.23:                               ;   in Loop: Header=BB121_20 Depth=1
	s_mov_b64 s[20:21], exec
	v_readlane_b32 s0, v48, 12
	v_readlane_b32 s1, v48, 13
	s_and_b64 s[0:1], s[20:21], s[0:1]
	s_mov_b64 exec, s[0:1]
	s_cbranch_execz .LBB121_134
; %bb.24:                               ;   in Loop: Header=BB121_20 Depth=1
	v_readlane_b32 s0, v48, 16
	v_readlane_b32 s1, v48, 17
	s_nop 4
	global_load_ushort v1, v7, s[0:1]
	global_load_dword v3, v[8:9], off
	s_mov_b64 s[22:23], 0
	v_mov_b32_e32 v4, v0
	s_waitcnt vmcnt(1)
	v_add_u32_e32 v2, v0, v1
	v_mul_lo_u32 v6, s58, v2
	v_mul_lo_u32 v2, s58, v1
	s_branch .LBB121_26
.LBB121_25:                             ;   in Loop: Header=BB121_26 Depth=2
	s_or_b64 exec, exec, s[6:7]
	v_add_u32_e32 v6, v6, v2
	v_mov_b32_e32 v3, v13
	s_andn2_b64 exec, exec, s[22:23]
	s_cbranch_execz .LBB121_134
.LBB121_26:                             ;   Parent Loop BB121_20 Depth=1
                                        ; =>  This Inner Loop Header: Depth=2
	v_add_u32_e32 v4, v4, v1
	v_cmp_gt_u32_e64 s[6:7], s56, v4
	v_cmp_le_u32_e32 vcc, s56, v4
	s_waitcnt lgkmcnt(0)
	v_mov_b32_e32 v36, 0
	v_mov_b32_e32 v13, 0
	s_and_saveexec_b64 s[14:15], s[6:7]
	s_cbranch_execz .LBB121_28
; %bb.27:                               ;   in Loop: Header=BB121_26 Depth=2
	v_lshlrev_b64 v[37:38], 2, v[6:7]
	v_add_co_u32_e64 v37, s[6:7], s63, v37
	v_addc_co_u32_e64 v38, s[6:7], v18, v38, s[6:7]
	global_load_dword v13, v[37:38], off
.LBB121_28:                             ;   in Loop: Header=BB121_26 Depth=2
	s_or_b64 exec, exec, s[14:15]
	s_waitcnt vmcnt(0)
	v_cmp_lt_i32_e64 s[6:7], -1, v3
	v_cndmask_b32_e64 v37, -1, v32, s[6:7]
	v_xor_b32_e32 v37, v37, v3
	v_cmp_o_f32_e64 s[6:7], v3, v3
	v_cndmask_b32_e64 v37, -1, v37, s[6:7]
	v_and_b32_e32 v37, v37, v34
	v_cmp_eq_u32_e64 s[14:15], v37, v25
	s_cmp_lg_u64 s[14:15], 0
	s_cselect_b64 s[0:1], -1, 0
	s_and_b64 s[0:1], s[4:5], s[0:1]
	s_and_saveexec_b64 s[24:25], s[0:1]
	s_cbranch_execz .LBB121_32
; %bb.29:                               ;   in Loop: Header=BB121_26 Depth=2
	s_mov_b64 s[28:29], exec
	v_mbcnt_lo_u32_b32 v36, s28, 0
	v_mbcnt_hi_u32_b32 v36, s29, v36
	s_bcnt1_i32_b64 s0, s[14:15]
	v_cmp_eq_u32_e64 s[6:7], 0, v36
                                        ; implicit-def: $vgpr37
	s_and_saveexec_b64 s[26:27], s[6:7]
; %bb.30:                               ;   in Loop: Header=BB121_26 Depth=2
	s_bcnt1_i32_b64 s1, s[28:29]
	s_mul_i32 s1, s0, s1
	v_mov_b32_e32 v37, s1
	ds_add_rtn_u32 v37, v7, v37 offset:4112
; %bb.31:                               ;   in Loop: Header=BB121_26 Depth=2
	s_or_b64 exec, exec, s[26:27]
	s_waitcnt lgkmcnt(0)
	v_readfirstlane_b32 s1, v37
	v_mov_b32_e32 v37, s1
	v_mad_u32_u24 v36, s0, v36, v37
.LBB121_32:                             ;   in Loop: Header=BB121_26 Depth=2
	s_or_b64 exec, exec, s[24:25]
	ds_bpermute_b32 v36, v19, v36
	s_and_b64 s[0:1], exec, vcc
	s_or_b64 s[22:23], s[0:1], s[22:23]
	s_and_saveexec_b64 s[6:7], s[14:15]
	s_cbranch_execz .LBB121_25
; %bb.33:                               ;   in Loop: Header=BB121_26 Depth=2
	v_and_b32_e32 v38, s14, v21
	v_and_b32_e32 v37, s15, v20
	v_bcnt_u32_b32 v38, v38, 0
	v_bcnt_u32_b32 v37, v37, v38
	v_lshlrev_b32_e32 v37, 2, v37
	s_waitcnt lgkmcnt(0)
	v_lshl_add_u32 v36, v36, 2, v37
	ds_write_b32 v36, v3
	s_branch .LBB121_25
.LBB121_34:                             ;   in Loop: Header=BB121_20 Depth=1
	s_mov_b64 s[18:19], -1
	s_mov_b64 s[6:7], 0
.LBB121_35:                             ;   in Loop: Header=BB121_20 Depth=1
	s_and_b64 vcc, exec, s[18:19]
	s_cbranch_vccz .LBB121_45
.LBB121_36:                             ;   in Loop: Header=BB121_20 Depth=1
	s_mov_b64 s[6:7], exec
	v_readlane_b32 s0, v48, 12
	v_readlane_b32 s1, v48, 13
	s_and_b64 s[0:1], s[6:7], s[0:1]
	s_mov_b64 exec, s[0:1]
	s_cbranch_execz .LBB121_42
; %bb.37:                               ;   in Loop: Header=BB121_20 Depth=1
	v_readlane_b32 s0, v48, 16
	v_readlane_b32 s1, v48, 17
	s_nop 4
	global_load_ushort v1, v7, s[0:1]
	global_load_dword v3, v[8:9], off
	v_mov_b32_e32 v2, v0
	s_waitcnt vmcnt(1)
	v_add_u32_e32 v6, v0, v1
	v_cmp_gt_u32_e32 vcc, s56, v6
	s_and_saveexec_b64 s[14:15], vcc
	s_cbranch_execz .LBB121_41
; %bb.38:                               ;   in Loop: Header=BB121_20 Depth=1
	v_mul_lo_u32 v6, s58, v6
	v_mul_lo_u32 v13, s58, v1
	v_lshlrev_b32_e32 v4, 2, v1
	s_mov_b64 s[18:19], 0
	v_mov_b32_e32 v36, v15
	v_mov_b32_e32 v2, v0
.LBB121_39:                             ;   Parent Loop BB121_20 Depth=1
                                        ; =>  This Inner Loop Header: Depth=2
	v_lshlrev_b64 v[37:38], 2, v[6:7]
	v_mov_b32_e32 v39, s65
	v_add_co_u32_e32 v37, vcc, s63, v37
	v_addc_co_u32_e32 v38, vcc, v39, v38, vcc
	global_load_dword v37, v[37:38], off
	v_add_u32_e32 v2, v2, v1
	s_waitcnt vmcnt(1)
	ds_write_b32 v36, v3
	v_add_u32_e32 v3, v1, v2
	v_cmp_le_u32_e32 vcc, s56, v3
	v_add_u32_e32 v36, v36, v4
	v_add_u32_e32 v6, v6, v13
	s_or_b64 s[18:19], vcc, s[18:19]
	s_waitcnt vmcnt(0)
	v_mov_b32_e32 v3, v37
	s_andn2_b64 exec, exec, s[18:19]
	s_cbranch_execnz .LBB121_39
; %bb.40:                               ;   in Loop: Header=BB121_20 Depth=1
	s_or_b64 exec, exec, s[18:19]
	v_mov_b32_e32 v3, v37
.LBB121_41:                             ;   in Loop: Header=BB121_20 Depth=1
	s_or_b64 exec, exec, s[14:15]
	v_lshlrev_b32_e32 v1, 2, v2
	s_waitcnt vmcnt(0)
	ds_write_b32 v1, v3
.LBB121_42:                             ;   in Loop: Header=BB121_20 Depth=1
	s_or_b64 exec, exec, s[6:7]
	s_waitcnt lgkmcnt(0)
	s_barrier
	s_and_saveexec_b64 s[6:7], s[2:3]
; %bb.43:                               ;   in Loop: Header=BB121_20 Depth=1
	v_mov_b32_e32 v1, s56
	ds_write_b32 v7, v1 offset:4104
; %bb.44:                               ;   in Loop: Header=BB121_20 Depth=1
	s_or_b64 exec, exec, s[6:7]
	s_mov_b64 s[6:7], -1
	s_waitcnt lgkmcnt(0)
	s_barrier
.LBB121_45:                             ;   in Loop: Header=BB121_20 Depth=1
	s_mov_b32 s79, 0
	s_and_b64 vcc, exec, s[6:7]
	s_cbranch_vccz .LBB121_47
; %bb.46:                               ;   in Loop: Header=BB121_20 Depth=1
	ds_read_b32 v1, v7 offset:4104
	s_waitcnt lgkmcnt(0)
	v_readfirstlane_b32 s79, v1
.LBB121_47:                             ;   in Loop: Header=BB121_20 Depth=1
	s_cmp_lt_i32 s79, 1
	s_mov_b64 s[6:7], -1
                                        ; implicit-def: $vgpr1
	s_cbranch_scc1 .LBB121_57
; %bb.48:                               ;   in Loop: Header=BB121_20 Depth=1
	s_and_b64 vcc, exec, s[6:7]
	s_cbranch_vccnz .LBB121_68
.LBB121_49:                             ;   in Loop: Header=BB121_20 Depth=1
	s_lshl_b32 s0, s75, 6
	s_and_saveexec_b64 s[6:7], s[4:5]
.LBB121_50:                             ;   in Loop: Header=BB121_20 Depth=1
	v_lshl_add_u32 v6, s0, 2, v22
	ds_write_b128 v6, v[1:4]
.LBB121_51:                             ;   in Loop: Header=BB121_20 Depth=1
	s_or_b64 exec, exec, s[6:7]
	s_waitcnt lgkmcnt(0)
	s_barrier
	s_and_saveexec_b64 s[6:7], s[68:69]
	s_cbranch_execz .LBB121_82
; %bb.52:                               ;   in Loop: Header=BB121_20 Depth=1
	s_andn2_b64 vcc, exec, s[72:73]
	v_mov_b32_e32 v1, 0
	s_cbranch_vccnz .LBB121_81
; %bb.53:                               ;   in Loop: Header=BB121_20 Depth=1
	v_readlane_b32 s12, v48, 18
	v_readlane_b32 s13, v48, 19
	s_andn2_b64 vcc, exec, s[12:13]
	s_cbranch_vccnz .LBB121_77
; %bb.54:                               ;   in Loop: Header=BB121_20 Depth=1
	v_lshl_add_u32 v2, s75, 8, v31
	s_mov_b32 s1, 0
	v_mov_b32_e32 v1, 0
.LBB121_55:                             ;   Parent Loop BB121_20 Depth=1
                                        ; =>  This Inner Loop Header: Depth=2
	ds_read2_b32 v[3:4], v2 offset1:4
	ds_read2_b32 v[36:37], v2 offset0:8 offset1:12
	ds_read2_b32 v[38:39], v2 offset0:16 offset1:20
	;; [unrolled: 1-line block ×3, first 2 shown]
	s_add_i32 s1, s1, 8
	s_waitcnt lgkmcnt(3)
	v_add3_u32 v1, v3, v1, v4
	s_waitcnt lgkmcnt(2)
	v_add3_u32 v1, v36, v1, v37
	;; [unrolled: 2-line block ×3, first 2 shown]
	v_add_u32_e32 v2, 0x80, v2
	s_cmp_eq_u32 s62, s1
	s_waitcnt lgkmcnt(0)
	v_add3_u32 v1, v40, v1, v41
	s_cbranch_scc0 .LBB121_55
; %bb.56:                               ;   in Loop: Header=BB121_20 Depth=1
	s_mov_b32 s1, s62
	s_branch .LBB121_78
.LBB121_57:                             ;   in Loop: Header=BB121_20 Depth=1
	v_mov_b32_e32 v1, 0
	v_mov_b32_e32 v2, 0
	;; [unrolled: 1-line block ×4, first 2 shown]
	s_and_saveexec_b64 s[44:45], s[8:9]
	s_cbranch_execz .LBB121_61
; %bb.58:                               ;   in Loop: Header=BB121_20 Depth=1
	s_mov_b32 s48, 0
	s_mov_b64 s[46:47], 0
	s_mov_b32 s49, 0
	s_mov_b32 s50, 0
	s_mov_b32 s51, 0
	s_mov_b32 s52, 0
	v_mov_b32_e32 v13, v15
.LBB121_59:                             ;   Parent Loop BB121_20 Depth=1
                                        ; =>  This Inner Loop Header: Depth=2
	v_add_u32_e32 v6, s48, v28
	v_lshlrev_b64 v[2:3], 2, v[6:7]
	v_add_u32_e32 v6, s48, v24
	v_mov_b32_e32 v1, s65
	v_lshlrev_b64 v[36:37], 2, v[6:7]
	v_add_co_u32_e64 v2, s[6:7], s63, v2
	v_add_u32_e32 v6, s48, v26
	v_addc_co_u32_e64 v3, s[6:7], v1, v3, s[6:7]
	v_lshlrev_b64 v[38:39], 2, v[6:7]
	global_load_dword v4, v[2:3], off
	v_add_co_u32_e64 v2, s[6:7], s63, v36
	v_add_u32_e32 v6, s48, v27
	v_addc_co_u32_e64 v3, s[6:7], v1, v37, s[6:7]
	v_lshlrev_b64 v[40:41], 2, v[6:7]
	global_load_dword v6, v[2:3], off
	v_add_co_u32_e64 v2, s[6:7], s63, v38
	v_addc_co_u32_e64 v3, s[6:7], v1, v39, s[6:7]
	global_load_dword v36, v[2:3], off
	v_add_co_u32_e64 v2, s[6:7], s63, v40
	v_addc_co_u32_e64 v3, s[6:7], v1, v41, s[6:7]
	global_load_dword v1, v[2:3], off
	v_add_u32_e32 v13, s67, v13
	v_cmp_le_u32_e32 vcc, s74, v13
	s_add_i32 s48, s48, s77
	s_waitcnt vmcnt(3)
	v_cmp_lt_i32_e64 s[6:7], -1, v4
	v_cndmask_b32_e64 v2, -1, v32, s[6:7]
	v_xor_b32_e32 v2, v2, v4
	s_waitcnt vmcnt(2)
	v_cmp_lt_i32_e64 s[6:7], -1, v6
	v_cndmask_b32_e64 v3, -1, v32, s[6:7]
	v_cmp_o_f32_e64 s[6:7], v4, v4
	v_cndmask_b32_e64 v2, -1, v2, s[6:7]
	v_xor_b32_e32 v3, v3, v6
	s_waitcnt vmcnt(1)
	v_cmp_lt_i32_e64 s[6:7], -1, v36
	v_cndmask_b32_e64 v4, -1, v32, s[6:7]
	v_cmp_o_f32_e64 s[6:7], v6, v6
	v_cndmask_b32_e64 v3, -1, v3, s[6:7]
	v_xor_b32_e32 v4, v4, v36
	s_waitcnt vmcnt(0)
	v_cmp_lt_i32_e64 s[6:7], -1, v1
	v_cndmask_b32_e64 v6, -1, v32, s[6:7]
	v_and_b32_e32 v37, v2, v34
	v_bfe_u32 v2, v2, v33, 2
	v_cmp_o_f32_e64 s[6:7], v36, v36
	v_cndmask_b32_e64 v4, -1, v4, s[6:7]
	v_cmp_eq_u32_e64 s[6:7], v37, v25
	v_cmp_eq_u32_e64 s[14:15], 0, v2
	v_and_b32_e32 v36, v3, v34
	v_bfe_u32 v3, v3, v33, 2
	v_cmp_eq_u32_e64 s[18:19], 1, v2
	s_and_b64 s[0:1], s[6:7], s[14:15]
	v_xor_b32_e32 v6, v6, v1
	v_cmp_eq_u32_e64 s[20:21], 2, v2
	v_cmp_o_f32_e64 s[24:25], v1, v1
	v_cmp_eq_u32_e64 s[26:27], 0, v3
	v_cmp_eq_u32_e64 s[28:29], 1, v3
	;; [unrolled: 1-line block ×4, first 2 shown]
	v_cndmask_b32_e64 v3, 0, 1, s[0:1]
	s_and_b64 s[0:1], s[6:7], s[18:19]
	v_cmp_eq_u32_e64 s[22:23], 3, v2
	v_cndmask_b32_e64 v1, -1, v6, s[24:25]
	v_cndmask_b32_e64 v6, 0, 1, s[0:1]
	s_and_b64 s[0:1], s[6:7], s[20:21]
	v_cmp_eq_u32_e64 s[24:25], v36, v25
	v_cndmask_b32_e64 v36, 0, 1, s[0:1]
	s_and_b64 s[0:1], s[6:7], s[22:23]
	v_cndmask_b32_e64 v37, 0, 1, s[0:1]
	s_and_b64 s[0:1], s[24:25], s[26:27]
	v_and_b32_e32 v2, v4, v34
	v_bfe_u32 v4, v4, v33, 2
	v_cmp_ne_u32_e64 s[36:37], 0, v3
	v_cndmask_b32_e64 v3, 0, 1, s[0:1]
	s_and_b64 s[0:1], s[24:25], s[28:29]
	v_cmp_eq_u32_e64 s[14:15], 0, v4
	v_cmp_eq_u32_e64 s[18:19], 1, v4
	;; [unrolled: 1-line block ×4, first 2 shown]
	v_cndmask_b32_e64 v4, 0, 1, s[0:1]
	s_and_b64 s[0:1], s[24:25], s[30:31]
	v_cmp_eq_u32_e64 s[6:7], v2, v25
	v_cmp_ne_u32_e64 s[26:27], 0, v6
	v_cndmask_b32_e64 v6, 0, 1, s[0:1]
	s_and_b64 s[0:1], s[24:25], s[34:35]
	v_and_b32_e32 v2, v1, v34
	v_bfe_u32 v1, v1, v33, 2
	v_cmp_ne_u32_e64 s[28:29], 0, v36
	v_cndmask_b32_e64 v36, 0, 1, s[0:1]
	s_and_b64 s[0:1], s[6:7], s[14:15]
	v_cmp_eq_u32_e64 s[34:35], 0, v1
	v_cmp_eq_u32_e64 s[38:39], 1, v1
	;; [unrolled: 1-line block ×4, first 2 shown]
	v_cndmask_b32_e64 v1, 0, 1, s[0:1]
	s_and_b64 s[0:1], s[6:7], s[18:19]
	v_cmp_eq_u32_e64 s[24:25], v2, v25
	v_cndmask_b32_e64 v2, 0, 1, s[0:1]
	s_and_b64 s[0:1], s[6:7], s[20:21]
	s_bcnt1_i32_b64 s12, s[36:37]
	v_cmp_ne_u32_e64 s[36:37], 0, v3
	v_cndmask_b32_e64 v3, 0, 1, s[0:1]
	s_and_b64 s[0:1], s[6:7], s[22:23]
	v_cmp_ne_u32_e64 s[14:15], 0, v4
	v_cndmask_b32_e64 v4, 0, 1, s[0:1]
	s_and_b64 s[0:1], s[24:25], s[34:35]
	;; [unrolled: 3-line block ×3, first 2 shown]
	v_cmp_ne_u32_e64 s[30:31], 0, v37
	v_cmp_ne_u32_e64 s[18:19], 0, v6
	s_bcnt1_i32_b64 s23, s[14:15]
	v_cmp_ne_u32_e64 s[14:15], 0, v2
	v_cndmask_b32_e64 v2, 0, 1, s[0:1]
	s_and_b64 s[0:1], s[24:25], s[40:41]
	s_bcnt1_i32_b64 s13, s[26:27]
	s_bcnt1_i32_b64 s26, s[28:29]
	;; [unrolled: 1-line block ×3, first 2 shown]
	v_cmp_ne_u32_e64 s[20:21], 0, v36
	s_bcnt1_i32_b64 s28, s[18:19]
	v_cmp_ne_u32_e64 s[18:19], 0, v3
	v_cndmask_b32_e64 v3, 0, 1, s[0:1]
	s_and_b64 s[0:1], s[24:25], s[42:43]
	s_bcnt1_i32_b64 s22, s[36:37]
	s_add_i32 s12, s52, s12
	s_add_i32 s13, s51, s13
	;; [unrolled: 1-line block ×3, first 2 shown]
	s_bcnt1_i32_b64 s29, s[20:21]
	v_cmp_ne_u32_e64 s[20:21], 0, v4
	v_cndmask_b32_e64 v4, 0, 1, s[0:1]
	s_add_i32 s0, s49, s27
	s_bcnt1_i32_b64 s1, s[6:7]
	v_cmp_ne_u32_e64 s[6:7], 0, v1
	s_add_i32 s12, s12, s22
	s_bcnt1_i32_b64 s22, s[14:15]
	v_cmp_ne_u32_e64 s[14:15], 0, v2
	;; [unrolled: 3-line block ×4, first 2 shown]
	s_add_i32 s0, s0, s29
	s_bcnt1_i32_b64 s6, s[6:7]
	s_add_i32 s1, s12, s1
	s_bcnt1_i32_b64 s7, s[14:15]
	;; [unrolled: 2-line block ×4, first 2 shown]
	s_add_i32 s0, s0, s25
	s_add_i32 s52, s1, s6
	;; [unrolled: 1-line block ×5, first 2 shown]
	s_or_b64 s[46:47], vcc, s[46:47]
	v_mov_b32_e32 v1, s52
	v_mov_b32_e32 v2, s51
	;; [unrolled: 1-line block ×4, first 2 shown]
	s_andn2_b64 exec, exec, s[46:47]
	s_cbranch_execnz .LBB121_59
; %bb.60:                               ;   in Loop: Header=BB121_20 Depth=1
	s_or_b64 exec, exec, s[46:47]
.LBB121_61:                             ;   in Loop: Header=BB121_20 Depth=1
	s_or_b64 exec, exec, s[44:45]
	s_and_saveexec_b64 s[14:15], s[10:11]
	s_cbranch_execz .LBB121_67
; %bb.62:                               ;   in Loop: Header=BB121_20 Depth=1
	global_load_dword v36, v[10:11], off
	s_mov_b64 s[18:19], 0
	v_mov_b32_e32 v6, v29
	v_mov_b32_e32 v13, v23
	s_branch .LBB121_64
.LBB121_63:                             ;   in Loop: Header=BB121_64 Depth=2
	s_or_b64 exec, exec, s[20:21]
	s_and_b64 s[0:1], exec, vcc
	s_waitcnt vmcnt(0)
	v_cmp_lt_i32_e32 vcc, -1, v36
	v_cndmask_b32_e32 v38, -1, v32, vcc
	v_xor_b32_e32 v38, v38, v36
	v_cmp_o_f32_e32 vcc, v36, v36
	v_cndmask_b32_e32 v36, -1, v38, vcc
	v_and_b32_e32 v38, v36, v34
	v_bfe_u32 v36, v36, v33, 2
	s_or_b64 s[18:19], s[0:1], s[18:19]
	v_cmp_eq_u32_e32 vcc, v38, v25
	v_cmp_eq_u32_e64 s[6:7], 0, v36
	s_and_b64 s[0:1], vcc, s[6:7]
	v_cndmask_b32_e64 v38, 0, 1, s[0:1]
	v_cmp_ne_u32_e64 s[6:7], 0, v38
	s_bcnt1_i32_b64 s0, s[6:7]
	v_cmp_eq_u32_e64 s[6:7], 1, v36
	v_add_u32_e32 v1, s0, v1
	s_and_b64 s[0:1], vcc, s[6:7]
	v_cndmask_b32_e64 v38, 0, 1, s[0:1]
	v_cmp_ne_u32_e64 s[6:7], 0, v38
	s_bcnt1_i32_b64 s0, s[6:7]
	v_cmp_eq_u32_e64 s[6:7], 2, v36
	v_add_u32_e32 v2, s0, v2
	;; [unrolled: 6-line block ×3, first 2 shown]
	s_and_b64 s[0:1], vcc, s[6:7]
	v_cndmask_b32_e64 v36, 0, 1, s[0:1]
	v_cmp_ne_u32_e32 vcc, 0, v36
	s_bcnt1_i32_b64 s0, vcc
	v_add_u32_e32 v4, s0, v4
	v_add_u32_e32 v6, s66, v6
	v_mov_b32_e32 v36, v37
	s_andn2_b64 exec, exec, s[18:19]
	s_cbranch_execz .LBB121_66
.LBB121_64:                             ;   Parent Loop BB121_20 Depth=1
                                        ; =>  This Inner Loop Header: Depth=2
	v_add_u32_e32 v13, s59, v13
	v_cmp_gt_u32_e64 s[6:7], s56, v13
	v_cmp_le_u32_e32 vcc, s56, v13
	v_mov_b32_e32 v37, 0
	s_and_saveexec_b64 s[20:21], s[6:7]
	s_cbranch_execz .LBB121_63
; %bb.65:                               ;   in Loop: Header=BB121_64 Depth=2
	v_lshlrev_b64 v[37:38], 2, v[6:7]
	v_mov_b32_e32 v39, s65
	v_add_co_u32_e64 v37, s[6:7], s63, v37
	v_addc_co_u32_e64 v38, s[6:7], v39, v38, s[6:7]
	global_load_dword v37, v[37:38], off
	s_branch .LBB121_63
.LBB121_66:                             ;   in Loop: Header=BB121_20 Depth=1
	s_or_b64 exec, exec, s[18:19]
.LBB121_67:                             ;   in Loop: Header=BB121_20 Depth=1
	s_or_b64 exec, exec, s[14:15]
	s_branch .LBB121_49
.LBB121_68:                             ;   in Loop: Header=BB121_20 Depth=1
	s_mul_hi_u32 s0, s79, s57
	s_mul_i32 s0, s0, s67
	s_sub_i32 s0, s79, s0
	s_sub_i32 s1, s0, s67
	s_cmp_ge_u32 s0, s67
	s_cselect_b32 s0, s1, s0
	s_sub_i32 s1, s0, s67
	s_cmp_ge_u32 s0, s67
	s_cselect_b32 s0, s1, s0
	s_sub_i32 s0, s79, s0
	v_cmp_gt_u32_e32 vcc, s0, v15
	v_mov_b32_e32 v1, 0
	v_mov_b32_e32 v2, 0
	;; [unrolled: 1-line block ×4, first 2 shown]
	s_and_saveexec_b64 s[94:95], vcc
	s_cbranch_execz .LBB121_72
; %bb.69:                               ;   in Loop: Header=BB121_20 Depth=1
	s_mov_b32 s1, 0
	s_mov_b64 s[60:61], 0
	v_mov_b32_e32 v6, v30
	s_mov_b32 s12, 0
	s_mov_b32 s13, 0
	;; [unrolled: 1-line block ×3, first 2 shown]
	v_mov_b32_e32 v13, v15
.LBB121_70:                             ;   Parent Loop BB121_20 Depth=1
                                        ; =>  This Inner Loop Header: Depth=2
	ds_read_b128 v[1:4], v6
	v_add_u32_e32 v13, s67, v13
	v_cmp_le_u32_e32 vcc, s0, v13
	v_add_u32_e32 v6, s78, v6
	s_waitcnt lgkmcnt(0)
	v_cmp_lt_i32_e64 s[6:7], -1, v1
	v_cndmask_b32_e64 v36, -1, v32, s[6:7]
	v_cmp_lt_i32_e64 s[6:7], -1, v2
	v_cndmask_b32_e64 v37, -1, v32, s[6:7]
	;; [unrolled: 2-line block ×4, first 2 shown]
	v_xor_b32_e32 v37, v37, v2
	v_cmp_o_f32_e64 s[6:7], v2, v2
	v_xor_b32_e32 v2, v38, v3
	v_cmp_o_f32_e64 s[14:15], v3, v3
	v_xor_b32_e32 v3, v39, v4
	v_cmp_o_f32_e64 s[18:19], v4, v4
	v_xor_b32_e32 v4, v36, v1
	v_cmp_o_f32_e64 s[20:21], v1, v1
	v_cndmask_b32_e64 v1, -1, v4, s[20:21]
	v_cndmask_b32_e64 v4, -1, v37, s[6:7]
	v_and_b32_e32 v36, v1, v34
	v_bfe_u32 v1, v1, v33, 2
	v_cndmask_b32_e64 v2, -1, v2, s[14:15]
	v_and_b32_e32 v37, v4, v34
	v_bfe_u32 v4, v4, v33, 2
	v_cmp_eq_u32_e64 s[6:7], v36, v25
	v_cmp_eq_u32_e64 s[22:23], 0, v1
	v_cndmask_b32_e64 v3, -1, v3, s[18:19]
	v_and_b32_e32 v38, v2, v34
	v_bfe_u32 v2, v2, v33, 2
	v_cmp_eq_u32_e64 s[14:15], v37, v25
	v_cmp_eq_u32_e64 s[24:25], 0, v4
	s_and_b64 s[22:23], s[6:7], s[22:23]
	v_and_b32_e32 v39, v3, v34
	v_bfe_u32 v3, v3, v33, 2
	v_cmp_eq_u32_e64 s[18:19], v38, v25
	v_cmp_eq_u32_e64 s[26:27], 0, v2
	;; [unrolled: 1-line block ×5, first 2 shown]
	v_cndmask_b32_e64 v1, 0, 1, s[22:23]
	s_and_b64 s[22:23], s[14:15], s[24:25]
	v_cmp_eq_u32_e64 s[20:21], v39, v25
	v_cmp_eq_u32_e64 s[28:29], 0, v3
	;; [unrolled: 1-line block ×5, first 2 shown]
	v_cndmask_b32_e64 v2, 0, 1, s[22:23]
	s_and_b64 s[22:23], s[18:19], s[26:27]
	v_cmp_eq_u32_e64 s[38:39], 1, v3
	v_cmp_eq_u32_e64 s[46:47], 2, v3
	;; [unrolled: 1-line block ×3, first 2 shown]
	v_cndmask_b32_e64 v3, 0, 1, s[22:23]
	s_and_b64 s[22:23], s[20:21], s[28:29]
	v_cmp_eq_u32_e64 s[34:35], 1, v4
	v_cmp_eq_u32_e64 s[42:43], 2, v4
	;; [unrolled: 1-line block ×3, first 2 shown]
	v_cndmask_b32_e64 v4, 0, 1, s[22:23]
	s_and_b64 s[22:23], s[6:7], s[30:31]
	v_cndmask_b32_e64 v36, 0, 1, s[22:23]
	s_and_b64 s[22:23], s[14:15], s[34:35]
	;; [unrolled: 2-line block ×5, first 2 shown]
	s_and_b64 s[6:7], s[6:7], s[48:49]
	v_cndmask_b32_e64 v40, 0, 1, s[22:23]
	s_and_b64 s[22:23], s[14:15], s[42:43]
	v_cndmask_b32_e64 v44, 0, 1, s[6:7]
	;; [unrolled: 2-line block ×7, first 2 shown]
	v_cndmask_b32_e64 v47, 0, 1, s[6:7]
	v_cmp_ne_u32_e64 s[6:7], 0, v1
	v_cmp_ne_u32_e64 s[14:15], 0, v2
	;; [unrolled: 1-line block ×11, first 2 shown]
	s_bcnt1_i32_b64 s6, s[6:7]
	s_bcnt1_i32_b64 s7, s[14:15]
	;; [unrolled: 1-line block ×8, first 2 shown]
	v_cmp_ne_u32_e64 s[28:29], 0, v39
	v_cmp_ne_u32_e64 s[36:37], 0, v42
	;; [unrolled: 1-line block ×3, first 2 shown]
	s_bcnt1_i32_b64 s19, s[24:25]
	s_bcnt1_i32_b64 s23, s[34:35]
	;; [unrolled: 1-line block ×3, first 2 shown]
	s_add_i32 s6, s70, s6
	s_add_i32 s13, s13, s18
	;; [unrolled: 1-line block ×4, first 2 shown]
	v_cmp_ne_u32_e64 s[38:39], 0, v43
	v_cmp_ne_u32_e64 s[46:47], 0, v47
	s_bcnt1_i32_b64 s21, s[28:29]
	s_bcnt1_i32_b64 s24, s[36:37]
	;; [unrolled: 1-line block ×3, first 2 shown]
	s_add_i32 s6, s6, s7
	s_add_i32 s7, s13, s19
	;; [unrolled: 1-line block ×4, first 2 shown]
	s_bcnt1_i32_b64 s25, s[38:39]
	s_bcnt1_i32_b64 s29, s[46:47]
	s_add_i32 s6, s6, s14
	s_add_i32 s7, s7, s20
	;; [unrolled: 1-line block ×8, first 2 shown]
	s_or_b64 s[60:61], vcc, s[60:61]
	v_mov_b32_e32 v1, s70
	v_mov_b32_e32 v2, s13
	v_mov_b32_e32 v3, s12
	v_mov_b32_e32 v4, s1
	s_andn2_b64 exec, exec, s[60:61]
	s_cbranch_execnz .LBB121_70
; %bb.71:                               ;   in Loop: Header=BB121_20 Depth=1
	s_or_b64 exec, exec, s[60:61]
.LBB121_72:                             ;   in Loop: Header=BB121_20 Depth=1
	s_or_b64 exec, exec, s[94:95]
	v_add_u32_e32 v6, s0, v0
	v_cmp_gt_u32_e32 vcc, s79, v6
	s_and_saveexec_b64 s[24:25], vcc
	s_cbranch_execz .LBB121_76
; %bb.73:                               ;   in Loop: Header=BB121_20 Depth=1
	v_lshlrev_b32_e32 v13, 2, v6
	s_mov_b64 s[26:27], 0
.LBB121_74:                             ;   Parent Loop BB121_20 Depth=1
                                        ; =>  This Inner Loop Header: Depth=2
	ds_read_b32 v36, v13
	v_add_u32_e32 v6, s59, v6
	v_cmp_le_u32_e32 vcc, s79, v6
	v_add_u32_e32 v13, s67, v13
	s_waitcnt lgkmcnt(0)
	v_cmp_lt_i32_e64 s[6:7], -1, v36
	v_cndmask_b32_e64 v37, -1, v32, s[6:7]
	v_xor_b32_e32 v37, v37, v36
	v_cmp_o_f32_e64 s[6:7], v36, v36
	v_cndmask_b32_e64 v36, -1, v37, s[6:7]
	v_and_b32_e32 v37, v36, v34
	v_bfe_u32 v36, v36, v33, 2
	v_cmp_eq_u32_e64 s[6:7], v37, v25
	v_cmp_eq_u32_e64 s[14:15], 0, v36
	v_cmp_eq_u32_e64 s[18:19], 1, v36
	s_and_b64 s[0:1], s[6:7], s[14:15]
	v_cmp_eq_u32_e64 s[20:21], 2, v36
	v_cmp_eq_u32_e64 s[22:23], 3, v36
	v_cndmask_b32_e64 v36, 0, 1, s[0:1]
	s_and_b64 s[0:1], s[6:7], s[18:19]
	v_cndmask_b32_e64 v37, 0, 1, s[0:1]
	s_and_b64 s[0:1], s[6:7], s[20:21]
	;; [unrolled: 2-line block ×3, first 2 shown]
	v_cndmask_b32_e64 v39, 0, 1, s[0:1]
	v_cmp_ne_u32_e64 s[6:7], 0, v36
	v_cmp_ne_u32_e64 s[14:15], 0, v37
	;; [unrolled: 1-line block ×4, first 2 shown]
	s_bcnt1_i32_b64 s0, s[6:7]
	s_bcnt1_i32_b64 s1, s[14:15]
	;; [unrolled: 1-line block ×4, first 2 shown]
	v_add_u32_e32 v1, s0, v1
	v_add_u32_e32 v2, s1, v2
	;; [unrolled: 1-line block ×3, first 2 shown]
	s_or_b64 s[26:27], vcc, s[26:27]
	v_add_u32_e32 v4, s7, v4
	s_andn2_b64 exec, exec, s[26:27]
	s_cbranch_execnz .LBB121_74
; %bb.75:                               ;   in Loop: Header=BB121_20 Depth=1
	s_or_b64 exec, exec, s[26:27]
.LBB121_76:                             ;   in Loop: Header=BB121_20 Depth=1
	s_or_b64 exec, exec, s[24:25]
	s_lshl_b32 s0, s75, 6
	s_and_saveexec_b64 s[6:7], s[4:5]
	s_cbranch_execnz .LBB121_50
	s_branch .LBB121_51
.LBB121_77:                             ;   in Loop: Header=BB121_20 Depth=1
	v_mov_b32_e32 v1, 0
	s_mov_b32 s1, 0
.LBB121_78:                             ;   in Loop: Header=BB121_20 Depth=1
	v_readlane_b32 s12, v48, 21
	v_readlane_b32 s13, v48, 22
	s_andn2_b64 vcc, exec, s[12:13]
	s_cbranch_vccnz .LBB121_81
; %bb.79:                               ;   in Loop: Header=BB121_20 Depth=1
	s_lshl_b32 s12, s75, 8
	s_lshl_b32 s1, s1, 4
	s_add_i32 s12, s12, s1
	v_add_u32_e32 v2, s12, v31
	v_readlane_b32 s1, v48, 20
.LBB121_80:                             ;   Parent Loop BB121_20 Depth=1
                                        ; =>  This Inner Loop Header: Depth=2
	ds_read_b32 v3, v2
	s_add_i32 s1, s1, -1
	v_add_u32_e32 v2, 16, v2
	s_cmp_lg_u32 s1, 0
	s_waitcnt lgkmcnt(0)
	v_add_u32_e32 v1, v3, v1
	s_cbranch_scc1 .LBB121_80
.LBB121_81:                             ;   in Loop: Header=BB121_20 Depth=1
	v_add_lshl_u32 v2, s0, v16, 2
	ds_write_b32 v2, v1 offset:3072
.LBB121_82:                             ;   in Loop: Header=BB121_20 Depth=1
	s_or_b64 exec, exec, s[6:7]
	s_lshl_b32 s0, s0, 2
	v_mov_b32_e32 v1, s0
	s_waitcnt lgkmcnt(0)
	s_barrier
	ds_read_b128 v[1:4], v1 offset:3072
	v_cmp_eq_u32_e32 vcc, 1, v35
	s_mov_b64 s[14:15], -1
	s_mov_b64 s[24:25], -1
                                        ; implicit-def: $sgpr22_sgpr23
                                        ; implicit-def: $sgpr20_sgpr21
	s_waitcnt lgkmcnt(0)
	v_readfirstlane_b32 s38, v1
	s_cmp_eq_u32 s38, 1
	v_lshlrev_b32_e64 v1, v33, 3
	s_cselect_b64 s[0:1], -1, 0
	v_readfirstlane_b32 s42, v2
	v_readfirstlane_b32 s50, v3
	;; [unrolled: 1-line block ×3, first 2 shown]
	v_not_b32_e32 v3, v1
	s_and_b64 s[18:19], s[0:1], vcc
	s_and_saveexec_b64 s[6:7], s[18:19]
	s_cbranch_execz .LBB121_110
; %bb.83:                               ;   in Loop: Header=BB121_20 Depth=1
	ds_read_b32 v2, v7 offset:4104
	s_waitcnt lgkmcnt(0)
	s_barrier
	v_readfirstlane_b32 s0, v2
	s_and_saveexec_b64 s[20:21], s[16:17]
; %bb.84:                               ;   in Loop: Header=BB121_20 Depth=1
	ds_write_b32 v17, v7
; %bb.85:                               ;   in Loop: Header=BB121_20 Depth=1
	s_or_b64 exec, exec, s[20:21]
	v_and_b32_e32 v25, v25, v3
	v_or_b32_e32 v34, v34, v1
	s_mov_b64 s[20:21], -1
	s_mov_b64 s[22:23], 0
	s_cmp_eq_u32 s0, 0
	s_mov_b64 s[24:25], 0
	s_mov_b64 s[26:27], -1
	s_waitcnt lgkmcnt(0)
	s_barrier
                                        ; implicit-def: $vgpr14
	s_cbranch_scc1 .LBB121_97
; %bb.86:                               ;   in Loop: Header=BB121_20 Depth=1
	s_add_i32 s1, s0, s64
	s_mul_hi_u32 s12, s1, s33
	s_mul_i32 s12, s12, s59
	s_sub_i32 s12, s1, s12
	s_sub_i32 s13, s12, s59
	s_cmp_ge_u32 s12, s59
	s_cselect_b32 s12, s13, s12
	s_sub_i32 s13, s12, s59
	s_cmp_ge_u32 s12, s59
	s_cselect_b32 s12, s13, s12
	s_sub_i32 s1, s1, s12
	v_cmp_gt_u32_e32 vcc, s1, v0
	s_mov_b64 s[26:27], 0
                                        ; implicit-def: $vgpr14
	s_and_saveexec_b64 s[28:29], vcc
	s_cbranch_execz .LBB121_96
; %bb.87:                               ;   in Loop: Header=BB121_20 Depth=1
	v_mov_b32_e32 v2, v15
	v_mov_b32_e32 v4, v0
                                        ; implicit-def: $sgpr30_sgpr31
	s_branch .LBB121_91
.LBB121_88:                             ;   in Loop: Header=BB121_91 Depth=2
	s_or_b64 exec, exec, s[34:35]
	s_waitcnt lgkmcnt(0)
	s_barrier
	ds_read_b64 v[13:14], v7 offset:3072
	s_waitcnt lgkmcnt(0)
	s_barrier
	v_cmp_neq_f32_e32 vcc, 0, v13
	s_cbranch_vccnz .LBB121_94
; %bb.89:                               ;   in Loop: Header=BB121_91 Depth=2
	v_add_u32_e32 v4, s59, v4
	v_cmp_le_u32_e32 vcc, s1, v4
	v_add_u32_e32 v2, s67, v2
	s_mov_b64 s[34:35], 0
	s_orn2_b64 s[36:37], vcc, exec
.LBB121_90:                             ;   in Loop: Header=BB121_91 Depth=2
	s_and_b64 s[12:13], exec, s[36:37]
	s_or_b64 s[24:25], s[12:13], s[24:25]
	s_andn2_b64 s[12:13], s[30:31], exec
	s_and_b64 s[30:31], s[34:35], exec
	s_or_b64 s[30:31], s[12:13], s[30:31]
	s_andn2_b64 exec, exec, s[24:25]
	s_cbranch_execz .LBB121_95
.LBB121_91:                             ;   Parent Loop BB121_20 Depth=1
                                        ; =>  This Inner Loop Header: Depth=2
	v_cmp_gt_u32_e32 vcc, s0, v4
	s_and_saveexec_b64 s[34:35], vcc
	s_cbranch_execz .LBB121_88
; %bb.92:                               ;   in Loop: Header=BB121_91 Depth=2
	ds_read_b32 v13, v2
	s_waitcnt lgkmcnt(0)
	v_cmp_lt_i32_e32 vcc, -1, v13
	v_cndmask_b32_e32 v6, -1, v32, vcc
	v_xor_b32_e32 v6, v6, v13
	v_cmp_o_f32_e32 vcc, v13, v13
	v_cndmask_b32_e32 v6, -1, v6, vcc
	v_and_b32_e32 v6, v6, v34
	v_cmp_eq_u32_e32 vcc, v6, v25
	s_and_b64 exec, exec, vcc
	s_cbranch_execz .LBB121_88
; %bb.93:                               ;   in Loop: Header=BB121_91 Depth=2
	ds_write_b64 v7, v[12:13] offset:3072
	s_branch .LBB121_88
.LBB121_94:                             ;   in Loop: Header=BB121_91 Depth=2
	s_mov_b64 s[36:37], -1
                                        ; implicit-def: $vgpr4
                                        ; implicit-def: $vgpr2
	s_mov_b64 s[34:35], -1
	s_branch .LBB121_90
.LBB121_95:                             ;   in Loop: Header=BB121_20 Depth=1
	s_or_b64 exec, exec, s[24:25]
	s_and_b64 s[24:25], s[30:31], exec
.LBB121_96:                             ;   in Loop: Header=BB121_20 Depth=1
	s_or_b64 exec, exec, s[28:29]
.LBB121_97:                             ;   in Loop: Header=BB121_20 Depth=1
	s_and_b64 vcc, exec, s[26:27]
	s_cbranch_vccz .LBB121_109
; %bb.98:                               ;   in Loop: Header=BB121_20 Depth=1
                                        ; implicit-def: $vgpr14
	s_mov_b64 s[20:21], exec
	v_readlane_b32 s0, v48, 23
	v_readlane_b32 s1, v48, 24
	s_and_b64 s[0:1], s[20:21], s[0:1]
	s_mov_b64 exec, s[0:1]
	s_cbranch_execz .LBB121_108
; %bb.99:                               ;   in Loop: Header=BB121_20 Depth=1
	s_mov_b64 s[22:23], 0
	v_mov_b32_e32 v6, v5
	v_mov_b32_e32 v2, v0
                                        ; implicit-def: $sgpr26_sgpr27
	s_branch .LBB121_103
.LBB121_100:                            ;   in Loop: Header=BB121_103 Depth=2
	s_or_b64 exec, exec, s[28:29]
	s_waitcnt lgkmcnt(0)
	s_barrier
	ds_read_b64 v[13:14], v7 offset:3072
	s_waitcnt lgkmcnt(0)
	s_barrier
	v_cmp_neq_f32_e32 vcc, 0, v13
	s_cbranch_vccnz .LBB121_106
; %bb.101:                              ;   in Loop: Header=BB121_103 Depth=2
	v_add_u32_e32 v2, s59, v2
	v_cmp_le_u32_e32 vcc, s76, v2
	v_add_u32_e32 v6, s66, v6
	s_mov_b64 s[28:29], 0
	s_orn2_b64 s[30:31], vcc, exec
.LBB121_102:                            ;   in Loop: Header=BB121_103 Depth=2
	s_and_b64 s[0:1], exec, s[30:31]
	s_or_b64 s[22:23], s[0:1], s[22:23]
	s_andn2_b64 s[0:1], s[26:27], exec
	s_and_b64 s[12:13], s[28:29], exec
	s_or_b64 s[26:27], s[0:1], s[12:13]
	s_andn2_b64 exec, exec, s[22:23]
	s_cbranch_execz .LBB121_107
.LBB121_103:                            ;   Parent Loop BB121_20 Depth=1
                                        ; =>  This Inner Loop Header: Depth=2
	v_cmp_gt_u32_e32 vcc, s56, v2
	s_and_saveexec_b64 s[28:29], vcc
	s_cbranch_execz .LBB121_100
; %bb.104:                              ;   in Loop: Header=BB121_103 Depth=2
	v_lshlrev_b64 v[13:14], 2, v[6:7]
	v_mov_b32_e32 v4, s65
	v_add_co_u32_e32 v13, vcc, s63, v13
	v_addc_co_u32_e32 v14, vcc, v4, v14, vcc
	global_load_dword v13, v[13:14], off
	s_waitcnt vmcnt(0)
	v_cmp_lt_i32_e32 vcc, -1, v13
	v_cndmask_b32_e32 v4, -1, v32, vcc
	v_xor_b32_e32 v4, v4, v13
	v_cmp_o_f32_e32 vcc, v13, v13
	v_cndmask_b32_e32 v4, -1, v4, vcc
	v_and_b32_e32 v4, v4, v34
	v_cmp_eq_u32_e32 vcc, v4, v25
	s_and_b64 exec, exec, vcc
	s_cbranch_execz .LBB121_100
; %bb.105:                              ;   in Loop: Header=BB121_103 Depth=2
	ds_write_b64 v7, v[12:13] offset:3072
	s_branch .LBB121_100
.LBB121_106:                            ;   in Loop: Header=BB121_103 Depth=2
	s_mov_b64 s[30:31], -1
                                        ; implicit-def: $vgpr2
	s_mov_b64 s[28:29], -1
	s_branch .LBB121_102
.LBB121_107:                            ;   in Loop: Header=BB121_20 Depth=1
	s_or_b64 exec, exec, s[22:23]
	s_andn2_b64 s[0:1], s[24:25], exec
	s_and_b64 s[12:13], s[26:27], exec
	s_or_b64 s[24:25], s[0:1], s[12:13]
.LBB121_108:                            ;   in Loop: Header=BB121_20 Depth=1
	s_or_b64 exec, exec, s[20:21]
	s_mov_b64 s[20:21], 0
	s_mov_b64 s[22:23], -1
.LBB121_109:                            ;   in Loop: Header=BB121_20 Depth=1
	s_orn2_b64 s[24:25], s[24:25], exec
.LBB121_110:                            ;   in Loop: Header=BB121_20 Depth=1
	s_or_b64 exec, exec, s[6:7]
	s_andn2_b64 s[6:7], s[92:93], exec
	s_and_b64 s[12:13], s[22:23], exec
	s_or_b64 s[92:93], s[6:7], s[12:13]
	s_andn2_b64 s[6:7], s[90:91], exec
	s_and_b64 s[12:13], s[20:21], exec
	v_readfirstlane_b32 s0, v0
	s_andn2_b64 s[88:89], s[88:89], exec
	s_or_b64 s[90:91], s[6:7], s[12:13]
                                        ; implicit-def: $vgpr4
	s_and_saveexec_b64 s[6:7], s[24:25]
	s_cbranch_execz .LBB121_19
; %bb.111:                              ;   in Loop: Header=BB121_20 Depth=1
	s_xor_b64 s[0:1], s[18:19], -1
	s_mov_b64 s[18:19], 0
	v_mov_b32_e32 v4, 1
	v_mov_b32_e32 v2, 1
	s_and_saveexec_b64 s[14:15], s[0:1]
	s_cbranch_execz .LBB121_120
; %bb.112:                              ;   in Loop: Header=BB121_20 Depth=1
	v_cmp_ge_u32_e32 vcc, s38, v35
	s_and_saveexec_b64 s[0:1], vcc
	s_xor_b64 s[18:19], exec, s[0:1]
	s_cbranch_execz .LBB121_117
; %bb.113:                              ;   in Loop: Header=BB121_20 Depth=1
	ds_read_b32 v2, v7 offset:4104
	v_and_b32_e32 v25, v25, v3
	v_or_b32_e32 v34, v34, v1
	s_waitcnt lgkmcnt(0)
	v_cmp_ne_u32_e32 vcc, 0, v2
	s_cbranch_vccnz .LBB121_117
; %bb.114:                              ;   in Loop: Header=BB121_20 Depth=1
	s_and_saveexec_b64 s[20:21], s[2:3]
; %bb.115:                              ;   in Loop: Header=BB121_20 Depth=1
	v_mov_b32_e32 v2, s38
	ds_write_b32 v7, v2 offset:4108
; %bb.116:                              ;   in Loop: Header=BB121_20 Depth=1
	s_or_b64 exec, exec, s[20:21]
	s_waitcnt lgkmcnt(0)
	s_barrier
.LBB121_117:                            ;   in Loop: Header=BB121_20 Depth=1
	s_or_saveexec_b64 s[18:19], s[18:19]
	s_mov_b64 s[20:21], 0
	v_mov_b32_e32 v2, 8
	s_xor_b64 exec, exec, s[18:19]
; %bb.118:                              ;   in Loop: Header=BB121_20 Depth=1
	s_mov_b64 s[20:21], exec
	v_subrev_u32_e32 v35, s38, v35
	v_mov_b32_e32 v2, 0
; %bb.119:                              ;   in Loop: Header=BB121_20 Depth=1
	s_or_b64 exec, exec, s[18:19]
	s_and_b64 s[18:19], s[20:21], exec
	v_mov_b32_e32 v4, v35
.LBB121_120:                            ;   in Loop: Header=BB121_20 Depth=1
	s_or_b64 exec, exec, s[14:15]
	s_mov_b64 s[14:15], -1
	s_mov_b64 s[24:25], -1
                                        ; implicit-def: $sgpr20_sgpr21
                                        ; implicit-def: $sgpr22_sgpr23
	s_and_saveexec_b64 s[0:1], s[18:19]
	s_xor_b64 s[18:19], exec, s[0:1]
	s_cbranch_execz .LBB121_246
; %bb.121:                              ;   in Loop: Header=BB121_20 Depth=1
	s_cmp_eq_u32 s42, 1
	s_cselect_b64 s[0:1], -1, 0
	v_cmp_eq_u32_e32 vcc, 1, v4
	s_and_b64 s[26:27], s[0:1], vcc
	s_mov_b64 s[28:29], -1
                                        ; implicit-def: $sgpr22_sgpr23
                                        ; implicit-def: $sgpr20_sgpr21
	s_and_saveexec_b64 s[24:25], s[26:27]
	s_cbranch_execz .LBB121_152
; %bb.122:                              ;   in Loop: Header=BB121_20 Depth=1
	ds_read_b32 v6, v7 offset:4104
	s_waitcnt lgkmcnt(0)
	s_barrier
	v_readfirstlane_b32 s0, v6
	s_and_saveexec_b64 s[20:21], s[16:17]
; %bb.123:                              ;   in Loop: Header=BB121_20 Depth=1
	ds_write_b32 v17, v7
; %bb.124:                              ;   in Loop: Header=BB121_20 Depth=1
	s_or_b64 exec, exec, s[20:21]
	v_and_b32_e32 v6, v25, v3
	v_lshl_or_b32 v25, 1, v33, v6
	v_or_b32_e32 v34, v34, v1
	s_mov_b64 s[20:21], -1
	s_mov_b64 s[22:23], 0
	s_cmp_eq_u32 s0, 0
	s_mov_b64 s[28:29], 0
	s_mov_b64 s[30:31], -1
	s_waitcnt lgkmcnt(0)
	s_barrier
                                        ; implicit-def: $vgpr14
	s_cbranch_scc1 .LBB121_139
; %bb.125:                              ;   in Loop: Header=BB121_20 Depth=1
	s_add_i32 s1, s0, s64
	s_mul_hi_u32 s12, s1, s33
	s_mul_i32 s12, s12, s59
	s_sub_i32 s12, s1, s12
	s_sub_i32 s13, s12, s59
	s_cmp_ge_u32 s12, s59
	s_cselect_b32 s12, s13, s12
	s_sub_i32 s13, s12, s59
	s_cmp_ge_u32 s12, s59
	s_cselect_b32 s12, s13, s12
	s_sub_i32 s1, s1, s12
	v_cmp_gt_u32_e32 vcc, s1, v0
	s_mov_b64 s[30:31], 0
                                        ; implicit-def: $vgpr14
	s_and_saveexec_b64 s[34:35], vcc
	s_cbranch_execz .LBB121_138
; %bb.126:                              ;   in Loop: Header=BB121_20 Depth=1
	v_mov_b32_e32 v6, v15
	v_mov_b32_e32 v35, v0
                                        ; implicit-def: $sgpr36_sgpr37
	s_branch .LBB121_130
.LBB121_127:                            ;   in Loop: Header=BB121_130 Depth=2
	s_or_b64 exec, exec, s[38:39]
	s_waitcnt lgkmcnt(0)
	s_barrier
	ds_read_b64 v[13:14], v7 offset:3072
	s_waitcnt lgkmcnt(0)
	s_barrier
	v_cmp_neq_f32_e32 vcc, 0, v13
	s_cbranch_vccnz .LBB121_133
; %bb.128:                              ;   in Loop: Header=BB121_130 Depth=2
	v_add_u32_e32 v35, s59, v35
	v_cmp_le_u32_e32 vcc, s1, v35
	v_add_u32_e32 v6, s67, v6
	s_mov_b64 s[38:39], 0
	s_orn2_b64 s[40:41], vcc, exec
.LBB121_129:                            ;   in Loop: Header=BB121_130 Depth=2
	s_and_b64 s[12:13], exec, s[40:41]
	s_or_b64 s[28:29], s[12:13], s[28:29]
	s_andn2_b64 s[12:13], s[36:37], exec
	s_and_b64 s[36:37], s[38:39], exec
	s_or_b64 s[36:37], s[12:13], s[36:37]
	s_andn2_b64 exec, exec, s[28:29]
	s_cbranch_execz .LBB121_137
.LBB121_130:                            ;   Parent Loop BB121_20 Depth=1
                                        ; =>  This Inner Loop Header: Depth=2
	v_cmp_gt_u32_e32 vcc, s0, v35
	s_and_saveexec_b64 s[38:39], vcc
	s_cbranch_execz .LBB121_127
; %bb.131:                              ;   in Loop: Header=BB121_130 Depth=2
	ds_read_b32 v13, v6
	s_waitcnt lgkmcnt(0)
	v_cmp_lt_i32_e32 vcc, -1, v13
	v_cndmask_b32_e32 v14, -1, v32, vcc
	v_xor_b32_e32 v14, v14, v13
	v_cmp_o_f32_e32 vcc, v13, v13
	v_cndmask_b32_e32 v14, -1, v14, vcc
	v_and_b32_e32 v14, v14, v34
	v_cmp_eq_u32_e32 vcc, v14, v25
	s_and_b64 exec, exec, vcc
	s_cbranch_execz .LBB121_127
; %bb.132:                              ;   in Loop: Header=BB121_130 Depth=2
	ds_write_b64 v7, v[12:13] offset:3072
	s_branch .LBB121_127
.LBB121_133:                            ;   in Loop: Header=BB121_130 Depth=2
	s_mov_b64 s[40:41], -1
                                        ; implicit-def: $vgpr35
                                        ; implicit-def: $vgpr6
	s_mov_b64 s[38:39], -1
	s_branch .LBB121_129
.LBB121_134:                            ;   in Loop: Header=BB121_20 Depth=1
	s_or_b64 exec, exec, s[20:21]
	s_waitcnt lgkmcnt(0)
	s_barrier
	s_and_saveexec_b64 s[6:7], s[2:3]
	s_cbranch_execz .LBB121_136
; %bb.135:                              ;   in Loop: Header=BB121_20 Depth=1
	ds_read_b32 v1, v7 offset:4112
	s_waitcnt lgkmcnt(0)
	ds_write_b32 v7, v1 offset:4104
.LBB121_136:                            ;   in Loop: Header=BB121_20 Depth=1
	s_or_b64 exec, exec, s[6:7]
	s_waitcnt lgkmcnt(0)
	s_barrier
	s_mov_b64 s[6:7], -1
	s_and_b64 vcc, exec, s[18:19]
	s_cbranch_vccnz .LBB121_36
	s_branch .LBB121_45
.LBB121_137:                            ;   in Loop: Header=BB121_20 Depth=1
	s_or_b64 exec, exec, s[28:29]
	s_and_b64 s[28:29], s[36:37], exec
.LBB121_138:                            ;   in Loop: Header=BB121_20 Depth=1
	s_or_b64 exec, exec, s[34:35]
.LBB121_139:                            ;   in Loop: Header=BB121_20 Depth=1
	s_and_b64 vcc, exec, s[30:31]
	s_cbranch_vccz .LBB121_151
; %bb.140:                              ;   in Loop: Header=BB121_20 Depth=1
                                        ; implicit-def: $vgpr14
	s_mov_b64 s[20:21], exec
	v_readlane_b32 s0, v48, 23
	v_readlane_b32 s1, v48, 24
	s_and_b64 s[0:1], s[20:21], s[0:1]
	s_mov_b64 exec, s[0:1]
	s_cbranch_execz .LBB121_150
; %bb.141:                              ;   in Loop: Header=BB121_20 Depth=1
	s_mov_b64 s[22:23], 0
	v_mov_b32_e32 v6, v5
	v_mov_b32_e32 v35, v0
                                        ; implicit-def: $sgpr30_sgpr31
	s_branch .LBB121_145
.LBB121_142:                            ;   in Loop: Header=BB121_145 Depth=2
	s_or_b64 exec, exec, s[34:35]
	s_waitcnt lgkmcnt(0)
	s_barrier
	ds_read_b64 v[13:14], v7 offset:3072
	s_waitcnt lgkmcnt(0)
	s_barrier
	v_cmp_eq_f32_e32 vcc, 0, v13
	s_cbranch_vccz .LBB121_148
; %bb.143:                              ;   in Loop: Header=BB121_145 Depth=2
	v_add_u32_e32 v35, s59, v35
	v_cmp_le_u32_e32 vcc, s76, v35
	v_add_u32_e32 v6, s66, v6
	s_mov_b64 s[34:35], 0
	s_orn2_b64 s[36:37], vcc, exec
.LBB121_144:                            ;   in Loop: Header=BB121_145 Depth=2
	s_and_b64 s[0:1], exec, s[36:37]
	s_or_b64 s[22:23], s[0:1], s[22:23]
	s_andn2_b64 s[0:1], s[30:31], exec
	s_and_b64 s[12:13], s[34:35], exec
	s_or_b64 s[30:31], s[0:1], s[12:13]
	s_andn2_b64 exec, exec, s[22:23]
	s_cbranch_execz .LBB121_149
.LBB121_145:                            ;   Parent Loop BB121_20 Depth=1
                                        ; =>  This Inner Loop Header: Depth=2
	v_cmp_gt_u32_e32 vcc, s56, v35
	s_and_saveexec_b64 s[34:35], vcc
	s_cbranch_execz .LBB121_142
; %bb.146:                              ;   in Loop: Header=BB121_145 Depth=2
	v_lshlrev_b64 v[13:14], 2, v[6:7]
	v_mov_b32_e32 v36, s65
	v_add_co_u32_e32 v13, vcc, s63, v13
	v_addc_co_u32_e32 v14, vcc, v36, v14, vcc
	global_load_dword v13, v[13:14], off
	s_waitcnt vmcnt(0)
	v_cmp_lt_i32_e32 vcc, -1, v13
	v_cndmask_b32_e32 v14, -1, v32, vcc
	v_xor_b32_e32 v14, v14, v13
	v_cmp_o_f32_e32 vcc, v13, v13
	v_cndmask_b32_e32 v14, -1, v14, vcc
	v_and_b32_e32 v14, v14, v34
	v_cmp_eq_u32_e32 vcc, v14, v25
	s_and_b64 exec, exec, vcc
	s_cbranch_execz .LBB121_142
; %bb.147:                              ;   in Loop: Header=BB121_145 Depth=2
	ds_write_b64 v7, v[12:13] offset:3072
	s_branch .LBB121_142
.LBB121_148:                            ;   in Loop: Header=BB121_145 Depth=2
	s_mov_b64 s[36:37], -1
                                        ; implicit-def: $vgpr35
	s_mov_b64 s[34:35], -1
	s_branch .LBB121_144
.LBB121_149:                            ;   in Loop: Header=BB121_20 Depth=1
	s_or_b64 exec, exec, s[22:23]
	s_andn2_b64 s[0:1], s[28:29], exec
	s_and_b64 s[12:13], s[30:31], exec
	s_or_b64 s[28:29], s[0:1], s[12:13]
.LBB121_150:                            ;   in Loop: Header=BB121_20 Depth=1
	s_or_b64 exec, exec, s[20:21]
	s_mov_b64 s[20:21], 0
	s_mov_b64 s[22:23], -1
.LBB121_151:                            ;   in Loop: Header=BB121_20 Depth=1
	s_orn2_b64 s[28:29], s[28:29], exec
.LBB121_152:                            ;   in Loop: Header=BB121_20 Depth=1
	s_or_b64 exec, exec, s[24:25]
	s_mov_b64 s[30:31], 0
	s_and_saveexec_b64 s[24:25], s[28:29]
	s_cbranch_execz .LBB121_245
; %bb.153:                              ;   in Loop: Header=BB121_20 Depth=1
	s_xor_b64 s[0:1], s[26:27], -1
	s_mov_b64 s[36:37], 0
	v_mov_b32_e32 v35, 1
	v_mov_b32_e32 v2, 1
	s_and_saveexec_b64 s[26:27], s[0:1]
	s_cbranch_execz .LBB121_162
; %bb.154:                              ;   in Loop: Header=BB121_20 Depth=1
	v_cmp_ge_u32_e32 vcc, s42, v4
	s_and_saveexec_b64 s[0:1], vcc
	s_xor_b64 s[28:29], exec, s[0:1]
	s_cbranch_execz .LBB121_159
; %bb.155:                              ;   in Loop: Header=BB121_20 Depth=1
	ds_read_b32 v2, v7 offset:4104
	v_and_b32_e32 v6, v25, v3
	v_lshl_or_b32 v25, 1, v33, v6
	v_or_b32_e32 v34, v34, v1
	s_waitcnt lgkmcnt(0)
	v_cmp_ne_u32_e32 vcc, 0, v2
	s_cbranch_vccnz .LBB121_159
; %bb.156:                              ;   in Loop: Header=BB121_20 Depth=1
	s_and_saveexec_b64 s[30:31], s[2:3]
; %bb.157:                              ;   in Loop: Header=BB121_20 Depth=1
	v_mov_b32_e32 v2, s42
	ds_write_b32 v7, v2 offset:4108
; %bb.158:                              ;   in Loop: Header=BB121_20 Depth=1
	s_or_b64 exec, exec, s[30:31]
	s_waitcnt lgkmcnt(0)
	s_barrier
.LBB121_159:                            ;   in Loop: Header=BB121_20 Depth=1
	s_or_saveexec_b64 s[28:29], s[28:29]
	s_mov_b64 s[30:31], 0
	v_mov_b32_e32 v2, 8
	s_xor_b64 exec, exec, s[28:29]
; %bb.160:                              ;   in Loop: Header=BB121_20 Depth=1
	s_mov_b64 s[30:31], exec
	v_subrev_u32_e32 v4, s42, v4
	v_mov_b32_e32 v2, 0
; %bb.161:                              ;   in Loop: Header=BB121_20 Depth=1
	s_or_b64 exec, exec, s[28:29]
	s_and_b64 s[36:37], s[30:31], exec
	v_mov_b32_e32 v35, v4
.LBB121_162:                            ;   in Loop: Header=BB121_20 Depth=1
	s_or_b64 exec, exec, s[26:27]
	s_mov_b64 s[34:35], -1
                                        ; implicit-def: $sgpr28_sgpr29
                                        ; implicit-def: $sgpr30_sgpr31
	s_and_saveexec_b64 s[26:27], s[36:37]
	s_cbranch_execz .LBB121_244
; %bb.163:                              ;   in Loop: Header=BB121_20 Depth=1
	s_cmp_eq_u32 s50, 1
	s_cselect_b64 s[0:1], -1, 0
	v_cmp_eq_u32_e32 vcc, 1, v35
	s_and_b64 s[36:37], s[0:1], vcc
	s_mov_b64 s[38:39], -1
                                        ; implicit-def: $sgpr30_sgpr31
                                        ; implicit-def: $sgpr28_sgpr29
	s_and_saveexec_b64 s[34:35], s[36:37]
	s_cbranch_execz .LBB121_191
; %bb.164:                              ;   in Loop: Header=BB121_20 Depth=1
	ds_read_b32 v4, v7 offset:4104
	s_waitcnt lgkmcnt(0)
	s_barrier
	v_readfirstlane_b32 s0, v4
	s_and_saveexec_b64 s[28:29], s[16:17]
; %bb.165:                              ;   in Loop: Header=BB121_20 Depth=1
	ds_write_b32 v17, v7
; %bb.166:                              ;   in Loop: Header=BB121_20 Depth=1
	s_or_b64 exec, exec, s[28:29]
	v_and_b32_e32 v4, v25, v3
	v_lshl_or_b32 v25, 2, v33, v4
	v_or_b32_e32 v34, v34, v1
	s_mov_b64 s[28:29], -1
	s_mov_b64 s[30:31], 0
	s_cmp_eq_u32 s0, 0
	s_mov_b64 s[38:39], 0
	s_mov_b64 s[40:41], -1
	s_waitcnt lgkmcnt(0)
	s_barrier
                                        ; implicit-def: $vgpr14
	s_cbranch_scc1 .LBB121_178
; %bb.167:                              ;   in Loop: Header=BB121_20 Depth=1
	s_add_i32 s1, s0, s64
	s_mul_hi_u32 s12, s1, s33
	s_mul_i32 s12, s12, s59
	s_sub_i32 s12, s1, s12
	s_sub_i32 s13, s12, s59
	s_cmp_ge_u32 s12, s59
	s_cselect_b32 s12, s13, s12
	s_sub_i32 s13, s12, s59
	s_cmp_ge_u32 s12, s59
	s_cselect_b32 s12, s13, s12
	s_sub_i32 s1, s1, s12
	v_cmp_gt_u32_e32 vcc, s1, v0
	s_mov_b64 s[40:41], 0
                                        ; implicit-def: $vgpr14
	s_and_saveexec_b64 s[42:43], vcc
	s_cbranch_execz .LBB121_177
; %bb.168:                              ;   in Loop: Header=BB121_20 Depth=1
	v_mov_b32_e32 v4, v15
	v_mov_b32_e32 v6, v0
                                        ; implicit-def: $sgpr44_sgpr45
	s_branch .LBB121_172
.LBB121_169:                            ;   in Loop: Header=BB121_172 Depth=2
	s_or_b64 exec, exec, s[46:47]
	s_waitcnt lgkmcnt(0)
	s_barrier
	ds_read_b64 v[13:14], v7 offset:3072
	s_waitcnt lgkmcnt(0)
	s_barrier
	v_cmp_neq_f32_e32 vcc, 0, v13
	s_cbranch_vccnz .LBB121_175
; %bb.170:                              ;   in Loop: Header=BB121_172 Depth=2
	v_add_u32_e32 v6, s59, v6
	v_cmp_le_u32_e32 vcc, s1, v6
	v_add_u32_e32 v4, s67, v4
	s_mov_b64 s[46:47], 0
	s_orn2_b64 s[48:49], vcc, exec
.LBB121_171:                            ;   in Loop: Header=BB121_172 Depth=2
	s_and_b64 s[12:13], exec, s[48:49]
	s_or_b64 s[38:39], s[12:13], s[38:39]
	s_andn2_b64 s[12:13], s[44:45], exec
	s_and_b64 s[44:45], s[46:47], exec
	s_or_b64 s[44:45], s[12:13], s[44:45]
	s_andn2_b64 exec, exec, s[38:39]
	s_cbranch_execz .LBB121_176
.LBB121_172:                            ;   Parent Loop BB121_20 Depth=1
                                        ; =>  This Inner Loop Header: Depth=2
	v_cmp_gt_u32_e32 vcc, s0, v6
	s_and_saveexec_b64 s[46:47], vcc
	s_cbranch_execz .LBB121_169
; %bb.173:                              ;   in Loop: Header=BB121_172 Depth=2
	ds_read_b32 v13, v4
	s_waitcnt lgkmcnt(0)
	v_cmp_lt_i32_e32 vcc, -1, v13
	v_cndmask_b32_e32 v14, -1, v32, vcc
	v_xor_b32_e32 v14, v14, v13
	v_cmp_o_f32_e32 vcc, v13, v13
	v_cndmask_b32_e32 v14, -1, v14, vcc
	v_and_b32_e32 v14, v14, v34
	v_cmp_eq_u32_e32 vcc, v14, v25
	s_and_b64 exec, exec, vcc
	s_cbranch_execz .LBB121_169
; %bb.174:                              ;   in Loop: Header=BB121_172 Depth=2
	ds_write_b64 v7, v[12:13] offset:3072
	s_branch .LBB121_169
.LBB121_175:                            ;   in Loop: Header=BB121_172 Depth=2
	s_mov_b64 s[48:49], -1
                                        ; implicit-def: $vgpr6
                                        ; implicit-def: $vgpr4
	s_mov_b64 s[46:47], -1
	s_branch .LBB121_171
.LBB121_176:                            ;   in Loop: Header=BB121_20 Depth=1
	s_or_b64 exec, exec, s[38:39]
	s_and_b64 s[38:39], s[44:45], exec
.LBB121_177:                            ;   in Loop: Header=BB121_20 Depth=1
	s_or_b64 exec, exec, s[42:43]
.LBB121_178:                            ;   in Loop: Header=BB121_20 Depth=1
	s_and_b64 vcc, exec, s[40:41]
	s_cbranch_vccz .LBB121_190
; %bb.179:                              ;   in Loop: Header=BB121_20 Depth=1
                                        ; implicit-def: $vgpr14
	s_mov_b64 s[28:29], exec
	v_readlane_b32 s0, v48, 23
	v_readlane_b32 s1, v48, 24
	s_and_b64 s[0:1], s[28:29], s[0:1]
	s_mov_b64 exec, s[0:1]
	s_cbranch_execz .LBB121_189
; %bb.180:                              ;   in Loop: Header=BB121_20 Depth=1
	s_mov_b64 s[30:31], 0
	v_mov_b32_e32 v6, v5
	v_mov_b32_e32 v4, v0
                                        ; implicit-def: $sgpr40_sgpr41
	s_branch .LBB121_184
.LBB121_181:                            ;   in Loop: Header=BB121_184 Depth=2
	s_or_b64 exec, exec, s[42:43]
	s_waitcnt lgkmcnt(0)
	s_barrier
	ds_read_b64 v[13:14], v7 offset:3072
	s_waitcnt lgkmcnt(0)
	s_barrier
	v_cmp_eq_f32_e32 vcc, 0, v13
	s_cbranch_vccz .LBB121_187
; %bb.182:                              ;   in Loop: Header=BB121_184 Depth=2
	v_add_u32_e32 v4, s59, v4
	v_cmp_le_u32_e32 vcc, s76, v4
	v_add_u32_e32 v6, s66, v6
	s_mov_b64 s[42:43], 0
	s_orn2_b64 s[44:45], vcc, exec
.LBB121_183:                            ;   in Loop: Header=BB121_184 Depth=2
	s_and_b64 s[0:1], exec, s[44:45]
	s_or_b64 s[30:31], s[0:1], s[30:31]
	s_andn2_b64 s[0:1], s[40:41], exec
	s_and_b64 s[12:13], s[42:43], exec
	s_or_b64 s[40:41], s[0:1], s[12:13]
	s_andn2_b64 exec, exec, s[30:31]
	s_cbranch_execz .LBB121_188
.LBB121_184:                            ;   Parent Loop BB121_20 Depth=1
                                        ; =>  This Inner Loop Header: Depth=2
	v_cmp_gt_u32_e32 vcc, s56, v4
	s_and_saveexec_b64 s[42:43], vcc
	s_cbranch_execz .LBB121_181
; %bb.185:                              ;   in Loop: Header=BB121_184 Depth=2
	v_lshlrev_b64 v[13:14], 2, v[6:7]
	v_mov_b32_e32 v36, s65
	v_add_co_u32_e32 v13, vcc, s63, v13
	v_addc_co_u32_e32 v14, vcc, v36, v14, vcc
	global_load_dword v13, v[13:14], off
	s_waitcnt vmcnt(0)
	v_cmp_lt_i32_e32 vcc, -1, v13
	v_cndmask_b32_e32 v14, -1, v32, vcc
	v_xor_b32_e32 v14, v14, v13
	v_cmp_o_f32_e32 vcc, v13, v13
	v_cndmask_b32_e32 v14, -1, v14, vcc
	v_and_b32_e32 v14, v14, v34
	v_cmp_eq_u32_e32 vcc, v14, v25
	s_and_b64 exec, exec, vcc
	s_cbranch_execz .LBB121_181
; %bb.186:                              ;   in Loop: Header=BB121_184 Depth=2
	ds_write_b64 v7, v[12:13] offset:3072
	s_branch .LBB121_181
.LBB121_187:                            ;   in Loop: Header=BB121_184 Depth=2
	s_mov_b64 s[44:45], -1
                                        ; implicit-def: $vgpr4
	s_mov_b64 s[42:43], -1
	s_branch .LBB121_183
.LBB121_188:                            ;   in Loop: Header=BB121_20 Depth=1
	s_or_b64 exec, exec, s[30:31]
	s_andn2_b64 s[0:1], s[38:39], exec
	s_and_b64 s[12:13], s[40:41], exec
	s_or_b64 s[38:39], s[0:1], s[12:13]
.LBB121_189:                            ;   in Loop: Header=BB121_20 Depth=1
	s_or_b64 exec, exec, s[28:29]
	s_mov_b64 s[28:29], 0
	s_mov_b64 s[30:31], -1
.LBB121_190:                            ;   in Loop: Header=BB121_20 Depth=1
	s_orn2_b64 s[38:39], s[38:39], exec
.LBB121_191:                            ;   in Loop: Header=BB121_20 Depth=1
	s_or_b64 exec, exec, s[34:35]
	s_mov_b64 s[40:41], 0
	s_and_saveexec_b64 s[34:35], s[38:39]
	s_cbranch_execz .LBB121_243
; %bb.192:                              ;   in Loop: Header=BB121_20 Depth=1
	s_xor_b64 s[0:1], s[36:37], -1
	s_mov_b64 s[44:45], 0
	v_mov_b32_e32 v4, 1
	v_mov_b32_e32 v2, 1
	s_and_saveexec_b64 s[36:37], s[0:1]
	s_cbranch_execz .LBB121_201
; %bb.193:                              ;   in Loop: Header=BB121_20 Depth=1
	v_cmp_ge_u32_e32 vcc, s50, v35
	s_and_saveexec_b64 s[0:1], vcc
	s_xor_b64 s[38:39], exec, s[0:1]
	s_cbranch_execz .LBB121_198
; %bb.194:                              ;   in Loop: Header=BB121_20 Depth=1
	ds_read_b32 v2, v7 offset:4104
	v_and_b32_e32 v3, v25, v3
	v_lshl_or_b32 v25, 2, v33, v3
	v_or_b32_e32 v34, v34, v1
	s_waitcnt lgkmcnt(0)
	v_cmp_ne_u32_e32 vcc, 0, v2
	s_cbranch_vccnz .LBB121_198
; %bb.195:                              ;   in Loop: Header=BB121_20 Depth=1
	s_and_saveexec_b64 s[40:41], s[2:3]
; %bb.196:                              ;   in Loop: Header=BB121_20 Depth=1
	v_mov_b32_e32 v2, s50
	ds_write_b32 v7, v2 offset:4108
; %bb.197:                              ;   in Loop: Header=BB121_20 Depth=1
	s_or_b64 exec, exec, s[40:41]
	s_waitcnt lgkmcnt(0)
	s_barrier
.LBB121_198:                            ;   in Loop: Header=BB121_20 Depth=1
	s_or_saveexec_b64 s[38:39], s[38:39]
	s_mov_b64 s[40:41], 0
	v_mov_b32_e32 v2, 8
	s_xor_b64 exec, exec, s[38:39]
; %bb.199:                              ;   in Loop: Header=BB121_20 Depth=1
	s_mov_b64 s[40:41], exec
	v_subrev_u32_e32 v35, s50, v35
	v_mov_b32_e32 v2, 0
; %bb.200:                              ;   in Loop: Header=BB121_20 Depth=1
	s_or_b64 exec, exec, s[38:39]
	s_and_b64 s[44:45], s[40:41], exec
	v_mov_b32_e32 v4, v35
.LBB121_201:                            ;   in Loop: Header=BB121_20 Depth=1
	s_or_b64 exec, exec, s[36:37]
	s_mov_b64 s[38:39], -1
                                        ; implicit-def: $sgpr42_sgpr43
                                        ; implicit-def: $sgpr40_sgpr41
	s_and_saveexec_b64 s[36:37], s[44:45]
	s_cbranch_execz .LBB121_242
; %bb.202:                              ;   in Loop: Header=BB121_20 Depth=1
	s_cmp_eq_u32 s79, 1
	s_cselect_b64 s[0:1], -1, 0
	v_cmp_eq_u32_e32 vcc, 1, v4
	s_and_b64 s[38:39], s[0:1], vcc
	s_mov_b64 s[46:47], -1
                                        ; implicit-def: $sgpr42_sgpr43
                                        ; implicit-def: $sgpr40_sgpr41
	s_and_saveexec_b64 s[44:45], s[38:39]
	s_cbranch_execz .LBB121_230
; %bb.203:                              ;   in Loop: Header=BB121_20 Depth=1
	ds_read_b32 v3, v7 offset:4104
	s_waitcnt lgkmcnt(0)
	s_barrier
	v_readfirstlane_b32 s0, v3
	s_and_saveexec_b64 s[40:41], s[16:17]
; %bb.204:                              ;   in Loop: Header=BB121_20 Depth=1
	ds_write_b32 v17, v7
; %bb.205:                              ;   in Loop: Header=BB121_20 Depth=1
	s_or_b64 exec, exec, s[40:41]
	v_or_b32_e32 v25, v25, v1
	v_or_b32_e32 v34, v34, v1
	s_mov_b64 s[40:41], -1
	s_mov_b64 s[42:43], 0
	s_cmp_eq_u32 s0, 0
	s_mov_b64 s[46:47], 0
	s_mov_b64 s[48:49], -1
	s_waitcnt lgkmcnt(0)
	s_barrier
                                        ; implicit-def: $vgpr14
	s_cbranch_scc1 .LBB121_217
; %bb.206:                              ;   in Loop: Header=BB121_20 Depth=1
	s_add_i32 s1, s0, s64
	s_mul_hi_u32 s12, s1, s33
	s_mul_i32 s12, s12, s59
	s_sub_i32 s12, s1, s12
	s_sub_i32 s13, s12, s59
	s_cmp_ge_u32 s12, s59
	s_cselect_b32 s12, s13, s12
	s_sub_i32 s13, s12, s59
	s_cmp_ge_u32 s12, s59
	s_cselect_b32 s12, s13, s12
	s_sub_i32 s1, s1, s12
	v_cmp_gt_u32_e32 vcc, s1, v0
	s_mov_b64 s[48:49], 0
                                        ; implicit-def: $vgpr14
	s_and_saveexec_b64 s[50:51], vcc
	s_cbranch_execz .LBB121_216
; %bb.207:                              ;   in Loop: Header=BB121_20 Depth=1
	v_mov_b32_e32 v3, v15
	v_mov_b32_e32 v6, v0
                                        ; implicit-def: $sgpr52_sgpr53
	s_branch .LBB121_211
.LBB121_208:                            ;   in Loop: Header=BB121_211 Depth=2
	s_or_b64 exec, exec, s[54:55]
	s_waitcnt lgkmcnt(0)
	s_barrier
	ds_read_b64 v[13:14], v7 offset:3072
	s_waitcnt lgkmcnt(0)
	s_barrier
	v_cmp_neq_f32_e32 vcc, 0, v13
	s_cbranch_vccnz .LBB121_214
; %bb.209:                              ;   in Loop: Header=BB121_211 Depth=2
	v_add_u32_e32 v6, s59, v6
	v_cmp_le_u32_e32 vcc, s1, v6
	v_add_u32_e32 v3, s67, v3
	s_mov_b64 s[54:55], 0
	s_orn2_b64 s[60:61], vcc, exec
.LBB121_210:                            ;   in Loop: Header=BB121_211 Depth=2
	s_and_b64 s[12:13], exec, s[60:61]
	s_or_b64 s[46:47], s[12:13], s[46:47]
	s_andn2_b64 s[12:13], s[52:53], exec
	s_and_b64 s[52:53], s[54:55], exec
	s_or_b64 s[52:53], s[12:13], s[52:53]
	s_andn2_b64 exec, exec, s[46:47]
	s_cbranch_execz .LBB121_215
.LBB121_211:                            ;   Parent Loop BB121_20 Depth=1
                                        ; =>  This Inner Loop Header: Depth=2
	v_cmp_gt_u32_e32 vcc, s0, v6
	s_and_saveexec_b64 s[54:55], vcc
	s_cbranch_execz .LBB121_208
; %bb.212:                              ;   in Loop: Header=BB121_211 Depth=2
	ds_read_b32 v13, v3
	s_waitcnt lgkmcnt(0)
	v_cmp_lt_i32_e32 vcc, -1, v13
	v_cndmask_b32_e32 v14, -1, v32, vcc
	v_xor_b32_e32 v14, v14, v13
	v_cmp_o_f32_e32 vcc, v13, v13
	v_cndmask_b32_e32 v14, -1, v14, vcc
	v_and_b32_e32 v14, v14, v34
	v_cmp_eq_u32_e32 vcc, v14, v25
	s_and_b64 exec, exec, vcc
	s_cbranch_execz .LBB121_208
; %bb.213:                              ;   in Loop: Header=BB121_211 Depth=2
	ds_write_b64 v7, v[12:13] offset:3072
	s_branch .LBB121_208
.LBB121_214:                            ;   in Loop: Header=BB121_211 Depth=2
	s_mov_b64 s[60:61], -1
                                        ; implicit-def: $vgpr6
                                        ; implicit-def: $vgpr3
	s_mov_b64 s[54:55], -1
	s_branch .LBB121_210
.LBB121_215:                            ;   in Loop: Header=BB121_20 Depth=1
	s_or_b64 exec, exec, s[46:47]
	s_and_b64 s[46:47], s[52:53], exec
.LBB121_216:                            ;   in Loop: Header=BB121_20 Depth=1
	s_or_b64 exec, exec, s[50:51]
.LBB121_217:                            ;   in Loop: Header=BB121_20 Depth=1
	s_and_b64 vcc, exec, s[48:49]
	s_cbranch_vccz .LBB121_229
; %bb.218:                              ;   in Loop: Header=BB121_20 Depth=1
                                        ; implicit-def: $vgpr14
	s_mov_b64 s[40:41], exec
	v_readlane_b32 s0, v48, 23
	v_readlane_b32 s1, v48, 24
	s_and_b64 s[0:1], s[40:41], s[0:1]
	s_mov_b64 exec, s[0:1]
	s_cbranch_execz .LBB121_228
; %bb.219:                              ;   in Loop: Header=BB121_20 Depth=1
	s_mov_b64 s[42:43], 0
	v_mov_b32_e32 v6, v5
	v_mov_b32_e32 v3, v0
                                        ; implicit-def: $sgpr48_sgpr49
	s_branch .LBB121_223
.LBB121_220:                            ;   in Loop: Header=BB121_223 Depth=2
	s_or_b64 exec, exec, s[50:51]
	s_waitcnt lgkmcnt(0)
	s_barrier
	ds_read_b64 v[13:14], v7 offset:3072
	s_waitcnt lgkmcnt(0)
	s_barrier
	v_cmp_eq_f32_e32 vcc, 0, v13
	s_cbranch_vccz .LBB121_226
; %bb.221:                              ;   in Loop: Header=BB121_223 Depth=2
	v_add_u32_e32 v3, s59, v3
	v_cmp_le_u32_e32 vcc, s76, v3
	v_add_u32_e32 v6, s66, v6
	s_mov_b64 s[50:51], 0
	s_orn2_b64 s[52:53], vcc, exec
.LBB121_222:                            ;   in Loop: Header=BB121_223 Depth=2
	s_and_b64 s[0:1], exec, s[52:53]
	s_or_b64 s[42:43], s[0:1], s[42:43]
	s_andn2_b64 s[0:1], s[48:49], exec
	s_and_b64 s[12:13], s[50:51], exec
	s_or_b64 s[48:49], s[0:1], s[12:13]
	s_andn2_b64 exec, exec, s[42:43]
	s_cbranch_execz .LBB121_227
.LBB121_223:                            ;   Parent Loop BB121_20 Depth=1
                                        ; =>  This Inner Loop Header: Depth=2
	v_cmp_gt_u32_e32 vcc, s56, v3
	s_and_saveexec_b64 s[50:51], vcc
	s_cbranch_execz .LBB121_220
; %bb.224:                              ;   in Loop: Header=BB121_223 Depth=2
	v_lshlrev_b64 v[13:14], 2, v[6:7]
	v_mov_b32_e32 v35, s65
	v_add_co_u32_e32 v13, vcc, s63, v13
	v_addc_co_u32_e32 v14, vcc, v35, v14, vcc
	global_load_dword v13, v[13:14], off
	s_waitcnt vmcnt(0)
	v_cmp_lt_i32_e32 vcc, -1, v13
	v_cndmask_b32_e32 v14, -1, v32, vcc
	v_xor_b32_e32 v14, v14, v13
	v_cmp_o_f32_e32 vcc, v13, v13
	v_cndmask_b32_e32 v14, -1, v14, vcc
	v_and_b32_e32 v14, v14, v34
	v_cmp_eq_u32_e32 vcc, v14, v25
	s_and_b64 exec, exec, vcc
	s_cbranch_execz .LBB121_220
; %bb.225:                              ;   in Loop: Header=BB121_223 Depth=2
	ds_write_b64 v7, v[12:13] offset:3072
	s_branch .LBB121_220
.LBB121_226:                            ;   in Loop: Header=BB121_223 Depth=2
	s_mov_b64 s[52:53], -1
                                        ; implicit-def: $vgpr3
	s_mov_b64 s[50:51], -1
	s_branch .LBB121_222
.LBB121_227:                            ;   in Loop: Header=BB121_20 Depth=1
	s_or_b64 exec, exec, s[42:43]
	s_andn2_b64 s[0:1], s[46:47], exec
	s_and_b64 s[12:13], s[48:49], exec
	s_or_b64 s[46:47], s[0:1], s[12:13]
.LBB121_228:                            ;   in Loop: Header=BB121_20 Depth=1
	s_or_b64 exec, exec, s[40:41]
	s_mov_b64 s[40:41], 0
	s_mov_b64 s[42:43], -1
.LBB121_229:                            ;   in Loop: Header=BB121_20 Depth=1
	s_orn2_b64 s[46:47], s[46:47], exec
.LBB121_230:                            ;   in Loop: Header=BB121_20 Depth=1
	s_or_b64 exec, exec, s[44:45]
	s_mov_b64 s[48:49], 0
	s_and_saveexec_b64 s[44:45], s[46:47]
	s_cbranch_execz .LBB121_241
; %bb.231:                              ;   in Loop: Header=BB121_20 Depth=1
	s_xor_b64 s[0:1], s[38:39], -1
	v_mov_b32_e32 v2, 1
	v_mov_b32_e32 v3, 1
	s_and_saveexec_b64 s[38:39], s[0:1]
	s_cbranch_execz .LBB121_240
; %bb.232:                              ;   in Loop: Header=BB121_20 Depth=1
	v_cmp_ge_u32_e32 vcc, s79, v4
	s_and_saveexec_b64 s[0:1], vcc
	s_xor_b64 s[46:47], exec, s[0:1]
	s_cbranch_execz .LBB121_237
; %bb.233:                              ;   in Loop: Header=BB121_20 Depth=1
	ds_read_b32 v2, v7 offset:4104
	v_or_b32_e32 v25, v25, v1
	v_or_b32_e32 v34, v34, v1
	s_waitcnt lgkmcnt(0)
	v_cmp_ne_u32_e32 vcc, 0, v2
	s_cbranch_vccnz .LBB121_237
; %bb.234:                              ;   in Loop: Header=BB121_20 Depth=1
	s_and_saveexec_b64 s[48:49], s[2:3]
; %bb.235:                              ;   in Loop: Header=BB121_20 Depth=1
	v_mov_b32_e32 v1, s79
	ds_write_b32 v7, v1 offset:4108
; %bb.236:                              ;   in Loop: Header=BB121_20 Depth=1
	s_or_b64 exec, exec, s[48:49]
	s_waitcnt lgkmcnt(0)
	s_barrier
.LBB121_237:                            ;   in Loop: Header=BB121_20 Depth=1
	s_andn2_saveexec_b64 s[46:47], s[46:47]
; %bb.238:                              ;   in Loop: Header=BB121_20 Depth=1
	v_subrev_u32_e32 v4, s79, v4
; %bb.239:                              ;   in Loop: Header=BB121_20 Depth=1
	s_or_b64 exec, exec, s[46:47]
	v_mov_b32_e32 v2, 8
	v_mov_b32_e32 v3, v4
.LBB121_240:                            ;   in Loop: Header=BB121_20 Depth=1
	s_or_b64 exec, exec, s[38:39]
	s_mov_b64 s[48:49], exec
	v_mov_b32_e32 v4, v3
.LBB121_241:                            ;   in Loop: Header=BB121_20 Depth=1
	s_or_b64 exec, exec, s[44:45]
	s_orn2_b64 s[38:39], s[48:49], exec
.LBB121_242:                            ;   in Loop: Header=BB121_20 Depth=1
	s_or_b64 exec, exec, s[36:37]
	s_andn2_b64 s[0:1], s[30:31], exec
	s_and_b64 s[12:13], s[42:43], exec
	s_or_b64 s[30:31], s[0:1], s[12:13]
	s_andn2_b64 s[0:1], s[28:29], exec
	s_and_b64 s[12:13], s[40:41], exec
	s_or_b64 s[28:29], s[0:1], s[12:13]
	s_and_b64 s[40:41], s[38:39], exec
	v_mov_b32_e32 v35, v4
.LBB121_243:                            ;   in Loop: Header=BB121_20 Depth=1
	s_or_b64 exec, exec, s[34:35]
	s_orn2_b64 s[34:35], s[40:41], exec
.LBB121_244:                            ;   in Loop: Header=BB121_20 Depth=1
	s_or_b64 exec, exec, s[26:27]
	s_andn2_b64 s[0:1], s[22:23], exec
	s_and_b64 s[12:13], s[30:31], exec
	s_or_b64 s[22:23], s[0:1], s[12:13]
	s_andn2_b64 s[0:1], s[20:21], exec
	s_and_b64 s[12:13], s[28:29], exec
	s_or_b64 s[20:21], s[0:1], s[12:13]
	s_and_b64 s[30:31], s[34:35], exec
	v_mov_b32_e32 v4, v35
.LBB121_245:                            ;   in Loop: Header=BB121_20 Depth=1
	s_or_b64 exec, exec, s[24:25]
	s_orn2_b64 s[24:25], s[30:31], exec
.LBB121_246:                            ;   in Loop: Header=BB121_20 Depth=1
	s_or_b64 exec, exec, s[18:19]
	s_mov_b64 s[26:27], 0
                                        ; implicit-def: $sgpr0
	s_and_saveexec_b64 s[12:13], s[24:25]
	s_xor_b64 s[18:19], exec, s[12:13]
	s_cbranch_execz .LBB121_18
; %bb.247:                              ;   in Loop: Header=BB121_20 Depth=1
	v_and_b32_e32 v1, 7, v2
	v_cmp_eq_u32_e32 vcc, 0, v1
	s_mov_b64 s[14:15], -1
	s_mov_b64 s[24:25], -1
                                        ; implicit-def: $sgpr0
	s_and_saveexec_b64 s[26:27], vcc
	s_cbranch_execz .LBB121_17
; %bb.248:                              ;   in Loop: Header=BB121_20 Depth=1
	v_add_u32_e32 v1, -2, v33
	v_cmp_eq_u32_e32 vcc, 0, v33
	s_xor_b32 s0, s75, 1
	s_xor_b64 s[24:25], exec, -1
	s_orn2_b64 s[14:15], vcc, exec
	v_mov_b32_e32 v33, v1
	s_branch .LBB121_17
.LBB121_249:
	s_or_b64 exec, exec, s[80:81]
	s_xor_b64 s[8:9], s[86:87], -1
	s_xor_b64 s[0:1], s[82:83], -1
	;; [unrolled: 1-line block ×3, first 2 shown]
	s_mov_b64 s[4:5], 0
	s_and_saveexec_b64 s[2:3], s[0:1]
	s_xor_b64 s[2:3], exec, s[2:3]
	s_cbranch_execnz .LBB121_254
; %bb.250:
	s_andn2_saveexec_b64 s[0:1], s[2:3]
	s_cbranch_execnz .LBB121_267
.LBB121_251:
	s_or_b64 exec, exec, s[0:1]
	s_and_saveexec_b64 s[0:1], s[4:5]
.LBB121_252:
	; divergent unreachable
.LBB121_253:
	s_endpgm
.LBB121_254:
	s_and_saveexec_b64 s[0:1], s[8:9]
	s_xor_b64 s[4:5], exec, s[0:1]
	s_cbranch_execz .LBB121_265
; %bb.255:
	s_and_saveexec_b64 s[0:1], s[6:7]
	s_xor_b64 s[6:7], exec, s[0:1]
; %bb.256:
	v_bfrev_b32_e32 v1, 1
	v_cmp_lt_i32_e32 vcc, -1, v25
	v_cndmask_b32_e64 v1, v1, -1, vcc
	v_xor_b32_e32 v14, v1, v25
; %bb.257:
	s_or_b64 exec, exec, s[6:7]
	v_readlane_b32 s7, v48, 8
	v_readlane_b32 s8, v48, 9
	s_mul_i32 s0, s8, s7
	s_sub_i32 s0, s71, s0
	s_add_i32 s1, s8, 1
	s_sub_i32 s6, s0, s7
	s_cmp_ge_u32 s0, s7
	s_cselect_b32 s1, s1, s8
	s_cselect_b32 s0, s6, s0
	s_add_i32 s6, s1, 1
	s_cmp_ge_u32 s0, s7
	s_cselect_b32 s0, s6, s1
	s_mul_i32 s1, s0, s7
	v_readlane_b32 s6, v48, 4
	s_sub_i32 s1, s71, s1
	v_readlane_b32 s7, v48, 5
	s_mul_i32 s1, s1, s7
	s_mul_i32 s0, s0, s6
	s_add_i32 s0, s0, s1
	s_mov_b32 s1, 0
	s_lshl_b64 s[0:1], s[0:1], 2
	v_readlane_b32 s6, v48, 6
	v_readlane_b32 s7, v48, 7
	s_add_u32 s0, s6, s0
	s_addc_u32 s1, s7, s1
	v_mov_b32_e32 v6, 0
	global_store_dword v6, v14, s[0:1]
	s_mov_b64 s[6:7], exec
	v_readlane_b32 s0, v48, 12
	v_readlane_b32 s1, v48, 13
	s_and_b64 s[0:1], s[6:7], s[0:1]
	s_mov_b64 exec, s[0:1]
	s_cbranch_execz .LBB121_264
; %bb.258:
	v_cmp_u_f32_e32 vcc, v14, v14
	s_mov_b64 s[8:9], 0
	v_mov_b32_e32 v2, s65
	s_xor_b64 s[12:13], vcc, -1
                                        ; implicit-def: $sgpr10_sgpr11
                                        ; implicit-def: $sgpr16_sgpr17
                                        ; implicit-def: $sgpr14_sgpr15
	s_branch .LBB121_260
.LBB121_259:                            ;   in Loop: Header=BB121_260 Depth=1
	s_or_b64 exec, exec, s[0:1]
	s_and_b64 s[0:1], exec, s[16:17]
	s_or_b64 s[8:9], s[0:1], s[8:9]
	s_andn2_b64 s[0:1], s[10:11], exec
	s_and_b64 s[10:11], s[14:15], exec
	s_or_b64 s[10:11], s[0:1], s[10:11]
	s_andn2_b64 exec, exec, s[8:9]
	s_cbranch_execz .LBB121_262
.LBB121_260:                            ; =>This Inner Loop Header: Depth=1
	v_lshlrev_b64 v[3:4], 2, v[5:6]
	v_mov_b32_e32 v1, v0
	v_add_co_u32_e32 v3, vcc, s63, v3
	v_addc_co_u32_e32 v4, vcc, v2, v4, vcc
	global_load_dword v3, v[3:4], off
	s_or_b64 s[14:15], s[14:15], exec
	s_or_b64 s[16:17], s[16:17], exec
                                        ; implicit-def: $vgpr0
	s_waitcnt vmcnt(0)
	v_cmp_o_f32_e64 s[0:1], v3, v3
	v_cmp_neq_f32_e32 vcc, v3, v14
	s_or_b64 s[0:1], s[0:1], s[12:13]
	s_and_b64 s[18:19], vcc, s[0:1]
	s_and_saveexec_b64 s[0:1], s[18:19]
	s_cbranch_execz .LBB121_259
; %bb.261:                              ;   in Loop: Header=BB121_260 Depth=1
	v_add_u32_e32 v0, s59, v1
	v_cmp_le_u32_e32 vcc, s56, v0
	s_andn2_b64 s[16:17], s[16:17], exec
	s_and_b64 s[18:19], vcc, exec
	v_add_u32_e32 v5, s66, v5
	s_andn2_b64 s[14:15], s[14:15], exec
	s_or_b64 s[16:17], s[16:17], s[18:19]
	s_branch .LBB121_259
.LBB121_262:
	s_or_b64 exec, exec, s[8:9]
	s_and_saveexec_b64 s[0:1], s[10:11]
	s_xor_b64 s[0:1], exec, s[0:1]
	s_cbranch_execz .LBB121_264
; %bb.263:
	v_readlane_b32 s9, v48, 10
	v_readlane_b32 s10, v48, 11
	s_mul_i32 s0, s10, s9
	s_sub_i32 s0, s71, s0
	s_add_i32 s1, s10, 1
	s_sub_i32 s8, s0, s9
	s_cmp_ge_u32 s0, s9
	s_cselect_b32 s1, s1, s10
	s_cselect_b32 s0, s8, s0
	s_add_i32 s8, s1, 1
	s_cmp_ge_u32 s0, s9
	s_cselect_b32 s0, s8, s1
	s_mul_i32 s1, s0, s9
	v_readlane_b32 s8, v48, 0
	s_sub_i32 s1, s71, s1
	v_readlane_b32 s9, v48, 1
	s_mul_i32 s1, s1, s9
	s_mul_i32 s0, s0, s8
	s_add_i32 s0, s0, s1
	s_mov_b32 s1, 0
	s_lshl_b64 s[0:1], s[0:1], 3
	v_readlane_b32 s8, v48, 2
	v_readlane_b32 s9, v48, 3
	s_add_u32 s0, s8, s0
	s_addc_u32 s1, s9, s1
	v_mov_b32_e32 v2, 0
	global_store_dwordx2 v2, v[1:2], s[0:1]
.LBB121_264:
	s_or_b64 exec, exec, s[6:7]
.LBB121_265:
	s_or_saveexec_b64 s[0:1], s[4:5]
	s_mov_b64 s[4:5], 0
	s_xor_b64 exec, exec, s[0:1]
	s_cbranch_execnz .LBB121_268
.LBB121_266:
	s_or_b64 exec, exec, s[0:1]
	s_and_b64 s[4:5], s[4:5], exec
	s_andn2_saveexec_b64 s[0:1], s[2:3]
	s_cbranch_execz .LBB121_251
.LBB121_267:
	s_or_b64 s[4:5], s[4:5], exec
	s_trap 2
	s_or_b64 exec, exec, s[0:1]
	s_and_saveexec_b64 s[0:1], s[4:5]
	s_cbranch_execnz .LBB121_252
	s_branch .LBB121_253
.LBB121_268:
	s_mov_b64 s[4:5], exec
	s_trap 2
	s_branch .LBB121_266
	.section	.rodata,"a",@progbits
	.p2align	6, 0x0
	.amdhsa_kernel _ZN2at6native12_GLOBAL__N_112gatherMedianIfjLi2EEEvNS_4cuda6detail10TensorInfoIT_T0_EENS5_IlS7_EENS5_IKS6_S7_EES7_S7_S7_b
		.amdhsa_group_segment_fixed_size 4120
		.amdhsa_private_segment_fixed_size 0
		.amdhsa_kernarg_size 920
		.amdhsa_user_sgpr_count 6
		.amdhsa_user_sgpr_private_segment_buffer 1
		.amdhsa_user_sgpr_dispatch_ptr 0
		.amdhsa_user_sgpr_queue_ptr 0
		.amdhsa_user_sgpr_kernarg_segment_ptr 1
		.amdhsa_user_sgpr_dispatch_id 0
		.amdhsa_user_sgpr_flat_scratch_init 0
		.amdhsa_user_sgpr_private_segment_size 0
		.amdhsa_uses_dynamic_stack 0
		.amdhsa_system_sgpr_private_segment_wavefront_offset 0
		.amdhsa_system_sgpr_workgroup_id_x 1
		.amdhsa_system_sgpr_workgroup_id_y 1
		.amdhsa_system_sgpr_workgroup_id_z 1
		.amdhsa_system_sgpr_workgroup_info 0
		.amdhsa_system_vgpr_workitem_id 0
		.amdhsa_next_free_vgpr 49
		.amdhsa_next_free_sgpr 96
		.amdhsa_reserve_vcc 1
		.amdhsa_reserve_flat_scratch 0
		.amdhsa_float_round_mode_32 0
		.amdhsa_float_round_mode_16_64 0
		.amdhsa_float_denorm_mode_32 3
		.amdhsa_float_denorm_mode_16_64 3
		.amdhsa_dx10_clamp 1
		.amdhsa_ieee_mode 1
		.amdhsa_fp16_overflow 0
		.amdhsa_exception_fp_ieee_invalid_op 0
		.amdhsa_exception_fp_denorm_src 0
		.amdhsa_exception_fp_ieee_div_zero 0
		.amdhsa_exception_fp_ieee_overflow 0
		.amdhsa_exception_fp_ieee_underflow 0
		.amdhsa_exception_fp_ieee_inexact 0
		.amdhsa_exception_int_div_zero 0
	.end_amdhsa_kernel
	.section	.text._ZN2at6native12_GLOBAL__N_112gatherMedianIfjLi2EEEvNS_4cuda6detail10TensorInfoIT_T0_EENS5_IlS7_EENS5_IKS6_S7_EES7_S7_S7_b,"axG",@progbits,_ZN2at6native12_GLOBAL__N_112gatherMedianIfjLi2EEEvNS_4cuda6detail10TensorInfoIT_T0_EENS5_IlS7_EENS5_IKS6_S7_EES7_S7_S7_b,comdat
.Lfunc_end121:
	.size	_ZN2at6native12_GLOBAL__N_112gatherMedianIfjLi2EEEvNS_4cuda6detail10TensorInfoIT_T0_EENS5_IlS7_EENS5_IKS6_S7_EES7_S7_S7_b, .Lfunc_end121-_ZN2at6native12_GLOBAL__N_112gatherMedianIfjLi2EEEvNS_4cuda6detail10TensorInfoIT_T0_EENS5_IlS7_EENS5_IKS6_S7_EES7_S7_S7_b
                                        ; -- End function
	.set _ZN2at6native12_GLOBAL__N_112gatherMedianIfjLi2EEEvNS_4cuda6detail10TensorInfoIT_T0_EENS5_IlS7_EENS5_IKS6_S7_EES7_S7_S7_b.num_vgpr, 49
	.set _ZN2at6native12_GLOBAL__N_112gatherMedianIfjLi2EEEvNS_4cuda6detail10TensorInfoIT_T0_EENS5_IlS7_EENS5_IKS6_S7_EES7_S7_S7_b.num_agpr, 0
	.set _ZN2at6native12_GLOBAL__N_112gatherMedianIfjLi2EEEvNS_4cuda6detail10TensorInfoIT_T0_EENS5_IlS7_EENS5_IKS6_S7_EES7_S7_S7_b.numbered_sgpr, 96
	.set _ZN2at6native12_GLOBAL__N_112gatherMedianIfjLi2EEEvNS_4cuda6detail10TensorInfoIT_T0_EENS5_IlS7_EENS5_IKS6_S7_EES7_S7_S7_b.num_named_barrier, 0
	.set _ZN2at6native12_GLOBAL__N_112gatherMedianIfjLi2EEEvNS_4cuda6detail10TensorInfoIT_T0_EENS5_IlS7_EENS5_IKS6_S7_EES7_S7_S7_b.private_seg_size, 0
	.set _ZN2at6native12_GLOBAL__N_112gatherMedianIfjLi2EEEvNS_4cuda6detail10TensorInfoIT_T0_EENS5_IlS7_EENS5_IKS6_S7_EES7_S7_S7_b.uses_vcc, 1
	.set _ZN2at6native12_GLOBAL__N_112gatherMedianIfjLi2EEEvNS_4cuda6detail10TensorInfoIT_T0_EENS5_IlS7_EENS5_IKS6_S7_EES7_S7_S7_b.uses_flat_scratch, 0
	.set _ZN2at6native12_GLOBAL__N_112gatherMedianIfjLi2EEEvNS_4cuda6detail10TensorInfoIT_T0_EENS5_IlS7_EENS5_IKS6_S7_EES7_S7_S7_b.has_dyn_sized_stack, 0
	.set _ZN2at6native12_GLOBAL__N_112gatherMedianIfjLi2EEEvNS_4cuda6detail10TensorInfoIT_T0_EENS5_IlS7_EENS5_IKS6_S7_EES7_S7_S7_b.has_recursion, 0
	.set _ZN2at6native12_GLOBAL__N_112gatherMedianIfjLi2EEEvNS_4cuda6detail10TensorInfoIT_T0_EENS5_IlS7_EENS5_IKS6_S7_EES7_S7_S7_b.has_indirect_call, 0
	.section	.AMDGPU.csdata,"",@progbits
; Kernel info:
; codeLenInByte = 9680
; TotalNumSgprs: 100
; NumVgprs: 49
; ScratchSize: 0
; MemoryBound: 0
; FloatMode: 240
; IeeeMode: 1
; LDSByteSize: 4120 bytes/workgroup (compile time only)
; SGPRBlocks: 12
; VGPRBlocks: 12
; NumSGPRsForWavesPerEU: 100
; NumVGPRsForWavesPerEU: 49
; Occupancy: 4
; WaveLimiterHint : 1
; COMPUTE_PGM_RSRC2:SCRATCH_EN: 0
; COMPUTE_PGM_RSRC2:USER_SGPR: 6
; COMPUTE_PGM_RSRC2:TRAP_HANDLER: 0
; COMPUTE_PGM_RSRC2:TGID_X_EN: 1
; COMPUTE_PGM_RSRC2:TGID_Y_EN: 1
; COMPUTE_PGM_RSRC2:TGID_Z_EN: 1
; COMPUTE_PGM_RSRC2:TIDIG_COMP_CNT: 0
	.section	.text._ZN2at6native12_GLOBAL__N_112gatherMedianIfjLi3EEEvNS_4cuda6detail10TensorInfoIT_T0_EENS5_IlS7_EENS5_IKS6_S7_EES7_S7_S7_b,"axG",@progbits,_ZN2at6native12_GLOBAL__N_112gatherMedianIfjLi3EEEvNS_4cuda6detail10TensorInfoIT_T0_EENS5_IlS7_EENS5_IKS6_S7_EES7_S7_S7_b,comdat
	.globl	_ZN2at6native12_GLOBAL__N_112gatherMedianIfjLi3EEEvNS_4cuda6detail10TensorInfoIT_T0_EENS5_IlS7_EENS5_IKS6_S7_EES7_S7_S7_b ; -- Begin function _ZN2at6native12_GLOBAL__N_112gatherMedianIfjLi3EEEvNS_4cuda6detail10TensorInfoIT_T0_EENS5_IlS7_EENS5_IKS6_S7_EES7_S7_S7_b
	.p2align	8
	.type	_ZN2at6native12_GLOBAL__N_112gatherMedianIfjLi3EEEvNS_4cuda6detail10TensorInfoIT_T0_EENS5_IlS7_EENS5_IKS6_S7_EES7_S7_S7_b,@function
_ZN2at6native12_GLOBAL__N_112gatherMedianIfjLi3EEEvNS_4cuda6detail10TensorInfoIT_T0_EENS5_IlS7_EENS5_IKS6_S7_EES7_S7_S7_b: ; @_ZN2at6native12_GLOBAL__N_112gatherMedianIfjLi3EEEvNS_4cuda6detail10TensorInfoIT_T0_EENS5_IlS7_EENS5_IKS6_S7_EES7_S7_S7_b
; %bb.0:
	s_load_dwordx2 s[12:13], s[4:5], 0x298
	s_load_dwordx4 s[56:59], s[4:5], 0x288
	s_add_u32 s10, s4, 0x298
	s_addc_u32 s11, s5, 0
	s_waitcnt lgkmcnt(0)
	s_mul_i32 s0, s13, s8
	s_add_i32 s0, s0, s7
	s_mul_i32 s0, s0, s12
	s_add_i32 s79, s0, s6
	s_cmp_ge_u32 s79, s57
	s_cbranch_scc1 .LBB122_253
; %bb.1:
	s_load_dwordx2 s[20:21], s[4:5], 0xc
	s_load_dwordx2 s[0:1], s[4:5], 0x0
	;; [unrolled: 1-line block ×4, first 2 shown]
	s_load_dwordx4 s[16:19], s[4:5], 0x144
                                        ; implicit-def: $vgpr48 : SGPR spill to VGPR lane
                                        ; kill: killed $sgpr4 killed $sgpr5
	v_mov_b32_e32 v3, 0
	s_load_dwordx4 s[24:27], s[4:5], 0x6c
	s_waitcnt lgkmcnt(0)
	v_cvt_f32_u32_e32 v1, s21
	v_writelane_b32 v48, s0, 0
	v_writelane_b32 v48, s1, 1
	;; [unrolled: 1-line block ×3, first 2 shown]
	v_rcp_iflag_f32_e32 v1, v1
	v_cvt_f32_u32_e32 v2, s20
	v_writelane_b32 v48, s17, 3
	v_writelane_b32 v48, s18, 4
	v_mul_f32_e32 v1, 0x4f7ffffe, v1
	v_cvt_u32_f32_e32 v1, v1
	s_load_dwordx4 s[0:3], s[4:5], 0x21c
	v_writelane_b32 v48, s19, 5
	s_load_dwordx2 s[18:19], s[4:5], 0xe4
	v_rcp_iflag_f32_e32 v2, v2
	s_load_dwordx2 s[16:17], s[4:5], 0xd8
	s_sub_i32 s4, 0, s21
	v_readfirstlane_b32 s5, v1
	s_mul_i32 s4, s4, s5
	s_mul_hi_u32 s4, s5, s4
	s_add_i32 s5, s5, s4
	v_mul_f32_e32 v1, 0x4f7ffffe, v2
	s_waitcnt lgkmcnt(0)
	v_cvt_f32_u32_e32 v2, s19
	s_mul_hi_u32 s4, s79, s5
	s_mul_i32 s5, s4, s21
	v_writelane_b32 v48, s16, 6
	s_sub_i32 s5, s79, s5
	v_writelane_b32 v48, s17, 7
	s_add_i32 s7, s4, 1
	s_sub_i32 s13, s5, s21
	v_cvt_u32_f32_e32 v1, v1
	v_rcp_iflag_f32_e32 v2, v2
	v_writelane_b32 v48, s24, 8
	s_cmp_ge_u32 s5, s21
	v_writelane_b32 v48, s25, 9
	s_cselect_b32 s4, s7, s4
	v_writelane_b32 v48, s26, 10
	s_cselect_b32 s5, s13, s5
	s_add_i32 s7, s4, 1
	v_writelane_b32 v48, s27, 11
	s_cmp_ge_u32 s5, s21
	v_readfirstlane_b32 s5, v1
	v_mul_f32_e32 v1, 0x4f7ffffe, v2
	s_cselect_b32 s7, s7, s4
	v_writelane_b32 v48, s20, 12
	s_sub_i32 s4, 0, s20
	v_cvt_u32_f32_e32 v1, v1
	s_mul_i32 s4, s4, s5
	s_mul_hi_u32 s4, s5, s4
	v_writelane_b32 v48, s21, 13
	s_add_i32 s5, s5, s4
	v_writelane_b32 v48, s7, 14
	s_mul_hi_u32 s4, s7, s5
	v_readfirstlane_b32 s5, v1
	v_cvt_f32_u32_e32 v1, s18
	v_writelane_b32 v48, s4, 15
	s_sub_i32 s4, 0, s19
	s_mul_i32 s4, s4, s5
	s_mul_hi_u32 s4, s5, s4
	s_add_i32 s5, s5, s4
	v_rcp_iflag_f32_e32 v1, v1
	s_mul_hi_u32 s4, s79, s5
	v_cvt_f32_u32_e32 v2, s15
	s_mul_i32 s5, s4, s19
	s_sub_i32 s5, s79, s5
	s_add_i32 s7, s4, 1
	s_sub_i32 s13, s5, s19
	v_mul_f32_e32 v1, 0x4f7ffffe, v1
	s_cmp_ge_u32 s5, s19
	v_cvt_u32_f32_e32 v1, v1
	v_rcp_iflag_f32_e32 v2, v2
	s_cselect_b32 s4, s7, s4
	s_cselect_b32 s5, s13, s5
	s_add_i32 s7, s4, 1
	s_cmp_ge_u32 s5, s19
	s_cselect_b32 s7, s7, s4
	v_writelane_b32 v48, s18, 16
	s_sub_i32 s4, 0, s18
	v_readfirstlane_b32 s5, v1
	v_mul_f32_e32 v1, 0x4f7ffffe, v2
	s_mul_i32 s4, s4, s5
	v_cvt_u32_f32_e32 v1, v1
	s_mul_hi_u32 s4, s5, s4
	v_writelane_b32 v48, s19, 17
	s_add_i32 s5, s5, s4
	v_writelane_b32 v48, s7, 18
	s_mul_hi_u32 s4, s7, s5
	v_writelane_b32 v48, s4, 19
	s_sub_i32 s4, 0, s15
	v_readfirstlane_b32 s5, v1
	s_mul_i32 s4, s4, s5
	s_mul_hi_u32 s4, s5, s4
	v_cvt_f32_u32_e32 v1, s14
	s_add_i32 s5, s5, s4
	s_mul_hi_u32 s4, s79, s5
	s_mul_i32 s5, s4, s15
	s_sub_i32 s5, s79, s5
	v_rcp_iflag_f32_e32 v1, v1
	s_add_i32 s7, s4, 1
	s_sub_i32 s13, s5, s15
	s_cmp_ge_u32 s5, s15
	s_cselect_b32 s4, s7, s4
	s_cselect_b32 s5, s13, s5
	s_add_i32 s7, s4, 1
	v_mul_f32_e32 v1, 0x4f7ffffe, v1
	s_cmp_ge_u32 s5, s15
	v_cvt_u32_f32_e32 v1, v1
	s_cselect_b32 s4, s7, s4
	s_mul_i32 s5, s4, s15
	s_sub_i32 s5, s79, s5
	s_mul_i32 s5, s5, s2
	s_sub_i32 s2, 0, s14
	v_readfirstlane_b32 s7, v1
	s_mul_i32 s2, s2, s7
	s_mul_hi_u32 s2, s7, s2
	s_add_i32 s7, s7, s2
	s_mul_hi_u32 s2, s4, s7
	s_mul_i32 s7, s2, s14
	s_sub_i32 s7, s4, s7
	s_add_i32 s13, s2, 1
	s_sub_i32 s15, s7, s14
	s_cmp_ge_u32 s7, s14
	s_cselect_b32 s2, s13, s2
	s_cselect_b32 s7, s15, s7
	s_add_i32 s13, s2, 1
	s_cmp_ge_u32 s7, s14
	s_cselect_b32 s2, s13, s2
	s_mul_i32 s7, s2, s14
	s_sub_i32 s4, s4, s7
	s_mul_i32 s1, s4, s1
	s_add_i32 s1, s1, s5
	s_mul_i32 s2, s2, s0
	s_mov_b32 s3, 0
	s_add_i32 s2, s1, s2
	s_lshl_b64 s[0:1], s[2:3], 2
	s_add_u32 s66, s8, s0
	s_addc_u32 s57, s9, s1
	v_cmp_gt_u32_e64 s[0:1], s56, v0
	s_mov_b64 s[2:3], exec
	v_writelane_b32 v48, s0, 20
	v_writelane_b32 v48, s1, 21
	s_and_b64 s[0:1], s[2:3], s[0:1]
	s_mov_b64 exec, s[0:1]
	s_cbranch_execz .LBB122_5
; %bb.2:
	s_load_dword s0, s[10:11], 0xc
	v_mul_lo_u32 v1, v0, s58
	v_mov_b32_e32 v2, 0
	s_mov_b64 s[4:5], 0
	v_mov_b32_e32 v4, s57
	s_waitcnt lgkmcnt(0)
	s_and_b32 s0, s0, 0xffff
	s_mul_i32 s1, s58, s0
	v_mov_b32_e32 v3, v2
	v_mov_b32_e32 v5, v0
.LBB122_3:                              ; =>This Inner Loop Header: Depth=1
	v_lshlrev_b64 v[6:7], 2, v[1:2]
	v_add_u32_e32 v5, s0, v5
	v_add_co_u32_e32 v6, vcc, s66, v6
	v_addc_co_u32_e32 v7, vcc, v4, v7, vcc
	global_load_dword v6, v[6:7], off
	v_cmp_le_u32_e32 vcc, s56, v5
	s_or_b64 s[4:5], vcc, s[4:5]
	v_add_u32_e32 v1, s1, v1
	s_waitcnt vmcnt(0)
	v_cmp_u_f32_e32 vcc, v6, v6
	v_addc_co_u32_e32 v3, vcc, 0, v3, vcc
	s_andn2_b64 exec, exec, s[4:5]
	s_cbranch_execnz .LBB122_3
; %bb.4:
	s_or_b64 exec, exec, s[4:5]
.LBB122_5:
	s_or_b64 exec, exec, s[2:3]
	v_cmp_eq_u32_e64 s[2:3], 0, v0
	s_and_saveexec_b64 s[4:5], s[2:3]
; %bb.6:
	v_mov_b32_e32 v1, 0
	v_mov_b32_e32 v2, v1
	ds_write_b64 v1, v[1:2] offset:4096
; %bb.7:
	s_or_b64 exec, exec, s[4:5]
	v_cmp_ne_u32_e32 vcc, 0, v3
	s_waitcnt lgkmcnt(0)
	s_barrier
	s_and_saveexec_b64 s[4:5], vcc
	s_cbranch_execz .LBB122_12
; %bb.8:
	s_mov_b64 s[14:15], exec
	v_mov_b32_e32 v1, 0
	s_mov_b64 s[8:9], 0
.LBB122_9:                              ; =>This Inner Loop Header: Depth=1
	s_ff1_i32_b64 s0, s[14:15]
	v_readlane_b32 s7, v3, s0
	v_readlane_b32 s1, v1, s0
	s_add_u32 s8, s8, s7
	s_addc_u32 s9, s9, s1
	s_lshl_b64 s[0:1], 1, s0
	s_andn2_b64 s[14:15], s[14:15], s[0:1]
	s_cmp_lg_u64 s[14:15], 0
	s_cbranch_scc1 .LBB122_9
; %bb.10:
	v_mbcnt_lo_u32_b32 v1, exec_lo, 0
	v_mbcnt_hi_u32_b32 v1, exec_hi, v1
	v_cmp_eq_u32_e32 vcc, 0, v1
	s_and_saveexec_b64 s[0:1], vcc
	s_xor_b64 s[0:1], exec, s[0:1]
; %bb.11:
	v_mov_b32_e32 v1, s8
	v_mov_b32_e32 v3, 0
	;; [unrolled: 1-line block ×3, first 2 shown]
	ds_add_u64 v3, v[1:2] offset:4096
.LBB122_12:
	s_or_b64 exec, exec, s[4:5]
	v_mov_b32_e32 v1, 0
	s_waitcnt lgkmcnt(0)
	s_barrier
	ds_read_b64 v[1:2], v1 offset:4096
	s_bitcmp1_b32 s59, 0
	s_cselect_b64 s[8:9], -1, 0
	s_waitcnt lgkmcnt(0)
	v_readfirstlane_b32 s4, v1
	v_readfirstlane_b32 s5, v2
	v_cmp_lt_i64_e64 s[0:1], s[4:5], 1
	s_or_b64 s[0:1], s[8:9], s[0:1]
	s_andn2_b64 vcc, exec, s[0:1]
	s_mov_b32 s0, s56
	s_cbranch_vccnz .LBB122_14
; %bb.13:
	s_not_b64 s[0:1], s[4:5]
	s_add_u32 s0, s0, s56
	s_addc_u32 s1, s1, 0
	s_lshr_b32 s4, s1, 31
	s_add_u32 s0, s0, s4
	s_addc_u32 s1, s1, 0
	s_lshr_b64 s[0:1], s[0:1], 1
	s_add_i32 s0, s0, 1
.LBB122_14:
	s_and_saveexec_b64 s[4:5], s[2:3]
	s_cbranch_execz .LBB122_16
; %bb.15:
	v_mov_b32_e32 v1, 0
	v_mov_b32_e32 v2, s56
	ds_write_b32 v1, v1 offset:4112
	ds_write_b64 v1, v[1:2] offset:4104
.LBB122_16:
	s_or_b64 exec, exec, s[4:5]
	v_mul_lo_u32 v5, s58, v0
	v_mov_b32_e32 v7, 0
	v_mbcnt_lo_u32_b32 v1, -1, 0
	v_mov_b32_e32 v6, v7
	s_waitcnt lgkmcnt(0)
	s_barrier
	s_load_dword s1, s[10:11], 0xc
	v_mbcnt_hi_u32_b32 v16, -1, v1
	v_lshlrev_b64 v[1:2], 2, v[5:6]
	v_cmp_gt_u32_e32 vcc, 64, v0
	v_cmp_gt_i32_e64 s[8:9], 4, v16
	s_and_b64 s[76:77], vcc, s[8:9]
	v_mov_b32_e32 v18, s57
	v_add_co_u32_e32 v8, vcc, s66, v1
	v_addc_co_u32_e32 v9, vcc, v18, v2, vcc
	v_lshlrev_b64 v[1:2], v16, -1
	s_waitcnt lgkmcnt(0)
	s_and_b32 s59, s1, 0xffff
	v_not_b32_e32 v21, v1
	v_lshrrev_b32_e32 v1, 2, v0
	s_lshl_b32 s82, s59, 2
	v_and_b32_e32 v1, 0xf0, v1
	s_add_i32 s83, s59, -1
	v_or_b32_e32 v22, 0xc00, v1
	v_cvt_f32_u32_e32 v1, s82
	s_bfe_u32 s1, s1, 0xa0006
	s_add_i32 s7, s83, s56
	s_cmpk_gt_u32 s56, 0x300
	s_cselect_b64 s[8:9], -1, 0
	s_cmp_gt_u32 s59, 63
	s_cselect_b64 s[80:81], -1, 0
	s_cmp_lt_u32 s6, s12
	v_rcp_iflag_f32_e32 v1, v1
	v_writelane_b32 v48, s8, 22
	s_cselect_b32 s6, 12, 18
	v_writelane_b32 v48, s9, 23
	s_add_u32 s8, s10, s6
	s_addc_u32 s9, s11, 0
	v_writelane_b32 v48, s8, 24
	s_add_i32 s6, s1, -1
	v_mul_f32_e32 v1, 0x4f7ffffe, v1
	v_writelane_b32 v48, s9, 25
	s_bfe_u32 s8, s59, 0x30006
	s_and_b32 s6, s6, 0xffff
	v_cvt_u32_f32_e32 v1, v1
	s_cmp_gt_u32 s6, 6
	s_cselect_b64 s[10:11], -1, 0
	v_writelane_b32 v48, s10, 26
	s_and_b32 s70, s1, 0x3f8
	v_writelane_b32 v48, s11, 27
	s_cmp_lg_u32 s8, 0
	v_readfirstlane_b32 s6, v1
	v_cvt_f32_u32_e32 v1, s59
	v_writelane_b32 v48, s8, 28
	s_cselect_b64 s[8:9], -1, 0
	s_sub_i32 s1, 0, s82
	s_mul_i32 s1, s1, s6
	s_mul_hi_u32 s1, s6, s1
	s_add_i32 s71, s6, s1
	v_rcp_iflag_f32_e32 v4, v1
	s_mul_hi_u32 s1, s56, s71
	s_mul_i32 s1, s1, s82
	s_sub_i32 s1, s56, s1
	s_sub_i32 s6, s1, s82
	v_mul_f32_e32 v4, 0x4f7ffffe, v4
	s_cmp_ge_u32 s1, s82
	v_cvt_u32_f32_e32 v4, v4
	s_cselect_b32 s1, s6, s1
	s_sub_i32 s6, s1, s82
	s_cmp_ge_u32 s1, s82
	s_cselect_b32 s1, s6, s1
	s_sub_i32 s6, 0, s59
	v_readfirstlane_b32 s12, v4
	s_mul_i32 s6, s6, s12
	s_mul_hi_u32 s6, s12, s6
	s_sub_i32 s84, s56, s1
	s_add_i32 s86, s12, s6
	v_add_u32_e32 v23, s84, v0
	s_mul_hi_u32 s6, s7, s86
	v_mul_lo_u32 v6, v23, s58
	s_mul_i32 s6, s6, s59
	s_sub_i32 s6, s7, s6
	s_sub_i32 s12, s6, s59
	s_cmp_ge_u32 s6, s59
	v_not_b32_e32 v20, v2
	v_lshlrev_b64 v[1:2], 2, v[6:7]
	s_cselect_b32 s6, s12, s6
	v_lshlrev_b32_e32 v15, 2, v0
	s_sub_i32 s12, s6, s59
	v_add_co_u32_e32 v10, vcc, s66, v1
	s_cmp_ge_u32 s6, s59
	v_mul_lo_u32 v1, s58, v15
	s_cselect_b32 s6, s12, s6
	v_writelane_b32 v48, s8, 29
	s_sub_i32 s87, s7, s6
	v_writelane_b32 v48, s9, 30
	v_cmp_gt_u32_e64 s[6:7], s87, v0
	v_writelane_b32 v48, s6, 31
	v_add_u32_e32 v24, s58, v1
	v_or_b32_e32 v1, 2, v15
	v_writelane_b32 v48, s7, 32
	v_mul_lo_u32 v26, s58, v1
	v_or_b32_e32 v1, 3, v15
	s_add_i32 s6, s59, s56
	v_mul_lo_u32 v27, s58, v1
	v_add_u32_e32 v1, s6, v0
	v_subrev_u32_e32 v1, s1, v1
	v_mul_lo_u32 v29, s58, v1
	v_lshlrev_b32_e32 v3, 2, v16
	v_mov_b32_e32 v6, s57
	s_mul_i32 s67, s58, s59
	s_mov_b32 s85, 0
	v_cmp_eq_u32_e64 s[4:5], 0, v16
	v_cmp_gt_u32_e64 s[16:17], 2, v0
	v_add_u32_e32 v17, 0xc00, v15
	v_and_b32_e32 v19, 0x100, v3
	v_cmp_gt_u32_e64 s[8:9], s84, v15
	v_cmp_gt_u32_e64 s[10:11], s56, v23
	v_addc_co_u32_e32 v11, vcc, v6, v2, vcc
	s_lshl_b32 s74, s67, 2
	v_lshlrev_b32_e32 v28, 2, v5
	v_lshlrev_b32_e32 v30, 4, v0
	s_lshl_b32 s75, s59, 4
	v_or_b32_e32 v31, 0xc00, v3
	s_mov_b64 s[88:89], 0
	v_mov_b32_e32 v33, 30
	v_mov_b32_e32 v35, s0
	v_bfrev_b32_e32 v32, 1
	v_mov_b32_e32 v25, 0
	v_mov_b32_e32 v34, 0
	v_mov_b32_e32 v12, 1.0
	v_mov_b32_e32 v14, 0
                                        ; implicit-def: $sgpr90_sgpr91
                                        ; implicit-def: $sgpr94_sgpr95
                                        ; implicit-def: $sgpr92_sgpr93
                                        ; implicit-def: $sgpr60_sgpr61
                                        ; implicit-def: $sgpr62_sgpr63
                                        ; implicit-def: $sgpr68_sgpr69
	s_branch .LBB122_20
.LBB122_17:                             ;   in Loop: Header=BB122_20 Depth=1
	s_or_b64 exec, exec, s[26:27]
	s_and_b64 s[26:27], s[24:25], exec
	s_andn2_b64 s[22:23], s[22:23], exec
	s_andn2_b64 s[20:21], s[20:21], exec
	s_orn2_b64 s[14:15], s[14:15], exec
.LBB122_18:                             ;   in Loop: Header=BB122_20 Depth=1
	s_or_b64 exec, exec, s[18:19]
	s_andn2_b64 s[12:13], s[68:69], exec
	s_and_b64 s[18:19], s[26:27], exec
	s_or_b64 s[68:69], s[12:13], s[18:19]
	s_andn2_b64 s[12:13], s[62:63], exec
	s_and_b64 s[18:19], s[22:23], exec
	s_or_b64 s[62:63], s[12:13], s[18:19]
	;; [unrolled: 3-line block ×3, first 2 shown]
	s_orn2_b64 s[14:15], s[14:15], exec
.LBB122_19:                             ;   in Loop: Header=BB122_20 Depth=1
	s_or_b64 exec, exec, s[6:7]
	s_and_b64 s[6:7], exec, s[14:15]
	s_or_b64 s[88:89], s[6:7], s[88:89]
	s_andn2_b64 s[6:7], s[92:93], exec
	s_and_b64 s[12:13], s[68:69], exec
	s_or_b64 s[92:93], s[6:7], s[12:13]
	s_andn2_b64 s[6:7], s[94:95], exec
	s_and_b64 s[12:13], s[62:63], exec
	;; [unrolled: 3-line block ×3, first 2 shown]
	s_or_b64 s[90:91], s[6:7], s[12:13]
	s_mov_b32 s85, s0
	v_mov_b32_e32 v35, v4
	s_andn2_b64 exec, exec, s[88:89]
	s_cbranch_execz .LBB122_249
.LBB122_20:                             ; =>This Loop Header: Depth=1
                                        ;     Child Loop BB122_26 Depth 2
                                        ;     Child Loop BB122_39 Depth 2
	;; [unrolled: 1-line block ×16, first 2 shown]
	ds_read_b64 v[1:2], v7 offset:4104
	s_waitcnt lgkmcnt(0)
	v_readfirstlane_b32 s33, v1
	s_cmp_lg_u32 s33, 0
	s_cbranch_scc1 .LBB122_47
; %bb.21:                               ;   in Loop: Header=BB122_20 Depth=1
	v_readlane_b32 s0, v48, 22
	v_readlane_b32 s1, v48, 23
	s_and_b64 vcc, exec, s[0:1]
	s_cbranch_vccz .LBB122_34
; %bb.22:                               ;   in Loop: Header=BB122_20 Depth=1
	s_movk_i32 s0, 0x301
	v_cmp_gt_u32_e32 vcc, s0, v2
	s_mov_b64 s[18:19], 0
	s_mov_b64 s[6:7], 0
	s_cbranch_vccz .LBB122_35
; %bb.23:                               ;   in Loop: Header=BB122_20 Depth=1
	s_mov_b64 s[20:21], exec
	v_readlane_b32 s0, v48, 20
	v_readlane_b32 s1, v48, 21
	s_and_b64 s[0:1], s[20:21], s[0:1]
	s_mov_b64 exec, s[0:1]
	s_cbranch_execz .LBB122_134
; %bb.24:                               ;   in Loop: Header=BB122_20 Depth=1
	v_readlane_b32 s0, v48, 24
	v_readlane_b32 s1, v48, 25
	s_nop 4
	global_load_ushort v1, v7, s[0:1]
	global_load_dword v3, v[8:9], off
	s_mov_b64 s[22:23], 0
	v_mov_b32_e32 v4, v0
	s_waitcnt vmcnt(1)
	v_add_u32_e32 v2, v0, v1
	v_mul_lo_u32 v6, s58, v2
	v_mul_lo_u32 v2, s58, v1
	s_branch .LBB122_26
.LBB122_25:                             ;   in Loop: Header=BB122_26 Depth=2
	s_or_b64 exec, exec, s[6:7]
	v_add_u32_e32 v6, v6, v2
	v_mov_b32_e32 v3, v13
	s_andn2_b64 exec, exec, s[22:23]
	s_cbranch_execz .LBB122_134
.LBB122_26:                             ;   Parent Loop BB122_20 Depth=1
                                        ; =>  This Inner Loop Header: Depth=2
	v_add_u32_e32 v4, v4, v1
	v_cmp_gt_u32_e64 s[6:7], s56, v4
	v_cmp_le_u32_e32 vcc, s56, v4
	s_waitcnt lgkmcnt(0)
	v_mov_b32_e32 v36, 0
	v_mov_b32_e32 v13, 0
	s_and_saveexec_b64 s[14:15], s[6:7]
	s_cbranch_execz .LBB122_28
; %bb.27:                               ;   in Loop: Header=BB122_26 Depth=2
	v_lshlrev_b64 v[37:38], 2, v[6:7]
	v_add_co_u32_e64 v37, s[6:7], s66, v37
	v_addc_co_u32_e64 v38, s[6:7], v18, v38, s[6:7]
	global_load_dword v13, v[37:38], off
.LBB122_28:                             ;   in Loop: Header=BB122_26 Depth=2
	s_or_b64 exec, exec, s[14:15]
	s_waitcnt vmcnt(0)
	v_cmp_lt_i32_e64 s[6:7], -1, v3
	v_cndmask_b32_e64 v37, -1, v32, s[6:7]
	v_xor_b32_e32 v37, v37, v3
	v_cmp_o_f32_e64 s[6:7], v3, v3
	v_cndmask_b32_e64 v37, -1, v37, s[6:7]
	v_and_b32_e32 v37, v37, v34
	v_cmp_eq_u32_e64 s[14:15], v37, v25
	s_cmp_lg_u64 s[14:15], 0
	s_cselect_b64 s[0:1], -1, 0
	s_and_b64 s[0:1], s[4:5], s[0:1]
	s_and_saveexec_b64 s[24:25], s[0:1]
	s_cbranch_execz .LBB122_32
; %bb.29:                               ;   in Loop: Header=BB122_26 Depth=2
	s_mov_b64 s[28:29], exec
	v_mbcnt_lo_u32_b32 v36, s28, 0
	v_mbcnt_hi_u32_b32 v36, s29, v36
	s_bcnt1_i32_b64 s0, s[14:15]
	v_cmp_eq_u32_e64 s[6:7], 0, v36
                                        ; implicit-def: $vgpr37
	s_and_saveexec_b64 s[26:27], s[6:7]
; %bb.30:                               ;   in Loop: Header=BB122_26 Depth=2
	s_bcnt1_i32_b64 s1, s[28:29]
	s_mul_i32 s1, s0, s1
	v_mov_b32_e32 v37, s1
	ds_add_rtn_u32 v37, v7, v37 offset:4112
; %bb.31:                               ;   in Loop: Header=BB122_26 Depth=2
	s_or_b64 exec, exec, s[26:27]
	s_waitcnt lgkmcnt(0)
	v_readfirstlane_b32 s1, v37
	v_mov_b32_e32 v37, s1
	v_mad_u32_u24 v36, s0, v36, v37
.LBB122_32:                             ;   in Loop: Header=BB122_26 Depth=2
	s_or_b64 exec, exec, s[24:25]
	ds_bpermute_b32 v36, v19, v36
	s_and_b64 s[0:1], exec, vcc
	s_or_b64 s[22:23], s[0:1], s[22:23]
	s_and_saveexec_b64 s[6:7], s[14:15]
	s_cbranch_execz .LBB122_25
; %bb.33:                               ;   in Loop: Header=BB122_26 Depth=2
	v_and_b32_e32 v38, s14, v21
	v_and_b32_e32 v37, s15, v20
	v_bcnt_u32_b32 v38, v38, 0
	v_bcnt_u32_b32 v37, v37, v38
	v_lshlrev_b32_e32 v37, 2, v37
	s_waitcnt lgkmcnt(0)
	v_lshl_add_u32 v36, v36, 2, v37
	ds_write_b32 v36, v3
	s_branch .LBB122_25
.LBB122_34:                             ;   in Loop: Header=BB122_20 Depth=1
	s_mov_b64 s[18:19], -1
	s_mov_b64 s[6:7], 0
.LBB122_35:                             ;   in Loop: Header=BB122_20 Depth=1
	s_and_b64 vcc, exec, s[18:19]
	s_cbranch_vccz .LBB122_45
.LBB122_36:                             ;   in Loop: Header=BB122_20 Depth=1
	s_mov_b64 s[6:7], exec
	v_readlane_b32 s0, v48, 20
	v_readlane_b32 s1, v48, 21
	s_and_b64 s[0:1], s[6:7], s[0:1]
	s_mov_b64 exec, s[0:1]
	s_cbranch_execz .LBB122_42
; %bb.37:                               ;   in Loop: Header=BB122_20 Depth=1
	v_readlane_b32 s0, v48, 24
	v_readlane_b32 s1, v48, 25
	s_nop 4
	global_load_ushort v1, v7, s[0:1]
	global_load_dword v3, v[8:9], off
	v_mov_b32_e32 v2, v0
	s_waitcnt vmcnt(1)
	v_add_u32_e32 v6, v0, v1
	v_cmp_gt_u32_e32 vcc, s56, v6
	s_and_saveexec_b64 s[14:15], vcc
	s_cbranch_execz .LBB122_41
; %bb.38:                               ;   in Loop: Header=BB122_20 Depth=1
	v_mul_lo_u32 v6, s58, v6
	v_mul_lo_u32 v13, s58, v1
	v_lshlrev_b32_e32 v4, 2, v1
	s_mov_b64 s[18:19], 0
	v_mov_b32_e32 v36, v15
	v_mov_b32_e32 v2, v0
.LBB122_39:                             ;   Parent Loop BB122_20 Depth=1
                                        ; =>  This Inner Loop Header: Depth=2
	v_lshlrev_b64 v[37:38], 2, v[6:7]
	v_mov_b32_e32 v39, s57
	v_add_co_u32_e32 v37, vcc, s66, v37
	v_addc_co_u32_e32 v38, vcc, v39, v38, vcc
	global_load_dword v37, v[37:38], off
	v_add_u32_e32 v2, v2, v1
	s_waitcnt vmcnt(1)
	ds_write_b32 v36, v3
	v_add_u32_e32 v3, v1, v2
	v_cmp_le_u32_e32 vcc, s56, v3
	v_add_u32_e32 v36, v36, v4
	v_add_u32_e32 v6, v6, v13
	s_or_b64 s[18:19], vcc, s[18:19]
	s_waitcnt vmcnt(0)
	v_mov_b32_e32 v3, v37
	s_andn2_b64 exec, exec, s[18:19]
	s_cbranch_execnz .LBB122_39
; %bb.40:                               ;   in Loop: Header=BB122_20 Depth=1
	s_or_b64 exec, exec, s[18:19]
	v_mov_b32_e32 v3, v37
.LBB122_41:                             ;   in Loop: Header=BB122_20 Depth=1
	s_or_b64 exec, exec, s[14:15]
	v_lshlrev_b32_e32 v1, 2, v2
	s_waitcnt vmcnt(0)
	ds_write_b32 v1, v3
.LBB122_42:                             ;   in Loop: Header=BB122_20 Depth=1
	s_or_b64 exec, exec, s[6:7]
	s_waitcnt lgkmcnt(0)
	s_barrier
	s_and_saveexec_b64 s[6:7], s[2:3]
; %bb.43:                               ;   in Loop: Header=BB122_20 Depth=1
	v_mov_b32_e32 v1, s56
	ds_write_b32 v7, v1 offset:4104
; %bb.44:                               ;   in Loop: Header=BB122_20 Depth=1
	s_or_b64 exec, exec, s[6:7]
	s_mov_b64 s[6:7], -1
	s_waitcnt lgkmcnt(0)
	s_barrier
.LBB122_45:                             ;   in Loop: Header=BB122_20 Depth=1
	s_mov_b32 s33, 0
	s_and_b64 vcc, exec, s[6:7]
	s_cbranch_vccz .LBB122_47
; %bb.46:                               ;   in Loop: Header=BB122_20 Depth=1
	ds_read_b32 v1, v7 offset:4104
	s_waitcnt lgkmcnt(0)
	v_readfirstlane_b32 s33, v1
.LBB122_47:                             ;   in Loop: Header=BB122_20 Depth=1
	s_cmp_lt_i32 s33, 1
	s_mov_b64 s[6:7], -1
                                        ; implicit-def: $vgpr1
	s_cbranch_scc1 .LBB122_57
; %bb.48:                               ;   in Loop: Header=BB122_20 Depth=1
	s_and_b64 vcc, exec, s[6:7]
	s_cbranch_vccnz .LBB122_68
.LBB122_49:                             ;   in Loop: Header=BB122_20 Depth=1
	s_lshl_b32 s0, s85, 6
	s_and_saveexec_b64 s[6:7], s[4:5]
.LBB122_50:                             ;   in Loop: Header=BB122_20 Depth=1
	v_lshl_add_u32 v6, s0, 2, v22
	ds_write_b128 v6, v[1:4]
.LBB122_51:                             ;   in Loop: Header=BB122_20 Depth=1
	s_or_b64 exec, exec, s[6:7]
	s_waitcnt lgkmcnt(0)
	s_barrier
	s_and_saveexec_b64 s[6:7], s[76:77]
	s_cbranch_execz .LBB122_82
; %bb.52:                               ;   in Loop: Header=BB122_20 Depth=1
	s_andn2_b64 vcc, exec, s[80:81]
	v_mov_b32_e32 v1, 0
	s_cbranch_vccnz .LBB122_81
; %bb.53:                               ;   in Loop: Header=BB122_20 Depth=1
	v_readlane_b32 s12, v48, 26
	v_readlane_b32 s13, v48, 27
	s_andn2_b64 vcc, exec, s[12:13]
	s_cbranch_vccnz .LBB122_77
; %bb.54:                               ;   in Loop: Header=BB122_20 Depth=1
	v_lshl_add_u32 v2, s85, 8, v31
	s_mov_b32 s1, 0
	v_mov_b32_e32 v1, 0
.LBB122_55:                             ;   Parent Loop BB122_20 Depth=1
                                        ; =>  This Inner Loop Header: Depth=2
	ds_read2_b32 v[3:4], v2 offset1:4
	ds_read2_b32 v[36:37], v2 offset0:8 offset1:12
	ds_read2_b32 v[38:39], v2 offset0:16 offset1:20
	;; [unrolled: 1-line block ×3, first 2 shown]
	s_add_i32 s1, s1, 8
	s_waitcnt lgkmcnt(3)
	v_add3_u32 v1, v3, v1, v4
	s_waitcnt lgkmcnt(2)
	v_add3_u32 v1, v36, v1, v37
	s_waitcnt lgkmcnt(1)
	v_add3_u32 v1, v38, v1, v39
	v_add_u32_e32 v2, 0x80, v2
	s_cmp_eq_u32 s70, s1
	s_waitcnt lgkmcnt(0)
	v_add3_u32 v1, v40, v1, v41
	s_cbranch_scc0 .LBB122_55
; %bb.56:                               ;   in Loop: Header=BB122_20 Depth=1
	s_mov_b32 s1, s70
	s_branch .LBB122_78
.LBB122_57:                             ;   in Loop: Header=BB122_20 Depth=1
	v_mov_b32_e32 v1, 0
	v_mov_b32_e32 v2, 0
	;; [unrolled: 1-line block ×4, first 2 shown]
	s_and_saveexec_b64 s[44:45], s[8:9]
	s_cbranch_execz .LBB122_61
; %bb.58:                               ;   in Loop: Header=BB122_20 Depth=1
	s_mov_b32 s48, 0
	s_mov_b64 s[46:47], 0
	s_mov_b32 s49, 0
	s_mov_b32 s50, 0
	;; [unrolled: 1-line block ×4, first 2 shown]
	v_mov_b32_e32 v13, v15
.LBB122_59:                             ;   Parent Loop BB122_20 Depth=1
                                        ; =>  This Inner Loop Header: Depth=2
	v_add_u32_e32 v6, s48, v28
	v_lshlrev_b64 v[2:3], 2, v[6:7]
	v_add_u32_e32 v6, s48, v24
	v_mov_b32_e32 v1, s57
	v_lshlrev_b64 v[36:37], 2, v[6:7]
	v_add_co_u32_e64 v2, s[6:7], s66, v2
	v_add_u32_e32 v6, s48, v26
	v_addc_co_u32_e64 v3, s[6:7], v1, v3, s[6:7]
	v_lshlrev_b64 v[38:39], 2, v[6:7]
	global_load_dword v4, v[2:3], off
	v_add_co_u32_e64 v2, s[6:7], s66, v36
	v_add_u32_e32 v6, s48, v27
	v_addc_co_u32_e64 v3, s[6:7], v1, v37, s[6:7]
	v_lshlrev_b64 v[40:41], 2, v[6:7]
	global_load_dword v6, v[2:3], off
	v_add_co_u32_e64 v2, s[6:7], s66, v38
	v_addc_co_u32_e64 v3, s[6:7], v1, v39, s[6:7]
	global_load_dword v36, v[2:3], off
	v_add_co_u32_e64 v2, s[6:7], s66, v40
	v_addc_co_u32_e64 v3, s[6:7], v1, v41, s[6:7]
	global_load_dword v1, v[2:3], off
	v_add_u32_e32 v13, s82, v13
	v_cmp_le_u32_e32 vcc, s84, v13
	s_add_i32 s48, s48, s74
	s_waitcnt vmcnt(3)
	v_cmp_lt_i32_e64 s[6:7], -1, v4
	v_cndmask_b32_e64 v2, -1, v32, s[6:7]
	v_xor_b32_e32 v2, v2, v4
	s_waitcnt vmcnt(2)
	v_cmp_lt_i32_e64 s[6:7], -1, v6
	v_cndmask_b32_e64 v3, -1, v32, s[6:7]
	v_cmp_o_f32_e64 s[6:7], v4, v4
	v_cndmask_b32_e64 v2, -1, v2, s[6:7]
	v_xor_b32_e32 v3, v3, v6
	s_waitcnt vmcnt(1)
	v_cmp_lt_i32_e64 s[6:7], -1, v36
	v_cndmask_b32_e64 v4, -1, v32, s[6:7]
	v_cmp_o_f32_e64 s[6:7], v6, v6
	v_cndmask_b32_e64 v3, -1, v3, s[6:7]
	v_xor_b32_e32 v4, v4, v36
	s_waitcnt vmcnt(0)
	v_cmp_lt_i32_e64 s[6:7], -1, v1
	v_cndmask_b32_e64 v6, -1, v32, s[6:7]
	v_and_b32_e32 v37, v2, v34
	v_bfe_u32 v2, v2, v33, 2
	v_cmp_o_f32_e64 s[6:7], v36, v36
	v_cndmask_b32_e64 v4, -1, v4, s[6:7]
	v_cmp_eq_u32_e64 s[6:7], v37, v25
	v_cmp_eq_u32_e64 s[14:15], 0, v2
	v_and_b32_e32 v36, v3, v34
	v_bfe_u32 v3, v3, v33, 2
	v_cmp_eq_u32_e64 s[18:19], 1, v2
	s_and_b64 s[0:1], s[6:7], s[14:15]
	v_xor_b32_e32 v6, v6, v1
	v_cmp_eq_u32_e64 s[20:21], 2, v2
	v_cmp_o_f32_e64 s[24:25], v1, v1
	v_cmp_eq_u32_e64 s[26:27], 0, v3
	v_cmp_eq_u32_e64 s[28:29], 1, v3
	;; [unrolled: 1-line block ×4, first 2 shown]
	v_cndmask_b32_e64 v3, 0, 1, s[0:1]
	s_and_b64 s[0:1], s[6:7], s[18:19]
	v_cmp_eq_u32_e64 s[22:23], 3, v2
	v_cndmask_b32_e64 v1, -1, v6, s[24:25]
	v_cndmask_b32_e64 v6, 0, 1, s[0:1]
	s_and_b64 s[0:1], s[6:7], s[20:21]
	v_cmp_eq_u32_e64 s[24:25], v36, v25
	v_cndmask_b32_e64 v36, 0, 1, s[0:1]
	s_and_b64 s[0:1], s[6:7], s[22:23]
	v_cndmask_b32_e64 v37, 0, 1, s[0:1]
	s_and_b64 s[0:1], s[24:25], s[26:27]
	v_and_b32_e32 v2, v4, v34
	v_bfe_u32 v4, v4, v33, 2
	v_cmp_ne_u32_e64 s[36:37], 0, v3
	v_cndmask_b32_e64 v3, 0, 1, s[0:1]
	s_and_b64 s[0:1], s[24:25], s[28:29]
	v_cmp_eq_u32_e64 s[14:15], 0, v4
	v_cmp_eq_u32_e64 s[18:19], 1, v4
	;; [unrolled: 1-line block ×4, first 2 shown]
	v_cndmask_b32_e64 v4, 0, 1, s[0:1]
	s_and_b64 s[0:1], s[24:25], s[30:31]
	v_cmp_eq_u32_e64 s[6:7], v2, v25
	v_cmp_ne_u32_e64 s[26:27], 0, v6
	v_cndmask_b32_e64 v6, 0, 1, s[0:1]
	s_and_b64 s[0:1], s[24:25], s[34:35]
	v_and_b32_e32 v2, v1, v34
	v_bfe_u32 v1, v1, v33, 2
	v_cmp_ne_u32_e64 s[28:29], 0, v36
	v_cndmask_b32_e64 v36, 0, 1, s[0:1]
	s_and_b64 s[0:1], s[6:7], s[14:15]
	v_cmp_eq_u32_e64 s[34:35], 0, v1
	v_cmp_eq_u32_e64 s[38:39], 1, v1
	;; [unrolled: 1-line block ×4, first 2 shown]
	v_cndmask_b32_e64 v1, 0, 1, s[0:1]
	s_and_b64 s[0:1], s[6:7], s[18:19]
	v_cmp_eq_u32_e64 s[24:25], v2, v25
	v_cndmask_b32_e64 v2, 0, 1, s[0:1]
	s_and_b64 s[0:1], s[6:7], s[20:21]
	s_bcnt1_i32_b64 s12, s[36:37]
	v_cmp_ne_u32_e64 s[36:37], 0, v3
	v_cndmask_b32_e64 v3, 0, 1, s[0:1]
	s_and_b64 s[0:1], s[6:7], s[22:23]
	v_cmp_ne_u32_e64 s[14:15], 0, v4
	v_cndmask_b32_e64 v4, 0, 1, s[0:1]
	s_and_b64 s[0:1], s[24:25], s[34:35]
	;; [unrolled: 3-line block ×3, first 2 shown]
	v_cmp_ne_u32_e64 s[30:31], 0, v37
	v_cmp_ne_u32_e64 s[18:19], 0, v6
	s_bcnt1_i32_b64 s23, s[14:15]
	v_cmp_ne_u32_e64 s[14:15], 0, v2
	v_cndmask_b32_e64 v2, 0, 1, s[0:1]
	s_and_b64 s[0:1], s[24:25], s[40:41]
	s_bcnt1_i32_b64 s13, s[26:27]
	s_bcnt1_i32_b64 s26, s[28:29]
	;; [unrolled: 1-line block ×3, first 2 shown]
	v_cmp_ne_u32_e64 s[20:21], 0, v36
	s_bcnt1_i32_b64 s28, s[18:19]
	v_cmp_ne_u32_e64 s[18:19], 0, v3
	v_cndmask_b32_e64 v3, 0, 1, s[0:1]
	s_and_b64 s[0:1], s[24:25], s[42:43]
	s_bcnt1_i32_b64 s22, s[36:37]
	s_add_i32 s12, s52, s12
	s_add_i32 s13, s51, s13
	;; [unrolled: 1-line block ×3, first 2 shown]
	s_bcnt1_i32_b64 s29, s[20:21]
	v_cmp_ne_u32_e64 s[20:21], 0, v4
	v_cndmask_b32_e64 v4, 0, 1, s[0:1]
	s_add_i32 s0, s49, s27
	s_bcnt1_i32_b64 s1, s[6:7]
	v_cmp_ne_u32_e64 s[6:7], 0, v1
	s_add_i32 s12, s12, s22
	s_bcnt1_i32_b64 s22, s[14:15]
	v_cmp_ne_u32_e64 s[14:15], 0, v2
	;; [unrolled: 3-line block ×4, first 2 shown]
	s_add_i32 s0, s0, s29
	s_bcnt1_i32_b64 s6, s[6:7]
	s_add_i32 s1, s12, s1
	s_bcnt1_i32_b64 s7, s[14:15]
	;; [unrolled: 2-line block ×4, first 2 shown]
	s_add_i32 s0, s0, s25
	s_add_i32 s52, s1, s6
	;; [unrolled: 1-line block ×5, first 2 shown]
	s_or_b64 s[46:47], vcc, s[46:47]
	v_mov_b32_e32 v1, s52
	v_mov_b32_e32 v2, s51
	;; [unrolled: 1-line block ×4, first 2 shown]
	s_andn2_b64 exec, exec, s[46:47]
	s_cbranch_execnz .LBB122_59
; %bb.60:                               ;   in Loop: Header=BB122_20 Depth=1
	s_or_b64 exec, exec, s[46:47]
.LBB122_61:                             ;   in Loop: Header=BB122_20 Depth=1
	s_or_b64 exec, exec, s[44:45]
	s_and_saveexec_b64 s[14:15], s[10:11]
	s_cbranch_execz .LBB122_67
; %bb.62:                               ;   in Loop: Header=BB122_20 Depth=1
	global_load_dword v36, v[10:11], off
	s_mov_b64 s[18:19], 0
	v_mov_b32_e32 v6, v29
	v_mov_b32_e32 v13, v23
	s_branch .LBB122_64
.LBB122_63:                             ;   in Loop: Header=BB122_64 Depth=2
	s_or_b64 exec, exec, s[20:21]
	s_and_b64 s[0:1], exec, vcc
	s_waitcnt vmcnt(0)
	v_cmp_lt_i32_e32 vcc, -1, v36
	v_cndmask_b32_e32 v38, -1, v32, vcc
	v_xor_b32_e32 v38, v38, v36
	v_cmp_o_f32_e32 vcc, v36, v36
	v_cndmask_b32_e32 v36, -1, v38, vcc
	v_and_b32_e32 v38, v36, v34
	v_bfe_u32 v36, v36, v33, 2
	s_or_b64 s[18:19], s[0:1], s[18:19]
	v_cmp_eq_u32_e32 vcc, v38, v25
	v_cmp_eq_u32_e64 s[6:7], 0, v36
	s_and_b64 s[0:1], vcc, s[6:7]
	v_cndmask_b32_e64 v38, 0, 1, s[0:1]
	v_cmp_ne_u32_e64 s[6:7], 0, v38
	s_bcnt1_i32_b64 s0, s[6:7]
	v_cmp_eq_u32_e64 s[6:7], 1, v36
	v_add_u32_e32 v1, s0, v1
	s_and_b64 s[0:1], vcc, s[6:7]
	v_cndmask_b32_e64 v38, 0, 1, s[0:1]
	v_cmp_ne_u32_e64 s[6:7], 0, v38
	s_bcnt1_i32_b64 s0, s[6:7]
	v_cmp_eq_u32_e64 s[6:7], 2, v36
	v_add_u32_e32 v2, s0, v2
	;; [unrolled: 6-line block ×3, first 2 shown]
	s_and_b64 s[0:1], vcc, s[6:7]
	v_cndmask_b32_e64 v36, 0, 1, s[0:1]
	v_cmp_ne_u32_e32 vcc, 0, v36
	s_bcnt1_i32_b64 s0, vcc
	v_add_u32_e32 v4, s0, v4
	v_add_u32_e32 v6, s67, v6
	v_mov_b32_e32 v36, v37
	s_andn2_b64 exec, exec, s[18:19]
	s_cbranch_execz .LBB122_66
.LBB122_64:                             ;   Parent Loop BB122_20 Depth=1
                                        ; =>  This Inner Loop Header: Depth=2
	v_add_u32_e32 v13, s59, v13
	v_cmp_gt_u32_e64 s[6:7], s56, v13
	v_cmp_le_u32_e32 vcc, s56, v13
	v_mov_b32_e32 v37, 0
	s_and_saveexec_b64 s[20:21], s[6:7]
	s_cbranch_execz .LBB122_63
; %bb.65:                               ;   in Loop: Header=BB122_64 Depth=2
	v_lshlrev_b64 v[37:38], 2, v[6:7]
	v_mov_b32_e32 v39, s57
	v_add_co_u32_e64 v37, s[6:7], s66, v37
	v_addc_co_u32_e64 v38, s[6:7], v39, v38, s[6:7]
	global_load_dword v37, v[37:38], off
	s_branch .LBB122_63
.LBB122_66:                             ;   in Loop: Header=BB122_20 Depth=1
	s_or_b64 exec, exec, s[18:19]
.LBB122_67:                             ;   in Loop: Header=BB122_20 Depth=1
	s_or_b64 exec, exec, s[14:15]
	s_branch .LBB122_49
.LBB122_68:                             ;   in Loop: Header=BB122_20 Depth=1
	s_mul_hi_u32 s0, s33, s71
	s_mul_i32 s0, s0, s82
	s_sub_i32 s0, s33, s0
	s_sub_i32 s1, s0, s82
	s_cmp_ge_u32 s0, s82
	s_cselect_b32 s0, s1, s0
	s_sub_i32 s1, s0, s82
	s_cmp_ge_u32 s0, s82
	s_cselect_b32 s0, s1, s0
	s_sub_i32 s0, s33, s0
	v_cmp_gt_u32_e32 vcc, s0, v15
	v_mov_b32_e32 v1, 0
	v_mov_b32_e32 v2, 0
	;; [unrolled: 1-line block ×4, first 2 shown]
	s_and_saveexec_b64 s[72:73], vcc
	s_cbranch_execz .LBB122_72
; %bb.69:                               ;   in Loop: Header=BB122_20 Depth=1
	s_mov_b32 s1, 0
	s_mov_b64 s[64:65], 0
	v_mov_b32_e32 v6, v30
	s_mov_b32 s12, 0
	s_mov_b32 s13, 0
	;; [unrolled: 1-line block ×3, first 2 shown]
	v_mov_b32_e32 v13, v15
.LBB122_70:                             ;   Parent Loop BB122_20 Depth=1
                                        ; =>  This Inner Loop Header: Depth=2
	ds_read_b128 v[1:4], v6
	v_add_u32_e32 v13, s82, v13
	v_cmp_le_u32_e32 vcc, s0, v13
	v_add_u32_e32 v6, s75, v6
	s_waitcnt lgkmcnt(0)
	v_cmp_lt_i32_e64 s[6:7], -1, v1
	v_cndmask_b32_e64 v36, -1, v32, s[6:7]
	v_cmp_lt_i32_e64 s[6:7], -1, v2
	v_cndmask_b32_e64 v37, -1, v32, s[6:7]
	;; [unrolled: 2-line block ×4, first 2 shown]
	v_xor_b32_e32 v37, v37, v2
	v_cmp_o_f32_e64 s[6:7], v2, v2
	v_xor_b32_e32 v2, v38, v3
	v_cmp_o_f32_e64 s[14:15], v3, v3
	;; [unrolled: 2-line block ×4, first 2 shown]
	v_cndmask_b32_e64 v1, -1, v4, s[20:21]
	v_cndmask_b32_e64 v4, -1, v37, s[6:7]
	v_and_b32_e32 v36, v1, v34
	v_bfe_u32 v1, v1, v33, 2
	v_cndmask_b32_e64 v2, -1, v2, s[14:15]
	v_and_b32_e32 v37, v4, v34
	v_bfe_u32 v4, v4, v33, 2
	v_cmp_eq_u32_e64 s[6:7], v36, v25
	v_cmp_eq_u32_e64 s[22:23], 0, v1
	v_cndmask_b32_e64 v3, -1, v3, s[18:19]
	v_and_b32_e32 v38, v2, v34
	v_bfe_u32 v2, v2, v33, 2
	v_cmp_eq_u32_e64 s[14:15], v37, v25
	v_cmp_eq_u32_e64 s[24:25], 0, v4
	s_and_b64 s[22:23], s[6:7], s[22:23]
	v_and_b32_e32 v39, v3, v34
	v_bfe_u32 v3, v3, v33, 2
	v_cmp_eq_u32_e64 s[18:19], v38, v25
	v_cmp_eq_u32_e64 s[26:27], 0, v2
	v_cmp_eq_u32_e64 s[30:31], 1, v1
	v_cmp_eq_u32_e64 s[40:41], 2, v1
	v_cmp_eq_u32_e64 s[48:49], 3, v1
	v_cndmask_b32_e64 v1, 0, 1, s[22:23]
	s_and_b64 s[22:23], s[14:15], s[24:25]
	v_cmp_eq_u32_e64 s[20:21], v39, v25
	v_cmp_eq_u32_e64 s[28:29], 0, v3
	;; [unrolled: 1-line block ×5, first 2 shown]
	v_cndmask_b32_e64 v2, 0, 1, s[22:23]
	s_and_b64 s[22:23], s[18:19], s[26:27]
	v_cmp_eq_u32_e64 s[38:39], 1, v3
	v_cmp_eq_u32_e64 s[46:47], 2, v3
	;; [unrolled: 1-line block ×3, first 2 shown]
	v_cndmask_b32_e64 v3, 0, 1, s[22:23]
	s_and_b64 s[22:23], s[20:21], s[28:29]
	v_cmp_eq_u32_e64 s[34:35], 1, v4
	v_cmp_eq_u32_e64 s[42:43], 2, v4
	;; [unrolled: 1-line block ×3, first 2 shown]
	v_cndmask_b32_e64 v4, 0, 1, s[22:23]
	s_and_b64 s[22:23], s[6:7], s[30:31]
	v_cndmask_b32_e64 v36, 0, 1, s[22:23]
	s_and_b64 s[22:23], s[14:15], s[34:35]
	;; [unrolled: 2-line block ×5, first 2 shown]
	s_and_b64 s[6:7], s[6:7], s[48:49]
	v_cndmask_b32_e64 v40, 0, 1, s[22:23]
	s_and_b64 s[22:23], s[14:15], s[42:43]
	v_cndmask_b32_e64 v44, 0, 1, s[6:7]
	;; [unrolled: 2-line block ×7, first 2 shown]
	v_cndmask_b32_e64 v47, 0, 1, s[6:7]
	v_cmp_ne_u32_e64 s[6:7], 0, v1
	v_cmp_ne_u32_e64 s[14:15], 0, v2
	;; [unrolled: 1-line block ×11, first 2 shown]
	s_bcnt1_i32_b64 s6, s[6:7]
	s_bcnt1_i32_b64 s7, s[14:15]
	;; [unrolled: 1-line block ×8, first 2 shown]
	v_cmp_ne_u32_e64 s[28:29], 0, v39
	v_cmp_ne_u32_e64 s[36:37], 0, v42
	;; [unrolled: 1-line block ×3, first 2 shown]
	s_bcnt1_i32_b64 s19, s[24:25]
	s_bcnt1_i32_b64 s23, s[34:35]
	;; [unrolled: 1-line block ×3, first 2 shown]
	s_add_i32 s6, s78, s6
	s_add_i32 s13, s13, s18
	;; [unrolled: 1-line block ×4, first 2 shown]
	v_cmp_ne_u32_e64 s[38:39], 0, v43
	v_cmp_ne_u32_e64 s[46:47], 0, v47
	s_bcnt1_i32_b64 s21, s[28:29]
	s_bcnt1_i32_b64 s24, s[36:37]
	s_bcnt1_i32_b64 s28, s[44:45]
	s_add_i32 s6, s6, s7
	s_add_i32 s7, s13, s19
	;; [unrolled: 1-line block ×4, first 2 shown]
	s_bcnt1_i32_b64 s25, s[38:39]
	s_bcnt1_i32_b64 s29, s[46:47]
	s_add_i32 s6, s6, s14
	s_add_i32 s7, s7, s20
	;; [unrolled: 1-line block ×8, first 2 shown]
	s_or_b64 s[64:65], vcc, s[64:65]
	v_mov_b32_e32 v1, s78
	v_mov_b32_e32 v2, s13
	;; [unrolled: 1-line block ×4, first 2 shown]
	s_andn2_b64 exec, exec, s[64:65]
	s_cbranch_execnz .LBB122_70
; %bb.71:                               ;   in Loop: Header=BB122_20 Depth=1
	s_or_b64 exec, exec, s[64:65]
.LBB122_72:                             ;   in Loop: Header=BB122_20 Depth=1
	s_or_b64 exec, exec, s[72:73]
	v_add_u32_e32 v6, s0, v0
	v_cmp_gt_u32_e32 vcc, s33, v6
	s_and_saveexec_b64 s[24:25], vcc
	s_cbranch_execz .LBB122_76
; %bb.73:                               ;   in Loop: Header=BB122_20 Depth=1
	v_lshlrev_b32_e32 v13, 2, v6
	s_mov_b64 s[26:27], 0
.LBB122_74:                             ;   Parent Loop BB122_20 Depth=1
                                        ; =>  This Inner Loop Header: Depth=2
	ds_read_b32 v36, v13
	v_add_u32_e32 v6, s59, v6
	v_cmp_le_u32_e32 vcc, s33, v6
	v_add_u32_e32 v13, s82, v13
	s_waitcnt lgkmcnt(0)
	v_cmp_lt_i32_e64 s[6:7], -1, v36
	v_cndmask_b32_e64 v37, -1, v32, s[6:7]
	v_xor_b32_e32 v37, v37, v36
	v_cmp_o_f32_e64 s[6:7], v36, v36
	v_cndmask_b32_e64 v36, -1, v37, s[6:7]
	v_and_b32_e32 v37, v36, v34
	v_bfe_u32 v36, v36, v33, 2
	v_cmp_eq_u32_e64 s[6:7], v37, v25
	v_cmp_eq_u32_e64 s[14:15], 0, v36
	;; [unrolled: 1-line block ×3, first 2 shown]
	s_and_b64 s[0:1], s[6:7], s[14:15]
	v_cmp_eq_u32_e64 s[20:21], 2, v36
	v_cmp_eq_u32_e64 s[22:23], 3, v36
	v_cndmask_b32_e64 v36, 0, 1, s[0:1]
	s_and_b64 s[0:1], s[6:7], s[18:19]
	v_cndmask_b32_e64 v37, 0, 1, s[0:1]
	s_and_b64 s[0:1], s[6:7], s[20:21]
	;; [unrolled: 2-line block ×3, first 2 shown]
	v_cndmask_b32_e64 v39, 0, 1, s[0:1]
	v_cmp_ne_u32_e64 s[6:7], 0, v36
	v_cmp_ne_u32_e64 s[14:15], 0, v37
	;; [unrolled: 1-line block ×4, first 2 shown]
	s_bcnt1_i32_b64 s0, s[6:7]
	s_bcnt1_i32_b64 s1, s[14:15]
	;; [unrolled: 1-line block ×4, first 2 shown]
	v_add_u32_e32 v1, s0, v1
	v_add_u32_e32 v2, s1, v2
	;; [unrolled: 1-line block ×3, first 2 shown]
	s_or_b64 s[26:27], vcc, s[26:27]
	v_add_u32_e32 v4, s7, v4
	s_andn2_b64 exec, exec, s[26:27]
	s_cbranch_execnz .LBB122_74
; %bb.75:                               ;   in Loop: Header=BB122_20 Depth=1
	s_or_b64 exec, exec, s[26:27]
.LBB122_76:                             ;   in Loop: Header=BB122_20 Depth=1
	s_or_b64 exec, exec, s[24:25]
	s_lshl_b32 s0, s85, 6
	s_and_saveexec_b64 s[6:7], s[4:5]
	s_cbranch_execnz .LBB122_50
	s_branch .LBB122_51
.LBB122_77:                             ;   in Loop: Header=BB122_20 Depth=1
	v_mov_b32_e32 v1, 0
	s_mov_b32 s1, 0
.LBB122_78:                             ;   in Loop: Header=BB122_20 Depth=1
	v_readlane_b32 s12, v48, 29
	v_readlane_b32 s13, v48, 30
	s_andn2_b64 vcc, exec, s[12:13]
	s_cbranch_vccnz .LBB122_81
; %bb.79:                               ;   in Loop: Header=BB122_20 Depth=1
	s_lshl_b32 s12, s85, 8
	s_lshl_b32 s1, s1, 4
	s_add_i32 s12, s12, s1
	v_add_u32_e32 v2, s12, v31
	v_readlane_b32 s1, v48, 28
.LBB122_80:                             ;   Parent Loop BB122_20 Depth=1
                                        ; =>  This Inner Loop Header: Depth=2
	ds_read_b32 v3, v2
	s_add_i32 s1, s1, -1
	v_add_u32_e32 v2, 16, v2
	s_cmp_lg_u32 s1, 0
	s_waitcnt lgkmcnt(0)
	v_add_u32_e32 v1, v3, v1
	s_cbranch_scc1 .LBB122_80
.LBB122_81:                             ;   in Loop: Header=BB122_20 Depth=1
	v_add_lshl_u32 v2, s0, v16, 2
	ds_write_b32 v2, v1 offset:3072
.LBB122_82:                             ;   in Loop: Header=BB122_20 Depth=1
	s_or_b64 exec, exec, s[6:7]
	s_lshl_b32 s0, s0, 2
	v_mov_b32_e32 v1, s0
	s_waitcnt lgkmcnt(0)
	s_barrier
	ds_read_b128 v[1:4], v1 offset:3072
	v_cmp_eq_u32_e32 vcc, 1, v35
	s_mov_b64 s[14:15], -1
	s_mov_b64 s[24:25], -1
                                        ; implicit-def: $sgpr22_sgpr23
                                        ; implicit-def: $sgpr20_sgpr21
	s_waitcnt lgkmcnt(0)
	v_readfirstlane_b32 s38, v1
	s_cmp_eq_u32 s38, 1
	v_lshlrev_b32_e64 v1, v33, 3
	s_cselect_b64 s[0:1], -1, 0
	v_readfirstlane_b32 s33, v2
	v_readfirstlane_b32 s50, v3
	v_readfirstlane_b32 s72, v4
	v_not_b32_e32 v3, v1
	s_and_b64 s[18:19], s[0:1], vcc
	s_and_saveexec_b64 s[6:7], s[18:19]
	s_cbranch_execz .LBB122_110
; %bb.83:                               ;   in Loop: Header=BB122_20 Depth=1
	ds_read_b32 v2, v7 offset:4104
	s_waitcnt lgkmcnt(0)
	s_barrier
	v_readfirstlane_b32 s0, v2
	s_and_saveexec_b64 s[20:21], s[16:17]
; %bb.84:                               ;   in Loop: Header=BB122_20 Depth=1
	ds_write_b32 v17, v7
; %bb.85:                               ;   in Loop: Header=BB122_20 Depth=1
	s_or_b64 exec, exec, s[20:21]
	v_and_b32_e32 v25, v25, v3
	v_or_b32_e32 v34, v34, v1
	s_mov_b64 s[20:21], -1
	s_mov_b64 s[22:23], 0
	s_cmp_eq_u32 s0, 0
	s_mov_b64 s[24:25], 0
	s_mov_b64 s[26:27], -1
	s_waitcnt lgkmcnt(0)
	s_barrier
                                        ; implicit-def: $vgpr14
	s_cbranch_scc1 .LBB122_97
; %bb.86:                               ;   in Loop: Header=BB122_20 Depth=1
	s_add_i32 s1, s0, s83
	s_mul_hi_u32 s12, s1, s86
	s_mul_i32 s12, s12, s59
	s_sub_i32 s12, s1, s12
	s_sub_i32 s13, s12, s59
	s_cmp_ge_u32 s12, s59
	s_cselect_b32 s12, s13, s12
	s_sub_i32 s13, s12, s59
	s_cmp_ge_u32 s12, s59
	s_cselect_b32 s12, s13, s12
	s_sub_i32 s1, s1, s12
	v_cmp_gt_u32_e32 vcc, s1, v0
	s_mov_b64 s[26:27], 0
                                        ; implicit-def: $vgpr14
	s_and_saveexec_b64 s[28:29], vcc
	s_cbranch_execz .LBB122_96
; %bb.87:                               ;   in Loop: Header=BB122_20 Depth=1
	v_mov_b32_e32 v2, v15
	v_mov_b32_e32 v4, v0
                                        ; implicit-def: $sgpr30_sgpr31
	s_branch .LBB122_91
.LBB122_88:                             ;   in Loop: Header=BB122_91 Depth=2
	s_or_b64 exec, exec, s[34:35]
	s_waitcnt lgkmcnt(0)
	s_barrier
	ds_read_b64 v[13:14], v7 offset:3072
	s_waitcnt lgkmcnt(0)
	s_barrier
	v_cmp_neq_f32_e32 vcc, 0, v13
	s_cbranch_vccnz .LBB122_94
; %bb.89:                               ;   in Loop: Header=BB122_91 Depth=2
	v_add_u32_e32 v4, s59, v4
	v_cmp_le_u32_e32 vcc, s1, v4
	v_add_u32_e32 v2, s82, v2
	s_mov_b64 s[34:35], 0
	s_orn2_b64 s[36:37], vcc, exec
.LBB122_90:                             ;   in Loop: Header=BB122_91 Depth=2
	s_and_b64 s[12:13], exec, s[36:37]
	s_or_b64 s[24:25], s[12:13], s[24:25]
	s_andn2_b64 s[12:13], s[30:31], exec
	s_and_b64 s[30:31], s[34:35], exec
	s_or_b64 s[30:31], s[12:13], s[30:31]
	s_andn2_b64 exec, exec, s[24:25]
	s_cbranch_execz .LBB122_95
.LBB122_91:                             ;   Parent Loop BB122_20 Depth=1
                                        ; =>  This Inner Loop Header: Depth=2
	v_cmp_gt_u32_e32 vcc, s0, v4
	s_and_saveexec_b64 s[34:35], vcc
	s_cbranch_execz .LBB122_88
; %bb.92:                               ;   in Loop: Header=BB122_91 Depth=2
	ds_read_b32 v13, v2
	s_waitcnt lgkmcnt(0)
	v_cmp_lt_i32_e32 vcc, -1, v13
	v_cndmask_b32_e32 v6, -1, v32, vcc
	v_xor_b32_e32 v6, v6, v13
	v_cmp_o_f32_e32 vcc, v13, v13
	v_cndmask_b32_e32 v6, -1, v6, vcc
	v_and_b32_e32 v6, v6, v34
	v_cmp_eq_u32_e32 vcc, v6, v25
	s_and_b64 exec, exec, vcc
	s_cbranch_execz .LBB122_88
; %bb.93:                               ;   in Loop: Header=BB122_91 Depth=2
	ds_write_b64 v7, v[12:13] offset:3072
	s_branch .LBB122_88
.LBB122_94:                             ;   in Loop: Header=BB122_91 Depth=2
	s_mov_b64 s[36:37], -1
                                        ; implicit-def: $vgpr4
                                        ; implicit-def: $vgpr2
	s_mov_b64 s[34:35], -1
	s_branch .LBB122_90
.LBB122_95:                             ;   in Loop: Header=BB122_20 Depth=1
	s_or_b64 exec, exec, s[24:25]
	s_and_b64 s[24:25], s[30:31], exec
.LBB122_96:                             ;   in Loop: Header=BB122_20 Depth=1
	s_or_b64 exec, exec, s[28:29]
.LBB122_97:                             ;   in Loop: Header=BB122_20 Depth=1
	s_and_b64 vcc, exec, s[26:27]
	s_cbranch_vccz .LBB122_109
; %bb.98:                               ;   in Loop: Header=BB122_20 Depth=1
                                        ; implicit-def: $vgpr14
	s_mov_b64 s[20:21], exec
	v_readlane_b32 s0, v48, 31
	v_readlane_b32 s1, v48, 32
	s_and_b64 s[0:1], s[20:21], s[0:1]
	s_mov_b64 exec, s[0:1]
	s_cbranch_execz .LBB122_108
; %bb.99:                               ;   in Loop: Header=BB122_20 Depth=1
	s_mov_b64 s[22:23], 0
	v_mov_b32_e32 v6, v5
	v_mov_b32_e32 v2, v0
                                        ; implicit-def: $sgpr26_sgpr27
	s_branch .LBB122_103
.LBB122_100:                            ;   in Loop: Header=BB122_103 Depth=2
	s_or_b64 exec, exec, s[28:29]
	s_waitcnt lgkmcnt(0)
	s_barrier
	ds_read_b64 v[13:14], v7 offset:3072
	s_waitcnt lgkmcnt(0)
	s_barrier
	v_cmp_neq_f32_e32 vcc, 0, v13
	s_cbranch_vccnz .LBB122_106
; %bb.101:                              ;   in Loop: Header=BB122_103 Depth=2
	v_add_u32_e32 v2, s59, v2
	v_cmp_le_u32_e32 vcc, s87, v2
	v_add_u32_e32 v6, s67, v6
	s_mov_b64 s[28:29], 0
	s_orn2_b64 s[30:31], vcc, exec
.LBB122_102:                            ;   in Loop: Header=BB122_103 Depth=2
	s_and_b64 s[0:1], exec, s[30:31]
	s_or_b64 s[22:23], s[0:1], s[22:23]
	s_andn2_b64 s[0:1], s[26:27], exec
	s_and_b64 s[12:13], s[28:29], exec
	s_or_b64 s[26:27], s[0:1], s[12:13]
	s_andn2_b64 exec, exec, s[22:23]
	s_cbranch_execz .LBB122_107
.LBB122_103:                            ;   Parent Loop BB122_20 Depth=1
                                        ; =>  This Inner Loop Header: Depth=2
	v_cmp_gt_u32_e32 vcc, s56, v2
	s_and_saveexec_b64 s[28:29], vcc
	s_cbranch_execz .LBB122_100
; %bb.104:                              ;   in Loop: Header=BB122_103 Depth=2
	v_lshlrev_b64 v[13:14], 2, v[6:7]
	v_mov_b32_e32 v4, s57
	v_add_co_u32_e32 v13, vcc, s66, v13
	v_addc_co_u32_e32 v14, vcc, v4, v14, vcc
	global_load_dword v13, v[13:14], off
	s_waitcnt vmcnt(0)
	v_cmp_lt_i32_e32 vcc, -1, v13
	v_cndmask_b32_e32 v4, -1, v32, vcc
	v_xor_b32_e32 v4, v4, v13
	v_cmp_o_f32_e32 vcc, v13, v13
	v_cndmask_b32_e32 v4, -1, v4, vcc
	v_and_b32_e32 v4, v4, v34
	v_cmp_eq_u32_e32 vcc, v4, v25
	s_and_b64 exec, exec, vcc
	s_cbranch_execz .LBB122_100
; %bb.105:                              ;   in Loop: Header=BB122_103 Depth=2
	ds_write_b64 v7, v[12:13] offset:3072
	s_branch .LBB122_100
.LBB122_106:                            ;   in Loop: Header=BB122_103 Depth=2
	s_mov_b64 s[30:31], -1
                                        ; implicit-def: $vgpr2
	s_mov_b64 s[28:29], -1
	s_branch .LBB122_102
.LBB122_107:                            ;   in Loop: Header=BB122_20 Depth=1
	s_or_b64 exec, exec, s[22:23]
	s_andn2_b64 s[0:1], s[24:25], exec
	s_and_b64 s[12:13], s[26:27], exec
	s_or_b64 s[24:25], s[0:1], s[12:13]
.LBB122_108:                            ;   in Loop: Header=BB122_20 Depth=1
	s_or_b64 exec, exec, s[20:21]
	s_mov_b64 s[20:21], 0
	s_mov_b64 s[22:23], -1
.LBB122_109:                            ;   in Loop: Header=BB122_20 Depth=1
	s_orn2_b64 s[24:25], s[24:25], exec
.LBB122_110:                            ;   in Loop: Header=BB122_20 Depth=1
	s_or_b64 exec, exec, s[6:7]
	s_andn2_b64 s[6:7], s[62:63], exec
	s_and_b64 s[12:13], s[22:23], exec
	s_or_b64 s[62:63], s[6:7], s[12:13]
	s_andn2_b64 s[6:7], s[60:61], exec
	s_and_b64 s[12:13], s[20:21], exec
	v_readfirstlane_b32 s0, v0
	s_andn2_b64 s[68:69], s[68:69], exec
	s_or_b64 s[60:61], s[6:7], s[12:13]
                                        ; implicit-def: $vgpr4
	s_and_saveexec_b64 s[6:7], s[24:25]
	s_cbranch_execz .LBB122_19
; %bb.111:                              ;   in Loop: Header=BB122_20 Depth=1
	s_xor_b64 s[0:1], s[18:19], -1
	s_mov_b64 s[18:19], 0
	v_mov_b32_e32 v4, 1
	v_mov_b32_e32 v2, 1
	s_and_saveexec_b64 s[14:15], s[0:1]
	s_cbranch_execz .LBB122_120
; %bb.112:                              ;   in Loop: Header=BB122_20 Depth=1
	v_cmp_ge_u32_e32 vcc, s38, v35
	s_and_saveexec_b64 s[0:1], vcc
	s_xor_b64 s[18:19], exec, s[0:1]
	s_cbranch_execz .LBB122_117
; %bb.113:                              ;   in Loop: Header=BB122_20 Depth=1
	ds_read_b32 v2, v7 offset:4104
	v_and_b32_e32 v25, v25, v3
	v_or_b32_e32 v34, v34, v1
	s_waitcnt lgkmcnt(0)
	v_cmp_ne_u32_e32 vcc, 0, v2
	s_cbranch_vccnz .LBB122_117
; %bb.114:                              ;   in Loop: Header=BB122_20 Depth=1
	s_and_saveexec_b64 s[20:21], s[2:3]
; %bb.115:                              ;   in Loop: Header=BB122_20 Depth=1
	v_mov_b32_e32 v2, s38
	ds_write_b32 v7, v2 offset:4108
; %bb.116:                              ;   in Loop: Header=BB122_20 Depth=1
	s_or_b64 exec, exec, s[20:21]
	s_waitcnt lgkmcnt(0)
	s_barrier
.LBB122_117:                            ;   in Loop: Header=BB122_20 Depth=1
	s_or_saveexec_b64 s[18:19], s[18:19]
	s_mov_b64 s[20:21], 0
	v_mov_b32_e32 v2, 8
	s_xor_b64 exec, exec, s[18:19]
; %bb.118:                              ;   in Loop: Header=BB122_20 Depth=1
	s_mov_b64 s[20:21], exec
	v_subrev_u32_e32 v35, s38, v35
	v_mov_b32_e32 v2, 0
; %bb.119:                              ;   in Loop: Header=BB122_20 Depth=1
	s_or_b64 exec, exec, s[18:19]
	s_and_b64 s[18:19], s[20:21], exec
	v_mov_b32_e32 v4, v35
.LBB122_120:                            ;   in Loop: Header=BB122_20 Depth=1
	s_or_b64 exec, exec, s[14:15]
	s_mov_b64 s[14:15], -1
	s_mov_b64 s[24:25], -1
                                        ; implicit-def: $sgpr20_sgpr21
                                        ; implicit-def: $sgpr22_sgpr23
	s_and_saveexec_b64 s[0:1], s[18:19]
	s_xor_b64 s[18:19], exec, s[0:1]
	s_cbranch_execz .LBB122_246
; %bb.121:                              ;   in Loop: Header=BB122_20 Depth=1
	s_cmp_eq_u32 s33, 1
	s_cselect_b64 s[0:1], -1, 0
	v_cmp_eq_u32_e32 vcc, 1, v4
	s_and_b64 s[26:27], s[0:1], vcc
	s_mov_b64 s[28:29], -1
                                        ; implicit-def: $sgpr22_sgpr23
                                        ; implicit-def: $sgpr20_sgpr21
	s_and_saveexec_b64 s[24:25], s[26:27]
	s_cbranch_execz .LBB122_152
; %bb.122:                              ;   in Loop: Header=BB122_20 Depth=1
	ds_read_b32 v6, v7 offset:4104
	s_waitcnt lgkmcnt(0)
	s_barrier
	v_readfirstlane_b32 s0, v6
	s_and_saveexec_b64 s[20:21], s[16:17]
; %bb.123:                              ;   in Loop: Header=BB122_20 Depth=1
	ds_write_b32 v17, v7
; %bb.124:                              ;   in Loop: Header=BB122_20 Depth=1
	s_or_b64 exec, exec, s[20:21]
	v_and_b32_e32 v6, v25, v3
	v_lshl_or_b32 v25, 1, v33, v6
	v_or_b32_e32 v34, v34, v1
	s_mov_b64 s[20:21], -1
	s_mov_b64 s[22:23], 0
	s_cmp_eq_u32 s0, 0
	s_mov_b64 s[28:29], 0
	s_mov_b64 s[30:31], -1
	s_waitcnt lgkmcnt(0)
	s_barrier
                                        ; implicit-def: $vgpr14
	s_cbranch_scc1 .LBB122_139
; %bb.125:                              ;   in Loop: Header=BB122_20 Depth=1
	s_add_i32 s1, s0, s83
	s_mul_hi_u32 s12, s1, s86
	s_mul_i32 s12, s12, s59
	s_sub_i32 s12, s1, s12
	s_sub_i32 s13, s12, s59
	s_cmp_ge_u32 s12, s59
	s_cselect_b32 s12, s13, s12
	s_sub_i32 s13, s12, s59
	s_cmp_ge_u32 s12, s59
	s_cselect_b32 s12, s13, s12
	s_sub_i32 s1, s1, s12
	v_cmp_gt_u32_e32 vcc, s1, v0
	s_mov_b64 s[30:31], 0
                                        ; implicit-def: $vgpr14
	s_and_saveexec_b64 s[34:35], vcc
	s_cbranch_execz .LBB122_138
; %bb.126:                              ;   in Loop: Header=BB122_20 Depth=1
	v_mov_b32_e32 v6, v15
	v_mov_b32_e32 v35, v0
                                        ; implicit-def: $sgpr36_sgpr37
	s_branch .LBB122_130
.LBB122_127:                            ;   in Loop: Header=BB122_130 Depth=2
	s_or_b64 exec, exec, s[38:39]
	s_waitcnt lgkmcnt(0)
	s_barrier
	ds_read_b64 v[13:14], v7 offset:3072
	s_waitcnt lgkmcnt(0)
	s_barrier
	v_cmp_neq_f32_e32 vcc, 0, v13
	s_cbranch_vccnz .LBB122_133
; %bb.128:                              ;   in Loop: Header=BB122_130 Depth=2
	v_add_u32_e32 v35, s59, v35
	v_cmp_le_u32_e32 vcc, s1, v35
	v_add_u32_e32 v6, s82, v6
	s_mov_b64 s[38:39], 0
	s_orn2_b64 s[40:41], vcc, exec
.LBB122_129:                            ;   in Loop: Header=BB122_130 Depth=2
	s_and_b64 s[12:13], exec, s[40:41]
	s_or_b64 s[28:29], s[12:13], s[28:29]
	s_andn2_b64 s[12:13], s[36:37], exec
	s_and_b64 s[36:37], s[38:39], exec
	s_or_b64 s[36:37], s[12:13], s[36:37]
	s_andn2_b64 exec, exec, s[28:29]
	s_cbranch_execz .LBB122_137
.LBB122_130:                            ;   Parent Loop BB122_20 Depth=1
                                        ; =>  This Inner Loop Header: Depth=2
	v_cmp_gt_u32_e32 vcc, s0, v35
	s_and_saveexec_b64 s[38:39], vcc
	s_cbranch_execz .LBB122_127
; %bb.131:                              ;   in Loop: Header=BB122_130 Depth=2
	ds_read_b32 v13, v6
	s_waitcnt lgkmcnt(0)
	v_cmp_lt_i32_e32 vcc, -1, v13
	v_cndmask_b32_e32 v14, -1, v32, vcc
	v_xor_b32_e32 v14, v14, v13
	v_cmp_o_f32_e32 vcc, v13, v13
	v_cndmask_b32_e32 v14, -1, v14, vcc
	v_and_b32_e32 v14, v14, v34
	v_cmp_eq_u32_e32 vcc, v14, v25
	s_and_b64 exec, exec, vcc
	s_cbranch_execz .LBB122_127
; %bb.132:                              ;   in Loop: Header=BB122_130 Depth=2
	ds_write_b64 v7, v[12:13] offset:3072
	s_branch .LBB122_127
.LBB122_133:                            ;   in Loop: Header=BB122_130 Depth=2
	s_mov_b64 s[40:41], -1
                                        ; implicit-def: $vgpr35
                                        ; implicit-def: $vgpr6
	s_mov_b64 s[38:39], -1
	s_branch .LBB122_129
.LBB122_134:                            ;   in Loop: Header=BB122_20 Depth=1
	s_or_b64 exec, exec, s[20:21]
	s_waitcnt lgkmcnt(0)
	s_barrier
	s_and_saveexec_b64 s[6:7], s[2:3]
	s_cbranch_execz .LBB122_136
; %bb.135:                              ;   in Loop: Header=BB122_20 Depth=1
	ds_read_b32 v1, v7 offset:4112
	s_waitcnt lgkmcnt(0)
	ds_write_b32 v7, v1 offset:4104
.LBB122_136:                            ;   in Loop: Header=BB122_20 Depth=1
	s_or_b64 exec, exec, s[6:7]
	s_waitcnt lgkmcnt(0)
	s_barrier
	s_mov_b64 s[6:7], -1
	s_and_b64 vcc, exec, s[18:19]
	s_cbranch_vccnz .LBB122_36
	s_branch .LBB122_45
.LBB122_137:                            ;   in Loop: Header=BB122_20 Depth=1
	s_or_b64 exec, exec, s[28:29]
	s_and_b64 s[28:29], s[36:37], exec
.LBB122_138:                            ;   in Loop: Header=BB122_20 Depth=1
	s_or_b64 exec, exec, s[34:35]
.LBB122_139:                            ;   in Loop: Header=BB122_20 Depth=1
	s_and_b64 vcc, exec, s[30:31]
	s_cbranch_vccz .LBB122_151
; %bb.140:                              ;   in Loop: Header=BB122_20 Depth=1
                                        ; implicit-def: $vgpr14
	s_mov_b64 s[20:21], exec
	v_readlane_b32 s0, v48, 31
	v_readlane_b32 s1, v48, 32
	s_and_b64 s[0:1], s[20:21], s[0:1]
	s_mov_b64 exec, s[0:1]
	s_cbranch_execz .LBB122_150
; %bb.141:                              ;   in Loop: Header=BB122_20 Depth=1
	s_mov_b64 s[22:23], 0
	v_mov_b32_e32 v6, v5
	v_mov_b32_e32 v35, v0
                                        ; implicit-def: $sgpr30_sgpr31
	s_branch .LBB122_145
.LBB122_142:                            ;   in Loop: Header=BB122_145 Depth=2
	s_or_b64 exec, exec, s[34:35]
	s_waitcnt lgkmcnt(0)
	s_barrier
	ds_read_b64 v[13:14], v7 offset:3072
	s_waitcnt lgkmcnt(0)
	s_barrier
	v_cmp_eq_f32_e32 vcc, 0, v13
	s_cbranch_vccz .LBB122_148
; %bb.143:                              ;   in Loop: Header=BB122_145 Depth=2
	v_add_u32_e32 v35, s59, v35
	v_cmp_le_u32_e32 vcc, s87, v35
	v_add_u32_e32 v6, s67, v6
	s_mov_b64 s[34:35], 0
	s_orn2_b64 s[36:37], vcc, exec
.LBB122_144:                            ;   in Loop: Header=BB122_145 Depth=2
	s_and_b64 s[0:1], exec, s[36:37]
	s_or_b64 s[22:23], s[0:1], s[22:23]
	s_andn2_b64 s[0:1], s[30:31], exec
	s_and_b64 s[12:13], s[34:35], exec
	s_or_b64 s[30:31], s[0:1], s[12:13]
	s_andn2_b64 exec, exec, s[22:23]
	s_cbranch_execz .LBB122_149
.LBB122_145:                            ;   Parent Loop BB122_20 Depth=1
                                        ; =>  This Inner Loop Header: Depth=2
	v_cmp_gt_u32_e32 vcc, s56, v35
	s_and_saveexec_b64 s[34:35], vcc
	s_cbranch_execz .LBB122_142
; %bb.146:                              ;   in Loop: Header=BB122_145 Depth=2
	v_lshlrev_b64 v[13:14], 2, v[6:7]
	v_mov_b32_e32 v36, s57
	v_add_co_u32_e32 v13, vcc, s66, v13
	v_addc_co_u32_e32 v14, vcc, v36, v14, vcc
	global_load_dword v13, v[13:14], off
	s_waitcnt vmcnt(0)
	v_cmp_lt_i32_e32 vcc, -1, v13
	v_cndmask_b32_e32 v14, -1, v32, vcc
	v_xor_b32_e32 v14, v14, v13
	v_cmp_o_f32_e32 vcc, v13, v13
	v_cndmask_b32_e32 v14, -1, v14, vcc
	v_and_b32_e32 v14, v14, v34
	v_cmp_eq_u32_e32 vcc, v14, v25
	s_and_b64 exec, exec, vcc
	s_cbranch_execz .LBB122_142
; %bb.147:                              ;   in Loop: Header=BB122_145 Depth=2
	ds_write_b64 v7, v[12:13] offset:3072
	s_branch .LBB122_142
.LBB122_148:                            ;   in Loop: Header=BB122_145 Depth=2
	s_mov_b64 s[36:37], -1
                                        ; implicit-def: $vgpr35
	s_mov_b64 s[34:35], -1
	s_branch .LBB122_144
.LBB122_149:                            ;   in Loop: Header=BB122_20 Depth=1
	s_or_b64 exec, exec, s[22:23]
	s_andn2_b64 s[0:1], s[28:29], exec
	s_and_b64 s[12:13], s[30:31], exec
	s_or_b64 s[28:29], s[0:1], s[12:13]
.LBB122_150:                            ;   in Loop: Header=BB122_20 Depth=1
	s_or_b64 exec, exec, s[20:21]
	s_mov_b64 s[20:21], 0
	s_mov_b64 s[22:23], -1
.LBB122_151:                            ;   in Loop: Header=BB122_20 Depth=1
	s_orn2_b64 s[28:29], s[28:29], exec
.LBB122_152:                            ;   in Loop: Header=BB122_20 Depth=1
	s_or_b64 exec, exec, s[24:25]
	s_mov_b64 s[30:31], 0
	s_and_saveexec_b64 s[24:25], s[28:29]
	s_cbranch_execz .LBB122_245
; %bb.153:                              ;   in Loop: Header=BB122_20 Depth=1
	s_xor_b64 s[0:1], s[26:27], -1
	s_mov_b64 s[36:37], 0
	v_mov_b32_e32 v35, 1
	v_mov_b32_e32 v2, 1
	s_and_saveexec_b64 s[26:27], s[0:1]
	s_cbranch_execz .LBB122_162
; %bb.154:                              ;   in Loop: Header=BB122_20 Depth=1
	v_cmp_ge_u32_e32 vcc, s33, v4
	s_and_saveexec_b64 s[0:1], vcc
	s_xor_b64 s[28:29], exec, s[0:1]
	s_cbranch_execz .LBB122_159
; %bb.155:                              ;   in Loop: Header=BB122_20 Depth=1
	ds_read_b32 v2, v7 offset:4104
	v_and_b32_e32 v6, v25, v3
	v_lshl_or_b32 v25, 1, v33, v6
	v_or_b32_e32 v34, v34, v1
	s_waitcnt lgkmcnt(0)
	v_cmp_ne_u32_e32 vcc, 0, v2
	s_cbranch_vccnz .LBB122_159
; %bb.156:                              ;   in Loop: Header=BB122_20 Depth=1
	s_and_saveexec_b64 s[30:31], s[2:3]
; %bb.157:                              ;   in Loop: Header=BB122_20 Depth=1
	v_mov_b32_e32 v2, s33
	ds_write_b32 v7, v2 offset:4108
; %bb.158:                              ;   in Loop: Header=BB122_20 Depth=1
	s_or_b64 exec, exec, s[30:31]
	s_waitcnt lgkmcnt(0)
	s_barrier
.LBB122_159:                            ;   in Loop: Header=BB122_20 Depth=1
	s_or_saveexec_b64 s[28:29], s[28:29]
	s_mov_b64 s[30:31], 0
	v_mov_b32_e32 v2, 8
	s_xor_b64 exec, exec, s[28:29]
; %bb.160:                              ;   in Loop: Header=BB122_20 Depth=1
	s_mov_b64 s[30:31], exec
	v_subrev_u32_e32 v4, s33, v4
	v_mov_b32_e32 v2, 0
; %bb.161:                              ;   in Loop: Header=BB122_20 Depth=1
	s_or_b64 exec, exec, s[28:29]
	s_and_b64 s[36:37], s[30:31], exec
	v_mov_b32_e32 v35, v4
.LBB122_162:                            ;   in Loop: Header=BB122_20 Depth=1
	s_or_b64 exec, exec, s[26:27]
	s_mov_b64 s[34:35], -1
                                        ; implicit-def: $sgpr28_sgpr29
                                        ; implicit-def: $sgpr30_sgpr31
	s_and_saveexec_b64 s[26:27], s[36:37]
	s_cbranch_execz .LBB122_244
; %bb.163:                              ;   in Loop: Header=BB122_20 Depth=1
	s_cmp_eq_u32 s50, 1
	s_cselect_b64 s[0:1], -1, 0
	v_cmp_eq_u32_e32 vcc, 1, v35
	s_and_b64 s[36:37], s[0:1], vcc
	s_mov_b64 s[38:39], -1
                                        ; implicit-def: $sgpr30_sgpr31
                                        ; implicit-def: $sgpr28_sgpr29
	s_and_saveexec_b64 s[34:35], s[36:37]
	s_cbranch_execz .LBB122_191
; %bb.164:                              ;   in Loop: Header=BB122_20 Depth=1
	ds_read_b32 v4, v7 offset:4104
	s_waitcnt lgkmcnt(0)
	s_barrier
	v_readfirstlane_b32 s0, v4
	s_and_saveexec_b64 s[28:29], s[16:17]
; %bb.165:                              ;   in Loop: Header=BB122_20 Depth=1
	ds_write_b32 v17, v7
; %bb.166:                              ;   in Loop: Header=BB122_20 Depth=1
	s_or_b64 exec, exec, s[28:29]
	v_and_b32_e32 v4, v25, v3
	v_lshl_or_b32 v25, 2, v33, v4
	v_or_b32_e32 v34, v34, v1
	s_mov_b64 s[28:29], -1
	s_mov_b64 s[30:31], 0
	s_cmp_eq_u32 s0, 0
	s_mov_b64 s[38:39], 0
	s_mov_b64 s[40:41], -1
	s_waitcnt lgkmcnt(0)
	s_barrier
                                        ; implicit-def: $vgpr14
	s_cbranch_scc1 .LBB122_178
; %bb.167:                              ;   in Loop: Header=BB122_20 Depth=1
	s_add_i32 s1, s0, s83
	s_mul_hi_u32 s12, s1, s86
	s_mul_i32 s12, s12, s59
	s_sub_i32 s12, s1, s12
	s_sub_i32 s13, s12, s59
	s_cmp_ge_u32 s12, s59
	s_cselect_b32 s12, s13, s12
	s_sub_i32 s13, s12, s59
	s_cmp_ge_u32 s12, s59
	s_cselect_b32 s12, s13, s12
	s_sub_i32 s1, s1, s12
	v_cmp_gt_u32_e32 vcc, s1, v0
	s_mov_b64 s[40:41], 0
                                        ; implicit-def: $vgpr14
	s_and_saveexec_b64 s[42:43], vcc
	s_cbranch_execz .LBB122_177
; %bb.168:                              ;   in Loop: Header=BB122_20 Depth=1
	v_mov_b32_e32 v4, v15
	v_mov_b32_e32 v6, v0
                                        ; implicit-def: $sgpr44_sgpr45
	s_branch .LBB122_172
.LBB122_169:                            ;   in Loop: Header=BB122_172 Depth=2
	s_or_b64 exec, exec, s[46:47]
	s_waitcnt lgkmcnt(0)
	s_barrier
	ds_read_b64 v[13:14], v7 offset:3072
	s_waitcnt lgkmcnt(0)
	s_barrier
	v_cmp_neq_f32_e32 vcc, 0, v13
	s_cbranch_vccnz .LBB122_175
; %bb.170:                              ;   in Loop: Header=BB122_172 Depth=2
	v_add_u32_e32 v6, s59, v6
	v_cmp_le_u32_e32 vcc, s1, v6
	v_add_u32_e32 v4, s82, v4
	s_mov_b64 s[46:47], 0
	s_orn2_b64 s[48:49], vcc, exec
.LBB122_171:                            ;   in Loop: Header=BB122_172 Depth=2
	s_and_b64 s[12:13], exec, s[48:49]
	s_or_b64 s[38:39], s[12:13], s[38:39]
	s_andn2_b64 s[12:13], s[44:45], exec
	s_and_b64 s[44:45], s[46:47], exec
	s_or_b64 s[44:45], s[12:13], s[44:45]
	s_andn2_b64 exec, exec, s[38:39]
	s_cbranch_execz .LBB122_176
.LBB122_172:                            ;   Parent Loop BB122_20 Depth=1
                                        ; =>  This Inner Loop Header: Depth=2
	v_cmp_gt_u32_e32 vcc, s0, v6
	s_and_saveexec_b64 s[46:47], vcc
	s_cbranch_execz .LBB122_169
; %bb.173:                              ;   in Loop: Header=BB122_172 Depth=2
	ds_read_b32 v13, v4
	s_waitcnt lgkmcnt(0)
	v_cmp_lt_i32_e32 vcc, -1, v13
	v_cndmask_b32_e32 v14, -1, v32, vcc
	v_xor_b32_e32 v14, v14, v13
	v_cmp_o_f32_e32 vcc, v13, v13
	v_cndmask_b32_e32 v14, -1, v14, vcc
	v_and_b32_e32 v14, v14, v34
	v_cmp_eq_u32_e32 vcc, v14, v25
	s_and_b64 exec, exec, vcc
	s_cbranch_execz .LBB122_169
; %bb.174:                              ;   in Loop: Header=BB122_172 Depth=2
	ds_write_b64 v7, v[12:13] offset:3072
	s_branch .LBB122_169
.LBB122_175:                            ;   in Loop: Header=BB122_172 Depth=2
	s_mov_b64 s[48:49], -1
                                        ; implicit-def: $vgpr6
                                        ; implicit-def: $vgpr4
	s_mov_b64 s[46:47], -1
	s_branch .LBB122_171
.LBB122_176:                            ;   in Loop: Header=BB122_20 Depth=1
	s_or_b64 exec, exec, s[38:39]
	s_and_b64 s[38:39], s[44:45], exec
.LBB122_177:                            ;   in Loop: Header=BB122_20 Depth=1
	s_or_b64 exec, exec, s[42:43]
.LBB122_178:                            ;   in Loop: Header=BB122_20 Depth=1
	s_and_b64 vcc, exec, s[40:41]
	s_cbranch_vccz .LBB122_190
; %bb.179:                              ;   in Loop: Header=BB122_20 Depth=1
                                        ; implicit-def: $vgpr14
	s_mov_b64 s[28:29], exec
	v_readlane_b32 s0, v48, 31
	v_readlane_b32 s1, v48, 32
	s_and_b64 s[0:1], s[28:29], s[0:1]
	s_mov_b64 exec, s[0:1]
	s_cbranch_execz .LBB122_189
; %bb.180:                              ;   in Loop: Header=BB122_20 Depth=1
	s_mov_b64 s[30:31], 0
	v_mov_b32_e32 v6, v5
	v_mov_b32_e32 v4, v0
                                        ; implicit-def: $sgpr40_sgpr41
	s_branch .LBB122_184
.LBB122_181:                            ;   in Loop: Header=BB122_184 Depth=2
	s_or_b64 exec, exec, s[42:43]
	s_waitcnt lgkmcnt(0)
	s_barrier
	ds_read_b64 v[13:14], v7 offset:3072
	s_waitcnt lgkmcnt(0)
	s_barrier
	v_cmp_eq_f32_e32 vcc, 0, v13
	s_cbranch_vccz .LBB122_187
; %bb.182:                              ;   in Loop: Header=BB122_184 Depth=2
	v_add_u32_e32 v4, s59, v4
	v_cmp_le_u32_e32 vcc, s87, v4
	v_add_u32_e32 v6, s67, v6
	s_mov_b64 s[42:43], 0
	s_orn2_b64 s[44:45], vcc, exec
.LBB122_183:                            ;   in Loop: Header=BB122_184 Depth=2
	s_and_b64 s[0:1], exec, s[44:45]
	s_or_b64 s[30:31], s[0:1], s[30:31]
	s_andn2_b64 s[0:1], s[40:41], exec
	s_and_b64 s[12:13], s[42:43], exec
	s_or_b64 s[40:41], s[0:1], s[12:13]
	s_andn2_b64 exec, exec, s[30:31]
	s_cbranch_execz .LBB122_188
.LBB122_184:                            ;   Parent Loop BB122_20 Depth=1
                                        ; =>  This Inner Loop Header: Depth=2
	v_cmp_gt_u32_e32 vcc, s56, v4
	s_and_saveexec_b64 s[42:43], vcc
	s_cbranch_execz .LBB122_181
; %bb.185:                              ;   in Loop: Header=BB122_184 Depth=2
	v_lshlrev_b64 v[13:14], 2, v[6:7]
	v_mov_b32_e32 v36, s57
	v_add_co_u32_e32 v13, vcc, s66, v13
	v_addc_co_u32_e32 v14, vcc, v36, v14, vcc
	global_load_dword v13, v[13:14], off
	s_waitcnt vmcnt(0)
	v_cmp_lt_i32_e32 vcc, -1, v13
	v_cndmask_b32_e32 v14, -1, v32, vcc
	v_xor_b32_e32 v14, v14, v13
	v_cmp_o_f32_e32 vcc, v13, v13
	v_cndmask_b32_e32 v14, -1, v14, vcc
	v_and_b32_e32 v14, v14, v34
	v_cmp_eq_u32_e32 vcc, v14, v25
	s_and_b64 exec, exec, vcc
	s_cbranch_execz .LBB122_181
; %bb.186:                              ;   in Loop: Header=BB122_184 Depth=2
	ds_write_b64 v7, v[12:13] offset:3072
	s_branch .LBB122_181
.LBB122_187:                            ;   in Loop: Header=BB122_184 Depth=2
	s_mov_b64 s[44:45], -1
                                        ; implicit-def: $vgpr4
	s_mov_b64 s[42:43], -1
	s_branch .LBB122_183
.LBB122_188:                            ;   in Loop: Header=BB122_20 Depth=1
	s_or_b64 exec, exec, s[30:31]
	s_andn2_b64 s[0:1], s[38:39], exec
	s_and_b64 s[12:13], s[40:41], exec
	s_or_b64 s[38:39], s[0:1], s[12:13]
.LBB122_189:                            ;   in Loop: Header=BB122_20 Depth=1
	s_or_b64 exec, exec, s[28:29]
	s_mov_b64 s[28:29], 0
	s_mov_b64 s[30:31], -1
.LBB122_190:                            ;   in Loop: Header=BB122_20 Depth=1
	s_orn2_b64 s[38:39], s[38:39], exec
.LBB122_191:                            ;   in Loop: Header=BB122_20 Depth=1
	s_or_b64 exec, exec, s[34:35]
	s_mov_b64 s[40:41], 0
	s_and_saveexec_b64 s[34:35], s[38:39]
	s_cbranch_execz .LBB122_243
; %bb.192:                              ;   in Loop: Header=BB122_20 Depth=1
	s_xor_b64 s[0:1], s[36:37], -1
	s_mov_b64 s[44:45], 0
	v_mov_b32_e32 v4, 1
	v_mov_b32_e32 v2, 1
	s_and_saveexec_b64 s[36:37], s[0:1]
	s_cbranch_execz .LBB122_201
; %bb.193:                              ;   in Loop: Header=BB122_20 Depth=1
	v_cmp_ge_u32_e32 vcc, s50, v35
	s_and_saveexec_b64 s[0:1], vcc
	s_xor_b64 s[38:39], exec, s[0:1]
	s_cbranch_execz .LBB122_198
; %bb.194:                              ;   in Loop: Header=BB122_20 Depth=1
	ds_read_b32 v2, v7 offset:4104
	v_and_b32_e32 v3, v25, v3
	v_lshl_or_b32 v25, 2, v33, v3
	v_or_b32_e32 v34, v34, v1
	s_waitcnt lgkmcnt(0)
	v_cmp_ne_u32_e32 vcc, 0, v2
	s_cbranch_vccnz .LBB122_198
; %bb.195:                              ;   in Loop: Header=BB122_20 Depth=1
	s_and_saveexec_b64 s[40:41], s[2:3]
; %bb.196:                              ;   in Loop: Header=BB122_20 Depth=1
	v_mov_b32_e32 v2, s50
	ds_write_b32 v7, v2 offset:4108
; %bb.197:                              ;   in Loop: Header=BB122_20 Depth=1
	s_or_b64 exec, exec, s[40:41]
	s_waitcnt lgkmcnt(0)
	s_barrier
.LBB122_198:                            ;   in Loop: Header=BB122_20 Depth=1
	s_or_saveexec_b64 s[38:39], s[38:39]
	s_mov_b64 s[40:41], 0
	v_mov_b32_e32 v2, 8
	s_xor_b64 exec, exec, s[38:39]
; %bb.199:                              ;   in Loop: Header=BB122_20 Depth=1
	s_mov_b64 s[40:41], exec
	v_subrev_u32_e32 v35, s50, v35
	v_mov_b32_e32 v2, 0
; %bb.200:                              ;   in Loop: Header=BB122_20 Depth=1
	s_or_b64 exec, exec, s[38:39]
	s_and_b64 s[44:45], s[40:41], exec
	v_mov_b32_e32 v4, v35
.LBB122_201:                            ;   in Loop: Header=BB122_20 Depth=1
	s_or_b64 exec, exec, s[36:37]
	s_mov_b64 s[38:39], -1
                                        ; implicit-def: $sgpr42_sgpr43
                                        ; implicit-def: $sgpr40_sgpr41
	s_and_saveexec_b64 s[36:37], s[44:45]
	s_cbranch_execz .LBB122_242
; %bb.202:                              ;   in Loop: Header=BB122_20 Depth=1
	s_cmp_eq_u32 s72, 1
	s_cselect_b64 s[0:1], -1, 0
	v_cmp_eq_u32_e32 vcc, 1, v4
	s_and_b64 s[38:39], s[0:1], vcc
	s_mov_b64 s[46:47], -1
                                        ; implicit-def: $sgpr42_sgpr43
                                        ; implicit-def: $sgpr40_sgpr41
	s_and_saveexec_b64 s[44:45], s[38:39]
	s_cbranch_execz .LBB122_230
; %bb.203:                              ;   in Loop: Header=BB122_20 Depth=1
	ds_read_b32 v3, v7 offset:4104
	s_waitcnt lgkmcnt(0)
	s_barrier
	v_readfirstlane_b32 s0, v3
	s_and_saveexec_b64 s[40:41], s[16:17]
; %bb.204:                              ;   in Loop: Header=BB122_20 Depth=1
	ds_write_b32 v17, v7
; %bb.205:                              ;   in Loop: Header=BB122_20 Depth=1
	s_or_b64 exec, exec, s[40:41]
	v_or_b32_e32 v25, v25, v1
	v_or_b32_e32 v34, v34, v1
	s_mov_b64 s[40:41], -1
	s_mov_b64 s[42:43], 0
	s_cmp_eq_u32 s0, 0
	s_mov_b64 s[46:47], 0
	s_mov_b64 s[48:49], -1
	s_waitcnt lgkmcnt(0)
	s_barrier
                                        ; implicit-def: $vgpr14
	s_cbranch_scc1 .LBB122_217
; %bb.206:                              ;   in Loop: Header=BB122_20 Depth=1
	s_add_i32 s1, s0, s83
	s_mul_hi_u32 s12, s1, s86
	s_mul_i32 s12, s12, s59
	s_sub_i32 s12, s1, s12
	s_sub_i32 s13, s12, s59
	s_cmp_ge_u32 s12, s59
	s_cselect_b32 s12, s13, s12
	s_sub_i32 s13, s12, s59
	s_cmp_ge_u32 s12, s59
	s_cselect_b32 s12, s13, s12
	s_sub_i32 s1, s1, s12
	v_cmp_gt_u32_e32 vcc, s1, v0
	s_mov_b64 s[48:49], 0
                                        ; implicit-def: $vgpr14
	s_and_saveexec_b64 s[50:51], vcc
	s_cbranch_execz .LBB122_216
; %bb.207:                              ;   in Loop: Header=BB122_20 Depth=1
	v_mov_b32_e32 v3, v15
	v_mov_b32_e32 v6, v0
                                        ; implicit-def: $sgpr52_sgpr53
	s_branch .LBB122_211
.LBB122_208:                            ;   in Loop: Header=BB122_211 Depth=2
	s_or_b64 exec, exec, s[54:55]
	s_waitcnt lgkmcnt(0)
	s_barrier
	ds_read_b64 v[13:14], v7 offset:3072
	s_waitcnt lgkmcnt(0)
	s_barrier
	v_cmp_neq_f32_e32 vcc, 0, v13
	s_cbranch_vccnz .LBB122_214
; %bb.209:                              ;   in Loop: Header=BB122_211 Depth=2
	v_add_u32_e32 v6, s59, v6
	v_cmp_le_u32_e32 vcc, s1, v6
	v_add_u32_e32 v3, s82, v3
	s_mov_b64 s[54:55], 0
	s_orn2_b64 s[64:65], vcc, exec
.LBB122_210:                            ;   in Loop: Header=BB122_211 Depth=2
	s_and_b64 s[12:13], exec, s[64:65]
	s_or_b64 s[46:47], s[12:13], s[46:47]
	s_andn2_b64 s[12:13], s[52:53], exec
	s_and_b64 s[52:53], s[54:55], exec
	s_or_b64 s[52:53], s[12:13], s[52:53]
	s_andn2_b64 exec, exec, s[46:47]
	s_cbranch_execz .LBB122_215
.LBB122_211:                            ;   Parent Loop BB122_20 Depth=1
                                        ; =>  This Inner Loop Header: Depth=2
	v_cmp_gt_u32_e32 vcc, s0, v6
	s_and_saveexec_b64 s[54:55], vcc
	s_cbranch_execz .LBB122_208
; %bb.212:                              ;   in Loop: Header=BB122_211 Depth=2
	ds_read_b32 v13, v3
	s_waitcnt lgkmcnt(0)
	v_cmp_lt_i32_e32 vcc, -1, v13
	v_cndmask_b32_e32 v14, -1, v32, vcc
	v_xor_b32_e32 v14, v14, v13
	v_cmp_o_f32_e32 vcc, v13, v13
	v_cndmask_b32_e32 v14, -1, v14, vcc
	v_and_b32_e32 v14, v14, v34
	v_cmp_eq_u32_e32 vcc, v14, v25
	s_and_b64 exec, exec, vcc
	s_cbranch_execz .LBB122_208
; %bb.213:                              ;   in Loop: Header=BB122_211 Depth=2
	ds_write_b64 v7, v[12:13] offset:3072
	s_branch .LBB122_208
.LBB122_214:                            ;   in Loop: Header=BB122_211 Depth=2
	s_mov_b64 s[64:65], -1
                                        ; implicit-def: $vgpr6
                                        ; implicit-def: $vgpr3
	s_mov_b64 s[54:55], -1
	s_branch .LBB122_210
.LBB122_215:                            ;   in Loop: Header=BB122_20 Depth=1
	s_or_b64 exec, exec, s[46:47]
	s_and_b64 s[46:47], s[52:53], exec
.LBB122_216:                            ;   in Loop: Header=BB122_20 Depth=1
	s_or_b64 exec, exec, s[50:51]
.LBB122_217:                            ;   in Loop: Header=BB122_20 Depth=1
	s_and_b64 vcc, exec, s[48:49]
	s_cbranch_vccz .LBB122_229
; %bb.218:                              ;   in Loop: Header=BB122_20 Depth=1
                                        ; implicit-def: $vgpr14
	s_mov_b64 s[40:41], exec
	v_readlane_b32 s0, v48, 31
	v_readlane_b32 s1, v48, 32
	s_and_b64 s[0:1], s[40:41], s[0:1]
	s_mov_b64 exec, s[0:1]
	s_cbranch_execz .LBB122_228
; %bb.219:                              ;   in Loop: Header=BB122_20 Depth=1
	s_mov_b64 s[42:43], 0
	v_mov_b32_e32 v6, v5
	v_mov_b32_e32 v3, v0
                                        ; implicit-def: $sgpr48_sgpr49
	s_branch .LBB122_223
.LBB122_220:                            ;   in Loop: Header=BB122_223 Depth=2
	s_or_b64 exec, exec, s[50:51]
	s_waitcnt lgkmcnt(0)
	s_barrier
	ds_read_b64 v[13:14], v7 offset:3072
	s_waitcnt lgkmcnt(0)
	s_barrier
	v_cmp_eq_f32_e32 vcc, 0, v13
	s_cbranch_vccz .LBB122_226
; %bb.221:                              ;   in Loop: Header=BB122_223 Depth=2
	v_add_u32_e32 v3, s59, v3
	v_cmp_le_u32_e32 vcc, s87, v3
	v_add_u32_e32 v6, s67, v6
	s_mov_b64 s[50:51], 0
	s_orn2_b64 s[52:53], vcc, exec
.LBB122_222:                            ;   in Loop: Header=BB122_223 Depth=2
	s_and_b64 s[0:1], exec, s[52:53]
	s_or_b64 s[42:43], s[0:1], s[42:43]
	s_andn2_b64 s[0:1], s[48:49], exec
	s_and_b64 s[12:13], s[50:51], exec
	s_or_b64 s[48:49], s[0:1], s[12:13]
	s_andn2_b64 exec, exec, s[42:43]
	s_cbranch_execz .LBB122_227
.LBB122_223:                            ;   Parent Loop BB122_20 Depth=1
                                        ; =>  This Inner Loop Header: Depth=2
	v_cmp_gt_u32_e32 vcc, s56, v3
	s_and_saveexec_b64 s[50:51], vcc
	s_cbranch_execz .LBB122_220
; %bb.224:                              ;   in Loop: Header=BB122_223 Depth=2
	v_lshlrev_b64 v[13:14], 2, v[6:7]
	v_mov_b32_e32 v35, s57
	v_add_co_u32_e32 v13, vcc, s66, v13
	v_addc_co_u32_e32 v14, vcc, v35, v14, vcc
	global_load_dword v13, v[13:14], off
	s_waitcnt vmcnt(0)
	v_cmp_lt_i32_e32 vcc, -1, v13
	v_cndmask_b32_e32 v14, -1, v32, vcc
	v_xor_b32_e32 v14, v14, v13
	v_cmp_o_f32_e32 vcc, v13, v13
	v_cndmask_b32_e32 v14, -1, v14, vcc
	v_and_b32_e32 v14, v14, v34
	v_cmp_eq_u32_e32 vcc, v14, v25
	s_and_b64 exec, exec, vcc
	s_cbranch_execz .LBB122_220
; %bb.225:                              ;   in Loop: Header=BB122_223 Depth=2
	ds_write_b64 v7, v[12:13] offset:3072
	s_branch .LBB122_220
.LBB122_226:                            ;   in Loop: Header=BB122_223 Depth=2
	s_mov_b64 s[52:53], -1
                                        ; implicit-def: $vgpr3
	s_mov_b64 s[50:51], -1
	s_branch .LBB122_222
.LBB122_227:                            ;   in Loop: Header=BB122_20 Depth=1
	s_or_b64 exec, exec, s[42:43]
	s_andn2_b64 s[0:1], s[46:47], exec
	s_and_b64 s[12:13], s[48:49], exec
	s_or_b64 s[46:47], s[0:1], s[12:13]
.LBB122_228:                            ;   in Loop: Header=BB122_20 Depth=1
	s_or_b64 exec, exec, s[40:41]
	s_mov_b64 s[40:41], 0
	s_mov_b64 s[42:43], -1
.LBB122_229:                            ;   in Loop: Header=BB122_20 Depth=1
	s_orn2_b64 s[46:47], s[46:47], exec
.LBB122_230:                            ;   in Loop: Header=BB122_20 Depth=1
	s_or_b64 exec, exec, s[44:45]
	s_mov_b64 s[48:49], 0
	s_and_saveexec_b64 s[44:45], s[46:47]
	s_cbranch_execz .LBB122_241
; %bb.231:                              ;   in Loop: Header=BB122_20 Depth=1
	s_xor_b64 s[0:1], s[38:39], -1
	v_mov_b32_e32 v2, 1
	v_mov_b32_e32 v3, 1
	s_and_saveexec_b64 s[38:39], s[0:1]
	s_cbranch_execz .LBB122_240
; %bb.232:                              ;   in Loop: Header=BB122_20 Depth=1
	v_cmp_ge_u32_e32 vcc, s72, v4
	s_and_saveexec_b64 s[0:1], vcc
	s_xor_b64 s[46:47], exec, s[0:1]
	s_cbranch_execz .LBB122_237
; %bb.233:                              ;   in Loop: Header=BB122_20 Depth=1
	ds_read_b32 v2, v7 offset:4104
	v_or_b32_e32 v25, v25, v1
	v_or_b32_e32 v34, v34, v1
	s_waitcnt lgkmcnt(0)
	v_cmp_ne_u32_e32 vcc, 0, v2
	s_cbranch_vccnz .LBB122_237
; %bb.234:                              ;   in Loop: Header=BB122_20 Depth=1
	s_and_saveexec_b64 s[48:49], s[2:3]
; %bb.235:                              ;   in Loop: Header=BB122_20 Depth=1
	v_mov_b32_e32 v1, s72
	ds_write_b32 v7, v1 offset:4108
; %bb.236:                              ;   in Loop: Header=BB122_20 Depth=1
	s_or_b64 exec, exec, s[48:49]
	s_waitcnt lgkmcnt(0)
	s_barrier
.LBB122_237:                            ;   in Loop: Header=BB122_20 Depth=1
	s_andn2_saveexec_b64 s[46:47], s[46:47]
; %bb.238:                              ;   in Loop: Header=BB122_20 Depth=1
	v_subrev_u32_e32 v4, s72, v4
; %bb.239:                              ;   in Loop: Header=BB122_20 Depth=1
	s_or_b64 exec, exec, s[46:47]
	v_mov_b32_e32 v2, 8
	v_mov_b32_e32 v3, v4
.LBB122_240:                            ;   in Loop: Header=BB122_20 Depth=1
	s_or_b64 exec, exec, s[38:39]
	s_mov_b64 s[48:49], exec
	v_mov_b32_e32 v4, v3
.LBB122_241:                            ;   in Loop: Header=BB122_20 Depth=1
	s_or_b64 exec, exec, s[44:45]
	s_orn2_b64 s[38:39], s[48:49], exec
.LBB122_242:                            ;   in Loop: Header=BB122_20 Depth=1
	s_or_b64 exec, exec, s[36:37]
	s_andn2_b64 s[0:1], s[30:31], exec
	s_and_b64 s[12:13], s[42:43], exec
	s_or_b64 s[30:31], s[0:1], s[12:13]
	s_andn2_b64 s[0:1], s[28:29], exec
	s_and_b64 s[12:13], s[40:41], exec
	s_or_b64 s[28:29], s[0:1], s[12:13]
	s_and_b64 s[40:41], s[38:39], exec
	v_mov_b32_e32 v35, v4
.LBB122_243:                            ;   in Loop: Header=BB122_20 Depth=1
	s_or_b64 exec, exec, s[34:35]
	s_orn2_b64 s[34:35], s[40:41], exec
.LBB122_244:                            ;   in Loop: Header=BB122_20 Depth=1
	s_or_b64 exec, exec, s[26:27]
	s_andn2_b64 s[0:1], s[22:23], exec
	s_and_b64 s[12:13], s[30:31], exec
	s_or_b64 s[22:23], s[0:1], s[12:13]
	s_andn2_b64 s[0:1], s[20:21], exec
	s_and_b64 s[12:13], s[28:29], exec
	s_or_b64 s[20:21], s[0:1], s[12:13]
	s_and_b64 s[30:31], s[34:35], exec
	v_mov_b32_e32 v4, v35
.LBB122_245:                            ;   in Loop: Header=BB122_20 Depth=1
	s_or_b64 exec, exec, s[24:25]
	s_orn2_b64 s[24:25], s[30:31], exec
.LBB122_246:                            ;   in Loop: Header=BB122_20 Depth=1
	s_or_b64 exec, exec, s[18:19]
	s_mov_b64 s[26:27], 0
                                        ; implicit-def: $sgpr0
	s_and_saveexec_b64 s[12:13], s[24:25]
	s_xor_b64 s[18:19], exec, s[12:13]
	s_cbranch_execz .LBB122_18
; %bb.247:                              ;   in Loop: Header=BB122_20 Depth=1
	v_and_b32_e32 v1, 7, v2
	v_cmp_eq_u32_e32 vcc, 0, v1
	s_mov_b64 s[14:15], -1
	s_mov_b64 s[24:25], -1
                                        ; implicit-def: $sgpr0
	s_and_saveexec_b64 s[26:27], vcc
	s_cbranch_execz .LBB122_17
; %bb.248:                              ;   in Loop: Header=BB122_20 Depth=1
	v_add_u32_e32 v1, -2, v33
	v_cmp_eq_u32_e32 vcc, 0, v33
	s_xor_b32 s0, s85, 1
	s_xor_b64 s[24:25], exec, -1
	s_orn2_b64 s[14:15], vcc, exec
	v_mov_b32_e32 v33, v1
	s_branch .LBB122_17
.LBB122_249:
	s_or_b64 exec, exec, s[88:89]
	s_xor_b64 s[8:9], s[94:95], -1
	s_xor_b64 s[0:1], s[90:91], -1
	;; [unrolled: 1-line block ×3, first 2 shown]
	s_mov_b64 s[4:5], 0
	s_and_saveexec_b64 s[2:3], s[0:1]
	s_xor_b64 s[2:3], exec, s[2:3]
	s_cbranch_execnz .LBB122_254
; %bb.250:
	s_andn2_saveexec_b64 s[0:1], s[2:3]
	s_cbranch_execnz .LBB122_267
.LBB122_251:
	s_or_b64 exec, exec, s[0:1]
	s_and_saveexec_b64 s[0:1], s[4:5]
.LBB122_252:
	; divergent unreachable
.LBB122_253:
	s_endpgm
.LBB122_254:
	s_and_saveexec_b64 s[0:1], s[8:9]
	s_xor_b64 s[4:5], exec, s[0:1]
	s_cbranch_execz .LBB122_265
; %bb.255:
	s_and_saveexec_b64 s[0:1], s[6:7]
	s_xor_b64 s[6:7], exec, s[0:1]
; %bb.256:
	v_bfrev_b32_e32 v1, 1
	v_cmp_lt_i32_e32 vcc, -1, v25
	v_cndmask_b32_e64 v1, v1, -1, vcc
	v_xor_b32_e32 v14, v1, v25
; %bb.257:
	s_or_b64 exec, exec, s[6:7]
	v_readlane_b32 s8, v48, 12
	v_readlane_b32 s9, v48, 13
	;; [unrolled: 1-line block ×3, first 2 shown]
	s_mul_i32 s0, s10, s9
	v_readlane_b32 s9, v48, 15
	s_mul_i32 s1, s9, s8
	s_sub_i32 s1, s10, s1
	s_sub_i32 s0, s79, s0
	s_add_i32 s6, s9, 1
	s_sub_i32 s7, s1, s8
	s_cmp_ge_u32 s1, s8
	s_cselect_b32 s6, s6, s9
	s_cselect_b32 s1, s7, s1
	s_add_i32 s7, s6, 1
	s_cmp_ge_u32 s1, s8
	s_cselect_b32 s1, s7, s6
	v_readlane_b32 s12, v48, 8
	s_mul_i32 s6, s1, s8
	v_readlane_b32 s13, v48, 9
	v_readlane_b32 s14, v48, 10
	s_sub_i32 s6, s10, s6
	s_mul_i32 s0, s0, s14
	s_mul_i32 s6, s6, s13
	s_add_i32 s0, s6, s0
	s_mul_i32 s1, s1, s12
	s_add_i32 s0, s0, s1
	s_mov_b32 s1, 0
	s_lshl_b64 s[0:1], s[0:1], 2
	v_readlane_b32 s6, v48, 0
	v_readlane_b32 s7, v48, 1
	s_add_u32 s0, s6, s0
	s_addc_u32 s1, s7, s1
	v_mov_b32_e32 v6, 0
	v_readlane_b32 s15, v48, 11
	global_store_dword v6, v14, s[0:1]
	s_mov_b64 s[6:7], exec
	v_readlane_b32 s0, v48, 20
	v_readlane_b32 s1, v48, 21
	s_and_b64 s[0:1], s[6:7], s[0:1]
	s_mov_b64 exec, s[0:1]
	s_cbranch_execz .LBB122_264
; %bb.258:
	v_cmp_u_f32_e32 vcc, v14, v14
	s_mov_b64 s[8:9], 0
	v_mov_b32_e32 v2, s57
	s_xor_b64 s[12:13], vcc, -1
                                        ; implicit-def: $sgpr10_sgpr11
                                        ; implicit-def: $sgpr16_sgpr17
                                        ; implicit-def: $sgpr14_sgpr15
	s_branch .LBB122_260
.LBB122_259:                            ;   in Loop: Header=BB122_260 Depth=1
	s_or_b64 exec, exec, s[0:1]
	s_and_b64 s[0:1], exec, s[16:17]
	s_or_b64 s[8:9], s[0:1], s[8:9]
	s_andn2_b64 s[0:1], s[10:11], exec
	s_and_b64 s[10:11], s[14:15], exec
	s_or_b64 s[10:11], s[0:1], s[10:11]
	s_andn2_b64 exec, exec, s[8:9]
	s_cbranch_execz .LBB122_262
.LBB122_260:                            ; =>This Inner Loop Header: Depth=1
	v_lshlrev_b64 v[3:4], 2, v[5:6]
	v_mov_b32_e32 v1, v0
	v_add_co_u32_e32 v3, vcc, s66, v3
	v_addc_co_u32_e32 v4, vcc, v2, v4, vcc
	global_load_dword v3, v[3:4], off
	s_or_b64 s[14:15], s[14:15], exec
	s_or_b64 s[16:17], s[16:17], exec
                                        ; implicit-def: $vgpr0
	s_waitcnt vmcnt(0)
	v_cmp_o_f32_e64 s[0:1], v3, v3
	v_cmp_neq_f32_e32 vcc, v3, v14
	s_or_b64 s[0:1], s[0:1], s[12:13]
	s_and_b64 s[18:19], vcc, s[0:1]
	s_and_saveexec_b64 s[0:1], s[18:19]
	s_cbranch_execz .LBB122_259
; %bb.261:                              ;   in Loop: Header=BB122_260 Depth=1
	v_add_u32_e32 v0, s59, v1
	v_cmp_le_u32_e32 vcc, s56, v0
	s_andn2_b64 s[16:17], s[16:17], exec
	s_and_b64 s[18:19], vcc, exec
	v_add_u32_e32 v5, s67, v5
	s_andn2_b64 s[14:15], s[14:15], exec
	s_or_b64 s[16:17], s[16:17], s[18:19]
	s_branch .LBB122_259
.LBB122_262:
	s_or_b64 exec, exec, s[8:9]
	s_and_saveexec_b64 s[0:1], s[10:11]
	s_xor_b64 s[0:1], exec, s[0:1]
	s_cbranch_execz .LBB122_264
; %bb.263:
	v_readlane_b32 s8, v48, 2
	v_readlane_b32 s10, v48, 4
	;; [unrolled: 1-line block ×3, first 2 shown]
	s_mov_b32 s14, s10
	v_readlane_b32 s16, v48, 16
	s_mov_b64 s[12:13], s[8:9]
	v_readlane_b32 s10, v48, 19
	v_readlane_b32 s17, v48, 17
	;; [unrolled: 1-line block ×3, first 2 shown]
	s_mul_i32 s1, s10, s16
	s_mul_i32 s0, s15, s17
	s_sub_i32 s1, s15, s1
	s_sub_i32 s0, s79, s0
	s_add_i32 s8, s10, 1
	s_sub_i32 s9, s1, s16
	s_cmp_ge_u32 s1, s16
	s_cselect_b32 s8, s8, s10
	s_cselect_b32 s1, s9, s1
	s_add_i32 s9, s8, 1
	s_cmp_ge_u32 s1, s16
	s_cselect_b32 s1, s9, s8
	s_mul_i32 s8, s1, s16
	s_sub_i32 s8, s15, s8
	s_mul_i32 s0, s0, s14
	s_mul_i32 s8, s8, s13
	s_add_i32 s0, s8, s0
	s_mul_i32 s1, s1, s12
	s_add_i32 s0, s0, s1
	s_mov_b32 s1, 0
	s_lshl_b64 s[0:1], s[0:1], 3
	v_readlane_b32 s8, v48, 6
	v_readlane_b32 s9, v48, 7
	s_add_u32 s0, s8, s0
	s_addc_u32 s1, s9, s1
	v_mov_b32_e32 v2, 0
	v_readlane_b32 s11, v48, 5
	global_store_dwordx2 v2, v[1:2], s[0:1]
.LBB122_264:
	s_or_b64 exec, exec, s[6:7]
.LBB122_265:
	s_or_saveexec_b64 s[0:1], s[4:5]
	s_mov_b64 s[4:5], 0
	s_xor_b64 exec, exec, s[0:1]
	s_cbranch_execnz .LBB122_268
.LBB122_266:
	s_or_b64 exec, exec, s[0:1]
	s_and_b64 s[4:5], s[4:5], exec
	s_andn2_saveexec_b64 s[0:1], s[2:3]
	s_cbranch_execz .LBB122_251
.LBB122_267:
	s_or_b64 s[4:5], s[4:5], exec
	s_trap 2
	s_or_b64 exec, exec, s[0:1]
	s_and_saveexec_b64 s[0:1], s[4:5]
	s_cbranch_execnz .LBB122_252
	s_branch .LBB122_253
.LBB122_268:
	s_mov_b64 s[4:5], exec
	s_trap 2
	s_branch .LBB122_266
	.section	.rodata,"a",@progbits
	.p2align	6, 0x0
	.amdhsa_kernel _ZN2at6native12_GLOBAL__N_112gatherMedianIfjLi3EEEvNS_4cuda6detail10TensorInfoIT_T0_EENS5_IlS7_EENS5_IKS6_S7_EES7_S7_S7_b
		.amdhsa_group_segment_fixed_size 4120
		.amdhsa_private_segment_fixed_size 0
		.amdhsa_kernarg_size 920
		.amdhsa_user_sgpr_count 6
		.amdhsa_user_sgpr_private_segment_buffer 1
		.amdhsa_user_sgpr_dispatch_ptr 0
		.amdhsa_user_sgpr_queue_ptr 0
		.amdhsa_user_sgpr_kernarg_segment_ptr 1
		.amdhsa_user_sgpr_dispatch_id 0
		.amdhsa_user_sgpr_flat_scratch_init 0
		.amdhsa_user_sgpr_private_segment_size 0
		.amdhsa_uses_dynamic_stack 0
		.amdhsa_system_sgpr_private_segment_wavefront_offset 0
		.amdhsa_system_sgpr_workgroup_id_x 1
		.amdhsa_system_sgpr_workgroup_id_y 1
		.amdhsa_system_sgpr_workgroup_id_z 1
		.amdhsa_system_sgpr_workgroup_info 0
		.amdhsa_system_vgpr_workitem_id 0
		.amdhsa_next_free_vgpr 49
		.amdhsa_next_free_sgpr 96
		.amdhsa_reserve_vcc 1
		.amdhsa_reserve_flat_scratch 0
		.amdhsa_float_round_mode_32 0
		.amdhsa_float_round_mode_16_64 0
		.amdhsa_float_denorm_mode_32 3
		.amdhsa_float_denorm_mode_16_64 3
		.amdhsa_dx10_clamp 1
		.amdhsa_ieee_mode 1
		.amdhsa_fp16_overflow 0
		.amdhsa_exception_fp_ieee_invalid_op 0
		.amdhsa_exception_fp_denorm_src 0
		.amdhsa_exception_fp_ieee_div_zero 0
		.amdhsa_exception_fp_ieee_overflow 0
		.amdhsa_exception_fp_ieee_underflow 0
		.amdhsa_exception_fp_ieee_inexact 0
		.amdhsa_exception_int_div_zero 0
	.end_amdhsa_kernel
	.section	.text._ZN2at6native12_GLOBAL__N_112gatherMedianIfjLi3EEEvNS_4cuda6detail10TensorInfoIT_T0_EENS5_IlS7_EENS5_IKS6_S7_EES7_S7_S7_b,"axG",@progbits,_ZN2at6native12_GLOBAL__N_112gatherMedianIfjLi3EEEvNS_4cuda6detail10TensorInfoIT_T0_EENS5_IlS7_EENS5_IKS6_S7_EES7_S7_S7_b,comdat
.Lfunc_end122:
	.size	_ZN2at6native12_GLOBAL__N_112gatherMedianIfjLi3EEEvNS_4cuda6detail10TensorInfoIT_T0_EENS5_IlS7_EENS5_IKS6_S7_EES7_S7_S7_b, .Lfunc_end122-_ZN2at6native12_GLOBAL__N_112gatherMedianIfjLi3EEEvNS_4cuda6detail10TensorInfoIT_T0_EENS5_IlS7_EENS5_IKS6_S7_EES7_S7_S7_b
                                        ; -- End function
	.set _ZN2at6native12_GLOBAL__N_112gatherMedianIfjLi3EEEvNS_4cuda6detail10TensorInfoIT_T0_EENS5_IlS7_EENS5_IKS6_S7_EES7_S7_S7_b.num_vgpr, 49
	.set _ZN2at6native12_GLOBAL__N_112gatherMedianIfjLi3EEEvNS_4cuda6detail10TensorInfoIT_T0_EENS5_IlS7_EENS5_IKS6_S7_EES7_S7_S7_b.num_agpr, 0
	.set _ZN2at6native12_GLOBAL__N_112gatherMedianIfjLi3EEEvNS_4cuda6detail10TensorInfoIT_T0_EENS5_IlS7_EENS5_IKS6_S7_EES7_S7_S7_b.numbered_sgpr, 96
	.set _ZN2at6native12_GLOBAL__N_112gatherMedianIfjLi3EEEvNS_4cuda6detail10TensorInfoIT_T0_EENS5_IlS7_EENS5_IKS6_S7_EES7_S7_S7_b.num_named_barrier, 0
	.set _ZN2at6native12_GLOBAL__N_112gatherMedianIfjLi3EEEvNS_4cuda6detail10TensorInfoIT_T0_EENS5_IlS7_EENS5_IKS6_S7_EES7_S7_S7_b.private_seg_size, 0
	.set _ZN2at6native12_GLOBAL__N_112gatherMedianIfjLi3EEEvNS_4cuda6detail10TensorInfoIT_T0_EENS5_IlS7_EENS5_IKS6_S7_EES7_S7_S7_b.uses_vcc, 1
	.set _ZN2at6native12_GLOBAL__N_112gatherMedianIfjLi3EEEvNS_4cuda6detail10TensorInfoIT_T0_EENS5_IlS7_EENS5_IKS6_S7_EES7_S7_S7_b.uses_flat_scratch, 0
	.set _ZN2at6native12_GLOBAL__N_112gatherMedianIfjLi3EEEvNS_4cuda6detail10TensorInfoIT_T0_EENS5_IlS7_EENS5_IKS6_S7_EES7_S7_S7_b.has_dyn_sized_stack, 0
	.set _ZN2at6native12_GLOBAL__N_112gatherMedianIfjLi3EEEvNS_4cuda6detail10TensorInfoIT_T0_EENS5_IlS7_EENS5_IKS6_S7_EES7_S7_S7_b.has_recursion, 0
	.set _ZN2at6native12_GLOBAL__N_112gatherMedianIfjLi3EEEvNS_4cuda6detail10TensorInfoIT_T0_EENS5_IlS7_EENS5_IKS6_S7_EES7_S7_S7_b.has_indirect_call, 0
	.section	.AMDGPU.csdata,"",@progbits
; Kernel info:
; codeLenInByte = 10104
; TotalNumSgprs: 100
; NumVgprs: 49
; ScratchSize: 0
; MemoryBound: 0
; FloatMode: 240
; IeeeMode: 1
; LDSByteSize: 4120 bytes/workgroup (compile time only)
; SGPRBlocks: 12
; VGPRBlocks: 12
; NumSGPRsForWavesPerEU: 100
; NumVGPRsForWavesPerEU: 49
; Occupancy: 4
; WaveLimiterHint : 1
; COMPUTE_PGM_RSRC2:SCRATCH_EN: 0
; COMPUTE_PGM_RSRC2:USER_SGPR: 6
; COMPUTE_PGM_RSRC2:TRAP_HANDLER: 0
; COMPUTE_PGM_RSRC2:TGID_X_EN: 1
; COMPUTE_PGM_RSRC2:TGID_Y_EN: 1
; COMPUTE_PGM_RSRC2:TGID_Z_EN: 1
; COMPUTE_PGM_RSRC2:TIDIG_COMP_CNT: 0
	.section	.text._ZN2at6native12_GLOBAL__N_112gatherMedianIfjLin1EEEvNS_4cuda6detail10TensorInfoIT_T0_EENS5_IlS7_EENS5_IKS6_S7_EES7_S7_S7_b,"axG",@progbits,_ZN2at6native12_GLOBAL__N_112gatherMedianIfjLin1EEEvNS_4cuda6detail10TensorInfoIT_T0_EENS5_IlS7_EENS5_IKS6_S7_EES7_S7_S7_b,comdat
	.globl	_ZN2at6native12_GLOBAL__N_112gatherMedianIfjLin1EEEvNS_4cuda6detail10TensorInfoIT_T0_EENS5_IlS7_EENS5_IKS6_S7_EES7_S7_S7_b ; -- Begin function _ZN2at6native12_GLOBAL__N_112gatherMedianIfjLin1EEEvNS_4cuda6detail10TensorInfoIT_T0_EENS5_IlS7_EENS5_IKS6_S7_EES7_S7_S7_b
	.p2align	8
	.type	_ZN2at6native12_GLOBAL__N_112gatherMedianIfjLin1EEEvNS_4cuda6detail10TensorInfoIT_T0_EENS5_IlS7_EENS5_IKS6_S7_EES7_S7_S7_b,@function
_ZN2at6native12_GLOBAL__N_112gatherMedianIfjLin1EEEvNS_4cuda6detail10TensorInfoIT_T0_EENS5_IlS7_EENS5_IKS6_S7_EES7_S7_S7_b: ; @_ZN2at6native12_GLOBAL__N_112gatherMedianIfjLin1EEEvNS_4cuda6detail10TensorInfoIT_T0_EENS5_IlS7_EENS5_IKS6_S7_EES7_S7_S7_b
; %bb.0:
	s_load_dwordx2 s[12:13], s[4:5], 0x298
	s_load_dwordx4 s[56:59], s[4:5], 0x288
	s_add_u32 s10, s4, 0x298
	s_addc_u32 s11, s5, 0
	s_waitcnt lgkmcnt(0)
	s_mul_i32 s0, s13, s8
	s_add_i32 s0, s0, s7
	s_mul_i32 s0, s0, s12
	s_add_i32 s7, s0, s6
	s_cmp_ge_u32 s7, s57
	s_cbranch_scc1 .LBB123_262
; %bb.1:
	s_load_dword s0, s[4:5], 0xd0
	s_mov_b32 s61, 0
	s_mov_b32 s33, s7
	s_waitcnt lgkmcnt(0)
	s_cmp_lt_i32 s0, 2
	s_cbranch_scc1 .LBB123_4
; %bb.2:
	s_add_i32 s60, s0, -1
	s_add_i32 s2, s0, 1
	s_lshl_b64 s[0:1], s[60:61], 2
	s_add_u32 s0, s4, s0
	s_addc_u32 s1, s5, s1
	s_add_u32 s0, s0, 8
	s_addc_u32 s1, s1, 0
	s_mov_b32 s33, s7
.LBB123_3:                              ; =>This Inner Loop Header: Depth=1
	s_load_dword s3, s[0:1], 0x0
	s_load_dword s9, s[0:1], 0x64
	s_mov_b32 s8, s33
	s_waitcnt lgkmcnt(0)
	v_cvt_f32_u32_e32 v1, s3
	s_sub_i32 s13, 0, s3
	v_rcp_iflag_f32_e32 v1, v1
	v_mul_f32_e32 v1, 0x4f7ffffe, v1
	v_cvt_u32_f32_e32 v1, v1
	v_readfirstlane_b32 s14, v1
	s_mul_i32 s13, s13, s14
	s_mul_hi_u32 s13, s14, s13
	s_add_i32 s14, s14, s13
	s_mul_hi_u32 s13, s33, s14
	s_mul_i32 s14, s13, s3
	s_sub_i32 s14, s33, s14
	s_add_i32 s15, s13, 1
	s_sub_i32 s16, s14, s3
	s_cmp_ge_u32 s14, s3
	s_cselect_b32 s13, s15, s13
	s_cselect_b32 s14, s16, s14
	s_add_i32 s15, s13, 1
	s_cmp_ge_u32 s14, s3
	s_cselect_b32 s33, s15, s13
	s_mul_i32 s3, s33, s3
	s_sub_i32 s3, s8, s3
	s_mul_i32 s3, s9, s3
	s_add_i32 s2, s2, -1
	s_add_i32 s61, s3, s61
	s_add_u32 s0, s0, -4
	s_addc_u32 s1, s1, -1
	s_cmp_gt_u32 s2, 2
	s_cbranch_scc1 .LBB123_3
.LBB123_4:
	s_load_dword s2, s[4:5], 0x1a8
	s_add_u32 s0, s4, 0xd8
	s_addc_u32 s1, s5, 0
	s_mov_b32 s63, 0
	s_mov_b32 s57, s7
	s_waitcnt lgkmcnt(0)
	s_cmp_lt_i32 s2, 2
	s_cbranch_scc1 .LBB123_7
; %bb.5:
	s_add_i32 s62, s2, -1
	s_add_i32 s8, s2, 1
	s_lshl_b64 s[2:3], s[62:63], 2
	s_add_u32 s2, s0, s2
	s_addc_u32 s3, s1, s3
	s_add_u32 s2, s2, 8
	s_addc_u32 s3, s3, 0
	s_mov_b32 s57, s7
.LBB123_6:                              ; =>This Inner Loop Header: Depth=1
	s_load_dword s9, s[2:3], 0x0
	s_load_dword s14, s[2:3], 0x64
	s_mov_b32 s13, s57
	s_waitcnt lgkmcnt(0)
	v_cvt_f32_u32_e32 v1, s9
	s_sub_i32 s15, 0, s9
	v_rcp_iflag_f32_e32 v1, v1
	v_mul_f32_e32 v1, 0x4f7ffffe, v1
	v_cvt_u32_f32_e32 v1, v1
	v_readfirstlane_b32 s16, v1
	s_mul_i32 s15, s15, s16
	s_mul_hi_u32 s15, s16, s15
	s_add_i32 s16, s16, s15
	s_mul_hi_u32 s15, s57, s16
	s_mul_i32 s16, s15, s9
	s_sub_i32 s16, s57, s16
	s_add_i32 s17, s15, 1
	s_sub_i32 s18, s16, s9
	s_cmp_ge_u32 s16, s9
	s_cselect_b32 s15, s17, s15
	s_cselect_b32 s16, s18, s16
	s_add_i32 s17, s15, 1
	s_cmp_ge_u32 s16, s9
	s_cselect_b32 s57, s17, s15
	s_mul_i32 s9, s57, s9
	s_sub_i32 s9, s13, s9
	s_mul_i32 s9, s14, s9
	s_add_i32 s8, s8, -1
	s_add_i32 s63, s9, s63
	s_add_u32 s2, s2, -4
	s_addc_u32 s3, s3, -1
	s_cmp_gt_u32 s8, 2
	s_cbranch_scc1 .LBB123_6
.LBB123_7:
	s_load_dword s2, s[4:5], 0x6c
                                        ; implicit-def: $vgpr48 : SGPR spill to VGPR lane
	s_add_u32 s8, s4, 0x1b0
	s_addc_u32 s9, s5, 0
	s_mov_b32 s3, 0
	s_waitcnt lgkmcnt(0)
	v_writelane_b32 v48, s2, 0
	s_load_dword s2, s[4:5], 0x280
	s_waitcnt lgkmcnt(0)
	s_cmp_lt_i32 s2, 2
	s_cbranch_scc1 .LBB123_10
; %bb.8:
	s_add_i32 s13, s2, 1
	s_add_i32 s2, s2, -1
	s_lshl_b64 s[14:15], s[2:3], 2
	s_add_u32 s2, s8, s14
	s_addc_u32 s9, s9, s15
	s_add_u32 s8, s2, 8
	s_addc_u32 s9, s9, 0
.LBB123_9:                              ; =>This Inner Loop Header: Depth=1
	s_load_dword s2, s[8:9], 0x0
	s_load_dword s15, s[8:9], 0x64
	s_mov_b32 s14, s7
	s_waitcnt lgkmcnt(0)
	v_cvt_f32_u32_e32 v1, s2
	s_sub_i32 s7, 0, s2
	v_rcp_iflag_f32_e32 v1, v1
	v_mul_f32_e32 v1, 0x4f7ffffe, v1
	v_cvt_u32_f32_e32 v1, v1
	v_readfirstlane_b32 s16, v1
	s_mul_i32 s7, s7, s16
	s_mul_hi_u32 s7, s16, s7
	s_add_i32 s16, s16, s7
	s_mul_hi_u32 s7, s14, s16
	s_mul_i32 s16, s7, s2
	s_sub_i32 s16, s14, s16
	s_add_i32 s17, s7, 1
	s_sub_i32 s18, s16, s2
	s_cmp_ge_u32 s16, s2
	s_cselect_b32 s7, s17, s7
	s_cselect_b32 s16, s18, s16
	s_add_i32 s17, s7, 1
	s_cmp_ge_u32 s16, s2
	s_cselect_b32 s7, s17, s7
	s_mul_i32 s2, s7, s2
	s_sub_i32 s2, s14, s2
	s_mul_i32 s2, s15, s2
	s_add_i32 s13, s13, -1
	s_add_i32 s3, s2, s3
	s_add_u32 s8, s8, -4
	s_addc_u32 s9, s9, -1
	s_cmp_gt_u32 s13, 2
	s_cbranch_scc1 .LBB123_9
.LBB123_10:
	s_load_dword s0, s[0:1], 0x6c
                                        ; kill: killed $sgpr4 killed $sgpr5
	v_mov_b32_e32 v3, 0
	s_waitcnt lgkmcnt(0)
	v_writelane_b32 v48, s0, 1
	s_load_dword s2, s[4:5], 0x21c
	s_load_dwordx2 s[0:1], s[4:5], 0x0
	s_waitcnt lgkmcnt(0)
	s_mul_i32 s2, s2, s7
	v_writelane_b32 v48, s0, 2
	v_writelane_b32 v48, s1, 3
	s_load_dwordx2 s[0:1], s[4:5], 0xd8
	s_waitcnt lgkmcnt(0)
	v_writelane_b32 v48, s0, 4
	v_writelane_b32 v48, s1, 5
	s_load_dwordx2 s[0:1], s[4:5], 0x1b0
	s_mov_b32 s5, 0
	s_add_i32 s4, s2, s3
	s_lshl_b64 s[2:3], s[4:5], 2
	s_waitcnt lgkmcnt(0)
	s_add_u32 s62, s0, s2
	s_addc_u32 s60, s1, s3
	v_cmp_gt_u32_e64 s[0:1], s56, v0
	s_mov_b64 s[2:3], exec
	v_writelane_b32 v48, s0, 6
	v_writelane_b32 v48, s1, 7
	s_and_b64 s[0:1], s[2:3], s[0:1]
	s_mov_b64 exec, s[0:1]
	s_cbranch_execz .LBB123_14
; %bb.11:
	s_load_dword s0, s[10:11], 0xc
	v_mul_lo_u32 v1, v0, s58
	v_mov_b32_e32 v2, 0
	s_mov_b64 s[4:5], 0
	v_mov_b32_e32 v4, s60
	s_waitcnt lgkmcnt(0)
	s_and_b32 s0, s0, 0xffff
	s_mul_i32 s1, s58, s0
	v_mov_b32_e32 v3, v2
	v_mov_b32_e32 v5, v0
.LBB123_12:                             ; =>This Inner Loop Header: Depth=1
	v_lshlrev_b64 v[6:7], 2, v[1:2]
	v_add_u32_e32 v5, s0, v5
	v_add_co_u32_e32 v6, vcc, s62, v6
	v_addc_co_u32_e32 v7, vcc, v4, v7, vcc
	global_load_dword v6, v[6:7], off
	v_cmp_le_u32_e32 vcc, s56, v5
	s_or_b64 s[4:5], vcc, s[4:5]
	v_add_u32_e32 v1, s1, v1
	s_waitcnt vmcnt(0)
	v_cmp_u_f32_e32 vcc, v6, v6
	v_addc_co_u32_e32 v3, vcc, 0, v3, vcc
	s_andn2_b64 exec, exec, s[4:5]
	s_cbranch_execnz .LBB123_12
; %bb.13:
	s_or_b64 exec, exec, s[4:5]
.LBB123_14:
	s_or_b64 exec, exec, s[2:3]
	v_cmp_eq_u32_e64 s[0:1], 0, v0
	s_mov_b64 s[4:5], exec
	v_writelane_b32 v48, s0, 8
	v_writelane_b32 v48, s1, 9
	s_and_b64 s[0:1], s[4:5], s[0:1]
	s_mov_b64 exec, s[0:1]
; %bb.15:
	v_mov_b32_e32 v1, 0
	v_mov_b32_e32 v2, v1
	ds_write_b64 v1, v[1:2] offset:4096
; %bb.16:
	s_or_b64 exec, exec, s[4:5]
	v_cmp_ne_u32_e32 vcc, 0, v3
	s_waitcnt lgkmcnt(0)
	s_barrier
	s_and_saveexec_b64 s[4:5], vcc
	s_cbranch_execz .LBB123_21
; %bb.17:
	s_mov_b64 s[14:15], exec
	v_mov_b32_e32 v1, 0
	s_mov_b64 s[8:9], 0
.LBB123_18:                             ; =>This Inner Loop Header: Depth=1
	s_ff1_i32_b64 s0, s[14:15]
	v_readlane_b32 s2, v3, s0
	v_readlane_b32 s1, v1, s0
	s_add_u32 s8, s8, s2
	s_addc_u32 s9, s9, s1
	s_lshl_b64 s[0:1], 1, s0
	s_andn2_b64 s[14:15], s[14:15], s[0:1]
	s_cmp_lg_u64 s[14:15], 0
	s_cbranch_scc1 .LBB123_18
; %bb.19:
	v_mbcnt_lo_u32_b32 v1, exec_lo, 0
	v_mbcnt_hi_u32_b32 v1, exec_hi, v1
	v_cmp_eq_u32_e32 vcc, 0, v1
	s_and_saveexec_b64 s[0:1], vcc
	s_xor_b64 s[0:1], exec, s[0:1]
; %bb.20:
	v_mov_b32_e32 v1, s8
	v_mov_b32_e32 v3, 0
	;; [unrolled: 1-line block ×3, first 2 shown]
	ds_add_u64 v3, v[1:2] offset:4096
.LBB123_21:
	s_or_b64 exec, exec, s[4:5]
	v_mov_b32_e32 v1, 0
	s_waitcnt lgkmcnt(0)
	s_barrier
	ds_read_b64 v[1:2], v1 offset:4096
	s_bitcmp1_b32 s59, 0
	s_cselect_b64 s[2:3], -1, 0
	s_waitcnt lgkmcnt(0)
	v_readfirstlane_b32 s4, v1
	v_readfirstlane_b32 s5, v2
	v_cmp_lt_i64_e64 s[0:1], s[4:5], 1
	s_or_b64 s[0:1], s[2:3], s[0:1]
	s_andn2_b64 vcc, exec, s[0:1]
	s_mov_b32 s2, s56
	s_cbranch_vccnz .LBB123_23
; %bb.22:
	s_not_b64 s[0:1], s[4:5]
	s_add_u32 s0, s0, s56
	s_addc_u32 s1, s1, 0
	s_lshr_b32 s2, s1, 31
	s_add_u32 s0, s0, s2
	s_addc_u32 s1, s1, 0
	s_lshr_b64 s[0:1], s[0:1], 1
	s_add_i32 s2, s0, 1
.LBB123_23:
	s_mov_b64 s[4:5], exec
	v_readlane_b32 s0, v48, 8
	v_readlane_b32 s1, v48, 9
	s_and_b64 s[0:1], s[4:5], s[0:1]
	s_mov_b64 exec, s[0:1]
	s_cbranch_execz .LBB123_25
; %bb.24:
	v_mov_b32_e32 v1, 0
	v_mov_b32_e32 v2, s56
	ds_write_b32 v1, v1 offset:4112
	ds_write_b64 v1, v[1:2] offset:4104
.LBB123_25:
	s_or_b64 exec, exec, s[4:5]
	v_mul_lo_u32 v5, s58, v0
	v_mov_b32_e32 v7, 0
	v_mbcnt_lo_u32_b32 v1, -1, 0
	v_mov_b32_e32 v6, v7
	s_waitcnt lgkmcnt(0)
	s_barrier
	s_load_dword s0, s[10:11], 0xc
	v_mbcnt_hi_u32_b32 v16, -1, v1
	v_lshlrev_b64 v[1:2], 2, v[5:6]
	v_cmp_gt_u32_e32 vcc, 64, v0
	v_cmp_gt_i32_e64 s[8:9], 4, v16
	s_and_b64 s[68:69], vcc, s[8:9]
	v_mov_b32_e32 v18, s60
	v_add_co_u32_e32 v8, vcc, s62, v1
	v_addc_co_u32_e32 v9, vcc, v18, v2, vcc
	v_lshlrev_b64 v[1:2], v16, -1
	s_waitcnt lgkmcnt(0)
	s_and_b32 s59, s0, 0xffff
	v_not_b32_e32 v21, v1
	v_lshrrev_b32_e32 v1, 2, v0
	s_lshl_b32 s67, s59, 2
	v_and_b32_e32 v1, 0xf0, v1
	s_add_i32 s1, s59, -1
	v_or_b32_e32 v22, 0xc00, v1
	v_cvt_f32_u32_e32 v1, s67
	s_bfe_u32 s0, s0, 0xa0006
	v_writelane_b32 v48, s1, 10
	s_add_i32 s1, s1, s56
	s_cmpk_gt_u32 s56, 0x300
	s_cselect_b64 s[8:9], -1, 0
	s_cmp_gt_u32 s59, 63
	s_cselect_b64 s[72:73], -1, 0
	s_cmp_lt_u32 s6, s12
	v_rcp_iflag_f32_e32 v1, v1
	s_cselect_b32 s3, 12, 18
	v_writelane_b32 v48, s8, 11
	s_add_u32 s6, s10, s3
	v_writelane_b32 v48, s9, 12
	s_addc_u32 s7, s11, 0
	v_writelane_b32 v48, s6, 13
	s_add_i32 s3, s0, -1
	v_mul_f32_e32 v1, 0x4f7ffffe, v1
	v_writelane_b32 v48, s7, 14
	s_bfe_u32 s6, s59, 0x30006
	s_and_b32 s3, s3, 0xffff
	v_cvt_u32_f32_e32 v1, v1
	s_cmp_gt_u32 s3, 6
	s_cselect_b64 s[8:9], -1, 0
	v_writelane_b32 v48, s8, 15
	s_and_b32 s75, s0, 0x3f8
	v_writelane_b32 v48, s9, 16
	s_cmp_lg_u32 s6, 0
	v_readfirstlane_b32 s3, v1
	v_cvt_f32_u32_e32 v1, s59
	v_writelane_b32 v48, s6, 17
	s_cselect_b64 s[6:7], -1, 0
	s_sub_i32 s0, 0, s67
	s_mul_i32 s0, s0, s3
	s_mul_hi_u32 s0, s3, s0
	s_add_i32 s76, s3, s0
	v_rcp_iflag_f32_e32 v4, v1
	s_mul_hi_u32 s0, s56, s76
	s_mul_i32 s0, s0, s67
	s_sub_i32 s0, s56, s0
	s_sub_i32 s3, s0, s67
	v_mul_f32_e32 v4, 0x4f7ffffe, v4
	s_cmp_ge_u32 s0, s67
	v_cvt_u32_f32_e32 v4, v4
	s_cselect_b32 s0, s3, s0
	s_sub_i32 s3, s0, s67
	v_writelane_b32 v48, s6, 18
	s_cmp_ge_u32 s0, s67
	v_writelane_b32 v48, s7, 19
	s_cselect_b32 s3, s3, s0
	s_sub_i32 s0, 0, s59
	v_readfirstlane_b32 s6, v4
	s_mul_i32 s0, s0, s6
	s_mul_hi_u32 s0, s6, s0
	s_sub_i32 s77, s56, s3
	s_add_i32 s79, s6, s0
	v_add_u32_e32 v23, s77, v0
	s_mul_hi_u32 s0, s1, s79
	v_mul_lo_u32 v6, v23, s58
	s_mul_i32 s0, s0, s59
	s_sub_i32 s0, s1, s0
	s_sub_i32 s6, s0, s59
	s_cmp_ge_u32 s0, s59
	v_not_b32_e32 v20, v2
	v_lshlrev_b64 v[1:2], 2, v[6:7]
	s_cselect_b32 s0, s6, s0
	v_lshlrev_b32_e32 v15, 2, v0
	s_sub_i32 s6, s0, s59
	v_add_co_u32_e32 v10, vcc, s62, v1
	s_cmp_ge_u32 s0, s59
	v_mul_lo_u32 v1, s58, v15
	s_cselect_b32 s0, s6, s0
	s_sub_i32 s0, s1, s0
	v_cmp_gt_u32_e64 s[6:7], s0, v0
	v_writelane_b32 v48, s6, 20
	v_add_u32_e32 v24, s58, v1
	v_or_b32_e32 v1, 2, v15
	v_writelane_b32 v48, s7, 21
	v_mul_lo_u32 v26, s58, v1
	v_or_b32_e32 v1, 3, v15
	s_add_i32 s6, s59, s56
	v_mul_lo_u32 v27, s58, v1
	v_add_u32_e32 v1, s6, v0
	v_subrev_u32_e32 v1, s3, v1
	v_mul_lo_u32 v29, s58, v1
	v_lshlrev_b32_e32 v3, 2, v16
	v_mov_b32_e32 v6, s60
	s_mul_i32 s66, s58, s59
	s_mov_b32 s78, 0
	v_cmp_eq_u32_e64 s[4:5], 0, v16
	v_cmp_gt_u32_e64 s[16:17], 2, v0
	v_add_u32_e32 v17, 0xc00, v15
	v_and_b32_e32 v19, 0x100, v3
	v_cmp_gt_u32_e64 s[8:9], s77, v15
	v_cmp_gt_u32_e64 s[10:11], s56, v23
	v_addc_co_u32_e32 v11, vcc, v6, v2, vcc
	s_lshl_b32 s1, s66, 2
	v_lshlrev_b32_e32 v28, 2, v5
	v_lshlrev_b32_e32 v30, 4, v0
	s_lshl_b32 s12, s59, 4
	v_or_b32_e32 v31, 0xc00, v3
	s_mov_b64 s[80:81], 0
	v_mov_b32_e32 v33, 30
	v_mov_b32_e32 v35, s2
	v_bfrev_b32_e32 v32, 1
	v_mov_b32_e32 v25, 0
	v_mov_b32_e32 v34, 0
	v_mov_b32_e32 v12, 1.0
	v_mov_b32_e32 v14, 0
                                        ; implicit-def: $sgpr82_sgpr83
                                        ; implicit-def: $sgpr86_sgpr87
                                        ; implicit-def: $sgpr84_sgpr85
                                        ; implicit-def: $sgpr90_sgpr91
                                        ; implicit-def: $sgpr92_sgpr93
                                        ; implicit-def: $sgpr88_sgpr89
	s_branch .LBB123_29
.LBB123_26:                             ;   in Loop: Header=BB123_29 Depth=1
	s_or_b64 exec, exec, s[26:27]
	s_and_b64 s[26:27], s[24:25], exec
	s_andn2_b64 s[22:23], s[22:23], exec
	s_andn2_b64 s[20:21], s[20:21], exec
	s_orn2_b64 s[14:15], s[14:15], exec
.LBB123_27:                             ;   in Loop: Header=BB123_29 Depth=1
	s_or_b64 exec, exec, s[18:19]
	s_andn2_b64 s[18:19], s[88:89], exec
	s_and_b64 s[24:25], s[26:27], exec
	s_or_b64 s[88:89], s[18:19], s[24:25]
	s_andn2_b64 s[18:19], s[92:93], exec
	s_and_b64 s[22:23], s[22:23], exec
	s_or_b64 s[92:93], s[18:19], s[22:23]
	;; [unrolled: 3-line block ×3, first 2 shown]
	s_orn2_b64 s[14:15], s[14:15], exec
.LBB123_28:                             ;   in Loop: Header=BB123_29 Depth=1
	s_or_b64 exec, exec, s[6:7]
	s_and_b64 s[6:7], exec, s[14:15]
	s_or_b64 s[80:81], s[6:7], s[80:81]
	s_andn2_b64 s[6:7], s[84:85], exec
	s_and_b64 s[14:15], s[88:89], exec
	s_or_b64 s[84:85], s[6:7], s[14:15]
	s_andn2_b64 s[6:7], s[86:87], exec
	s_and_b64 s[14:15], s[92:93], exec
	s_or_b64 s[86:87], s[6:7], s[14:15]
	s_andn2_b64 s[6:7], s[82:83], exec
	s_and_b64 s[14:15], s[90:91], exec
	s_or_b64 s[82:83], s[6:7], s[14:15]
	s_mov_b32 s78, s2
	v_mov_b32_e32 v35, v4
	s_andn2_b64 exec, exec, s[80:81]
	s_cbranch_execz .LBB123_258
.LBB123_29:                             ; =>This Loop Header: Depth=1
                                        ;     Child Loop BB123_35 Depth 2
                                        ;     Child Loop BB123_48 Depth 2
	;; [unrolled: 1-line block ×16, first 2 shown]
	ds_read_b64 v[1:2], v7 offset:4104
	s_waitcnt lgkmcnt(0)
	v_readfirstlane_b32 s13, v1
	s_cmp_lg_u32 s13, 0
	s_cbranch_scc1 .LBB123_56
; %bb.30:                               ;   in Loop: Header=BB123_29 Depth=1
	v_readlane_b32 s2, v48, 11
	v_readlane_b32 s3, v48, 12
	s_and_b64 vcc, exec, s[2:3]
	s_cbranch_vccz .LBB123_43
; %bb.31:                               ;   in Loop: Header=BB123_29 Depth=1
	s_movk_i32 s2, 0x301
	v_cmp_gt_u32_e32 vcc, s2, v2
	s_mov_b64 s[18:19], 0
	s_mov_b64 s[6:7], 0
	s_cbranch_vccz .LBB123_44
; %bb.32:                               ;   in Loop: Header=BB123_29 Depth=1
	s_mov_b64 s[20:21], exec
	v_readlane_b32 s2, v48, 6
	v_readlane_b32 s3, v48, 7
	s_and_b64 s[2:3], s[20:21], s[2:3]
	s_mov_b64 exec, s[2:3]
	s_cbranch_execz .LBB123_143
; %bb.33:                               ;   in Loop: Header=BB123_29 Depth=1
	v_readlane_b32 s2, v48, 13
	v_readlane_b32 s3, v48, 14
	s_nop 4
	global_load_ushort v1, v7, s[2:3]
	global_load_dword v3, v[8:9], off
	s_mov_b64 s[22:23], 0
	v_mov_b32_e32 v4, v0
	s_waitcnt vmcnt(1)
	v_add_u32_e32 v2, v0, v1
	v_mul_lo_u32 v6, s58, v2
	v_mul_lo_u32 v2, s58, v1
	s_branch .LBB123_35
.LBB123_34:                             ;   in Loop: Header=BB123_35 Depth=2
	s_or_b64 exec, exec, s[6:7]
	v_add_u32_e32 v6, v6, v2
	v_mov_b32_e32 v3, v13
	s_andn2_b64 exec, exec, s[22:23]
	s_cbranch_execz .LBB123_143
.LBB123_35:                             ;   Parent Loop BB123_29 Depth=1
                                        ; =>  This Inner Loop Header: Depth=2
	v_add_u32_e32 v4, v4, v1
	v_cmp_gt_u32_e64 s[6:7], s56, v4
	v_cmp_le_u32_e32 vcc, s56, v4
	s_waitcnt lgkmcnt(0)
	v_mov_b32_e32 v36, 0
	v_mov_b32_e32 v13, 0
	s_and_saveexec_b64 s[14:15], s[6:7]
	s_cbranch_execz .LBB123_37
; %bb.36:                               ;   in Loop: Header=BB123_35 Depth=2
	v_lshlrev_b64 v[37:38], 2, v[6:7]
	v_add_co_u32_e64 v37, s[6:7], s62, v37
	v_addc_co_u32_e64 v38, s[6:7], v18, v38, s[6:7]
	global_load_dword v13, v[37:38], off
.LBB123_37:                             ;   in Loop: Header=BB123_35 Depth=2
	s_or_b64 exec, exec, s[14:15]
	s_waitcnt vmcnt(0)
	v_cmp_lt_i32_e64 s[6:7], -1, v3
	v_cndmask_b32_e64 v37, -1, v32, s[6:7]
	v_xor_b32_e32 v37, v37, v3
	v_cmp_o_f32_e64 s[6:7], v3, v3
	v_cndmask_b32_e64 v37, -1, v37, s[6:7]
	v_and_b32_e32 v37, v37, v34
	v_cmp_eq_u32_e64 s[14:15], v37, v25
	s_cmp_lg_u64 s[14:15], 0
	s_cselect_b64 s[2:3], -1, 0
	s_and_b64 s[2:3], s[4:5], s[2:3]
	s_and_saveexec_b64 s[24:25], s[2:3]
	s_cbranch_execz .LBB123_41
; %bb.38:                               ;   in Loop: Header=BB123_35 Depth=2
	s_mov_b64 s[28:29], exec
	v_mbcnt_lo_u32_b32 v36, s28, 0
	v_mbcnt_hi_u32_b32 v36, s29, v36
	s_bcnt1_i32_b64 s2, s[14:15]
	v_cmp_eq_u32_e64 s[6:7], 0, v36
                                        ; implicit-def: $vgpr37
	s_and_saveexec_b64 s[26:27], s[6:7]
; %bb.39:                               ;   in Loop: Header=BB123_35 Depth=2
	s_bcnt1_i32_b64 s3, s[28:29]
	s_mul_i32 s3, s2, s3
	v_mov_b32_e32 v37, s3
	ds_add_rtn_u32 v37, v7, v37 offset:4112
; %bb.40:                               ;   in Loop: Header=BB123_35 Depth=2
	s_or_b64 exec, exec, s[26:27]
	s_waitcnt lgkmcnt(0)
	v_readfirstlane_b32 s3, v37
	v_mov_b32_e32 v37, s3
	v_mad_u32_u24 v36, s2, v36, v37
.LBB123_41:                             ;   in Loop: Header=BB123_35 Depth=2
	s_or_b64 exec, exec, s[24:25]
	ds_bpermute_b32 v36, v19, v36
	s_and_b64 s[2:3], exec, vcc
	s_or_b64 s[22:23], s[2:3], s[22:23]
	s_and_saveexec_b64 s[6:7], s[14:15]
	s_cbranch_execz .LBB123_34
; %bb.42:                               ;   in Loop: Header=BB123_35 Depth=2
	v_and_b32_e32 v38, s14, v21
	v_and_b32_e32 v37, s15, v20
	v_bcnt_u32_b32 v38, v38, 0
	v_bcnt_u32_b32 v37, v37, v38
	v_lshlrev_b32_e32 v37, 2, v37
	s_waitcnt lgkmcnt(0)
	v_lshl_add_u32 v36, v36, 2, v37
	ds_write_b32 v36, v3
	s_branch .LBB123_34
.LBB123_43:                             ;   in Loop: Header=BB123_29 Depth=1
	s_mov_b64 s[18:19], -1
	s_mov_b64 s[6:7], 0
.LBB123_44:                             ;   in Loop: Header=BB123_29 Depth=1
	s_and_b64 vcc, exec, s[18:19]
	s_cbranch_vccz .LBB123_54
.LBB123_45:                             ;   in Loop: Header=BB123_29 Depth=1
	s_mov_b64 s[6:7], exec
	v_readlane_b32 s2, v48, 6
	v_readlane_b32 s3, v48, 7
	s_and_b64 s[2:3], s[6:7], s[2:3]
	s_mov_b64 exec, s[2:3]
	s_cbranch_execz .LBB123_51
; %bb.46:                               ;   in Loop: Header=BB123_29 Depth=1
	v_readlane_b32 s2, v48, 13
	v_readlane_b32 s3, v48, 14
	s_nop 4
	global_load_ushort v1, v7, s[2:3]
	global_load_dword v3, v[8:9], off
	v_mov_b32_e32 v2, v0
	s_waitcnt vmcnt(1)
	v_add_u32_e32 v6, v0, v1
	v_cmp_gt_u32_e32 vcc, s56, v6
	s_and_saveexec_b64 s[14:15], vcc
	s_cbranch_execz .LBB123_50
; %bb.47:                               ;   in Loop: Header=BB123_29 Depth=1
	v_mul_lo_u32 v6, s58, v6
	v_mul_lo_u32 v13, s58, v1
	v_lshlrev_b32_e32 v4, 2, v1
	s_mov_b64 s[18:19], 0
	v_mov_b32_e32 v36, v15
	v_mov_b32_e32 v2, v0
.LBB123_48:                             ;   Parent Loop BB123_29 Depth=1
                                        ; =>  This Inner Loop Header: Depth=2
	v_lshlrev_b64 v[37:38], 2, v[6:7]
	v_mov_b32_e32 v39, s60
	v_add_co_u32_e32 v37, vcc, s62, v37
	v_addc_co_u32_e32 v38, vcc, v39, v38, vcc
	global_load_dword v37, v[37:38], off
	v_add_u32_e32 v2, v2, v1
	s_waitcnt vmcnt(1)
	ds_write_b32 v36, v3
	v_add_u32_e32 v3, v1, v2
	v_cmp_le_u32_e32 vcc, s56, v3
	v_add_u32_e32 v36, v36, v4
	v_add_u32_e32 v6, v6, v13
	s_or_b64 s[18:19], vcc, s[18:19]
	s_waitcnt vmcnt(0)
	v_mov_b32_e32 v3, v37
	s_andn2_b64 exec, exec, s[18:19]
	s_cbranch_execnz .LBB123_48
; %bb.49:                               ;   in Loop: Header=BB123_29 Depth=1
	s_or_b64 exec, exec, s[18:19]
	v_mov_b32_e32 v3, v37
.LBB123_50:                             ;   in Loop: Header=BB123_29 Depth=1
	s_or_b64 exec, exec, s[14:15]
	v_lshlrev_b32_e32 v1, 2, v2
	s_waitcnt vmcnt(0)
	ds_write_b32 v1, v3
.LBB123_51:                             ;   in Loop: Header=BB123_29 Depth=1
	s_or_b64 exec, exec, s[6:7]
	s_waitcnt lgkmcnt(0)
	s_barrier
	s_mov_b64 s[6:7], exec
	v_readlane_b32 s2, v48, 8
	v_readlane_b32 s3, v48, 9
	s_and_b64 s[2:3], s[6:7], s[2:3]
	s_mov_b64 exec, s[2:3]
; %bb.52:                               ;   in Loop: Header=BB123_29 Depth=1
	v_mov_b32_e32 v1, s56
	ds_write_b32 v7, v1 offset:4104
; %bb.53:                               ;   in Loop: Header=BB123_29 Depth=1
	s_or_b64 exec, exec, s[6:7]
	s_mov_b64 s[6:7], -1
	s_waitcnt lgkmcnt(0)
	s_barrier
.LBB123_54:                             ;   in Loop: Header=BB123_29 Depth=1
	s_mov_b32 s13, 0
	s_and_b64 vcc, exec, s[6:7]
	s_cbranch_vccz .LBB123_56
; %bb.55:                               ;   in Loop: Header=BB123_29 Depth=1
	ds_read_b32 v1, v7 offset:4104
	s_waitcnt lgkmcnt(0)
	v_readfirstlane_b32 s13, v1
.LBB123_56:                             ;   in Loop: Header=BB123_29 Depth=1
	s_cmp_lt_i32 s13, 1
	s_mov_b64 s[6:7], -1
                                        ; implicit-def: $vgpr1
	s_cbranch_scc1 .LBB123_66
; %bb.57:                               ;   in Loop: Header=BB123_29 Depth=1
	s_and_b64 vcc, exec, s[6:7]
	s_cbranch_vccnz .LBB123_77
.LBB123_58:                             ;   in Loop: Header=BB123_29 Depth=1
	s_lshl_b32 s2, s78, 6
	s_and_saveexec_b64 s[6:7], s[4:5]
.LBB123_59:                             ;   in Loop: Header=BB123_29 Depth=1
	v_lshl_add_u32 v6, s2, 2, v22
	ds_write_b128 v6, v[1:4]
.LBB123_60:                             ;   in Loop: Header=BB123_29 Depth=1
	s_or_b64 exec, exec, s[6:7]
	s_waitcnt lgkmcnt(0)
	s_barrier
	s_and_saveexec_b64 s[6:7], s[68:69]
	s_cbranch_execz .LBB123_91
; %bb.61:                               ;   in Loop: Header=BB123_29 Depth=1
	s_andn2_b64 vcc, exec, s[72:73]
	v_mov_b32_e32 v1, 0
	s_cbranch_vccnz .LBB123_90
; %bb.62:                               ;   in Loop: Header=BB123_29 Depth=1
	v_readlane_b32 s14, v48, 15
	v_readlane_b32 s15, v48, 16
	s_andn2_b64 vcc, exec, s[14:15]
	s_cbranch_vccnz .LBB123_86
; %bb.63:                               ;   in Loop: Header=BB123_29 Depth=1
	v_lshl_add_u32 v2, s78, 8, v31
	s_mov_b32 s3, 0
	v_mov_b32_e32 v1, 0
.LBB123_64:                             ;   Parent Loop BB123_29 Depth=1
                                        ; =>  This Inner Loop Header: Depth=2
	ds_read2_b32 v[3:4], v2 offset1:4
	ds_read2_b32 v[36:37], v2 offset0:8 offset1:12
	ds_read2_b32 v[38:39], v2 offset0:16 offset1:20
	;; [unrolled: 1-line block ×3, first 2 shown]
	s_add_i32 s3, s3, 8
	s_waitcnt lgkmcnt(3)
	v_add3_u32 v1, v3, v1, v4
	s_waitcnt lgkmcnt(2)
	v_add3_u32 v1, v36, v1, v37
	;; [unrolled: 2-line block ×3, first 2 shown]
	v_add_u32_e32 v2, 0x80, v2
	s_cmp_eq_u32 s75, s3
	s_waitcnt lgkmcnt(0)
	v_add3_u32 v1, v40, v1, v41
	s_cbranch_scc0 .LBB123_64
; %bb.65:                               ;   in Loop: Header=BB123_29 Depth=1
	s_mov_b32 s3, s75
	s_branch .LBB123_87
.LBB123_66:                             ;   in Loop: Header=BB123_29 Depth=1
	v_mov_b32_e32 v1, 0
	v_mov_b32_e32 v2, 0
	v_mov_b32_e32 v3, 0
	v_mov_b32_e32 v4, 0
	s_and_saveexec_b64 s[44:45], s[8:9]
	s_cbranch_execz .LBB123_70
; %bb.67:                               ;   in Loop: Header=BB123_29 Depth=1
	s_mov_b32 s48, 0
	s_mov_b64 s[46:47], 0
	s_mov_b32 s49, 0
	s_mov_b32 s50, 0
	;; [unrolled: 1-line block ×4, first 2 shown]
	v_mov_b32_e32 v13, v15
.LBB123_68:                             ;   Parent Loop BB123_29 Depth=1
                                        ; =>  This Inner Loop Header: Depth=2
	v_add_u32_e32 v6, s48, v28
	v_lshlrev_b64 v[2:3], 2, v[6:7]
	v_add_u32_e32 v6, s48, v24
	v_mov_b32_e32 v1, s60
	v_lshlrev_b64 v[36:37], 2, v[6:7]
	v_add_co_u32_e64 v2, s[6:7], s62, v2
	v_add_u32_e32 v6, s48, v26
	v_addc_co_u32_e64 v3, s[6:7], v1, v3, s[6:7]
	v_lshlrev_b64 v[38:39], 2, v[6:7]
	global_load_dword v4, v[2:3], off
	v_add_co_u32_e64 v2, s[6:7], s62, v36
	v_add_u32_e32 v6, s48, v27
	v_addc_co_u32_e64 v3, s[6:7], v1, v37, s[6:7]
	v_lshlrev_b64 v[40:41], 2, v[6:7]
	global_load_dword v6, v[2:3], off
	v_add_co_u32_e64 v2, s[6:7], s62, v38
	v_addc_co_u32_e64 v3, s[6:7], v1, v39, s[6:7]
	global_load_dword v36, v[2:3], off
	v_add_co_u32_e64 v2, s[6:7], s62, v40
	v_addc_co_u32_e64 v3, s[6:7], v1, v41, s[6:7]
	global_load_dword v1, v[2:3], off
	v_add_u32_e32 v13, s67, v13
	v_cmp_le_u32_e32 vcc, s77, v13
	s_add_i32 s48, s48, s1
	s_waitcnt vmcnt(3)
	v_cmp_lt_i32_e64 s[6:7], -1, v4
	v_cndmask_b32_e64 v2, -1, v32, s[6:7]
	v_xor_b32_e32 v2, v2, v4
	s_waitcnt vmcnt(2)
	v_cmp_lt_i32_e64 s[6:7], -1, v6
	v_cndmask_b32_e64 v3, -1, v32, s[6:7]
	v_cmp_o_f32_e64 s[6:7], v4, v4
	v_cndmask_b32_e64 v2, -1, v2, s[6:7]
	v_xor_b32_e32 v3, v3, v6
	s_waitcnt vmcnt(1)
	v_cmp_lt_i32_e64 s[6:7], -1, v36
	v_cndmask_b32_e64 v4, -1, v32, s[6:7]
	v_cmp_o_f32_e64 s[6:7], v6, v6
	v_cndmask_b32_e64 v3, -1, v3, s[6:7]
	v_xor_b32_e32 v4, v4, v36
	s_waitcnt vmcnt(0)
	v_cmp_lt_i32_e64 s[6:7], -1, v1
	v_cndmask_b32_e64 v6, -1, v32, s[6:7]
	v_and_b32_e32 v37, v2, v34
	v_bfe_u32 v2, v2, v33, 2
	v_cmp_o_f32_e64 s[6:7], v36, v36
	v_cndmask_b32_e64 v4, -1, v4, s[6:7]
	v_cmp_eq_u32_e64 s[6:7], v37, v25
	v_cmp_eq_u32_e64 s[14:15], 0, v2
	v_and_b32_e32 v36, v3, v34
	v_bfe_u32 v3, v3, v33, 2
	v_cmp_eq_u32_e64 s[18:19], 1, v2
	s_and_b64 s[2:3], s[6:7], s[14:15]
	v_xor_b32_e32 v6, v6, v1
	v_cmp_eq_u32_e64 s[20:21], 2, v2
	v_cmp_o_f32_e64 s[24:25], v1, v1
	v_cmp_eq_u32_e64 s[26:27], 0, v3
	v_cmp_eq_u32_e64 s[28:29], 1, v3
	;; [unrolled: 1-line block ×4, first 2 shown]
	v_cndmask_b32_e64 v3, 0, 1, s[2:3]
	s_and_b64 s[2:3], s[6:7], s[18:19]
	v_cmp_eq_u32_e64 s[22:23], 3, v2
	v_cndmask_b32_e64 v1, -1, v6, s[24:25]
	v_cndmask_b32_e64 v6, 0, 1, s[2:3]
	s_and_b64 s[2:3], s[6:7], s[20:21]
	v_cmp_eq_u32_e64 s[24:25], v36, v25
	v_cndmask_b32_e64 v36, 0, 1, s[2:3]
	s_and_b64 s[2:3], s[6:7], s[22:23]
	v_cndmask_b32_e64 v37, 0, 1, s[2:3]
	s_and_b64 s[2:3], s[24:25], s[26:27]
	v_and_b32_e32 v2, v4, v34
	v_bfe_u32 v4, v4, v33, 2
	v_cmp_ne_u32_e64 s[36:37], 0, v3
	v_cndmask_b32_e64 v3, 0, 1, s[2:3]
	s_and_b64 s[2:3], s[24:25], s[28:29]
	v_cmp_eq_u32_e64 s[14:15], 0, v4
	v_cmp_eq_u32_e64 s[18:19], 1, v4
	;; [unrolled: 1-line block ×4, first 2 shown]
	v_cndmask_b32_e64 v4, 0, 1, s[2:3]
	s_and_b64 s[2:3], s[24:25], s[30:31]
	v_cmp_eq_u32_e64 s[6:7], v2, v25
	v_cmp_ne_u32_e64 s[26:27], 0, v6
	v_cndmask_b32_e64 v6, 0, 1, s[2:3]
	s_and_b64 s[2:3], s[24:25], s[34:35]
	v_and_b32_e32 v2, v1, v34
	v_bfe_u32 v1, v1, v33, 2
	v_cmp_ne_u32_e64 s[28:29], 0, v36
	v_cndmask_b32_e64 v36, 0, 1, s[2:3]
	s_and_b64 s[2:3], s[6:7], s[14:15]
	v_cmp_eq_u32_e64 s[34:35], 0, v1
	v_cmp_eq_u32_e64 s[38:39], 1, v1
	;; [unrolled: 1-line block ×4, first 2 shown]
	v_cndmask_b32_e64 v1, 0, 1, s[2:3]
	s_and_b64 s[2:3], s[6:7], s[18:19]
	v_cmp_eq_u32_e64 s[24:25], v2, v25
	v_cndmask_b32_e64 v2, 0, 1, s[2:3]
	s_and_b64 s[2:3], s[6:7], s[20:21]
	s_bcnt1_i32_b64 s53, s[36:37]
	v_cmp_ne_u32_e64 s[36:37], 0, v3
	v_cndmask_b32_e64 v3, 0, 1, s[2:3]
	s_and_b64 s[2:3], s[6:7], s[22:23]
	v_cmp_ne_u32_e64 s[14:15], 0, v4
	v_cndmask_b32_e64 v4, 0, 1, s[2:3]
	s_and_b64 s[2:3], s[24:25], s[34:35]
	;; [unrolled: 3-line block ×3, first 2 shown]
	v_cmp_ne_u32_e64 s[30:31], 0, v37
	s_bcnt1_i32_b64 s26, s[26:27]
	s_bcnt1_i32_b64 s27, s[28:29]
	v_cmp_ne_u32_e64 s[18:19], 0, v6
	s_bcnt1_i32_b64 s29, s[14:15]
	v_cmp_ne_u32_e64 s[14:15], 0, v2
	v_cndmask_b32_e64 v2, 0, 1, s[2:3]
	s_and_b64 s[2:3], s[24:25], s[40:41]
	s_bcnt1_i32_b64 s28, s[30:31]
	v_cmp_ne_u32_e64 s[20:21], 0, v36
	s_bcnt1_i32_b64 s30, s[18:19]
	v_cmp_ne_u32_e64 s[18:19], 0, v3
	v_cndmask_b32_e64 v3, 0, 1, s[2:3]
	s_and_b64 s[2:3], s[24:25], s[42:43]
	s_bcnt1_i32_b64 s22, s[36:37]
	s_add_i32 s23, s52, s53
	s_add_i32 s26, s51, s26
	;; [unrolled: 1-line block ×3, first 2 shown]
	s_bcnt1_i32_b64 s31, s[20:21]
	v_cmp_ne_u32_e64 s[20:21], 0, v4
	v_cndmask_b32_e64 v4, 0, 1, s[2:3]
	s_add_i32 s2, s49, s28
	s_bcnt1_i32_b64 s3, s[6:7]
	v_cmp_ne_u32_e64 s[6:7], 0, v1
	s_add_i32 s22, s23, s22
	s_bcnt1_i32_b64 s23, s[14:15]
	v_cmp_ne_u32_e64 s[14:15], 0, v2
	;; [unrolled: 3-line block ×4, first 2 shown]
	s_add_i32 s2, s2, s31
	s_bcnt1_i32_b64 s6, s[6:7]
	s_add_i32 s3, s22, s3
	s_bcnt1_i32_b64 s7, s[14:15]
	s_add_i32 s14, s24, s23
	s_bcnt1_i32_b64 s15, s[18:19]
	s_add_i32 s18, s26, s25
	s_bcnt1_i32_b64 s19, s[20:21]
	s_add_i32 s2, s2, s27
	s_add_i32 s52, s3, s6
	;; [unrolled: 1-line block ×5, first 2 shown]
	s_or_b64 s[46:47], vcc, s[46:47]
	v_mov_b32_e32 v1, s52
	v_mov_b32_e32 v2, s51
	;; [unrolled: 1-line block ×4, first 2 shown]
	s_andn2_b64 exec, exec, s[46:47]
	s_cbranch_execnz .LBB123_68
; %bb.69:                               ;   in Loop: Header=BB123_29 Depth=1
	s_or_b64 exec, exec, s[46:47]
.LBB123_70:                             ;   in Loop: Header=BB123_29 Depth=1
	s_or_b64 exec, exec, s[44:45]
	s_and_saveexec_b64 s[14:15], s[10:11]
	s_cbranch_execz .LBB123_76
; %bb.71:                               ;   in Loop: Header=BB123_29 Depth=1
	global_load_dword v36, v[10:11], off
	s_mov_b64 s[18:19], 0
	v_mov_b32_e32 v6, v29
	v_mov_b32_e32 v13, v23
	s_branch .LBB123_73
.LBB123_72:                             ;   in Loop: Header=BB123_73 Depth=2
	s_or_b64 exec, exec, s[20:21]
	s_and_b64 s[2:3], exec, vcc
	s_waitcnt vmcnt(0)
	v_cmp_lt_i32_e32 vcc, -1, v36
	v_cndmask_b32_e32 v38, -1, v32, vcc
	v_xor_b32_e32 v38, v38, v36
	v_cmp_o_f32_e32 vcc, v36, v36
	v_cndmask_b32_e32 v36, -1, v38, vcc
	v_and_b32_e32 v38, v36, v34
	v_bfe_u32 v36, v36, v33, 2
	s_or_b64 s[18:19], s[2:3], s[18:19]
	v_cmp_eq_u32_e32 vcc, v38, v25
	v_cmp_eq_u32_e64 s[6:7], 0, v36
	s_and_b64 s[2:3], vcc, s[6:7]
	v_cndmask_b32_e64 v38, 0, 1, s[2:3]
	v_cmp_ne_u32_e64 s[6:7], 0, v38
	s_bcnt1_i32_b64 s2, s[6:7]
	v_cmp_eq_u32_e64 s[6:7], 1, v36
	v_add_u32_e32 v1, s2, v1
	s_and_b64 s[2:3], vcc, s[6:7]
	v_cndmask_b32_e64 v38, 0, 1, s[2:3]
	v_cmp_ne_u32_e64 s[6:7], 0, v38
	s_bcnt1_i32_b64 s2, s[6:7]
	v_cmp_eq_u32_e64 s[6:7], 2, v36
	v_add_u32_e32 v2, s2, v2
	;; [unrolled: 6-line block ×3, first 2 shown]
	s_and_b64 s[2:3], vcc, s[6:7]
	v_cndmask_b32_e64 v36, 0, 1, s[2:3]
	v_cmp_ne_u32_e32 vcc, 0, v36
	s_bcnt1_i32_b64 s2, vcc
	v_add_u32_e32 v4, s2, v4
	v_add_u32_e32 v6, s66, v6
	v_mov_b32_e32 v36, v37
	s_andn2_b64 exec, exec, s[18:19]
	s_cbranch_execz .LBB123_75
.LBB123_73:                             ;   Parent Loop BB123_29 Depth=1
                                        ; =>  This Inner Loop Header: Depth=2
	v_add_u32_e32 v13, s59, v13
	v_cmp_gt_u32_e64 s[6:7], s56, v13
	v_cmp_le_u32_e32 vcc, s56, v13
	v_mov_b32_e32 v37, 0
	s_and_saveexec_b64 s[20:21], s[6:7]
	s_cbranch_execz .LBB123_72
; %bb.74:                               ;   in Loop: Header=BB123_73 Depth=2
	v_lshlrev_b64 v[37:38], 2, v[6:7]
	v_mov_b32_e32 v39, s60
	v_add_co_u32_e64 v37, s[6:7], s62, v37
	v_addc_co_u32_e64 v38, s[6:7], v39, v38, s[6:7]
	global_load_dword v37, v[37:38], off
	s_branch .LBB123_72
.LBB123_75:                             ;   in Loop: Header=BB123_29 Depth=1
	s_or_b64 exec, exec, s[18:19]
.LBB123_76:                             ;   in Loop: Header=BB123_29 Depth=1
	s_or_b64 exec, exec, s[14:15]
	s_branch .LBB123_58
.LBB123_77:                             ;   in Loop: Header=BB123_29 Depth=1
	s_mul_hi_u32 s2, s13, s76
	s_mul_i32 s2, s2, s67
	s_sub_i32 s2, s13, s2
	s_sub_i32 s3, s2, s67
	s_cmp_ge_u32 s2, s67
	s_cselect_b32 s2, s3, s2
	s_sub_i32 s3, s2, s67
	s_cmp_ge_u32 s2, s67
	s_cselect_b32 s2, s3, s2
	s_sub_i32 s70, s13, s2
	v_cmp_gt_u32_e32 vcc, s70, v15
	v_mov_b32_e32 v1, 0
	v_mov_b32_e32 v2, 0
	;; [unrolled: 1-line block ×4, first 2 shown]
	s_and_saveexec_b64 s[94:95], vcc
	s_cbranch_execz .LBB123_81
; %bb.78:                               ;   in Loop: Header=BB123_29 Depth=1
	s_mov_b32 s71, 0
	s_mov_b64 s[64:65], 0
	v_mov_b32_e32 v6, v30
	s_mov_b32 s2, 0
	s_mov_b32 s3, 0
	;; [unrolled: 1-line block ×3, first 2 shown]
	v_mov_b32_e32 v13, v15
.LBB123_79:                             ;   Parent Loop BB123_29 Depth=1
                                        ; =>  This Inner Loop Header: Depth=2
	ds_read_b128 v[1:4], v6
	v_add_u32_e32 v13, s67, v13
	v_cmp_le_u32_e32 vcc, s70, v13
	v_add_u32_e32 v6, s12, v6
	s_waitcnt lgkmcnt(0)
	v_cmp_lt_i32_e64 s[6:7], -1, v1
	v_cndmask_b32_e64 v36, -1, v32, s[6:7]
	v_cmp_lt_i32_e64 s[6:7], -1, v2
	v_cndmask_b32_e64 v37, -1, v32, s[6:7]
	;; [unrolled: 2-line block ×4, first 2 shown]
	v_xor_b32_e32 v37, v37, v2
	v_cmp_o_f32_e64 s[6:7], v2, v2
	v_xor_b32_e32 v2, v38, v3
	v_cmp_o_f32_e64 s[14:15], v3, v3
	;; [unrolled: 2-line block ×4, first 2 shown]
	v_cndmask_b32_e64 v1, -1, v4, s[20:21]
	v_cndmask_b32_e64 v4, -1, v37, s[6:7]
	v_and_b32_e32 v36, v1, v34
	v_bfe_u32 v1, v1, v33, 2
	v_cndmask_b32_e64 v2, -1, v2, s[14:15]
	v_and_b32_e32 v37, v4, v34
	v_bfe_u32 v4, v4, v33, 2
	v_cmp_eq_u32_e64 s[6:7], v36, v25
	v_cmp_eq_u32_e64 s[22:23], 0, v1
	v_cndmask_b32_e64 v3, -1, v3, s[18:19]
	v_and_b32_e32 v38, v2, v34
	v_bfe_u32 v2, v2, v33, 2
	v_cmp_eq_u32_e64 s[14:15], v37, v25
	v_cmp_eq_u32_e64 s[24:25], 0, v4
	s_and_b64 s[22:23], s[6:7], s[22:23]
	v_and_b32_e32 v39, v3, v34
	v_bfe_u32 v3, v3, v33, 2
	v_cmp_eq_u32_e64 s[18:19], v38, v25
	v_cmp_eq_u32_e64 s[26:27], 0, v2
	;; [unrolled: 1-line block ×5, first 2 shown]
	v_cndmask_b32_e64 v1, 0, 1, s[22:23]
	s_and_b64 s[22:23], s[14:15], s[24:25]
	v_cmp_eq_u32_e64 s[20:21], v39, v25
	v_cmp_eq_u32_e64 s[28:29], 0, v3
	;; [unrolled: 1-line block ×5, first 2 shown]
	v_cndmask_b32_e64 v2, 0, 1, s[22:23]
	s_and_b64 s[22:23], s[18:19], s[26:27]
	v_cmp_eq_u32_e64 s[38:39], 1, v3
	v_cmp_eq_u32_e64 s[46:47], 2, v3
	;; [unrolled: 1-line block ×3, first 2 shown]
	v_cndmask_b32_e64 v3, 0, 1, s[22:23]
	s_and_b64 s[22:23], s[20:21], s[28:29]
	v_cmp_eq_u32_e64 s[34:35], 1, v4
	v_cmp_eq_u32_e64 s[42:43], 2, v4
	;; [unrolled: 1-line block ×3, first 2 shown]
	v_cndmask_b32_e64 v4, 0, 1, s[22:23]
	s_and_b64 s[22:23], s[6:7], s[30:31]
	v_cndmask_b32_e64 v36, 0, 1, s[22:23]
	s_and_b64 s[22:23], s[14:15], s[34:35]
	;; [unrolled: 2-line block ×5, first 2 shown]
	s_and_b64 s[6:7], s[6:7], s[48:49]
	v_cndmask_b32_e64 v40, 0, 1, s[22:23]
	s_and_b64 s[22:23], s[14:15], s[42:43]
	v_cndmask_b32_e64 v44, 0, 1, s[6:7]
	;; [unrolled: 2-line block ×7, first 2 shown]
	v_cndmask_b32_e64 v47, 0, 1, s[6:7]
	v_cmp_ne_u32_e64 s[6:7], 0, v1
	v_cmp_ne_u32_e64 s[14:15], 0, v2
	;; [unrolled: 1-line block ×11, first 2 shown]
	s_bcnt1_i32_b64 s6, s[6:7]
	s_bcnt1_i32_b64 s7, s[14:15]
	;; [unrolled: 1-line block ×8, first 2 shown]
	v_cmp_ne_u32_e64 s[28:29], 0, v39
	v_cmp_ne_u32_e64 s[36:37], 0, v42
	;; [unrolled: 1-line block ×3, first 2 shown]
	s_bcnt1_i32_b64 s19, s[24:25]
	s_bcnt1_i32_b64 s23, s[34:35]
	;; [unrolled: 1-line block ×3, first 2 shown]
	s_add_i32 s6, s74, s6
	s_add_i32 s3, s3, s18
	s_add_i32 s2, s2, s22
	s_add_i32 s18, s71, s26
	v_cmp_ne_u32_e64 s[38:39], 0, v43
	v_cmp_ne_u32_e64 s[46:47], 0, v47
	s_bcnt1_i32_b64 s21, s[28:29]
	s_bcnt1_i32_b64 s24, s[36:37]
	s_bcnt1_i32_b64 s28, s[44:45]
	s_add_i32 s6, s6, s7
	s_add_i32 s3, s3, s19
	;; [unrolled: 1-line block ×4, first 2 shown]
	s_bcnt1_i32_b64 s25, s[38:39]
	s_bcnt1_i32_b64 s29, s[46:47]
	s_add_i32 s6, s6, s14
	s_add_i32 s3, s3, s20
	;; [unrolled: 1-line block ×8, first 2 shown]
	s_or_b64 s[64:65], vcc, s[64:65]
	v_mov_b32_e32 v1, s74
	v_mov_b32_e32 v2, s3
	;; [unrolled: 1-line block ×4, first 2 shown]
	s_andn2_b64 exec, exec, s[64:65]
	s_cbranch_execnz .LBB123_79
; %bb.80:                               ;   in Loop: Header=BB123_29 Depth=1
	s_or_b64 exec, exec, s[64:65]
.LBB123_81:                             ;   in Loop: Header=BB123_29 Depth=1
	s_or_b64 exec, exec, s[94:95]
	v_add_u32_e32 v6, s70, v0
	v_cmp_gt_u32_e32 vcc, s13, v6
	s_and_saveexec_b64 s[24:25], vcc
	s_cbranch_execz .LBB123_85
; %bb.82:                               ;   in Loop: Header=BB123_29 Depth=1
	v_lshlrev_b32_e32 v13, 2, v6
	s_mov_b64 s[26:27], 0
.LBB123_83:                             ;   Parent Loop BB123_29 Depth=1
                                        ; =>  This Inner Loop Header: Depth=2
	ds_read_b32 v36, v13
	v_add_u32_e32 v6, s59, v6
	v_cmp_le_u32_e32 vcc, s13, v6
	v_add_u32_e32 v13, s67, v13
	s_waitcnt lgkmcnt(0)
	v_cmp_lt_i32_e64 s[6:7], -1, v36
	v_cndmask_b32_e64 v37, -1, v32, s[6:7]
	v_xor_b32_e32 v37, v37, v36
	v_cmp_o_f32_e64 s[6:7], v36, v36
	v_cndmask_b32_e64 v36, -1, v37, s[6:7]
	v_and_b32_e32 v37, v36, v34
	v_bfe_u32 v36, v36, v33, 2
	v_cmp_eq_u32_e64 s[6:7], v37, v25
	v_cmp_eq_u32_e64 s[14:15], 0, v36
	;; [unrolled: 1-line block ×3, first 2 shown]
	s_and_b64 s[2:3], s[6:7], s[14:15]
	v_cmp_eq_u32_e64 s[20:21], 2, v36
	v_cmp_eq_u32_e64 s[22:23], 3, v36
	v_cndmask_b32_e64 v36, 0, 1, s[2:3]
	s_and_b64 s[2:3], s[6:7], s[18:19]
	v_cndmask_b32_e64 v37, 0, 1, s[2:3]
	s_and_b64 s[2:3], s[6:7], s[20:21]
	;; [unrolled: 2-line block ×3, first 2 shown]
	v_cndmask_b32_e64 v39, 0, 1, s[2:3]
	v_cmp_ne_u32_e64 s[6:7], 0, v36
	v_cmp_ne_u32_e64 s[14:15], 0, v37
	;; [unrolled: 1-line block ×4, first 2 shown]
	s_bcnt1_i32_b64 s2, s[6:7]
	s_bcnt1_i32_b64 s3, s[14:15]
	;; [unrolled: 1-line block ×4, first 2 shown]
	v_add_u32_e32 v1, s2, v1
	v_add_u32_e32 v2, s3, v2
	;; [unrolled: 1-line block ×3, first 2 shown]
	s_or_b64 s[26:27], vcc, s[26:27]
	v_add_u32_e32 v4, s7, v4
	s_andn2_b64 exec, exec, s[26:27]
	s_cbranch_execnz .LBB123_83
; %bb.84:                               ;   in Loop: Header=BB123_29 Depth=1
	s_or_b64 exec, exec, s[26:27]
.LBB123_85:                             ;   in Loop: Header=BB123_29 Depth=1
	s_or_b64 exec, exec, s[24:25]
	s_lshl_b32 s2, s78, 6
	s_and_saveexec_b64 s[6:7], s[4:5]
	s_cbranch_execnz .LBB123_59
	s_branch .LBB123_60
.LBB123_86:                             ;   in Loop: Header=BB123_29 Depth=1
	v_mov_b32_e32 v1, 0
	s_mov_b32 s3, 0
.LBB123_87:                             ;   in Loop: Header=BB123_29 Depth=1
	v_readlane_b32 s14, v48, 18
	v_readlane_b32 s15, v48, 19
	s_andn2_b64 vcc, exec, s[14:15]
	s_cbranch_vccnz .LBB123_90
; %bb.88:                               ;   in Loop: Header=BB123_29 Depth=1
	s_lshl_b32 s13, s78, 8
	s_lshl_b32 s3, s3, 4
	s_add_i32 s13, s13, s3
	v_add_u32_e32 v2, s13, v31
	v_readlane_b32 s3, v48, 17
.LBB123_89:                             ;   Parent Loop BB123_29 Depth=1
                                        ; =>  This Inner Loop Header: Depth=2
	ds_read_b32 v3, v2
	s_add_i32 s3, s3, -1
	v_add_u32_e32 v2, 16, v2
	s_cmp_lg_u32 s3, 0
	s_waitcnt lgkmcnt(0)
	v_add_u32_e32 v1, v3, v1
	s_cbranch_scc1 .LBB123_89
.LBB123_90:                             ;   in Loop: Header=BB123_29 Depth=1
	v_add_lshl_u32 v2, s2, v16, 2
	ds_write_b32 v2, v1 offset:3072
.LBB123_91:                             ;   in Loop: Header=BB123_29 Depth=1
	s_or_b64 exec, exec, s[6:7]
	s_lshl_b32 s2, s2, 2
	v_mov_b32_e32 v1, s2
	s_waitcnt lgkmcnt(0)
	s_barrier
	ds_read_b128 v[1:4], v1 offset:3072
	v_cmp_eq_u32_e32 vcc, 1, v35
	s_mov_b64 s[14:15], -1
	s_mov_b64 s[24:25], -1
                                        ; implicit-def: $sgpr22_sgpr23
                                        ; implicit-def: $sgpr20_sgpr21
	s_waitcnt lgkmcnt(0)
	v_readfirstlane_b32 s38, v1
	s_cmp_eq_u32 s38, 1
	v_lshlrev_b32_e64 v1, v33, 3
	s_cselect_b64 s[2:3], -1, 0
	v_readfirstlane_b32 s42, v2
	v_readfirstlane_b32 s50, v3
	;; [unrolled: 1-line block ×3, first 2 shown]
	v_not_b32_e32 v3, v1
	s_and_b64 s[18:19], s[2:3], vcc
	s_and_saveexec_b64 s[6:7], s[18:19]
	s_cbranch_execz .LBB123_119
; %bb.92:                               ;   in Loop: Header=BB123_29 Depth=1
	ds_read_b32 v2, v7 offset:4104
	s_waitcnt lgkmcnt(0)
	s_barrier
	v_readfirstlane_b32 s2, v2
	s_and_saveexec_b64 s[20:21], s[16:17]
; %bb.93:                               ;   in Loop: Header=BB123_29 Depth=1
	ds_write_b32 v17, v7
; %bb.94:                               ;   in Loop: Header=BB123_29 Depth=1
	s_or_b64 exec, exec, s[20:21]
	v_and_b32_e32 v25, v25, v3
	v_or_b32_e32 v34, v34, v1
	s_mov_b64 s[20:21], -1
	s_mov_b64 s[22:23], 0
	s_cmp_eq_u32 s2, 0
	s_mov_b64 s[24:25], 0
	s_mov_b64 s[26:27], -1
	s_waitcnt lgkmcnt(0)
	s_barrier
                                        ; implicit-def: $vgpr14
	s_cbranch_scc1 .LBB123_106
; %bb.95:                               ;   in Loop: Header=BB123_29 Depth=1
	v_readlane_b32 s3, v48, 10
	s_add_i32 s3, s2, s3
	s_mul_hi_u32 s24, s3, s79
	s_mul_i32 s24, s24, s59
	s_sub_i32 s24, s3, s24
	s_sub_i32 s25, s24, s59
	s_cmp_ge_u32 s24, s59
	s_cselect_b32 s24, s25, s24
	s_sub_i32 s25, s24, s59
	s_cmp_ge_u32 s24, s59
	s_cselect_b32 s24, s25, s24
	s_sub_i32 s3, s3, s24
	v_cmp_gt_u32_e32 vcc, s3, v0
	s_mov_b64 s[26:27], 0
	s_mov_b64 s[24:25], 0
                                        ; implicit-def: $vgpr14
	s_and_saveexec_b64 s[28:29], vcc
	s_cbranch_execz .LBB123_105
; %bb.96:                               ;   in Loop: Header=BB123_29 Depth=1
	v_mov_b32_e32 v2, v15
	v_mov_b32_e32 v4, v0
                                        ; implicit-def: $sgpr30_sgpr31
	s_branch .LBB123_100
.LBB123_97:                             ;   in Loop: Header=BB123_100 Depth=2
	s_or_b64 exec, exec, s[34:35]
	s_waitcnt lgkmcnt(0)
	s_barrier
	ds_read_b64 v[13:14], v7 offset:3072
	s_waitcnt lgkmcnt(0)
	s_barrier
	v_cmp_neq_f32_e32 vcc, 0, v13
	s_cbranch_vccnz .LBB123_103
; %bb.98:                               ;   in Loop: Header=BB123_100 Depth=2
	v_add_u32_e32 v4, s59, v4
	v_cmp_le_u32_e32 vcc, s3, v4
	v_add_u32_e32 v2, s67, v2
	s_mov_b64 s[34:35], 0
	s_orn2_b64 s[36:37], vcc, exec
.LBB123_99:                             ;   in Loop: Header=BB123_100 Depth=2
	s_and_b64 s[36:37], exec, s[36:37]
	s_or_b64 s[24:25], s[36:37], s[24:25]
	s_andn2_b64 s[30:31], s[30:31], exec
	s_and_b64 s[34:35], s[34:35], exec
	s_or_b64 s[30:31], s[30:31], s[34:35]
	s_andn2_b64 exec, exec, s[24:25]
	s_cbranch_execz .LBB123_104
.LBB123_100:                            ;   Parent Loop BB123_29 Depth=1
                                        ; =>  This Inner Loop Header: Depth=2
	v_cmp_gt_u32_e32 vcc, s2, v4
	s_and_saveexec_b64 s[34:35], vcc
	s_cbranch_execz .LBB123_97
; %bb.101:                              ;   in Loop: Header=BB123_100 Depth=2
	ds_read_b32 v13, v2
	s_waitcnt lgkmcnt(0)
	v_cmp_lt_i32_e32 vcc, -1, v13
	v_cndmask_b32_e32 v6, -1, v32, vcc
	v_xor_b32_e32 v6, v6, v13
	v_cmp_o_f32_e32 vcc, v13, v13
	v_cndmask_b32_e32 v6, -1, v6, vcc
	v_and_b32_e32 v6, v6, v34
	v_cmp_eq_u32_e32 vcc, v6, v25
	s_and_b64 exec, exec, vcc
	s_cbranch_execz .LBB123_97
; %bb.102:                              ;   in Loop: Header=BB123_100 Depth=2
	ds_write_b64 v7, v[12:13] offset:3072
	s_branch .LBB123_97
.LBB123_103:                            ;   in Loop: Header=BB123_100 Depth=2
	s_mov_b64 s[36:37], -1
                                        ; implicit-def: $vgpr4
                                        ; implicit-def: $vgpr2
	s_mov_b64 s[34:35], -1
	s_branch .LBB123_99
.LBB123_104:                            ;   in Loop: Header=BB123_29 Depth=1
	s_or_b64 exec, exec, s[24:25]
	s_and_b64 s[24:25], s[30:31], exec
.LBB123_105:                            ;   in Loop: Header=BB123_29 Depth=1
	s_or_b64 exec, exec, s[28:29]
.LBB123_106:                            ;   in Loop: Header=BB123_29 Depth=1
	s_and_b64 vcc, exec, s[26:27]
	s_cbranch_vccz .LBB123_118
; %bb.107:                              ;   in Loop: Header=BB123_29 Depth=1
                                        ; implicit-def: $vgpr14
	s_mov_b64 s[20:21], exec
	v_readlane_b32 s2, v48, 20
	v_readlane_b32 s3, v48, 21
	s_and_b64 s[2:3], s[20:21], s[2:3]
	s_mov_b64 exec, s[2:3]
	s_cbranch_execz .LBB123_117
; %bb.108:                              ;   in Loop: Header=BB123_29 Depth=1
	s_mov_b64 s[22:23], 0
	v_mov_b32_e32 v6, v5
	v_mov_b32_e32 v2, v0
                                        ; implicit-def: $sgpr26_sgpr27
	s_branch .LBB123_112
.LBB123_109:                            ;   in Loop: Header=BB123_112 Depth=2
	s_or_b64 exec, exec, s[28:29]
	s_waitcnt lgkmcnt(0)
	s_barrier
	ds_read_b64 v[13:14], v7 offset:3072
	s_waitcnt lgkmcnt(0)
	s_barrier
	v_cmp_neq_f32_e32 vcc, 0, v13
	s_cbranch_vccnz .LBB123_115
; %bb.110:                              ;   in Loop: Header=BB123_112 Depth=2
	v_add_u32_e32 v2, s59, v2
	v_cmp_le_u32_e32 vcc, s0, v2
	v_add_u32_e32 v6, s66, v6
	s_mov_b64 s[28:29], 0
	s_orn2_b64 s[30:31], vcc, exec
.LBB123_111:                            ;   in Loop: Header=BB123_112 Depth=2
	s_and_b64 s[2:3], exec, s[30:31]
	s_or_b64 s[22:23], s[2:3], s[22:23]
	s_andn2_b64 s[2:3], s[26:27], exec
	s_and_b64 s[26:27], s[28:29], exec
	s_or_b64 s[26:27], s[2:3], s[26:27]
	s_andn2_b64 exec, exec, s[22:23]
	s_cbranch_execz .LBB123_116
.LBB123_112:                            ;   Parent Loop BB123_29 Depth=1
                                        ; =>  This Inner Loop Header: Depth=2
	v_cmp_gt_u32_e32 vcc, s56, v2
	s_and_saveexec_b64 s[28:29], vcc
	s_cbranch_execz .LBB123_109
; %bb.113:                              ;   in Loop: Header=BB123_112 Depth=2
	v_lshlrev_b64 v[13:14], 2, v[6:7]
	v_mov_b32_e32 v4, s60
	v_add_co_u32_e32 v13, vcc, s62, v13
	v_addc_co_u32_e32 v14, vcc, v4, v14, vcc
	global_load_dword v13, v[13:14], off
	s_waitcnt vmcnt(0)
	v_cmp_lt_i32_e32 vcc, -1, v13
	v_cndmask_b32_e32 v4, -1, v32, vcc
	v_xor_b32_e32 v4, v4, v13
	v_cmp_o_f32_e32 vcc, v13, v13
	v_cndmask_b32_e32 v4, -1, v4, vcc
	v_and_b32_e32 v4, v4, v34
	v_cmp_eq_u32_e32 vcc, v4, v25
	s_and_b64 exec, exec, vcc
	s_cbranch_execz .LBB123_109
; %bb.114:                              ;   in Loop: Header=BB123_112 Depth=2
	ds_write_b64 v7, v[12:13] offset:3072
	s_branch .LBB123_109
.LBB123_115:                            ;   in Loop: Header=BB123_112 Depth=2
	s_mov_b64 s[30:31], -1
                                        ; implicit-def: $vgpr2
	s_mov_b64 s[28:29], -1
	s_branch .LBB123_111
.LBB123_116:                            ;   in Loop: Header=BB123_29 Depth=1
	s_or_b64 exec, exec, s[22:23]
	s_andn2_b64 s[2:3], s[24:25], exec
	s_and_b64 s[22:23], s[26:27], exec
	s_or_b64 s[24:25], s[2:3], s[22:23]
.LBB123_117:                            ;   in Loop: Header=BB123_29 Depth=1
	s_or_b64 exec, exec, s[20:21]
	s_mov_b64 s[20:21], 0
	s_mov_b64 s[22:23], -1
.LBB123_118:                            ;   in Loop: Header=BB123_29 Depth=1
	s_orn2_b64 s[24:25], s[24:25], exec
.LBB123_119:                            ;   in Loop: Header=BB123_29 Depth=1
	s_or_b64 exec, exec, s[6:7]
	s_andn2_b64 s[6:7], s[92:93], exec
	s_and_b64 s[22:23], s[22:23], exec
	s_or_b64 s[92:93], s[6:7], s[22:23]
	s_andn2_b64 s[6:7], s[90:91], exec
	s_and_b64 s[20:21], s[20:21], exec
	v_readfirstlane_b32 s2, v0
	s_andn2_b64 s[88:89], s[88:89], exec
	s_or_b64 s[90:91], s[6:7], s[20:21]
                                        ; implicit-def: $vgpr4
	s_and_saveexec_b64 s[6:7], s[24:25]
	s_cbranch_execz .LBB123_28
; %bb.120:                              ;   in Loop: Header=BB123_29 Depth=1
	s_xor_b64 s[2:3], s[18:19], -1
	s_mov_b64 s[18:19], 0
	v_mov_b32_e32 v4, 1
	v_mov_b32_e32 v2, 1
	s_and_saveexec_b64 s[14:15], s[2:3]
	s_cbranch_execz .LBB123_129
; %bb.121:                              ;   in Loop: Header=BB123_29 Depth=1
	v_cmp_ge_u32_e32 vcc, s38, v35
	s_and_saveexec_b64 s[2:3], vcc
	s_xor_b64 s[18:19], exec, s[2:3]
	s_cbranch_execz .LBB123_126
; %bb.122:                              ;   in Loop: Header=BB123_29 Depth=1
	ds_read_b32 v2, v7 offset:4104
	v_and_b32_e32 v25, v25, v3
	v_or_b32_e32 v34, v34, v1
	s_waitcnt lgkmcnt(0)
	v_cmp_ne_u32_e32 vcc, 0, v2
	s_cbranch_vccnz .LBB123_126
; %bb.123:                              ;   in Loop: Header=BB123_29 Depth=1
	s_mov_b64 s[20:21], exec
	v_readlane_b32 s2, v48, 8
	v_readlane_b32 s3, v48, 9
	s_and_b64 s[2:3], s[20:21], s[2:3]
	s_mov_b64 exec, s[2:3]
; %bb.124:                              ;   in Loop: Header=BB123_29 Depth=1
	v_mov_b32_e32 v2, s38
	ds_write_b32 v7, v2 offset:4108
; %bb.125:                              ;   in Loop: Header=BB123_29 Depth=1
	s_or_b64 exec, exec, s[20:21]
	s_waitcnt lgkmcnt(0)
	s_barrier
.LBB123_126:                            ;   in Loop: Header=BB123_29 Depth=1
	s_or_saveexec_b64 s[18:19], s[18:19]
	s_mov_b64 s[20:21], 0
	v_mov_b32_e32 v2, 8
	s_xor_b64 exec, exec, s[18:19]
; %bb.127:                              ;   in Loop: Header=BB123_29 Depth=1
	s_mov_b64 s[20:21], exec
	v_subrev_u32_e32 v35, s38, v35
	v_mov_b32_e32 v2, 0
; %bb.128:                              ;   in Loop: Header=BB123_29 Depth=1
	s_or_b64 exec, exec, s[18:19]
	s_and_b64 s[18:19], s[20:21], exec
	v_mov_b32_e32 v4, v35
.LBB123_129:                            ;   in Loop: Header=BB123_29 Depth=1
	s_or_b64 exec, exec, s[14:15]
	s_mov_b64 s[14:15], -1
	s_mov_b64 s[24:25], -1
                                        ; implicit-def: $sgpr20_sgpr21
                                        ; implicit-def: $sgpr22_sgpr23
	s_and_saveexec_b64 s[2:3], s[18:19]
	s_xor_b64 s[18:19], exec, s[2:3]
	s_cbranch_execz .LBB123_255
; %bb.130:                              ;   in Loop: Header=BB123_29 Depth=1
	s_cmp_eq_u32 s42, 1
	s_cselect_b64 s[2:3], -1, 0
	v_cmp_eq_u32_e32 vcc, 1, v4
	s_and_b64 s[26:27], s[2:3], vcc
	s_mov_b64 s[28:29], -1
                                        ; implicit-def: $sgpr22_sgpr23
                                        ; implicit-def: $sgpr20_sgpr21
	s_and_saveexec_b64 s[24:25], s[26:27]
	s_cbranch_execz .LBB123_161
; %bb.131:                              ;   in Loop: Header=BB123_29 Depth=1
	ds_read_b32 v6, v7 offset:4104
	s_waitcnt lgkmcnt(0)
	s_barrier
	v_readfirstlane_b32 s2, v6
	s_and_saveexec_b64 s[20:21], s[16:17]
; %bb.132:                              ;   in Loop: Header=BB123_29 Depth=1
	ds_write_b32 v17, v7
; %bb.133:                              ;   in Loop: Header=BB123_29 Depth=1
	s_or_b64 exec, exec, s[20:21]
	v_and_b32_e32 v6, v25, v3
	v_lshl_or_b32 v25, 1, v33, v6
	v_or_b32_e32 v34, v34, v1
	s_mov_b64 s[20:21], -1
	s_mov_b64 s[22:23], 0
	s_cmp_eq_u32 s2, 0
	s_mov_b64 s[28:29], 0
	s_mov_b64 s[30:31], -1
	s_waitcnt lgkmcnt(0)
	s_barrier
                                        ; implicit-def: $vgpr14
	s_cbranch_scc1 .LBB123_148
; %bb.134:                              ;   in Loop: Header=BB123_29 Depth=1
	v_readlane_b32 s3, v48, 10
	s_add_i32 s3, s2, s3
	s_mul_hi_u32 s28, s3, s79
	s_mul_i32 s28, s28, s59
	s_sub_i32 s28, s3, s28
	s_sub_i32 s29, s28, s59
	s_cmp_ge_u32 s28, s59
	s_cselect_b32 s28, s29, s28
	s_sub_i32 s29, s28, s59
	s_cmp_ge_u32 s28, s59
	s_cselect_b32 s28, s29, s28
	s_sub_i32 s3, s3, s28
	v_cmp_gt_u32_e32 vcc, s3, v0
	s_mov_b64 s[30:31], 0
	s_mov_b64 s[28:29], 0
                                        ; implicit-def: $vgpr14
	s_and_saveexec_b64 s[34:35], vcc
	s_cbranch_execz .LBB123_147
; %bb.135:                              ;   in Loop: Header=BB123_29 Depth=1
	v_mov_b32_e32 v6, v15
	v_mov_b32_e32 v35, v0
                                        ; implicit-def: $sgpr36_sgpr37
	s_branch .LBB123_139
.LBB123_136:                            ;   in Loop: Header=BB123_139 Depth=2
	s_or_b64 exec, exec, s[38:39]
	s_waitcnt lgkmcnt(0)
	s_barrier
	ds_read_b64 v[13:14], v7 offset:3072
	s_waitcnt lgkmcnt(0)
	s_barrier
	v_cmp_neq_f32_e32 vcc, 0, v13
	s_cbranch_vccnz .LBB123_142
; %bb.137:                              ;   in Loop: Header=BB123_139 Depth=2
	v_add_u32_e32 v35, s59, v35
	v_cmp_le_u32_e32 vcc, s3, v35
	v_add_u32_e32 v6, s67, v6
	s_mov_b64 s[38:39], 0
	s_orn2_b64 s[40:41], vcc, exec
.LBB123_138:                            ;   in Loop: Header=BB123_139 Depth=2
	s_and_b64 s[40:41], exec, s[40:41]
	s_or_b64 s[28:29], s[40:41], s[28:29]
	s_andn2_b64 s[36:37], s[36:37], exec
	s_and_b64 s[38:39], s[38:39], exec
	s_or_b64 s[36:37], s[36:37], s[38:39]
	s_andn2_b64 exec, exec, s[28:29]
	s_cbranch_execz .LBB123_146
.LBB123_139:                            ;   Parent Loop BB123_29 Depth=1
                                        ; =>  This Inner Loop Header: Depth=2
	v_cmp_gt_u32_e32 vcc, s2, v35
	s_and_saveexec_b64 s[38:39], vcc
	s_cbranch_execz .LBB123_136
; %bb.140:                              ;   in Loop: Header=BB123_139 Depth=2
	ds_read_b32 v13, v6
	s_waitcnt lgkmcnt(0)
	v_cmp_lt_i32_e32 vcc, -1, v13
	v_cndmask_b32_e32 v14, -1, v32, vcc
	v_xor_b32_e32 v14, v14, v13
	v_cmp_o_f32_e32 vcc, v13, v13
	v_cndmask_b32_e32 v14, -1, v14, vcc
	v_and_b32_e32 v14, v14, v34
	v_cmp_eq_u32_e32 vcc, v14, v25
	s_and_b64 exec, exec, vcc
	s_cbranch_execz .LBB123_136
; %bb.141:                              ;   in Loop: Header=BB123_139 Depth=2
	ds_write_b64 v7, v[12:13] offset:3072
	s_branch .LBB123_136
.LBB123_142:                            ;   in Loop: Header=BB123_139 Depth=2
	s_mov_b64 s[40:41], -1
                                        ; implicit-def: $vgpr35
                                        ; implicit-def: $vgpr6
	s_mov_b64 s[38:39], -1
	s_branch .LBB123_138
.LBB123_143:                            ;   in Loop: Header=BB123_29 Depth=1
	s_or_b64 exec, exec, s[20:21]
	s_waitcnt lgkmcnt(0)
	s_barrier
	s_mov_b64 s[6:7], exec
	v_readlane_b32 s2, v48, 8
	v_readlane_b32 s3, v48, 9
	s_and_b64 s[2:3], s[6:7], s[2:3]
	s_mov_b64 exec, s[2:3]
	s_cbranch_execz .LBB123_145
; %bb.144:                              ;   in Loop: Header=BB123_29 Depth=1
	ds_read_b32 v1, v7 offset:4112
	s_waitcnt lgkmcnt(0)
	ds_write_b32 v7, v1 offset:4104
.LBB123_145:                            ;   in Loop: Header=BB123_29 Depth=1
	s_or_b64 exec, exec, s[6:7]
	s_waitcnt lgkmcnt(0)
	s_barrier
	s_mov_b64 s[6:7], -1
	s_and_b64 vcc, exec, s[18:19]
	s_cbranch_vccnz .LBB123_45
	s_branch .LBB123_54
.LBB123_146:                            ;   in Loop: Header=BB123_29 Depth=1
	s_or_b64 exec, exec, s[28:29]
	s_and_b64 s[28:29], s[36:37], exec
.LBB123_147:                            ;   in Loop: Header=BB123_29 Depth=1
	s_or_b64 exec, exec, s[34:35]
.LBB123_148:                            ;   in Loop: Header=BB123_29 Depth=1
	s_and_b64 vcc, exec, s[30:31]
	s_cbranch_vccz .LBB123_160
; %bb.149:                              ;   in Loop: Header=BB123_29 Depth=1
                                        ; implicit-def: $vgpr14
	s_mov_b64 s[20:21], exec
	v_readlane_b32 s2, v48, 20
	v_readlane_b32 s3, v48, 21
	s_and_b64 s[2:3], s[20:21], s[2:3]
	s_mov_b64 exec, s[2:3]
	s_cbranch_execz .LBB123_159
; %bb.150:                              ;   in Loop: Header=BB123_29 Depth=1
	s_mov_b64 s[22:23], 0
	v_mov_b32_e32 v6, v5
	v_mov_b32_e32 v35, v0
                                        ; implicit-def: $sgpr30_sgpr31
	s_branch .LBB123_154
.LBB123_151:                            ;   in Loop: Header=BB123_154 Depth=2
	s_or_b64 exec, exec, s[34:35]
	s_waitcnt lgkmcnt(0)
	s_barrier
	ds_read_b64 v[13:14], v7 offset:3072
	s_waitcnt lgkmcnt(0)
	s_barrier
	v_cmp_eq_f32_e32 vcc, 0, v13
	s_cbranch_vccz .LBB123_157
; %bb.152:                              ;   in Loop: Header=BB123_154 Depth=2
	v_add_u32_e32 v35, s59, v35
	v_cmp_le_u32_e32 vcc, s0, v35
	v_add_u32_e32 v6, s66, v6
	s_mov_b64 s[34:35], 0
	s_orn2_b64 s[36:37], vcc, exec
.LBB123_153:                            ;   in Loop: Header=BB123_154 Depth=2
	s_and_b64 s[2:3], exec, s[36:37]
	s_or_b64 s[22:23], s[2:3], s[22:23]
	s_andn2_b64 s[2:3], s[30:31], exec
	s_and_b64 s[30:31], s[34:35], exec
	s_or_b64 s[30:31], s[2:3], s[30:31]
	s_andn2_b64 exec, exec, s[22:23]
	s_cbranch_execz .LBB123_158
.LBB123_154:                            ;   Parent Loop BB123_29 Depth=1
                                        ; =>  This Inner Loop Header: Depth=2
	v_cmp_gt_u32_e32 vcc, s56, v35
	s_and_saveexec_b64 s[34:35], vcc
	s_cbranch_execz .LBB123_151
; %bb.155:                              ;   in Loop: Header=BB123_154 Depth=2
	v_lshlrev_b64 v[13:14], 2, v[6:7]
	v_mov_b32_e32 v36, s60
	v_add_co_u32_e32 v13, vcc, s62, v13
	v_addc_co_u32_e32 v14, vcc, v36, v14, vcc
	global_load_dword v13, v[13:14], off
	s_waitcnt vmcnt(0)
	v_cmp_lt_i32_e32 vcc, -1, v13
	v_cndmask_b32_e32 v14, -1, v32, vcc
	v_xor_b32_e32 v14, v14, v13
	v_cmp_o_f32_e32 vcc, v13, v13
	v_cndmask_b32_e32 v14, -1, v14, vcc
	v_and_b32_e32 v14, v14, v34
	v_cmp_eq_u32_e32 vcc, v14, v25
	s_and_b64 exec, exec, vcc
	s_cbranch_execz .LBB123_151
; %bb.156:                              ;   in Loop: Header=BB123_154 Depth=2
	ds_write_b64 v7, v[12:13] offset:3072
	s_branch .LBB123_151
.LBB123_157:                            ;   in Loop: Header=BB123_154 Depth=2
	s_mov_b64 s[36:37], -1
                                        ; implicit-def: $vgpr35
	s_mov_b64 s[34:35], -1
	s_branch .LBB123_153
.LBB123_158:                            ;   in Loop: Header=BB123_29 Depth=1
	s_or_b64 exec, exec, s[22:23]
	s_andn2_b64 s[2:3], s[28:29], exec
	s_and_b64 s[22:23], s[30:31], exec
	s_or_b64 s[28:29], s[2:3], s[22:23]
.LBB123_159:                            ;   in Loop: Header=BB123_29 Depth=1
	s_or_b64 exec, exec, s[20:21]
	s_mov_b64 s[20:21], 0
	s_mov_b64 s[22:23], -1
.LBB123_160:                            ;   in Loop: Header=BB123_29 Depth=1
	s_orn2_b64 s[28:29], s[28:29], exec
.LBB123_161:                            ;   in Loop: Header=BB123_29 Depth=1
	s_or_b64 exec, exec, s[24:25]
	s_mov_b64 s[30:31], 0
	s_and_saveexec_b64 s[24:25], s[28:29]
	s_cbranch_execz .LBB123_254
; %bb.162:                              ;   in Loop: Header=BB123_29 Depth=1
	s_xor_b64 s[2:3], s[26:27], -1
	s_mov_b64 s[36:37], 0
	v_mov_b32_e32 v35, 1
	v_mov_b32_e32 v2, 1
	s_and_saveexec_b64 s[26:27], s[2:3]
	s_cbranch_execz .LBB123_171
; %bb.163:                              ;   in Loop: Header=BB123_29 Depth=1
	v_cmp_ge_u32_e32 vcc, s42, v4
	s_and_saveexec_b64 s[2:3], vcc
	s_xor_b64 s[28:29], exec, s[2:3]
	s_cbranch_execz .LBB123_168
; %bb.164:                              ;   in Loop: Header=BB123_29 Depth=1
	ds_read_b32 v2, v7 offset:4104
	v_and_b32_e32 v6, v25, v3
	v_lshl_or_b32 v25, 1, v33, v6
	v_or_b32_e32 v34, v34, v1
	s_waitcnt lgkmcnt(0)
	v_cmp_ne_u32_e32 vcc, 0, v2
	s_cbranch_vccnz .LBB123_168
; %bb.165:                              ;   in Loop: Header=BB123_29 Depth=1
	s_mov_b64 s[30:31], exec
	v_readlane_b32 s2, v48, 8
	v_readlane_b32 s3, v48, 9
	s_and_b64 s[2:3], s[30:31], s[2:3]
	s_mov_b64 exec, s[2:3]
; %bb.166:                              ;   in Loop: Header=BB123_29 Depth=1
	v_mov_b32_e32 v2, s42
	ds_write_b32 v7, v2 offset:4108
; %bb.167:                              ;   in Loop: Header=BB123_29 Depth=1
	s_or_b64 exec, exec, s[30:31]
	s_waitcnt lgkmcnt(0)
	s_barrier
.LBB123_168:                            ;   in Loop: Header=BB123_29 Depth=1
	s_or_saveexec_b64 s[28:29], s[28:29]
	s_mov_b64 s[30:31], 0
	v_mov_b32_e32 v2, 8
	s_xor_b64 exec, exec, s[28:29]
; %bb.169:                              ;   in Loop: Header=BB123_29 Depth=1
	s_mov_b64 s[30:31], exec
	v_subrev_u32_e32 v4, s42, v4
	v_mov_b32_e32 v2, 0
; %bb.170:                              ;   in Loop: Header=BB123_29 Depth=1
	s_or_b64 exec, exec, s[28:29]
	s_and_b64 s[36:37], s[30:31], exec
	v_mov_b32_e32 v35, v4
.LBB123_171:                            ;   in Loop: Header=BB123_29 Depth=1
	s_or_b64 exec, exec, s[26:27]
	s_mov_b64 s[34:35], -1
                                        ; implicit-def: $sgpr28_sgpr29
                                        ; implicit-def: $sgpr30_sgpr31
	s_and_saveexec_b64 s[26:27], s[36:37]
	s_cbranch_execz .LBB123_253
; %bb.172:                              ;   in Loop: Header=BB123_29 Depth=1
	s_cmp_eq_u32 s50, 1
	s_cselect_b64 s[2:3], -1, 0
	v_cmp_eq_u32_e32 vcc, 1, v35
	s_and_b64 s[36:37], s[2:3], vcc
	s_mov_b64 s[38:39], -1
                                        ; implicit-def: $sgpr30_sgpr31
                                        ; implicit-def: $sgpr28_sgpr29
	s_and_saveexec_b64 s[34:35], s[36:37]
	s_cbranch_execz .LBB123_200
; %bb.173:                              ;   in Loop: Header=BB123_29 Depth=1
	ds_read_b32 v4, v7 offset:4104
	s_waitcnt lgkmcnt(0)
	s_barrier
	v_readfirstlane_b32 s2, v4
	s_and_saveexec_b64 s[28:29], s[16:17]
; %bb.174:                              ;   in Loop: Header=BB123_29 Depth=1
	ds_write_b32 v17, v7
; %bb.175:                              ;   in Loop: Header=BB123_29 Depth=1
	s_or_b64 exec, exec, s[28:29]
	v_and_b32_e32 v4, v25, v3
	v_lshl_or_b32 v25, 2, v33, v4
	v_or_b32_e32 v34, v34, v1
	s_mov_b64 s[28:29], -1
	s_mov_b64 s[30:31], 0
	s_cmp_eq_u32 s2, 0
	s_mov_b64 s[38:39], 0
	s_mov_b64 s[40:41], -1
	s_waitcnt lgkmcnt(0)
	s_barrier
                                        ; implicit-def: $vgpr14
	s_cbranch_scc1 .LBB123_187
; %bb.176:                              ;   in Loop: Header=BB123_29 Depth=1
	v_readlane_b32 s3, v48, 10
	s_add_i32 s3, s2, s3
	s_mul_hi_u32 s38, s3, s79
	s_mul_i32 s38, s38, s59
	s_sub_i32 s38, s3, s38
	s_sub_i32 s39, s38, s59
	s_cmp_ge_u32 s38, s59
	s_cselect_b32 s38, s39, s38
	s_sub_i32 s39, s38, s59
	s_cmp_ge_u32 s38, s59
	s_cselect_b32 s38, s39, s38
	s_sub_i32 s3, s3, s38
	v_cmp_gt_u32_e32 vcc, s3, v0
	s_mov_b64 s[40:41], 0
	s_mov_b64 s[38:39], 0
                                        ; implicit-def: $vgpr14
	s_and_saveexec_b64 s[42:43], vcc
	s_cbranch_execz .LBB123_186
; %bb.177:                              ;   in Loop: Header=BB123_29 Depth=1
	v_mov_b32_e32 v4, v15
	v_mov_b32_e32 v6, v0
                                        ; implicit-def: $sgpr44_sgpr45
	s_branch .LBB123_181
.LBB123_178:                            ;   in Loop: Header=BB123_181 Depth=2
	s_or_b64 exec, exec, s[46:47]
	s_waitcnt lgkmcnt(0)
	s_barrier
	ds_read_b64 v[13:14], v7 offset:3072
	s_waitcnt lgkmcnt(0)
	s_barrier
	v_cmp_neq_f32_e32 vcc, 0, v13
	s_cbranch_vccnz .LBB123_184
; %bb.179:                              ;   in Loop: Header=BB123_181 Depth=2
	v_add_u32_e32 v6, s59, v6
	v_cmp_le_u32_e32 vcc, s3, v6
	v_add_u32_e32 v4, s67, v4
	s_mov_b64 s[46:47], 0
	s_orn2_b64 s[48:49], vcc, exec
.LBB123_180:                            ;   in Loop: Header=BB123_181 Depth=2
	s_and_b64 s[48:49], exec, s[48:49]
	s_or_b64 s[38:39], s[48:49], s[38:39]
	s_andn2_b64 s[44:45], s[44:45], exec
	s_and_b64 s[46:47], s[46:47], exec
	s_or_b64 s[44:45], s[44:45], s[46:47]
	s_andn2_b64 exec, exec, s[38:39]
	s_cbranch_execz .LBB123_185
.LBB123_181:                            ;   Parent Loop BB123_29 Depth=1
                                        ; =>  This Inner Loop Header: Depth=2
	v_cmp_gt_u32_e32 vcc, s2, v6
	s_and_saveexec_b64 s[46:47], vcc
	s_cbranch_execz .LBB123_178
; %bb.182:                              ;   in Loop: Header=BB123_181 Depth=2
	ds_read_b32 v13, v4
	s_waitcnt lgkmcnt(0)
	v_cmp_lt_i32_e32 vcc, -1, v13
	v_cndmask_b32_e32 v14, -1, v32, vcc
	v_xor_b32_e32 v14, v14, v13
	v_cmp_o_f32_e32 vcc, v13, v13
	v_cndmask_b32_e32 v14, -1, v14, vcc
	v_and_b32_e32 v14, v14, v34
	v_cmp_eq_u32_e32 vcc, v14, v25
	s_and_b64 exec, exec, vcc
	s_cbranch_execz .LBB123_178
; %bb.183:                              ;   in Loop: Header=BB123_181 Depth=2
	ds_write_b64 v7, v[12:13] offset:3072
	s_branch .LBB123_178
.LBB123_184:                            ;   in Loop: Header=BB123_181 Depth=2
	s_mov_b64 s[48:49], -1
                                        ; implicit-def: $vgpr6
                                        ; implicit-def: $vgpr4
	s_mov_b64 s[46:47], -1
	s_branch .LBB123_180
.LBB123_185:                            ;   in Loop: Header=BB123_29 Depth=1
	s_or_b64 exec, exec, s[38:39]
	s_and_b64 s[38:39], s[44:45], exec
.LBB123_186:                            ;   in Loop: Header=BB123_29 Depth=1
	s_or_b64 exec, exec, s[42:43]
.LBB123_187:                            ;   in Loop: Header=BB123_29 Depth=1
	s_and_b64 vcc, exec, s[40:41]
	s_cbranch_vccz .LBB123_199
; %bb.188:                              ;   in Loop: Header=BB123_29 Depth=1
                                        ; implicit-def: $vgpr14
	s_mov_b64 s[28:29], exec
	v_readlane_b32 s2, v48, 20
	v_readlane_b32 s3, v48, 21
	s_and_b64 s[2:3], s[28:29], s[2:3]
	s_mov_b64 exec, s[2:3]
	s_cbranch_execz .LBB123_198
; %bb.189:                              ;   in Loop: Header=BB123_29 Depth=1
	s_mov_b64 s[30:31], 0
	v_mov_b32_e32 v6, v5
	v_mov_b32_e32 v4, v0
                                        ; implicit-def: $sgpr40_sgpr41
	s_branch .LBB123_193
.LBB123_190:                            ;   in Loop: Header=BB123_193 Depth=2
	s_or_b64 exec, exec, s[42:43]
	s_waitcnt lgkmcnt(0)
	s_barrier
	ds_read_b64 v[13:14], v7 offset:3072
	s_waitcnt lgkmcnt(0)
	s_barrier
	v_cmp_eq_f32_e32 vcc, 0, v13
	s_cbranch_vccz .LBB123_196
; %bb.191:                              ;   in Loop: Header=BB123_193 Depth=2
	v_add_u32_e32 v4, s59, v4
	v_cmp_le_u32_e32 vcc, s0, v4
	v_add_u32_e32 v6, s66, v6
	s_mov_b64 s[42:43], 0
	s_orn2_b64 s[44:45], vcc, exec
.LBB123_192:                            ;   in Loop: Header=BB123_193 Depth=2
	s_and_b64 s[2:3], exec, s[44:45]
	s_or_b64 s[30:31], s[2:3], s[30:31]
	s_andn2_b64 s[2:3], s[40:41], exec
	s_and_b64 s[40:41], s[42:43], exec
	s_or_b64 s[40:41], s[2:3], s[40:41]
	s_andn2_b64 exec, exec, s[30:31]
	s_cbranch_execz .LBB123_197
.LBB123_193:                            ;   Parent Loop BB123_29 Depth=1
                                        ; =>  This Inner Loop Header: Depth=2
	v_cmp_gt_u32_e32 vcc, s56, v4
	s_and_saveexec_b64 s[42:43], vcc
	s_cbranch_execz .LBB123_190
; %bb.194:                              ;   in Loop: Header=BB123_193 Depth=2
	v_lshlrev_b64 v[13:14], 2, v[6:7]
	v_mov_b32_e32 v36, s60
	v_add_co_u32_e32 v13, vcc, s62, v13
	v_addc_co_u32_e32 v14, vcc, v36, v14, vcc
	global_load_dword v13, v[13:14], off
	s_waitcnt vmcnt(0)
	v_cmp_lt_i32_e32 vcc, -1, v13
	v_cndmask_b32_e32 v14, -1, v32, vcc
	v_xor_b32_e32 v14, v14, v13
	v_cmp_o_f32_e32 vcc, v13, v13
	v_cndmask_b32_e32 v14, -1, v14, vcc
	v_and_b32_e32 v14, v14, v34
	v_cmp_eq_u32_e32 vcc, v14, v25
	s_and_b64 exec, exec, vcc
	s_cbranch_execz .LBB123_190
; %bb.195:                              ;   in Loop: Header=BB123_193 Depth=2
	ds_write_b64 v7, v[12:13] offset:3072
	s_branch .LBB123_190
.LBB123_196:                            ;   in Loop: Header=BB123_193 Depth=2
	s_mov_b64 s[44:45], -1
                                        ; implicit-def: $vgpr4
	s_mov_b64 s[42:43], -1
	s_branch .LBB123_192
.LBB123_197:                            ;   in Loop: Header=BB123_29 Depth=1
	s_or_b64 exec, exec, s[30:31]
	s_andn2_b64 s[2:3], s[38:39], exec
	s_and_b64 s[30:31], s[40:41], exec
	s_or_b64 s[38:39], s[2:3], s[30:31]
.LBB123_198:                            ;   in Loop: Header=BB123_29 Depth=1
	s_or_b64 exec, exec, s[28:29]
	s_mov_b64 s[28:29], 0
	s_mov_b64 s[30:31], -1
.LBB123_199:                            ;   in Loop: Header=BB123_29 Depth=1
	s_orn2_b64 s[38:39], s[38:39], exec
.LBB123_200:                            ;   in Loop: Header=BB123_29 Depth=1
	s_or_b64 exec, exec, s[34:35]
	s_mov_b64 s[40:41], 0
	s_and_saveexec_b64 s[34:35], s[38:39]
	s_cbranch_execz .LBB123_252
; %bb.201:                              ;   in Loop: Header=BB123_29 Depth=1
	s_xor_b64 s[2:3], s[36:37], -1
	s_mov_b64 s[44:45], 0
	v_mov_b32_e32 v4, 1
	v_mov_b32_e32 v2, 1
	s_and_saveexec_b64 s[36:37], s[2:3]
	s_cbranch_execz .LBB123_210
; %bb.202:                              ;   in Loop: Header=BB123_29 Depth=1
	v_cmp_ge_u32_e32 vcc, s50, v35
	s_and_saveexec_b64 s[2:3], vcc
	s_xor_b64 s[38:39], exec, s[2:3]
	s_cbranch_execz .LBB123_207
; %bb.203:                              ;   in Loop: Header=BB123_29 Depth=1
	ds_read_b32 v2, v7 offset:4104
	v_and_b32_e32 v3, v25, v3
	v_lshl_or_b32 v25, 2, v33, v3
	v_or_b32_e32 v34, v34, v1
	s_waitcnt lgkmcnt(0)
	v_cmp_ne_u32_e32 vcc, 0, v2
	s_cbranch_vccnz .LBB123_207
; %bb.204:                              ;   in Loop: Header=BB123_29 Depth=1
	s_mov_b64 s[40:41], exec
	v_readlane_b32 s2, v48, 8
	v_readlane_b32 s3, v48, 9
	s_and_b64 s[2:3], s[40:41], s[2:3]
	s_mov_b64 exec, s[2:3]
; %bb.205:                              ;   in Loop: Header=BB123_29 Depth=1
	v_mov_b32_e32 v2, s50
	ds_write_b32 v7, v2 offset:4108
; %bb.206:                              ;   in Loop: Header=BB123_29 Depth=1
	s_or_b64 exec, exec, s[40:41]
	s_waitcnt lgkmcnt(0)
	s_barrier
.LBB123_207:                            ;   in Loop: Header=BB123_29 Depth=1
	s_or_saveexec_b64 s[38:39], s[38:39]
	s_mov_b64 s[40:41], 0
	v_mov_b32_e32 v2, 8
	s_xor_b64 exec, exec, s[38:39]
; %bb.208:                              ;   in Loop: Header=BB123_29 Depth=1
	s_mov_b64 s[40:41], exec
	v_subrev_u32_e32 v35, s50, v35
	v_mov_b32_e32 v2, 0
; %bb.209:                              ;   in Loop: Header=BB123_29 Depth=1
	s_or_b64 exec, exec, s[38:39]
	s_and_b64 s[44:45], s[40:41], exec
	v_mov_b32_e32 v4, v35
.LBB123_210:                            ;   in Loop: Header=BB123_29 Depth=1
	s_or_b64 exec, exec, s[36:37]
	s_mov_b64 s[38:39], -1
                                        ; implicit-def: $sgpr42_sgpr43
                                        ; implicit-def: $sgpr40_sgpr41
	s_and_saveexec_b64 s[36:37], s[44:45]
	s_cbranch_execz .LBB123_251
; %bb.211:                              ;   in Loop: Header=BB123_29 Depth=1
	s_cmp_eq_u32 s13, 1
	s_cselect_b64 s[2:3], -1, 0
	v_cmp_eq_u32_e32 vcc, 1, v4
	s_and_b64 s[38:39], s[2:3], vcc
	s_mov_b64 s[46:47], -1
                                        ; implicit-def: $sgpr42_sgpr43
                                        ; implicit-def: $sgpr40_sgpr41
	s_and_saveexec_b64 s[44:45], s[38:39]
	s_cbranch_execz .LBB123_239
; %bb.212:                              ;   in Loop: Header=BB123_29 Depth=1
	ds_read_b32 v3, v7 offset:4104
	s_waitcnt lgkmcnt(0)
	s_barrier
	v_readfirstlane_b32 s2, v3
	s_and_saveexec_b64 s[40:41], s[16:17]
; %bb.213:                              ;   in Loop: Header=BB123_29 Depth=1
	ds_write_b32 v17, v7
; %bb.214:                              ;   in Loop: Header=BB123_29 Depth=1
	s_or_b64 exec, exec, s[40:41]
	v_or_b32_e32 v25, v25, v1
	v_or_b32_e32 v34, v34, v1
	s_mov_b64 s[40:41], -1
	s_mov_b64 s[42:43], 0
	s_cmp_eq_u32 s2, 0
	s_mov_b64 s[46:47], 0
	s_mov_b64 s[48:49], -1
	s_waitcnt lgkmcnt(0)
	s_barrier
                                        ; implicit-def: $vgpr14
	s_cbranch_scc1 .LBB123_226
; %bb.215:                              ;   in Loop: Header=BB123_29 Depth=1
	v_readlane_b32 s3, v48, 10
	s_add_i32 s3, s2, s3
	s_mul_hi_u32 s46, s3, s79
	s_mul_i32 s46, s46, s59
	s_sub_i32 s46, s3, s46
	s_sub_i32 s47, s46, s59
	s_cmp_ge_u32 s46, s59
	s_cselect_b32 s46, s47, s46
	s_sub_i32 s47, s46, s59
	s_cmp_ge_u32 s46, s59
	s_cselect_b32 s46, s47, s46
	s_sub_i32 s3, s3, s46
	v_cmp_gt_u32_e32 vcc, s3, v0
	s_mov_b64 s[48:49], 0
	s_mov_b64 s[46:47], 0
                                        ; implicit-def: $vgpr14
	s_and_saveexec_b64 s[50:51], vcc
	s_cbranch_execz .LBB123_225
; %bb.216:                              ;   in Loop: Header=BB123_29 Depth=1
	v_mov_b32_e32 v3, v15
	v_mov_b32_e32 v6, v0
                                        ; implicit-def: $sgpr52_sgpr53
	s_branch .LBB123_220
.LBB123_217:                            ;   in Loop: Header=BB123_220 Depth=2
	s_or_b64 exec, exec, s[54:55]
	s_waitcnt lgkmcnt(0)
	s_barrier
	ds_read_b64 v[13:14], v7 offset:3072
	s_waitcnt lgkmcnt(0)
	s_barrier
	v_cmp_neq_f32_e32 vcc, 0, v13
	s_cbranch_vccnz .LBB123_223
; %bb.218:                              ;   in Loop: Header=BB123_220 Depth=2
	v_add_u32_e32 v6, s59, v6
	v_cmp_le_u32_e32 vcc, s3, v6
	v_add_u32_e32 v3, s67, v3
	s_mov_b64 s[54:55], 0
	s_orn2_b64 s[64:65], vcc, exec
.LBB123_219:                            ;   in Loop: Header=BB123_220 Depth=2
	s_and_b64 s[64:65], exec, s[64:65]
	s_or_b64 s[46:47], s[64:65], s[46:47]
	s_andn2_b64 s[52:53], s[52:53], exec
	s_and_b64 s[54:55], s[54:55], exec
	s_or_b64 s[52:53], s[52:53], s[54:55]
	s_andn2_b64 exec, exec, s[46:47]
	s_cbranch_execz .LBB123_224
.LBB123_220:                            ;   Parent Loop BB123_29 Depth=1
                                        ; =>  This Inner Loop Header: Depth=2
	v_cmp_gt_u32_e32 vcc, s2, v6
	s_and_saveexec_b64 s[54:55], vcc
	s_cbranch_execz .LBB123_217
; %bb.221:                              ;   in Loop: Header=BB123_220 Depth=2
	ds_read_b32 v13, v3
	s_waitcnt lgkmcnt(0)
	v_cmp_lt_i32_e32 vcc, -1, v13
	v_cndmask_b32_e32 v14, -1, v32, vcc
	v_xor_b32_e32 v14, v14, v13
	v_cmp_o_f32_e32 vcc, v13, v13
	v_cndmask_b32_e32 v14, -1, v14, vcc
	v_and_b32_e32 v14, v14, v34
	v_cmp_eq_u32_e32 vcc, v14, v25
	s_and_b64 exec, exec, vcc
	s_cbranch_execz .LBB123_217
; %bb.222:                              ;   in Loop: Header=BB123_220 Depth=2
	ds_write_b64 v7, v[12:13] offset:3072
	s_branch .LBB123_217
.LBB123_223:                            ;   in Loop: Header=BB123_220 Depth=2
	s_mov_b64 s[64:65], -1
                                        ; implicit-def: $vgpr6
                                        ; implicit-def: $vgpr3
	s_mov_b64 s[54:55], -1
	s_branch .LBB123_219
.LBB123_224:                            ;   in Loop: Header=BB123_29 Depth=1
	s_or_b64 exec, exec, s[46:47]
	s_and_b64 s[46:47], s[52:53], exec
.LBB123_225:                            ;   in Loop: Header=BB123_29 Depth=1
	s_or_b64 exec, exec, s[50:51]
.LBB123_226:                            ;   in Loop: Header=BB123_29 Depth=1
	s_and_b64 vcc, exec, s[48:49]
	s_cbranch_vccz .LBB123_238
; %bb.227:                              ;   in Loop: Header=BB123_29 Depth=1
                                        ; implicit-def: $vgpr14
	s_mov_b64 s[40:41], exec
	v_readlane_b32 s2, v48, 20
	v_readlane_b32 s3, v48, 21
	s_and_b64 s[2:3], s[40:41], s[2:3]
	s_mov_b64 exec, s[2:3]
	s_cbranch_execz .LBB123_237
; %bb.228:                              ;   in Loop: Header=BB123_29 Depth=1
	s_mov_b64 s[42:43], 0
	v_mov_b32_e32 v6, v5
	v_mov_b32_e32 v3, v0
                                        ; implicit-def: $sgpr48_sgpr49
	s_branch .LBB123_232
.LBB123_229:                            ;   in Loop: Header=BB123_232 Depth=2
	s_or_b64 exec, exec, s[50:51]
	s_waitcnt lgkmcnt(0)
	s_barrier
	ds_read_b64 v[13:14], v7 offset:3072
	s_waitcnt lgkmcnt(0)
	s_barrier
	v_cmp_eq_f32_e32 vcc, 0, v13
	s_cbranch_vccz .LBB123_235
; %bb.230:                              ;   in Loop: Header=BB123_232 Depth=2
	v_add_u32_e32 v3, s59, v3
	v_cmp_le_u32_e32 vcc, s0, v3
	v_add_u32_e32 v6, s66, v6
	s_mov_b64 s[50:51], 0
	s_orn2_b64 s[52:53], vcc, exec
.LBB123_231:                            ;   in Loop: Header=BB123_232 Depth=2
	s_and_b64 s[2:3], exec, s[52:53]
	s_or_b64 s[42:43], s[2:3], s[42:43]
	s_andn2_b64 s[2:3], s[48:49], exec
	s_and_b64 s[48:49], s[50:51], exec
	s_or_b64 s[48:49], s[2:3], s[48:49]
	s_andn2_b64 exec, exec, s[42:43]
	s_cbranch_execz .LBB123_236
.LBB123_232:                            ;   Parent Loop BB123_29 Depth=1
                                        ; =>  This Inner Loop Header: Depth=2
	v_cmp_gt_u32_e32 vcc, s56, v3
	s_and_saveexec_b64 s[50:51], vcc
	s_cbranch_execz .LBB123_229
; %bb.233:                              ;   in Loop: Header=BB123_232 Depth=2
	v_lshlrev_b64 v[13:14], 2, v[6:7]
	v_mov_b32_e32 v35, s60
	v_add_co_u32_e32 v13, vcc, s62, v13
	v_addc_co_u32_e32 v14, vcc, v35, v14, vcc
	global_load_dword v13, v[13:14], off
	s_waitcnt vmcnt(0)
	v_cmp_lt_i32_e32 vcc, -1, v13
	v_cndmask_b32_e32 v14, -1, v32, vcc
	v_xor_b32_e32 v14, v14, v13
	v_cmp_o_f32_e32 vcc, v13, v13
	v_cndmask_b32_e32 v14, -1, v14, vcc
	v_and_b32_e32 v14, v14, v34
	v_cmp_eq_u32_e32 vcc, v14, v25
	s_and_b64 exec, exec, vcc
	s_cbranch_execz .LBB123_229
; %bb.234:                              ;   in Loop: Header=BB123_232 Depth=2
	ds_write_b64 v7, v[12:13] offset:3072
	s_branch .LBB123_229
.LBB123_235:                            ;   in Loop: Header=BB123_232 Depth=2
	s_mov_b64 s[52:53], -1
                                        ; implicit-def: $vgpr3
	s_mov_b64 s[50:51], -1
	s_branch .LBB123_231
.LBB123_236:                            ;   in Loop: Header=BB123_29 Depth=1
	s_or_b64 exec, exec, s[42:43]
	s_andn2_b64 s[2:3], s[46:47], exec
	s_and_b64 s[42:43], s[48:49], exec
	s_or_b64 s[46:47], s[2:3], s[42:43]
.LBB123_237:                            ;   in Loop: Header=BB123_29 Depth=1
	s_or_b64 exec, exec, s[40:41]
	s_mov_b64 s[40:41], 0
	s_mov_b64 s[42:43], -1
.LBB123_238:                            ;   in Loop: Header=BB123_29 Depth=1
	s_orn2_b64 s[46:47], s[46:47], exec
.LBB123_239:                            ;   in Loop: Header=BB123_29 Depth=1
	s_or_b64 exec, exec, s[44:45]
	s_mov_b64 s[48:49], 0
	s_and_saveexec_b64 s[44:45], s[46:47]
	s_cbranch_execz .LBB123_250
; %bb.240:                              ;   in Loop: Header=BB123_29 Depth=1
	s_xor_b64 s[2:3], s[38:39], -1
	v_mov_b32_e32 v2, 1
	v_mov_b32_e32 v3, 1
	s_and_saveexec_b64 s[38:39], s[2:3]
	s_cbranch_execz .LBB123_249
; %bb.241:                              ;   in Loop: Header=BB123_29 Depth=1
	v_cmp_ge_u32_e32 vcc, s13, v4
	s_and_saveexec_b64 s[2:3], vcc
	s_xor_b64 s[46:47], exec, s[2:3]
	s_cbranch_execz .LBB123_246
; %bb.242:                              ;   in Loop: Header=BB123_29 Depth=1
	ds_read_b32 v2, v7 offset:4104
	v_or_b32_e32 v25, v25, v1
	v_or_b32_e32 v34, v34, v1
	s_waitcnt lgkmcnt(0)
	v_cmp_ne_u32_e32 vcc, 0, v2
	s_cbranch_vccnz .LBB123_246
; %bb.243:                              ;   in Loop: Header=BB123_29 Depth=1
	s_mov_b64 s[48:49], exec
	v_readlane_b32 s2, v48, 8
	v_readlane_b32 s3, v48, 9
	s_and_b64 s[2:3], s[48:49], s[2:3]
	s_mov_b64 exec, s[2:3]
; %bb.244:                              ;   in Loop: Header=BB123_29 Depth=1
	v_mov_b32_e32 v1, s13
	ds_write_b32 v7, v1 offset:4108
; %bb.245:                              ;   in Loop: Header=BB123_29 Depth=1
	s_or_b64 exec, exec, s[48:49]
	s_waitcnt lgkmcnt(0)
	s_barrier
.LBB123_246:                            ;   in Loop: Header=BB123_29 Depth=1
	s_andn2_saveexec_b64 s[46:47], s[46:47]
; %bb.247:                              ;   in Loop: Header=BB123_29 Depth=1
	v_subrev_u32_e32 v4, s13, v4
; %bb.248:                              ;   in Loop: Header=BB123_29 Depth=1
	s_or_b64 exec, exec, s[46:47]
	v_mov_b32_e32 v2, 8
	v_mov_b32_e32 v3, v4
.LBB123_249:                            ;   in Loop: Header=BB123_29 Depth=1
	s_or_b64 exec, exec, s[38:39]
	s_mov_b64 s[48:49], exec
	v_mov_b32_e32 v4, v3
.LBB123_250:                            ;   in Loop: Header=BB123_29 Depth=1
	s_or_b64 exec, exec, s[44:45]
	s_orn2_b64 s[38:39], s[48:49], exec
.LBB123_251:                            ;   in Loop: Header=BB123_29 Depth=1
	s_or_b64 exec, exec, s[36:37]
	s_andn2_b64 s[2:3], s[30:31], exec
	s_and_b64 s[30:31], s[42:43], exec
	s_or_b64 s[30:31], s[2:3], s[30:31]
	s_andn2_b64 s[2:3], s[28:29], exec
	s_and_b64 s[28:29], s[40:41], exec
	s_or_b64 s[28:29], s[2:3], s[28:29]
	s_and_b64 s[40:41], s[38:39], exec
	v_mov_b32_e32 v35, v4
.LBB123_252:                            ;   in Loop: Header=BB123_29 Depth=1
	s_or_b64 exec, exec, s[34:35]
	s_orn2_b64 s[34:35], s[40:41], exec
.LBB123_253:                            ;   in Loop: Header=BB123_29 Depth=1
	s_or_b64 exec, exec, s[26:27]
	s_andn2_b64 s[2:3], s[22:23], exec
	s_and_b64 s[22:23], s[30:31], exec
	s_or_b64 s[22:23], s[2:3], s[22:23]
	s_andn2_b64 s[2:3], s[20:21], exec
	s_and_b64 s[20:21], s[28:29], exec
	s_or_b64 s[20:21], s[2:3], s[20:21]
	s_and_b64 s[30:31], s[34:35], exec
	v_mov_b32_e32 v4, v35
.LBB123_254:                            ;   in Loop: Header=BB123_29 Depth=1
	s_or_b64 exec, exec, s[24:25]
	s_orn2_b64 s[24:25], s[30:31], exec
.LBB123_255:                            ;   in Loop: Header=BB123_29 Depth=1
	s_or_b64 exec, exec, s[18:19]
	s_mov_b64 s[26:27], 0
                                        ; implicit-def: $sgpr2
	s_and_saveexec_b64 s[18:19], s[24:25]
	s_xor_b64 s[18:19], exec, s[18:19]
	s_cbranch_execz .LBB123_27
; %bb.256:                              ;   in Loop: Header=BB123_29 Depth=1
	v_and_b32_e32 v1, 7, v2
	v_cmp_eq_u32_e32 vcc, 0, v1
	s_mov_b64 s[14:15], -1
	s_mov_b64 s[24:25], -1
                                        ; implicit-def: $sgpr2
	s_and_saveexec_b64 s[26:27], vcc
	s_cbranch_execz .LBB123_26
; %bb.257:                              ;   in Loop: Header=BB123_29 Depth=1
	v_add_u32_e32 v1, -2, v33
	v_cmp_eq_u32_e32 vcc, 0, v33
	s_xor_b32 s2, s78, 1
	s_xor_b64 s[24:25], exec, -1
	s_orn2_b64 s[14:15], vcc, exec
	v_mov_b32_e32 v33, v1
	s_branch .LBB123_26
.LBB123_258:
	s_or_b64 exec, exec, s[80:81]
	s_xor_b64 s[8:9], s[86:87], -1
	s_xor_b64 s[0:1], s[82:83], -1
	;; [unrolled: 1-line block ×3, first 2 shown]
	s_mov_b64 s[4:5], 0
	s_and_saveexec_b64 s[2:3], s[0:1]
	s_xor_b64 s[2:3], exec, s[2:3]
	s_cbranch_execnz .LBB123_263
; %bb.259:
	s_andn2_saveexec_b64 s[0:1], s[2:3]
	s_cbranch_execnz .LBB123_276
.LBB123_260:
	s_or_b64 exec, exec, s[0:1]
	s_and_saveexec_b64 s[0:1], s[4:5]
.LBB123_261:
	; divergent unreachable
.LBB123_262:
	s_endpgm
.LBB123_263:
	s_and_saveexec_b64 s[0:1], s[8:9]
	s_xor_b64 s[4:5], exec, s[0:1]
	s_cbranch_execz .LBB123_274
; %bb.264:
	s_and_saveexec_b64 s[0:1], s[6:7]
	s_xor_b64 s[6:7], exec, s[0:1]
; %bb.265:
	v_bfrev_b32_e32 v1, 1
	v_cmp_lt_i32_e32 vcc, -1, v25
	v_cndmask_b32_e64 v1, v1, -1, vcc
	v_xor_b32_e32 v14, v1, v25
; %bb.266:
	s_or_b64 exec, exec, s[6:7]
	v_readlane_b32 s0, v48, 0
	s_mul_i32 s0, s0, s33
	s_add_i32 s0, s0, s61
	s_mov_b32 s1, 0
	s_lshl_b64 s[0:1], s[0:1], 2
	v_readlane_b32 s6, v48, 2
	v_readlane_b32 s7, v48, 3
	s_add_u32 s0, s6, s0
	s_addc_u32 s1, s7, s1
	v_mov_b32_e32 v6, 0
	global_store_dword v6, v14, s[0:1]
	s_mov_b64 s[6:7], exec
	v_readlane_b32 s0, v48, 6
	v_readlane_b32 s1, v48, 7
	s_and_b64 s[0:1], s[6:7], s[0:1]
	s_mov_b64 exec, s[0:1]
	s_cbranch_execz .LBB123_273
; %bb.267:
	v_cmp_u_f32_e32 vcc, v14, v14
	s_mov_b64 s[8:9], 0
	v_mov_b32_e32 v2, s60
	s_xor_b64 s[12:13], vcc, -1
                                        ; implicit-def: $sgpr10_sgpr11
                                        ; implicit-def: $sgpr16_sgpr17
                                        ; implicit-def: $sgpr14_sgpr15
	s_branch .LBB123_269
.LBB123_268:                            ;   in Loop: Header=BB123_269 Depth=1
	s_or_b64 exec, exec, s[0:1]
	s_and_b64 s[0:1], exec, s[16:17]
	s_or_b64 s[8:9], s[0:1], s[8:9]
	s_andn2_b64 s[0:1], s[10:11], exec
	s_and_b64 s[10:11], s[14:15], exec
	s_or_b64 s[10:11], s[0:1], s[10:11]
	s_andn2_b64 exec, exec, s[8:9]
	s_cbranch_execz .LBB123_271
.LBB123_269:                            ; =>This Inner Loop Header: Depth=1
	v_lshlrev_b64 v[3:4], 2, v[5:6]
	v_mov_b32_e32 v1, v0
	v_add_co_u32_e32 v3, vcc, s62, v3
	v_addc_co_u32_e32 v4, vcc, v2, v4, vcc
	global_load_dword v3, v[3:4], off
	s_or_b64 s[14:15], s[14:15], exec
	s_or_b64 s[16:17], s[16:17], exec
                                        ; implicit-def: $vgpr0
	s_waitcnt vmcnt(0)
	v_cmp_o_f32_e64 s[0:1], v3, v3
	v_cmp_neq_f32_e32 vcc, v3, v14
	s_or_b64 s[0:1], s[0:1], s[12:13]
	s_and_b64 s[18:19], vcc, s[0:1]
	s_and_saveexec_b64 s[0:1], s[18:19]
	s_cbranch_execz .LBB123_268
; %bb.270:                              ;   in Loop: Header=BB123_269 Depth=1
	v_add_u32_e32 v0, s59, v1
	v_cmp_le_u32_e32 vcc, s56, v0
	s_andn2_b64 s[16:17], s[16:17], exec
	s_and_b64 s[18:19], vcc, exec
	v_add_u32_e32 v5, s66, v5
	s_andn2_b64 s[14:15], s[14:15], exec
	s_or_b64 s[16:17], s[16:17], s[18:19]
	s_branch .LBB123_268
.LBB123_271:
	s_or_b64 exec, exec, s[8:9]
	s_and_saveexec_b64 s[0:1], s[10:11]
	s_xor_b64 s[0:1], exec, s[0:1]
	s_cbranch_execz .LBB123_273
; %bb.272:
	v_readlane_b32 s0, v48, 1
	s_mul_i32 s0, s0, s57
	s_add_i32 s0, s0, s63
	s_mov_b32 s1, 0
	s_lshl_b64 s[0:1], s[0:1], 3
	v_readlane_b32 s8, v48, 4
	v_readlane_b32 s9, v48, 5
	s_add_u32 s0, s8, s0
	s_addc_u32 s1, s9, s1
	v_mov_b32_e32 v2, 0
	global_store_dwordx2 v2, v[1:2], s[0:1]
.LBB123_273:
	s_or_b64 exec, exec, s[6:7]
.LBB123_274:
	s_or_saveexec_b64 s[0:1], s[4:5]
	s_mov_b64 s[4:5], 0
	s_xor_b64 exec, exec, s[0:1]
	s_cbranch_execnz .LBB123_277
.LBB123_275:
	s_or_b64 exec, exec, s[0:1]
	s_and_b64 s[4:5], s[4:5], exec
	s_andn2_saveexec_b64 s[0:1], s[2:3]
	s_cbranch_execz .LBB123_260
.LBB123_276:
	s_or_b64 s[4:5], s[4:5], exec
	s_trap 2
	s_or_b64 exec, exec, s[0:1]
	s_and_saveexec_b64 s[0:1], s[4:5]
	s_cbranch_execnz .LBB123_261
	s_branch .LBB123_262
.LBB123_277:
	s_mov_b64 s[4:5], exec
	s_trap 2
	s_branch .LBB123_275
	.section	.rodata,"a",@progbits
	.p2align	6, 0x0
	.amdhsa_kernel _ZN2at6native12_GLOBAL__N_112gatherMedianIfjLin1EEEvNS_4cuda6detail10TensorInfoIT_T0_EENS5_IlS7_EENS5_IKS6_S7_EES7_S7_S7_b
		.amdhsa_group_segment_fixed_size 4120
		.amdhsa_private_segment_fixed_size 0
		.amdhsa_kernarg_size 920
		.amdhsa_user_sgpr_count 6
		.amdhsa_user_sgpr_private_segment_buffer 1
		.amdhsa_user_sgpr_dispatch_ptr 0
		.amdhsa_user_sgpr_queue_ptr 0
		.amdhsa_user_sgpr_kernarg_segment_ptr 1
		.amdhsa_user_sgpr_dispatch_id 0
		.amdhsa_user_sgpr_flat_scratch_init 0
		.amdhsa_user_sgpr_private_segment_size 0
		.amdhsa_uses_dynamic_stack 0
		.amdhsa_system_sgpr_private_segment_wavefront_offset 0
		.amdhsa_system_sgpr_workgroup_id_x 1
		.amdhsa_system_sgpr_workgroup_id_y 1
		.amdhsa_system_sgpr_workgroup_id_z 1
		.amdhsa_system_sgpr_workgroup_info 0
		.amdhsa_system_vgpr_workitem_id 0
		.amdhsa_next_free_vgpr 49
		.amdhsa_next_free_sgpr 96
		.amdhsa_reserve_vcc 1
		.amdhsa_reserve_flat_scratch 0
		.amdhsa_float_round_mode_32 0
		.amdhsa_float_round_mode_16_64 0
		.amdhsa_float_denorm_mode_32 3
		.amdhsa_float_denorm_mode_16_64 3
		.amdhsa_dx10_clamp 1
		.amdhsa_ieee_mode 1
		.amdhsa_fp16_overflow 0
		.amdhsa_exception_fp_ieee_invalid_op 0
		.amdhsa_exception_fp_denorm_src 0
		.amdhsa_exception_fp_ieee_div_zero 0
		.amdhsa_exception_fp_ieee_overflow 0
		.amdhsa_exception_fp_ieee_underflow 0
		.amdhsa_exception_fp_ieee_inexact 0
		.amdhsa_exception_int_div_zero 0
	.end_amdhsa_kernel
	.section	.text._ZN2at6native12_GLOBAL__N_112gatherMedianIfjLin1EEEvNS_4cuda6detail10TensorInfoIT_T0_EENS5_IlS7_EENS5_IKS6_S7_EES7_S7_S7_b,"axG",@progbits,_ZN2at6native12_GLOBAL__N_112gatherMedianIfjLin1EEEvNS_4cuda6detail10TensorInfoIT_T0_EENS5_IlS7_EENS5_IKS6_S7_EES7_S7_S7_b,comdat
.Lfunc_end123:
	.size	_ZN2at6native12_GLOBAL__N_112gatherMedianIfjLin1EEEvNS_4cuda6detail10TensorInfoIT_T0_EENS5_IlS7_EENS5_IKS6_S7_EES7_S7_S7_b, .Lfunc_end123-_ZN2at6native12_GLOBAL__N_112gatherMedianIfjLin1EEEvNS_4cuda6detail10TensorInfoIT_T0_EENS5_IlS7_EENS5_IKS6_S7_EES7_S7_S7_b
                                        ; -- End function
	.set _ZN2at6native12_GLOBAL__N_112gatherMedianIfjLin1EEEvNS_4cuda6detail10TensorInfoIT_T0_EENS5_IlS7_EENS5_IKS6_S7_EES7_S7_S7_b.num_vgpr, 49
	.set _ZN2at6native12_GLOBAL__N_112gatherMedianIfjLin1EEEvNS_4cuda6detail10TensorInfoIT_T0_EENS5_IlS7_EENS5_IKS6_S7_EES7_S7_S7_b.num_agpr, 0
	.set _ZN2at6native12_GLOBAL__N_112gatherMedianIfjLin1EEEvNS_4cuda6detail10TensorInfoIT_T0_EENS5_IlS7_EENS5_IKS6_S7_EES7_S7_S7_b.numbered_sgpr, 96
	.set _ZN2at6native12_GLOBAL__N_112gatherMedianIfjLin1EEEvNS_4cuda6detail10TensorInfoIT_T0_EENS5_IlS7_EENS5_IKS6_S7_EES7_S7_S7_b.num_named_barrier, 0
	.set _ZN2at6native12_GLOBAL__N_112gatherMedianIfjLin1EEEvNS_4cuda6detail10TensorInfoIT_T0_EENS5_IlS7_EENS5_IKS6_S7_EES7_S7_S7_b.private_seg_size, 0
	.set _ZN2at6native12_GLOBAL__N_112gatherMedianIfjLin1EEEvNS_4cuda6detail10TensorInfoIT_T0_EENS5_IlS7_EENS5_IKS6_S7_EES7_S7_S7_b.uses_vcc, 1
	.set _ZN2at6native12_GLOBAL__N_112gatherMedianIfjLin1EEEvNS_4cuda6detail10TensorInfoIT_T0_EENS5_IlS7_EENS5_IKS6_S7_EES7_S7_S7_b.uses_flat_scratch, 0
	.set _ZN2at6native12_GLOBAL__N_112gatherMedianIfjLin1EEEvNS_4cuda6detail10TensorInfoIT_T0_EENS5_IlS7_EENS5_IKS6_S7_EES7_S7_S7_b.has_dyn_sized_stack, 0
	.set _ZN2at6native12_GLOBAL__N_112gatherMedianIfjLin1EEEvNS_4cuda6detail10TensorInfoIT_T0_EENS5_IlS7_EENS5_IKS6_S7_EES7_S7_S7_b.has_recursion, 0
	.set _ZN2at6native12_GLOBAL__N_112gatherMedianIfjLin1EEEvNS_4cuda6detail10TensorInfoIT_T0_EENS5_IlS7_EENS5_IKS6_S7_EES7_S7_S7_b.has_indirect_call, 0
	.section	.AMDGPU.csdata,"",@progbits
; Kernel info:
; codeLenInByte = 10148
; TotalNumSgprs: 100
; NumVgprs: 49
; ScratchSize: 0
; MemoryBound: 0
; FloatMode: 240
; IeeeMode: 1
; LDSByteSize: 4120 bytes/workgroup (compile time only)
; SGPRBlocks: 12
; VGPRBlocks: 12
; NumSGPRsForWavesPerEU: 100
; NumVGPRsForWavesPerEU: 49
; Occupancy: 4
; WaveLimiterHint : 1
; COMPUTE_PGM_RSRC2:SCRATCH_EN: 0
; COMPUTE_PGM_RSRC2:USER_SGPR: 6
; COMPUTE_PGM_RSRC2:TRAP_HANDLER: 0
; COMPUTE_PGM_RSRC2:TGID_X_EN: 1
; COMPUTE_PGM_RSRC2:TGID_Y_EN: 1
; COMPUTE_PGM_RSRC2:TGID_Z_EN: 1
; COMPUTE_PGM_RSRC2:TIDIG_COMP_CNT: 0
	.section	.text._ZN2at6native12_GLOBAL__N_112gatherMedianIfmLi1EEEvNS_4cuda6detail10TensorInfoIT_T0_EENS5_IlS7_EENS5_IKS6_S7_EES7_S7_S7_b,"axG",@progbits,_ZN2at6native12_GLOBAL__N_112gatherMedianIfmLi1EEEvNS_4cuda6detail10TensorInfoIT_T0_EENS5_IlS7_EENS5_IKS6_S7_EES7_S7_S7_b,comdat
	.globl	_ZN2at6native12_GLOBAL__N_112gatherMedianIfmLi1EEEvNS_4cuda6detail10TensorInfoIT_T0_EENS5_IlS7_EENS5_IKS6_S7_EES7_S7_S7_b ; -- Begin function _ZN2at6native12_GLOBAL__N_112gatherMedianIfmLi1EEEvNS_4cuda6detail10TensorInfoIT_T0_EENS5_IlS7_EENS5_IKS6_S7_EES7_S7_S7_b
	.p2align	8
	.type	_ZN2at6native12_GLOBAL__N_112gatherMedianIfmLi1EEEvNS_4cuda6detail10TensorInfoIT_T0_EENS5_IlS7_EENS5_IKS6_S7_EES7_S7_S7_b,@function
_ZN2at6native12_GLOBAL__N_112gatherMedianIfmLi1EEEvNS_4cuda6detail10TensorInfoIT_T0_EENS5_IlS7_EENS5_IKS6_S7_EES7_S7_S7_b: ; @_ZN2at6native12_GLOBAL__N_112gatherMedianIfmLi1EEEvNS_4cuda6detail10TensorInfoIT_T0_EENS5_IlS7_EENS5_IKS6_S7_EES7_S7_S7_b
; %bb.0:
	s_load_dwordx2 s[0:1], s[4:5], 0x500
	s_load_dwordx4 s[52:55], s[4:5], 0x4e0
	s_add_u32 s2, s4, 0x500
	s_addc_u32 s3, s5, 0
	s_mov_b32 s75, 0
	s_waitcnt lgkmcnt(0)
	s_mul_i32 s1, s1, s8
	s_add_i32 s1, s1, s7
	s_mul_i32 s1, s1, s0
	s_add_i32 s74, s1, s6
	v_mov_b32_e32 v1, s74
	v_mov_b32_e32 v2, s75
	v_cmp_le_u64_e32 vcc, s[54:55], v[1:2]
	s_cbranch_vccnz .LBB124_290
; %bb.1:
	s_load_dwordx2 s[64:65], s[4:5], 0x4f0
	s_load_dwordx2 s[10:11], s[4:5], 0x410
	;; [unrolled: 1-line block ×4, first 2 shown]
                                        ; implicit-def: $vgpr55 : SGPR spill to VGPR lane
	v_mov_b32_e32 v2, 0
	v_mov_b32_e32 v1, 0
	s_waitcnt lgkmcnt(0)
	s_mul_i32 s1, s11, s74
	s_mul_hi_u32 s7, s10, s74
	v_writelane_b32 v55, s12, 0
	v_writelane_b32 v55, s13, 1
	s_load_dwordx2 s[12:13], s[4:5], 0x1a0
	s_add_i32 s11, s7, s1
	v_mov_b32_e32 v3, 0
	s_mul_i32 s10, s10, s74
	v_cmp_gt_u64_e64 s[14:15], s[52:53], v[0:1]
	s_waitcnt lgkmcnt(0)
	v_writelane_b32 v55, s12, 2
	v_writelane_b32 v55, s13, 3
	s_load_dwordx2 s[12:13], s[4:5], 0xd0
	s_waitcnt lgkmcnt(0)
	v_writelane_b32 v55, s12, 4
	v_writelane_b32 v55, s13, 5
	s_load_dwordx2 s[12:13], s[4:5], 0x0
	s_waitcnt lgkmcnt(0)
	v_writelane_b32 v55, s12, 6
	v_writelane_b32 v55, s13, 7
	s_mov_b64 s[12:13], exec
	v_writelane_b32 v55, s14, 8
	v_writelane_b32 v55, s15, 9
	s_and_b64 s[14:15], s[12:13], s[14:15]
	s_mov_b64 exec, s[14:15]
	s_cbranch_execz .LBB124_5
; %bb.2:
	v_mad_u64_u32 v[2:3], s[14:15], s64, v0, 0
	s_load_dword s1, s[2:3], 0xc
	v_mov_b32_e32 v7, v1
	v_mad_u64_u32 v[3:4], s[14:15], s65, v0, v[3:4]
	s_lshl_b64 s[14:15], s[10:11], 2
	s_waitcnt lgkmcnt(0)
	s_and_b32 s1, s1, 0xffff
	s_add_u32 s7, s8, s14
	v_lshlrev_b64 v[2:3], 2, v[2:3]
	s_addc_u32 s14, s9, s15
	v_mov_b32_e32 v5, s14
	v_add_co_u32_e32 v4, vcc, s7, v2
	s_mul_i32 s7, s65, s1
	s_mul_hi_u32 s14, s64, s1
	s_add_i32 s15, s14, s7
	s_mul_i32 s14, s64, s1
	v_addc_co_u32_e32 v5, vcc, v5, v3, vcc
	s_lshl_b64 s[16:17], s[14:15], 2
	v_mov_b32_e32 v2, 0
	s_mov_b64 s[14:15], 0
	v_mov_b32_e32 v3, 0
	v_mov_b32_e32 v8, s17
	;; [unrolled: 1-line block ×3, first 2 shown]
.LBB124_3:                              ; =>This Inner Loop Header: Depth=1
	global_load_dword v9, v[4:5], off
	v_add_co_u32_e32 v6, vcc, s1, v6
	v_addc_co_u32_e32 v7, vcc, 0, v7, vcc
	v_add_co_u32_e32 v4, vcc, s16, v4
	v_addc_co_u32_e32 v5, vcc, v5, v8, vcc
	v_cmp_le_u64_e32 vcc, s[52:53], v[6:7]
	s_or_b64 s[14:15], vcc, s[14:15]
	s_waitcnt vmcnt(0)
	v_cmp_u_f32_e32 vcc, v9, v9
	v_cndmask_b32_e64 v9, 0, 1, vcc
	v_add_co_u32_e32 v2, vcc, v2, v9
	v_addc_co_u32_e32 v3, vcc, 0, v3, vcc
	s_andn2_b64 exec, exec, s[14:15]
	s_cbranch_execnz .LBB124_3
; %bb.4:
	s_or_b64 exec, exec, s[14:15]
.LBB124_5:
	s_or_b64 exec, exec, s[12:13]
	v_cmp_eq_u32_e64 s[14:15], 0, v0
	s_mov_b64 s[12:13], exec
	v_writelane_b32 v55, s14, 10
	v_writelane_b32 v55, s15, 11
	s_and_b64 s[14:15], s[12:13], s[14:15]
	s_mov_b64 exec, s[14:15]
; %bb.6:
	v_mov_b32_e32 v4, 0
	v_mov_b32_e32 v5, v4
	ds_write_b64 v4, v[4:5] offset:5136
; %bb.7:
	s_or_b64 exec, exec, s[12:13]
	v_cmp_ne_u64_e32 vcc, 0, v[2:3]
	s_mov_b64 s[14:15], 0
	s_waitcnt lgkmcnt(0)
	s_barrier
	s_and_saveexec_b64 s[12:13], vcc
	s_cbranch_execz .LBB124_12
; %bb.8:
	s_mov_b64 s[16:17], exec
.LBB124_9:                              ; =>This Inner Loop Header: Depth=1
	s_ff1_i32_b64 s1, s[16:17]
	v_readlane_b32 s18, v2, s1
	v_readlane_b32 s7, v3, s1
	s_add_u32 s14, s14, s18
	s_addc_u32 s15, s15, s7
	s_lshl_b64 s[18:19], 1, s1
	s_andn2_b64 s[16:17], s[16:17], s[18:19]
	s_cmp_lg_u64 s[16:17], 0
	s_cbranch_scc1 .LBB124_9
; %bb.10:
	v_mbcnt_lo_u32_b32 v2, exec_lo, 0
	v_mbcnt_hi_u32_b32 v2, exec_hi, v2
	v_cmp_eq_u32_e32 vcc, 0, v2
	s_and_saveexec_b64 s[16:17], vcc
	s_xor_b64 s[16:17], exec, s[16:17]
; %bb.11:
	v_mov_b32_e32 v2, s14
	v_mov_b32_e32 v4, 0
	v_mov_b32_e32 v3, s15
	ds_add_u64 v4, v[2:3] offset:5136
.LBB124_12:
	s_or_b64 exec, exec, s[12:13]
	v_mov_b32_e32 v2, 0
	s_load_dword s1, s[4:5], 0x4f8
	s_waitcnt lgkmcnt(0)
	s_barrier
	ds_read_b64 v[2:3], v2 offset:5136
	s_bitcmp1_b32 s1, 0
	s_cselect_b64 s[4:5], -1, 0
	v_mov_b32_e32 v25, s52
	v_mov_b32_e32 v26, s53
	s_waitcnt lgkmcnt(0)
	v_cmp_gt_i64_e32 vcc, 1, v[2:3]
	s_or_b64 s[4:5], s[4:5], vcc
	s_andn2_b64 vcc, exec, s[4:5]
	s_cbranch_vccnz .LBB124_14
; %bb.13:
	v_not_b32_e32 v2, v2
	v_not_b32_e32 v3, v3
	v_mov_b32_e32 v4, s53
	v_add_co_u32_e32 v2, vcc, s52, v2
	v_addc_co_u32_e32 v3, vcc, v4, v3, vcc
	v_lshrrev_b64 v[2:3], 1, v[2:3]
	v_add_co_u32_e32 v25, vcc, 1, v2
	v_addc_co_u32_e32 v26, vcc, 0, v3, vcc
.LBB124_14:
	s_mov_b64 s[4:5], exec
	v_readlane_b32 s12, v55, 10
	v_readlane_b32 s13, v55, 11
	s_and_b64 s[12:13], s[4:5], s[12:13]
	s_mov_b64 exec, s[12:13]
	s_cbranch_execz .LBB124_16
; %bb.15:
	v_mov_b32_e32 v2, 0
	v_mov_b32_e32 v4, s52
	v_mov_b32_e32 v5, s53
	v_mov_b32_e32 v3, v2
	ds_write_b32 v2, v2 offset:5144
	ds_write_b128 v2, v[2:5] offset:5120
.LBB124_16:
	s_or_b64 exec, exec, s[4:5]
	s_lshl_b64 s[4:5], s[10:11], 2
	v_mbcnt_lo_u32_b32 v2, -1, 0
	s_add_u32 s56, s8, s4
	v_mbcnt_hi_u32_b32 v29, -1, v2
	v_mad_u64_u32 v[2:3], s[10:11], s64, v0, 0
	s_addc_u32 s57, s9, s5
	v_cmp_gt_u32_e32 vcc, 64, v0
	v_cmp_gt_i32_e64 s[8:9], 4, v29
	s_and_b64 s[84:85], vcc, s[8:9]
	v_cmp_gt_u32_e64 s[8:9], 2, v0
	v_writelane_b32 v55, s8, 12
	v_writelane_b32 v55, s9, 13
	v_mad_u64_u32 v[3:4], s[8:9], s65, v0, v[3:4]
	s_waitcnt lgkmcnt(0)
	s_barrier
	s_load_dword s1, s[2:3], 0xc
	v_mov_b32_e32 v4, 0x300
	v_mov_b32_e32 v5, 0
	v_cmp_gt_u64_e64 s[8:9], s[52:53], v[4:5]
	v_lshlrev_b64 v[4:5], 2, v[2:3]
	v_mov_b32_e32 v6, s57
	v_add_co_u32_e32 v10, vcc, s56, v4
	s_waitcnt lgkmcnt(0)
	s_and_b32 s33, s1, 0xffff
	s_bfe_u32 s1, s1, 0xa0006
	v_writelane_b32 v55, s8, 14
	v_addc_co_u32_e32 v11, vcc, v6, v5, vcc
	v_lshlrev_b32_e32 v6, 2, v29
	v_lshlrev_b64 v[4:5], v29, -1
	s_cmp_gt_u32 s33, 63
	v_writelane_b32 v55, s9, 15
	v_and_b32_e32 v31, 0x100, v6
	s_cselect_b64 s[8:9], -1, 0
	v_lshlrev_b32_e32 v6, 4, v0
	v_not_b32_e32 v32, v5
	v_writelane_b32 v55, s8, 16
	v_or_b32_e32 v5, 12, v6
	v_writelane_b32 v55, s9, 17
	s_add_u32 s7, s33, -1
	v_mad_u64_u32 v[16:17], s[8:9], s64, v5, 0
	s_addc_u32 s8, 0, -1
	s_add_u32 s26, s7, s52
	s_addc_u32 s77, s8, s53
	s_cmp_lt_u32 s6, s0
	s_cselect_b32 s0, 12, 18
	s_add_u32 s50, s2, s0
	s_addc_u32 s51, s3, 0
	s_add_i32 s0, s1, -1
	s_bfe_u32 s2, s33, 0x30006
	s_and_b32 s0, s0, 0xffff
	v_writelane_b32 v55, s7, 18
	s_cmp_gt_u32 s0, 6
	v_writelane_b32 v55, s8, 19
	s_cselect_b64 s[6:7], -1, 0
	v_writelane_b32 v55, s6, 20
	s_and_b32 s27, s1, 0x3f8
	v_or_b32_e32 v7, 8, v6
	v_writelane_b32 v55, s7, 21
	s_cmp_lg_u32 s2, 0
	v_not_b32_e32 v33, v4
	v_mov_b32_e32 v4, v17
	v_mad_u64_u32 v[17:18], s[8:9], s64, v7, 0
	v_writelane_b32 v55, s2, 22
	s_cselect_b64 s[0:1], -1, 0
	v_or_b32_e32 v8, 4, v6
	v_writelane_b32 v55, s0, 23
	v_mad_u64_u32 v[19:20], s[8:9], s64, v8, 0
	v_writelane_b32 v55, s1, 24
	s_lshl_b64 s[0:1], s[64:65], 2
	v_mad_u64_u32 v[4:5], s[8:9], s65, v5, v[4:5]
	v_writelane_b32 v55, s0, 25
	v_mov_b32_e32 v5, v18
	v_writelane_b32 v55, s1, 26
	s_mul_i32 s0, s65, s33
	s_mul_hi_u32 s1, s64, s33
	v_mad_u64_u32 v[5:6], s[8:9], s65, v7, v[5:6]
	s_add_i32 s1, s1, s0
	s_mul_i32 s0, s64, s33
	v_mov_b32_e32 v6, v20
	s_lshl_b64 s[66:67], s[0:1], 2
	s_mov_b32 s0, s74
	v_mad_u64_u32 v[6:7], s[8:9], s65, v8, v[6:7]
	v_writelane_b32 v55, s0, 27
	v_writelane_b32 v55, s1, 28
	v_lshrrev_b32_e32 v7, 1, v0
	v_writelane_b32 v55, s84, 29
	v_lshlrev_b32_e32 v12, 2, v0
	v_mov_b32_e32 v15, 0
	v_and_b32_e32 v7, 0x1e0, v7
	v_lshlrev_b64 v[20:21], 4, v[2:3]
	v_mov_b32_e32 v2, 0xc00
	v_writelane_b32 v55, s85, 30
	s_mov_b32 s71, 0
	v_cmp_eq_u32_e64 s[4:5], 0, v29
	v_add_u32_e32 v30, 0xc00, v12
	v_mov_b32_e32 v13, v15
	v_or_b32_e32 v18, 0xc00, v7
	v_mov_b32_e32 v34, v4
	s_lshl_b64 s[86:87], s[64:65], 4
	v_mov_b32_e32 v35, v5
	v_mov_b32_e32 v36, v6
	v_lshlrev_b32_e32 v37, 4, v0
	v_lshl_or_b32 v39, v29, 3, v2
	s_lshl_b32 s72, s33, 2
	s_mov_b32 s73, 30
	s_mov_b64 s[88:89], 0
	v_bfrev_b32_e32 v40, 1
	s_mov_b32 s78, 0
	v_mov_b32_e32 v41, 0x4f800000
	v_mov_b32_e32 v38, 0
	;; [unrolled: 1-line block ×3, first 2 shown]
	v_mov_b32_e32 v22, 1.0
	v_mov_b32_e32 v24, 0
	v_writelane_b32 v55, s50, 31
                                        ; implicit-def: $sgpr90_sgpr91
                                        ; implicit-def: $sgpr94_sgpr95
                                        ; implicit-def: $sgpr92_sgpr93
                                        ; implicit-def: $sgpr58_sgpr59
                                        ; implicit-def: $sgpr60_sgpr61
                                        ; implicit-def: $sgpr54_sgpr55
	v_writelane_b32 v55, s51, 32
	s_branch .LBB124_20
.LBB124_17:                             ;   in Loop: Header=BB124_20 Depth=1
	s_or_b64 exec, exec, s[10:11]
	s_and_b64 s[2:3], s[2:3], exec
	s_andn2_b64 s[20:21], s[20:21], exec
	s_andn2_b64 s[6:7], s[6:7], exec
	s_orn2_b64 s[14:15], s[8:9], exec
.LBB124_18:                             ;   in Loop: Header=BB124_20 Depth=1
	s_or_b64 exec, exec, s[0:1]
	s_andn2_b64 s[0:1], s[54:55], exec
	s_and_b64 s[2:3], s[2:3], exec
	s_or_b64 s[54:55], s[0:1], s[2:3]
	s_andn2_b64 s[0:1], s[60:61], exec
	s_and_b64 s[2:3], s[20:21], exec
	s_or_b64 s[60:61], s[0:1], s[2:3]
	;; [unrolled: 3-line block ×3, first 2 shown]
	s_orn2_b64 s[6:7], s[14:15], exec
.LBB124_19:                             ;   in Loop: Header=BB124_20 Depth=1
	s_or_b64 exec, exec, s[12:13]
	s_and_b64 s[0:1], exec, s[6:7]
	s_or_b64 s[88:89], s[0:1], s[88:89]
	s_andn2_b64 s[0:1], s[92:93], exec
	s_and_b64 s[2:3], s[54:55], exec
	s_or_b64 s[92:93], s[0:1], s[2:3]
	s_andn2_b64 s[0:1], s[94:95], exec
	s_and_b64 s[2:3], s[60:61], exec
	;; [unrolled: 3-line block ×3, first 2 shown]
	v_mov_b32_e32 v26, v7
	s_or_b64 s[90:91], s[0:1], s[2:3]
	v_mov_b32_e32 v25, v6
	s_andn2_b64 exec, exec, s[88:89]
	s_cbranch_execz .LBB124_286
.LBB124_20:                             ; =>This Loop Header: Depth=1
                                        ;     Child Loop BB124_26 Depth 2
                                        ;     Child Loop BB124_39 Depth 2
	;; [unrolled: 1-line block ×16, first 2 shown]
	ds_read_b128 v[2:5], v15 offset:5120
	s_waitcnt lgkmcnt(0)
	v_readfirstlane_b32 s63, v3
	v_readfirstlane_b32 s62, v2
	s_cmp_lg_u64 s[62:63], 0
	s_cbranch_scc1 .LBB124_47
; %bb.21:                               ;   in Loop: Header=BB124_20 Depth=1
	v_readlane_b32 s0, v55, 14
	v_readlane_b32 s1, v55, 15
	s_and_b64 vcc, exec, s[0:1]
	s_cbranch_vccz .LBB124_34
; %bb.22:                               ;   in Loop: Header=BB124_20 Depth=1
	s_mov_b64 s[0:1], 0x301
	v_cmp_gt_u64_e32 vcc, s[0:1], v[4:5]
	s_mov_b64 s[0:1], 0
	s_mov_b64 s[2:3], 0
	s_cbranch_vccz .LBB124_35
; %bb.23:                               ;   in Loop: Header=BB124_20 Depth=1
	s_mov_b64 s[2:3], exec
	v_readlane_b32 s6, v55, 8
	v_readlane_b32 s7, v55, 9
	s_and_b64 s[6:7], s[2:3], s[6:7]
	s_mov_b64 exec, s[6:7]
	s_cbranch_execz .LBB124_148
; %bb.24:                               ;   in Loop: Header=BB124_20 Depth=1
	global_load_ushort v6, v15, s[50:51]
	global_load_dword v7, v[10:11], off
	v_mov_b32_e32 v2, s56
	v_mov_b32_e32 v3, s57
	v_readlane_b32 s12, v55, 25
	v_readlane_b32 s13, v55, 26
	s_mov_b64 s[8:9], 0
	s_waitcnt vmcnt(1)
	v_readfirstlane_b32 s6, v6
	s_and_b32 s10, 0xffff, s6
	v_add_u32_e32 v4, s10, v0
	v_mad_u64_u32 v[2:3], s[6:7], s12, v4, v[2:3]
	s_mul_i32 s11, s13, s10
	s_mul_i32 s18, s12, s10
	v_mad_u64_u32 v[3:4], s[6:7], s13, v4, v[3:4]
	s_mul_hi_u32 s6, s12, s10
	v_mov_b32_e32 v5, v1
	s_add_i32 s19, s6, s11
	v_mov_b32_e32 v4, v0
	s_branch .LBB124_26
.LBB124_25:                             ;   in Loop: Header=BB124_26 Depth=2
	s_or_b64 exec, exec, s[6:7]
	v_mov_b32_e32 v7, s19
	v_add_co_u32_e32 v2, vcc, s18, v2
	v_addc_co_u32_e32 v3, vcc, v3, v7, vcc
	v_mov_b32_e32 v7, v8
	s_andn2_b64 exec, exec, s[8:9]
	s_cbranch_execz .LBB124_148
.LBB124_26:                             ;   Parent Loop BB124_20 Depth=1
                                        ; =>  This Inner Loop Header: Depth=2
	v_add_co_u32_sdwa v4, vcc, v4, v6 dst_sel:DWORD dst_unused:UNUSED_PAD src0_sel:DWORD src1_sel:WORD_0
	v_addc_co_u32_e32 v5, vcc, 0, v5, vcc
	v_cmp_gt_u64_e64 s[6:7], s[52:53], v[4:5]
	v_cmp_le_u64_e32 vcc, s[52:53], v[4:5]
	s_waitcnt lgkmcnt(0)
	v_mov_b32_e32 v9, 0
	v_mov_b32_e32 v8, 0
	s_and_saveexec_b64 s[10:11], s[6:7]
	s_cbranch_execz .LBB124_28
; %bb.27:                               ;   in Loop: Header=BB124_26 Depth=2
	global_load_dword v8, v[2:3], off
.LBB124_28:                             ;   in Loop: Header=BB124_26 Depth=2
	s_or_b64 exec, exec, s[10:11]
	s_waitcnt vmcnt(0)
	v_cmp_lt_i32_e64 s[6:7], -1, v7
	v_cndmask_b32_e64 v14, -1, v40, s[6:7]
	v_xor_b32_e32 v14, v14, v7
	v_cmp_o_f32_e64 s[6:7], v7, v7
	v_cndmask_b32_e64 v14, -1, v14, s[6:7]
	v_and_b32_e32 v14, v14, v42
	v_cmp_eq_u32_e64 s[10:11], v14, v38
	s_cmp_lg_u64 s[10:11], 0
	s_cselect_b64 s[6:7], -1, 0
	s_and_b64 s[6:7], s[4:5], s[6:7]
	s_and_saveexec_b64 s[12:13], s[6:7]
	s_cbranch_execz .LBB124_32
; %bb.29:                               ;   in Loop: Header=BB124_26 Depth=2
	s_mov_b64 s[16:17], exec
	v_mbcnt_lo_u32_b32 v9, s16, 0
	v_mbcnt_hi_u32_b32 v9, s17, v9
	s_bcnt1_i32_b64 s20, s[10:11]
	v_cmp_eq_u32_e64 s[6:7], 0, v9
                                        ; implicit-def: $vgpr14
	s_and_saveexec_b64 s[14:15], s[6:7]
; %bb.30:                               ;   in Loop: Header=BB124_26 Depth=2
	s_bcnt1_i32_b64 s6, s[16:17]
	s_mul_i32 s6, s20, s6
	v_mov_b32_e32 v14, s6
	ds_add_rtn_u32 v14, v15, v14 offset:5144
; %bb.31:                               ;   in Loop: Header=BB124_26 Depth=2
	s_or_b64 exec, exec, s[14:15]
	s_waitcnt lgkmcnt(0)
	v_readfirstlane_b32 s6, v14
	v_mov_b32_e32 v14, s6
	v_mad_u32_u24 v9, s20, v9, v14
.LBB124_32:                             ;   in Loop: Header=BB124_26 Depth=2
	s_or_b64 exec, exec, s[12:13]
	ds_bpermute_b32 v9, v31, v9
	s_and_b64 s[6:7], exec, vcc
	s_or_b64 s[8:9], s[6:7], s[8:9]
	s_and_saveexec_b64 s[6:7], s[10:11]
	s_cbranch_execz .LBB124_25
; %bb.33:                               ;   in Loop: Header=BB124_26 Depth=2
	v_and_b32_e32 v23, s10, v33
	v_and_b32_e32 v14, s11, v32
	v_bcnt_u32_b32 v23, v23, 0
	v_bcnt_u32_b32 v14, v14, v23
	v_lshlrev_b32_e32 v14, 2, v14
	s_waitcnt lgkmcnt(0)
	v_lshl_add_u32 v9, v9, 2, v14
	ds_write_b32 v9, v7
	s_branch .LBB124_25
.LBB124_34:                             ;   in Loop: Header=BB124_20 Depth=1
	s_mov_b64 s[0:1], -1
	s_mov_b64 s[2:3], 0
.LBB124_35:                             ;   in Loop: Header=BB124_20 Depth=1
	s_and_b64 vcc, exec, s[0:1]
	s_cbranch_vccz .LBB124_45
.LBB124_36:                             ;   in Loop: Header=BB124_20 Depth=1
	s_mov_b64 s[0:1], exec
	v_readlane_b32 s2, v55, 8
	v_readlane_b32 s3, v55, 9
	s_and_b64 s[2:3], s[0:1], s[2:3]
	s_mov_b64 exec, s[2:3]
	s_cbranch_execz .LBB124_42
; %bb.37:                               ;   in Loop: Header=BB124_20 Depth=1
	global_load_ushort v2, v15, s[50:51]
	global_load_dword v8, v[10:11], off
	s_waitcnt vmcnt(1)
	v_add_u32_sdwa v14, v2, v0 dst_sel:DWORD dst_unused:UNUSED_PAD src0_sel:WORD_0 src1_sel:DWORD
	v_cmp_gt_u64_e32 vcc, s[52:53], v[14:15]
	v_readfirstlane_b32 s6, v2
	v_mov_b32_e32 v2, v0
	s_and_saveexec_b64 s[2:3], vcc
	s_cbranch_execz .LBB124_41
; %bb.38:                               ;   in Loop: Header=BB124_20 Depth=1
	v_mov_b32_e32 v2, s56
	v_mov_b32_e32 v3, s57
	v_readlane_b32 s12, v55, 25
	v_mad_u64_u32 v[2:3], s[8:9], s12, v14, v[2:3]
	v_readlane_b32 s13, v55, 26
	s_and_b32 s10, s6, 0xffff
	v_mad_u64_u32 v[3:4], s[6:7], s13, v14, v[3:4]
	s_mul_i32 s6, s13, s10
	s_mul_hi_u32 s7, s12, s10
	v_mov_b32_e32 v4, v14
	v_mov_b32_e32 v7, v1
	s_add_i32 s11, s7, s6
	s_mul_i32 s12, s12, s10
	s_mov_b64 s[8:9], 0
	v_mov_b32_e32 v5, v15
	v_mov_b32_e32 v6, v0
.LBB124_39:                             ;   Parent Loop BB124_20 Depth=1
                                        ; =>  This Inner Loop Header: Depth=2
	global_load_dword v9, v[2:3], off
	v_mov_b32_e32 v28, v5
	v_mov_b32_e32 v27, v4
	v_lshlrev_b32_e32 v4, 2, v6
	v_mov_b32_e32 v6, s11
	v_add_co_u32_e32 v2, vcc, s12, v2
	s_waitcnt vmcnt(1)
	ds_write_b32 v4, v8
	v_add_co_u32_e64 v4, s[6:7], s10, v27
	v_addc_co_u32_e64 v5, s[6:7], 0, v28, s[6:7]
	v_addc_co_u32_e32 v3, vcc, v3, v6, vcc
	v_cmp_le_u64_e32 vcc, s[52:53], v[4:5]
	v_mov_b32_e32 v6, v27
	s_or_b64 s[8:9], vcc, s[8:9]
	v_mov_b32_e32 v7, v28
	s_waitcnt vmcnt(0)
	v_mov_b32_e32 v8, v9
	s_andn2_b64 exec, exec, s[8:9]
	s_cbranch_execnz .LBB124_39
; %bb.40:                               ;   in Loop: Header=BB124_20 Depth=1
	s_or_b64 exec, exec, s[8:9]
	v_subrev_u32_e32 v2, s10, v4
	v_mov_b32_e32 v8, v9
.LBB124_41:                             ;   in Loop: Header=BB124_20 Depth=1
	s_or_b64 exec, exec, s[2:3]
	v_lshlrev_b32_e32 v2, 2, v2
	s_waitcnt vmcnt(0)
	ds_write_b32 v2, v8
.LBB124_42:                             ;   in Loop: Header=BB124_20 Depth=1
	s_or_b64 exec, exec, s[0:1]
	s_waitcnt lgkmcnt(0)
	s_barrier
	s_mov_b64 s[0:1], exec
	v_readlane_b32 s2, v55, 10
	v_readlane_b32 s3, v55, 11
	s_and_b64 s[2:3], s[0:1], s[2:3]
	s_mov_b64 exec, s[2:3]
; %bb.43:                               ;   in Loop: Header=BB124_20 Depth=1
	v_mov_b32_e32 v2, s52
	v_mov_b32_e32 v3, s53
	ds_write_b64 v15, v[2:3] offset:5120
; %bb.44:                               ;   in Loop: Header=BB124_20 Depth=1
	s_or_b64 exec, exec, s[0:1]
	s_mov_b64 s[2:3], -1
	s_waitcnt lgkmcnt(0)
	s_barrier
.LBB124_45:                             ;   in Loop: Header=BB124_20 Depth=1
	s_mov_b64 s[62:63], 0
	s_and_b64 vcc, exec, s[2:3]
	s_cbranch_vccz .LBB124_47
; %bb.46:                               ;   in Loop: Header=BB124_20 Depth=1
	ds_read_b64 v[2:3], v15 offset:5120
	s_waitcnt lgkmcnt(0)
	v_readfirstlane_b32 s62, v2
.LBB124_47:                             ;   in Loop: Header=BB124_20 Depth=1
	s_cmp_lt_i32 s62, 1
	s_mov_b64 s[0:1], -1
                                        ; implicit-def: $vgpr2_vgpr3
                                        ; implicit-def: $vgpr6_vgpr7
	s_cbranch_scc1 .LBB124_57
; %bb.48:                               ;   in Loop: Header=BB124_20 Depth=1
	s_and_b64 vcc, exec, s[0:1]
	s_cbranch_vccnz .LBB124_71
.LBB124_49:                             ;   in Loop: Header=BB124_20 Depth=1
	s_lshl_b32 s2, s78, 6
	s_and_saveexec_b64 s[0:1], s[4:5]
	s_cbranch_execz .LBB124_51
.LBB124_50:                             ;   in Loop: Header=BB124_20 Depth=1
	v_lshl_add_u32 v14, s2, 3, v18
	ds_write_b128 v14, v[2:5]
	ds_write_b128 v14, v[6:9] offset:16
.LBB124_51:                             ;   in Loop: Header=BB124_20 Depth=1
	s_or_b64 exec, exec, s[0:1]
	s_waitcnt lgkmcnt(0)
	s_barrier
	s_and_saveexec_b64 s[0:1], s[84:85]
	s_cbranch_execz .LBB124_86
; %bb.52:                               ;   in Loop: Header=BB124_20 Depth=1
	v_readlane_b32 s6, v55, 16
	v_mov_b32_e32 v2, 0
	v_readlane_b32 s7, v55, 17
	v_mov_b32_e32 v3, 0
	s_andn2_b64 vcc, exec, s[6:7]
	s_cbranch_vccnz .LBB124_85
; %bb.53:                               ;   in Loop: Header=BB124_20 Depth=1
	v_readlane_b32 s6, v55, 20
	v_readlane_b32 s7, v55, 21
	s_andn2_b64 vcc, exec, s[6:7]
	s_cbranch_vccnz .LBB124_81
; %bb.54:                               ;   in Loop: Header=BB124_20 Depth=1
	v_mov_b32_e32 v2, 0
	v_lshl_add_u32 v4, s78, 9, v39
	v_mov_b32_e32 v3, 0
	s_mov_b32 s3, 0
.LBB124_55:                             ;   Parent Loop BB124_20 Depth=1
                                        ; =>  This Inner Loop Header: Depth=2
	ds_read2_b64 v[5:8], v4 offset1:4
	ds_read2_b64 v[43:46], v4 offset0:8 offset1:12
	ds_read2_b64 v[47:50], v4 offset0:16 offset1:20
	;; [unrolled: 1-line block ×3, first 2 shown]
	s_add_i32 s3, s3, 8
	s_waitcnt lgkmcnt(3)
	v_add_co_u32_e32 v2, vcc, v5, v2
	v_addc_co_u32_e32 v3, vcc, v6, v3, vcc
	v_add_co_u32_e32 v2, vcc, v7, v2
	v_addc_co_u32_e32 v3, vcc, v8, v3, vcc
	s_waitcnt lgkmcnt(2)
	v_add_co_u32_e32 v2, vcc, v43, v2
	v_addc_co_u32_e32 v3, vcc, v44, v3, vcc
	v_add_co_u32_e32 v2, vcc, v45, v2
	v_addc_co_u32_e32 v3, vcc, v46, v3, vcc
	;; [unrolled: 5-line block ×3, first 2 shown]
	s_waitcnt lgkmcnt(0)
	v_add_co_u32_e32 v2, vcc, v51, v2
	v_addc_co_u32_e32 v3, vcc, v52, v3, vcc
	v_add_co_u32_e32 v2, vcc, v53, v2
	v_add_u32_e32 v4, 0x100, v4
	s_cmp_eq_u32 s27, s3
	v_addc_co_u32_e32 v3, vcc, v54, v3, vcc
	s_cbranch_scc0 .LBB124_55
; %bb.56:                               ;   in Loop: Header=BB124_20 Depth=1
	s_mov_b32 s3, s27
	s_branch .LBB124_82
.LBB124_57:                             ;   in Loop: Header=BB124_20 Depth=1
	global_load_ushort v2, v15, s[50:51]
	s_mov_b32 s0, s71
	s_waitcnt vmcnt(0)
	v_readfirstlane_b32 s1, v2
	s_and_b32 s63, s1, 0xffff
	s_lshl_b32 s76, s63, 2
	s_mov_b32 s1, s53
	s_cmp_lg_u64 s[0:1], 0
	s_cbranch_scc0 .LBB124_80
; %bb.58:                               ;   in Loop: Header=BB124_20 Depth=1
	v_cvt_f32_u32_e32 v2, s76
	s_sub_u32 s2, 0, s76
	s_subb_u32 s3, 0, 0
	v_mac_f32_e32 v2, 0, v41
	v_rcp_f32_e32 v2, v2
	v_mul_f32_e32 v2, 0x5f7ffffc, v2
	v_mul_f32_e32 v3, 0x2f800000, v2
	v_trunc_f32_e32 v3, v3
	v_mac_f32_e32 v2, 0xcf800000, v3
	v_cvt_u32_f32_e32 v3, v3
	v_cvt_u32_f32_e32 v2, v2
	v_readfirstlane_b32 s6, v3
	v_readfirstlane_b32 s0, v2
	s_mul_i32 s1, s2, s6
	s_mul_hi_u32 s8, s2, s0
	s_mul_i32 s7, s3, s0
	s_add_i32 s1, s8, s1
	s_mul_i32 s9, s2, s0
	s_add_i32 s1, s1, s7
	s_mul_hi_u32 s8, s0, s9
	s_mul_i32 s10, s0, s1
	s_mul_hi_u32 s7, s0, s1
	s_add_u32 s8, s8, s10
	s_addc_u32 s7, 0, s7
	s_mul_hi_u32 s11, s6, s9
	s_mul_i32 s9, s6, s9
	s_add_u32 s8, s8, s9
	s_mul_hi_u32 s10, s6, s1
	s_addc_u32 s7, s7, s11
	s_addc_u32 s8, s10, 0
	s_mul_i32 s1, s6, s1
	s_add_u32 s1, s7, s1
	s_addc_u32 s7, 0, s8
	s_add_u32 s8, s0, s1
	s_cselect_b64 s[0:1], -1, 0
	s_cmp_lg_u64 s[0:1], 0
	s_addc_u32 s6, s6, s7
	s_mul_i32 s0, s2, s6
	s_mul_hi_u32 s1, s2, s8
	s_add_i32 s0, s1, s0
	s_mul_i32 s3, s3, s8
	s_add_i32 s0, s0, s3
	s_mul_i32 s2, s2, s8
	s_mul_hi_u32 s3, s6, s2
	s_mul_i32 s7, s6, s2
	s_mul_i32 s10, s8, s0
	s_mul_hi_u32 s2, s8, s2
	s_mul_hi_u32 s9, s8, s0
	s_add_u32 s2, s2, s10
	s_addc_u32 s9, 0, s9
	s_add_u32 s2, s2, s7
	s_mul_hi_u32 s1, s6, s0
	s_addc_u32 s2, s9, s3
	s_addc_u32 s1, s1, 0
	s_mul_i32 s0, s6, s0
	s_add_u32 s0, s2, s0
	s_addc_u32 s2, 0, s1
	s_add_u32 s3, s8, s0
	s_cselect_b64 s[0:1], -1, 0
	s_cmp_lg_u64 s[0:1], 0
	s_addc_u32 s0, s6, s2
	s_mul_i32 s2, s52, s0
	s_mul_hi_u32 s6, s52, s3
	s_mul_hi_u32 s1, s52, s0
	s_add_u32 s2, s6, s2
	s_addc_u32 s1, 0, s1
	s_mul_hi_u32 s7, s53, s3
	s_mul_i32 s3, s53, s3
	s_add_u32 s2, s2, s3
	s_mul_hi_u32 s6, s53, s0
	s_addc_u32 s1, s1, s7
	s_addc_u32 s2, s6, 0
	s_mul_i32 s0, s53, s0
	s_add_u32 s0, s1, s0
	s_addc_u32 s1, 0, s2
	s_mul_i32 s1, s76, s1
	s_mul_hi_u32 s2, s76, s0
	s_add_i32 s2, s2, s1
	s_mul_i32 s0, s76, s0
	s_sub_u32 s3, s52, s0
	s_cselect_b64 s[0:1], -1, 0
	s_cmp_lg_u64 s[0:1], 0
	s_subb_u32 s2, s53, s2
	s_sub_u32 s6, s3, s76
	s_cselect_b64 s[0:1], -1, 0
	s_cmp_lg_u64 s[0:1], 0
	s_subb_u32 s7, s2, 0
	;; [unrolled: 4-line block ×3, first 2 shown]
	s_cmp_ge_u32 s6, s76
	s_cselect_b32 s1, -1, 0
	s_cmp_eq_u32 s7, 0
	s_cselect_b32 s1, s1, -1
	s_cmp_lg_u32 s1, 0
	s_cselect_b32 s0, s0, s7
	s_cselect_b32 s6, s8, s6
	s_cmp_ge_u32 s3, s76
	s_cselect_b32 s1, -1, 0
	s_cmp_eq_u32 s2, 0
	s_cselect_b32 s1, s1, -1
	s_cmp_lg_u32 s1, 0
	s_cselect_b32 s1, s0, s2
	s_cselect_b32 s0, s6, s3
	s_cbranch_execnz .LBB124_60
.LBB124_59:                             ;   in Loop: Header=BB124_20 Depth=1
	v_cvt_f32_u32_e32 v2, s76
	s_sub_i32 s0, 0, s76
	v_rcp_iflag_f32_e32 v2, v2
	v_mul_f32_e32 v2, 0x4f7ffffe, v2
	v_cvt_u32_f32_e32 v2, v2
	v_readfirstlane_b32 s1, v2
	s_mul_i32 s0, s0, s1
	s_mul_hi_u32 s0, s1, s0
	s_add_i32 s1, s1, s0
	s_mul_hi_u32 s0, s52, s1
	s_mul_i32 s0, s0, s76
	s_sub_i32 s0, s52, s0
	s_sub_i32 s1, s0, s76
	s_cmp_ge_u32 s0, s76
	s_cselect_b32 s0, s1, s0
	s_sub_i32 s1, s0, s76
	s_cmp_ge_u32 s0, s76
	s_cselect_b32 s70, s1, s0
	s_mov_b64 s[0:1], s[70:71]
.LBB124_60:                             ;   in Loop: Header=BB124_20 Depth=1
	s_sub_u32 s80, s52, s0
	s_subb_u32 s81, s53, s1
	v_cmp_gt_u64_e32 vcc, s[80:81], v[12:13]
	v_mov_b32_e32 v2, 0
	v_mov_b32_e32 v4, 0
	;; [unrolled: 1-line block ×8, first 2 shown]
	s_and_saveexec_b64 s[82:83], vcc
	s_cbranch_execz .LBB124_64
; %bb.61:                               ;   in Loop: Header=BB124_20 Depth=1
	s_mul_i32 s0, s87, s63
	s_mul_hi_u32 s1, s86, s63
	v_mov_b32_e32 v28, v13
	s_add_i32 s70, s1, s0
	s_mov_b64 s[0:1], 0
	s_mov_b64 s[68:69], s[56:57]
	;; [unrolled: 1-line block ×6, first 2 shown]
	v_mov_b32_e32 v27, v12
.LBB124_62:                             ;   Parent Loop BB124_20 Depth=1
                                        ; =>  This Inner Loop Header: Depth=2
	v_add_co_u32_e64 v27, s[6:7], s76, v27
	v_addc_co_u32_e64 v28, s[6:7], 0, v28, s[6:7]
	v_mov_b32_e32 v7, s69
	v_add_co_u32_e32 v2, vcc, s68, v19
	v_add_co_u32_e64 v8, s[6:7], s68, v20
	v_add_co_u32_e64 v4, s[10:11], s68, v17
	;; [unrolled: 1-line block ×3, first 2 shown]
	v_addc_co_u32_e64 v9, s[6:7], v7, v21, s[6:7]
	v_addc_co_u32_e32 v3, vcc, v7, v36, vcc
	v_addc_co_u32_e64 v5, vcc, v7, v35, s[10:11]
	v_addc_co_u32_e64 v7, vcc, v7, v34, s[12:13]
	global_load_dword v8, v[8:9], off
	s_nop 0
	global_load_dword v2, v[2:3], off
	s_nop 0
	;; [unrolled: 2-line block ×3, first 2 shown]
	global_load_dword v4, v[6:7], off
	s_mul_i32 s79, s86, s63
	v_cmp_le_u64_e32 vcc, s[80:81], v[27:28]
	s_waitcnt vmcnt(3)
	v_cmp_lt_i32_e64 s[6:7], -1, v8
	v_cndmask_b32_e64 v5, -1, v40, s[6:7]
	s_waitcnt vmcnt(2)
	v_cmp_lt_i32_e64 s[6:7], -1, v2
	v_cndmask_b32_e64 v6, -1, v40, s[6:7]
	s_waitcnt vmcnt(1)
	v_cmp_lt_i32_e64 s[6:7], -1, v3
	v_cndmask_b32_e64 v7, -1, v40, s[6:7]
	s_waitcnt vmcnt(0)
	v_cmp_lt_i32_e64 s[6:7], -1, v4
	v_cndmask_b32_e64 v9, -1, v40, s[6:7]
	v_xor_b32_e32 v6, v6, v2
	v_cmp_o_f32_e64 s[6:7], v2, v2
	v_xor_b32_e32 v2, v7, v3
	v_cmp_o_f32_e64 s[10:11], v3, v3
	;; [unrolled: 2-line block ×4, first 2 shown]
	v_cndmask_b32_e64 v4, -1, v4, s[14:15]
	v_cndmask_b32_e64 v5, -1, v6, s[6:7]
	v_and_b32_e32 v6, v4, v42
	v_bfe_u32 v4, v4, s73, 2
	v_cndmask_b32_e64 v2, -1, v2, s[10:11]
	v_and_b32_e32 v7, v5, v42
	v_bfe_u32 v5, v5, s73, 2
	v_cmp_eq_u32_e64 s[6:7], v6, v38
	v_cmp_eq_u32_e64 s[16:17], 0, v4
	v_cndmask_b32_e64 v3, -1, v3, s[12:13]
	v_and_b32_e32 v8, v2, v42
	v_bfe_u32 v2, v2, s73, 2
	v_cmp_eq_u32_e64 s[12:13], v7, v38
	v_cmp_eq_u32_e64 s[18:19], 0, v5
	s_and_b64 s[16:17], s[6:7], s[16:17]
	v_and_b32_e32 v9, v3, v42
	v_bfe_u32 v3, v3, s73, 2
	v_cmp_eq_u32_e64 s[14:15], v8, v38
	v_cmp_eq_u32_e64 s[20:21], 0, v2
	;; [unrolled: 1-line block ×5, first 2 shown]
	v_cndmask_b32_e64 v2, 0, 1, s[16:17]
	s_and_b64 s[16:17], s[12:13], s[18:19]
	v_cmp_eq_u32_e64 s[10:11], v9, v38
	v_cmp_eq_u32_e64 s[22:23], 0, v3
	;; [unrolled: 1-line block ×5, first 2 shown]
	v_cndmask_b32_e64 v3, 0, 1, s[16:17]
	s_and_b64 s[16:17], s[14:15], s[20:21]
	v_cmp_eq_u32_e64 s[24:25], 1, v4
	v_cmp_eq_u32_e64 s[36:37], 2, v4
	;; [unrolled: 1-line block ×3, first 2 shown]
	v_cndmask_b32_e64 v4, 0, 1, s[16:17]
	s_and_b64 s[16:17], s[10:11], s[22:23]
	v_cmp_eq_u32_e64 s[28:29], 1, v5
	v_cmp_eq_u32_e64 s[38:39], 2, v5
	;; [unrolled: 1-line block ×3, first 2 shown]
	v_cndmask_b32_e64 v5, 0, 1, s[16:17]
	v_cmp_ne_u32_e64 s[16:17], 0, v2
	v_cmp_ne_u32_e64 s[18:19], 0, v3
	v_cmp_ne_u32_e64 s[20:21], 0, v4
	v_cmp_ne_u32_e64 s[22:23], 0, v5
	s_bcnt1_i32_b64 s16, s[16:17]
	s_bcnt1_i32_b64 s17, s[18:19]
	s_bcnt1_i32_b64 s18, s[20:21]
	s_bcnt1_i32_b64 s19, s[22:23]
	s_add_u32 s16, s16, s74
	s_addc_u32 s20, 0, s75
	s_add_u32 s16, s16, s17
	s_addc_u32 s17, s20, 0
	s_add_u32 s16, s16, s18
	s_addc_u32 s17, s17, 0
	s_add_u32 s74, s16, s19
	s_addc_u32 s75, s17, 0
	s_and_b64 s[16:17], s[6:7], s[24:25]
	v_cndmask_b32_e64 v4, 0, 1, s[16:17]
	s_and_b64 s[16:17], s[12:13], s[28:29]
	v_cndmask_b32_e64 v5, 0, 1, s[16:17]
	s_and_b64 s[16:17], s[14:15], s[30:31]
	v_cndmask_b32_e64 v6, 0, 1, s[16:17]
	s_and_b64 s[16:17], s[10:11], s[34:35]
	v_cndmask_b32_e64 v7, 0, 1, s[16:17]
	v_cmp_ne_u32_e64 s[16:17], 0, v4
	v_cmp_ne_u32_e64 s[18:19], 0, v5
	v_cmp_ne_u32_e64 s[20:21], 0, v6
	v_cmp_ne_u32_e64 s[22:23], 0, v7
	s_bcnt1_i32_b64 s16, s[16:17]
	s_bcnt1_i32_b64 s17, s[18:19]
	s_bcnt1_i32_b64 s18, s[20:21]
	s_bcnt1_i32_b64 s19, s[22:23]
	s_add_u32 s16, s16, s84
	s_addc_u32 s20, 0, s85
	s_add_u32 s16, s16, s17
	s_addc_u32 s17, s20, 0
	s_add_u32 s16, s16, s18
	s_addc_u32 s17, s17, 0
	s_add_u32 s84, s16, s19
	s_addc_u32 s85, s17, 0
	s_and_b64 s[16:17], s[6:7], s[36:37]
	v_cndmask_b32_e64 v6, 0, 1, s[16:17]
	s_and_b64 s[16:17], s[12:13], s[38:39]
	v_cndmask_b32_e64 v7, 0, 1, s[16:17]
	s_and_b64 s[16:17], s[14:15], s[40:41]
	v_cndmask_b32_e64 v8, 0, 1, s[16:17]
	s_and_b64 s[16:17], s[10:11], s[42:43]
	v_cndmask_b32_e64 v9, 0, 1, s[16:17]
	v_cmp_ne_u32_e64 s[16:17], 0, v6
	v_cmp_ne_u32_e64 s[18:19], 0, v7
	v_cmp_ne_u32_e64 s[20:21], 0, v8
	v_cmp_ne_u32_e64 s[22:23], 0, v9
	s_bcnt1_i32_b64 s16, s[16:17]
	s_bcnt1_i32_b64 s17, s[18:19]
	s_bcnt1_i32_b64 s18, s[20:21]
	s_bcnt1_i32_b64 s19, s[22:23]
	s_add_u32 s2, s16, s2
	s_addc_u32 s3, 0, s3
	s_add_u32 s2, s2, s17
	s_addc_u32 s3, s3, 0
	s_add_u32 s2, s2, s18
	s_addc_u32 s3, s3, 0
	s_add_u32 s2, s2, s19
	s_addc_u32 s3, s3, 0
	s_and_b64 s[6:7], s[6:7], s[44:45]
	v_cndmask_b32_e64 v8, 0, 1, s[6:7]
	s_and_b64 s[6:7], s[12:13], s[46:47]
	v_cndmask_b32_e64 v9, 0, 1, s[6:7]
	s_and_b64 s[6:7], s[14:15], s[48:49]
	v_cndmask_b32_e64 v14, 0, 1, s[6:7]
	s_and_b64 s[6:7], s[10:11], s[50:51]
	v_cndmask_b32_e64 v23, 0, 1, s[6:7]
	v_cmp_ne_u32_e64 s[6:7], 0, v8
	v_cmp_ne_u32_e64 s[10:11], 0, v9
	;; [unrolled: 1-line block ×4, first 2 shown]
	s_bcnt1_i32_b64 s6, s[6:7]
	s_bcnt1_i32_b64 s7, s[10:11]
	;; [unrolled: 1-line block ×4, first 2 shown]
	s_add_u32 s6, s6, s8
	s_addc_u32 s8, 0, s9
	s_add_u32 s6, s6, s7
	s_addc_u32 s7, s8, 0
	;; [unrolled: 2-line block ×4, first 2 shown]
	s_add_u32 s68, s68, s79
	v_mov_b32_e32 v2, s74
	v_mov_b32_e32 v4, s84
	;; [unrolled: 1-line block ×3, first 2 shown]
	s_addc_u32 s69, s69, s70
	v_mov_b32_e32 v8, s8
	v_mov_b32_e32 v3, s75
	;; [unrolled: 1-line block ×4, first 2 shown]
	s_or_b64 s[0:1], vcc, s[0:1]
	v_mov_b32_e32 v9, s9
	s_andn2_b64 exec, exec, s[0:1]
	s_cbranch_execnz .LBB124_62
; %bb.63:                               ;   in Loop: Header=BB124_20 Depth=1
	s_or_b64 exec, exec, s[0:1]
	v_readlane_b32 s84, v55, 29
	v_readlane_b32 s50, v55, 31
	;; [unrolled: 1-line block ×6, first 2 shown]
.LBB124_64:                             ;   in Loop: Header=BB124_20 Depth=1
	s_or_b64 exec, exec, s[82:83]
	v_mov_b32_e32 v14, s81
	v_add_co_u32_e32 v27, vcc, s80, v0
	v_addc_co_u32_e32 v28, vcc, 0, v14, vcc
	v_cmp_gt_u64_e32 vcc, s[52:53], v[27:28]
	s_and_saveexec_b64 s[0:1], vcc
	s_cbranch_execz .LBB124_70
; %bb.65:                               ;   in Loop: Header=BB124_20 Depth=1
	v_mul_lo_u32 v14, v28, s64
	v_mul_lo_u32 v23, v27, s65
	v_mad_u64_u32 v[43:44], s[2:3], v27, s64, 0
	s_mov_b64 s[2:3], 0
	v_add3_u32 v44, v44, v23, v14
	v_lshlrev_b64 v[43:44], 2, v[43:44]
	v_mov_b32_e32 v14, s57
	v_add_co_u32_e32 v43, vcc, s56, v43
	v_addc_co_u32_e32 v44, vcc, v14, v44, vcc
	global_load_dword v23, v[43:44], off
	s_branch .LBB124_67
.LBB124_66:                             ;   in Loop: Header=BB124_67 Depth=2
	s_or_b64 exec, exec, s[8:9]
	s_and_b64 s[6:7], exec, vcc
	s_waitcnt vmcnt(0)
	v_cmp_lt_i32_e32 vcc, -1, v23
	v_cndmask_b32_e32 v43, -1, v40, vcc
	v_xor_b32_e32 v43, v43, v23
	v_cmp_o_f32_e32 vcc, v23, v23
	v_cndmask_b32_e32 v23, -1, v43, vcc
	v_and_b32_e32 v43, v23, v42
	v_bfe_u32 v23, v23, s73, 2
	s_or_b64 s[2:3], s[6:7], s[2:3]
	v_cmp_eq_u32_e32 vcc, v43, v38
	v_cmp_eq_u32_e64 s[6:7], 0, v23
	s_and_b64 s[6:7], vcc, s[6:7]
	v_cndmask_b32_e64 v43, 0, 1, s[6:7]
	v_cmp_ne_u32_e64 s[6:7], 0, v43
	s_bcnt1_i32_b64 s6, s[6:7]
	v_add_co_u32_e64 v2, s[6:7], s6, v2
	v_addc_co_u32_e64 v3, s[6:7], 0, v3, s[6:7]
	v_cmp_eq_u32_e64 s[6:7], 1, v23
	s_and_b64 s[6:7], vcc, s[6:7]
	v_cndmask_b32_e64 v43, 0, 1, s[6:7]
	v_cmp_ne_u32_e64 s[6:7], 0, v43
	s_bcnt1_i32_b64 s6, s[6:7]
	v_add_co_u32_e64 v4, s[6:7], s6, v4
	v_addc_co_u32_e64 v5, s[6:7], 0, v5, s[6:7]
	;; [unrolled: 7-line block ×3, first 2 shown]
	v_cmp_eq_u32_e64 s[6:7], 3, v23
	s_and_b64 s[6:7], vcc, s[6:7]
	v_cndmask_b32_e64 v23, 0, 1, s[6:7]
	v_cmp_ne_u32_e32 vcc, 0, v23
	s_bcnt1_i32_b64 s6, vcc
	v_add_co_u32_e32 v8, vcc, s6, v8
	v_addc_co_u32_e32 v9, vcc, 0, v9, vcc
	v_mov_b32_e32 v23, v14
	s_andn2_b64 exec, exec, s[2:3]
	s_cbranch_execz .LBB124_69
.LBB124_67:                             ;   Parent Loop BB124_20 Depth=1
                                        ; =>  This Inner Loop Header: Depth=2
	v_add_co_u32_e32 v27, vcc, s63, v27
	v_addc_co_u32_e32 v28, vcc, 0, v28, vcc
	v_cmp_gt_u64_e64 s[6:7], s[52:53], v[27:28]
	v_cmp_le_u64_e32 vcc, s[52:53], v[27:28]
	v_mov_b32_e32 v14, 0
	s_and_saveexec_b64 s[8:9], s[6:7]
	s_cbranch_execz .LBB124_66
; %bb.68:                               ;   in Loop: Header=BB124_67 Depth=2
	v_mul_lo_u32 v14, v28, s64
	v_mul_lo_u32 v45, v27, s65
	v_mad_u64_u32 v[43:44], s[6:7], v27, s64, 0
	v_add3_u32 v44, v44, v45, v14
	v_lshlrev_b64 v[43:44], 2, v[43:44]
	v_mov_b32_e32 v14, s57
	v_add_co_u32_e64 v43, s[6:7], s56, v43
	v_addc_co_u32_e64 v44, s[6:7], v14, v44, s[6:7]
	global_load_dword v14, v[43:44], off
	s_branch .LBB124_66
.LBB124_69:                             ;   in Loop: Header=BB124_20 Depth=1
	s_or_b64 exec, exec, s[2:3]
.LBB124_70:                             ;   in Loop: Header=BB124_20 Depth=1
	s_or_b64 exec, exec, s[0:1]
	s_branch .LBB124_49
.LBB124_71:                             ;   in Loop: Header=BB124_20 Depth=1
	global_load_ushort v14, v15, s[50:51]
	v_mov_b32_e32 v6, 0
	v_mov_b32_e32 v7, 0
	s_waitcnt vmcnt(0)
	v_readfirstlane_b32 s0, v14
	s_and_b32 s6, 0xffff, s0
	s_lshl_b32 s63, s6, 2
	v_cvt_f32_u32_e32 v2, s63
	s_sub_i32 s0, 0, s63
	v_rcp_iflag_f32_e32 v4, v2
	v_mov_b32_e32 v2, 0
	v_mov_b32_e32 v3, 0
	v_mul_f32_e32 v4, 0x4f7ffffe, v4
	v_cvt_u32_f32_e32 v8, v4
	v_mov_b32_e32 v4, 0
	v_mov_b32_e32 v5, 0
	v_readfirstlane_b32 s1, v8
	s_mul_i32 s0, s0, s1
	s_mul_hi_u32 s0, s1, s0
	s_add_i32 s1, s1, s0
	s_mul_hi_u32 s0, s62, s1
	s_mul_i32 s1, s0, s63
	s_sub_i32 s1, s62, s1
	s_add_i32 s2, s0, 1
	s_sub_i32 s3, s1, s63
	s_cmp_ge_u32 s1, s63
	s_cselect_b32 s0, s2, s0
	s_cselect_b32 s1, s3, s1
	s_add_i32 s2, s0, 1
	s_cmp_ge_u32 s1, s63
	s_cselect_b32 s0, s2, s0
	s_mul_hi_u32 s1, s6, s0
	s_mul_i32 s0, s6, s0
	s_lshl_b64 s[2:3], s[0:1], 2
	v_cmp_gt_u64_e32 vcc, s[2:3], v[12:13]
	v_mov_b32_e32 v8, 0
	v_mov_b32_e32 v9, 0
	s_and_saveexec_b64 s[8:9], vcc
	s_cbranch_execz .LBB124_75
; %bb.72:                               ;   in Loop: Header=BB124_20 Depth=1
	v_mov_b32_e32 v28, v13
	s_lshl_b32 s1, s6, 4
	s_mov_b64 s[68:69], 0
	v_mov_b32_e32 v23, v37
	s_mov_b64 s[74:75], 0
	s_mov_b64 s[80:81], 0
	s_mov_b64 s[82:83], 0
	s_mov_b64 s[84:85], 0
	v_mov_b32_e32 v27, v12
.LBB124_73:                             ;   Parent Loop BB124_20 Depth=1
                                        ; =>  This Inner Loop Header: Depth=2
	ds_read_b128 v[2:5], v23
	v_add_co_u32_e32 v27, vcc, s63, v27
	v_addc_co_u32_e32 v28, vcc, 0, v28, vcc
	s_waitcnt lgkmcnt(0)
	v_cmp_lt_i32_e64 s[6:7], -1, v2
	v_cndmask_b32_e64 v6, -1, v40, s[6:7]
	v_cmp_lt_i32_e64 s[6:7], -1, v3
	v_cndmask_b32_e64 v7, -1, v40, s[6:7]
	v_cmp_lt_i32_e64 s[6:7], -1, v4
	v_cndmask_b32_e64 v8, -1, v40, s[6:7]
	v_cmp_lt_i32_e64 s[6:7], -1, v5
	v_cndmask_b32_e64 v9, -1, v40, s[6:7]
	v_xor_b32_e32 v7, v7, v3
	v_cmp_o_f32_e64 s[6:7], v3, v3
	v_xor_b32_e32 v3, v8, v4
	v_cmp_o_f32_e64 s[10:11], v4, v4
	;; [unrolled: 2-line block ×4, first 2 shown]
	v_cndmask_b32_e64 v2, -1, v5, s[14:15]
	v_cndmask_b32_e64 v5, -1, v7, s[6:7]
	v_and_b32_e32 v6, v2, v42
	v_bfe_u32 v2, v2, s73, 2
	v_cndmask_b32_e64 v3, -1, v3, s[10:11]
	v_and_b32_e32 v7, v5, v42
	v_bfe_u32 v5, v5, s73, 2
	v_cmp_eq_u32_e64 s[16:17], v6, v38
	v_cmp_eq_u32_e64 s[6:7], 0, v2
	v_cndmask_b32_e64 v4, -1, v4, s[12:13]
	v_and_b32_e32 v8, v3, v42
	v_bfe_u32 v3, v3, s73, 2
	v_cmp_eq_u32_e64 s[14:15], v7, v38
	v_cmp_eq_u32_e64 s[28:29], 0, v5
	s_and_b64 s[6:7], s[16:17], s[6:7]
	v_and_b32_e32 v9, v4, v42
	v_bfe_u32 v4, v4, s73, 2
	v_cmp_eq_u32_e64 s[12:13], v8, v38
	v_cmp_eq_u32_e64 s[30:31], 0, v3
	v_cmp_eq_u32_e64 s[36:37], 1, v2
	v_cmp_eq_u32_e64 s[44:45], 2, v2
	v_cmp_eq_u32_e64 s[24:25], 3, v2
	v_cndmask_b32_e64 v2, 0, 1, s[6:7]
	s_and_b64 s[6:7], s[14:15], s[28:29]
	v_cmp_eq_u32_e64 s[10:11], v9, v38
	v_cmp_eq_u32_e64 s[34:35], 0, v4
	;; [unrolled: 1-line block ×5, first 2 shown]
	v_cndmask_b32_e64 v3, 0, 1, s[6:7]
	s_and_b64 s[6:7], s[12:13], s[30:31]
	v_cmp_eq_u32_e64 s[42:43], 1, v4
	v_cmp_eq_u32_e64 s[50:51], 2, v4
	;; [unrolled: 1-line block ×3, first 2 shown]
	v_cndmask_b32_e64 v4, 0, 1, s[6:7]
	s_and_b64 s[6:7], s[10:11], s[34:35]
	v_cmp_eq_u32_e64 s[38:39], 1, v5
	v_cmp_eq_u32_e64 s[46:47], 2, v5
	;; [unrolled: 1-line block ×3, first 2 shown]
	v_cndmask_b32_e64 v5, 0, 1, s[6:7]
	v_cmp_ne_u32_e64 s[6:7], 0, v2
	v_cmp_ne_u32_e64 s[28:29], 0, v3
	v_cmp_ne_u32_e64 s[30:31], 0, v4
	v_cmp_ne_u32_e64 s[34:35], 0, v5
	s_bcnt1_i32_b64 s6, s[6:7]
	s_bcnt1_i32_b64 s7, s[28:29]
	s_bcnt1_i32_b64 s28, s[30:31]
	s_bcnt1_i32_b64 s29, s[34:35]
	s_add_u32 s6, s6, s84
	s_addc_u32 s30, 0, s85
	s_add_u32 s6, s6, s7
	s_addc_u32 s7, s30, 0
	s_add_u32 s6, s6, s28
	s_addc_u32 s7, s7, 0
	s_add_u32 s84, s6, s29
	s_addc_u32 s85, s7, 0
	s_and_b64 s[6:7], s[16:17], s[36:37]
	v_cndmask_b32_e64 v4, 0, 1, s[6:7]
	s_and_b64 s[6:7], s[14:15], s[38:39]
	v_cndmask_b32_e64 v5, 0, 1, s[6:7]
	s_and_b64 s[6:7], s[12:13], s[40:41]
	v_cndmask_b32_e64 v6, 0, 1, s[6:7]
	s_and_b64 s[6:7], s[10:11], s[42:43]
	v_cndmask_b32_e64 v7, 0, 1, s[6:7]
	v_cmp_ne_u32_e64 s[6:7], 0, v4
	v_cmp_ne_u32_e64 s[28:29], 0, v5
	v_cmp_ne_u32_e64 s[30:31], 0, v6
	v_cmp_ne_u32_e64 s[34:35], 0, v7
	s_bcnt1_i32_b64 s6, s[6:7]
	s_bcnt1_i32_b64 s7, s[28:29]
	s_bcnt1_i32_b64 s28, s[30:31]
	s_bcnt1_i32_b64 s29, s[34:35]
	s_add_u32 s6, s6, s82
	s_addc_u32 s30, 0, s83
	s_add_u32 s6, s6, s7
	s_addc_u32 s7, s30, 0
	s_add_u32 s6, s6, s28
	s_addc_u32 s7, s7, 0
	s_add_u32 s82, s6, s29
	s_addc_u32 s83, s7, 0
	s_and_b64 s[6:7], s[16:17], s[44:45]
	v_cndmask_b32_e64 v6, 0, 1, s[6:7]
	s_and_b64 s[6:7], s[14:15], s[46:47]
	v_cndmask_b32_e64 v7, 0, 1, s[6:7]
	s_and_b64 s[6:7], s[12:13], s[48:49]
	v_cndmask_b32_e64 v8, 0, 1, s[6:7]
	s_and_b64 s[6:7], s[10:11], s[50:51]
	;; [unrolled: 24-line block ×3, first 2 shown]
	v_cndmask_b32_e64 v44, 0, 1, s[6:7]
	v_cmp_ne_u32_e64 s[6:7], 0, v8
	v_cmp_ne_u32_e64 s[10:11], 0, v9
	v_cmp_ne_u32_e64 s[12:13], 0, v43
	v_cmp_ne_u32_e64 s[14:15], 0, v44
	s_bcnt1_i32_b64 s6, s[6:7]
	s_bcnt1_i32_b64 s7, s[10:11]
	s_bcnt1_i32_b64 s10, s[12:13]
	s_bcnt1_i32_b64 s11, s[14:15]
	s_add_u32 s6, s6, s74
	s_addc_u32 s12, 0, s75
	s_add_u32 s6, s6, s7
	s_addc_u32 s7, s12, 0
	;; [unrolled: 2-line block ×3, first 2 shown]
	v_cmp_le_u64_e32 vcc, s[2:3], v[27:28]
	s_add_u32 s74, s6, s11
	v_mov_b32_e32 v2, s84
	v_mov_b32_e32 v4, s82
	;; [unrolled: 1-line block ×3, first 2 shown]
	s_addc_u32 s75, s7, 0
	v_mov_b32_e32 v8, s74
	v_add_u32_e32 v23, s1, v23
	v_mov_b32_e32 v3, s85
	v_mov_b32_e32 v5, s83
	;; [unrolled: 1-line block ×3, first 2 shown]
	s_or_b64 s[68:69], vcc, s[68:69]
	v_mov_b32_e32 v9, s75
	s_andn2_b64 exec, exec, s[68:69]
	s_cbranch_execnz .LBB124_73
; %bb.74:                               ;   in Loop: Header=BB124_20 Depth=1
	s_or_b64 exec, exec, s[68:69]
	v_readlane_b32 s84, v55, 29
	v_readlane_b32 s50, v55, 31
	;; [unrolled: 1-line block ×6, first 2 shown]
.LBB124_75:                             ;   in Loop: Header=BB124_20 Depth=1
	s_or_b64 exec, exec, s[8:9]
	v_mov_b32_e32 v23, s3
	v_add_co_u32_e32 v27, vcc, s2, v0
	s_and_b32 s70, s62, 0x7fffffff
	v_addc_co_u32_e32 v28, vcc, 0, v23, vcc
	v_cmp_gt_u64_e32 vcc, s[70:71], v[27:28]
	s_and_saveexec_b64 s[2:3], vcc
	s_cbranch_execz .LBB124_79
; %bb.76:                               ;   in Loop: Header=BB124_20 Depth=1
	v_lshl_add_u32 v23, s0, 4, v12
	s_mov_b64 s[0:1], 0
.LBB124_77:                             ;   Parent Loop BB124_20 Depth=1
                                        ; =>  This Inner Loop Header: Depth=2
	ds_read_b32 v43, v23
	v_add_co_u32_sdwa v27, vcc, v27, v14 dst_sel:DWORD dst_unused:UNUSED_PAD src0_sel:DWORD src1_sel:WORD_0
	v_addc_co_u32_e32 v28, vcc, 0, v28, vcc
	s_waitcnt lgkmcnt(0)
	v_cmp_lt_i32_e64 s[6:7], -1, v43
	v_cndmask_b32_e64 v44, -1, v40, s[6:7]
	v_xor_b32_e32 v44, v44, v43
	v_cmp_o_f32_e64 s[6:7], v43, v43
	v_cndmask_b32_e64 v43, -1, v44, s[6:7]
	v_and_b32_e32 v44, v43, v42
	v_bfe_u32 v43, v43, s73, 2
	v_cmp_eq_u32_e64 s[6:7], v44, v38
	v_cmp_eq_u32_e64 s[10:11], 0, v43
	;; [unrolled: 1-line block ×3, first 2 shown]
	s_and_b64 s[8:9], s[6:7], s[10:11]
	v_cmp_eq_u32_e64 s[14:15], 2, v43
	v_cmp_eq_u32_e64 s[16:17], 3, v43
	v_cndmask_b32_e64 v43, 0, 1, s[8:9]
	s_and_b64 s[8:9], s[6:7], s[12:13]
	v_cndmask_b32_e64 v44, 0, 1, s[8:9]
	s_and_b64 s[8:9], s[6:7], s[14:15]
	s_and_b64 s[6:7], s[6:7], s[16:17]
	v_cndmask_b32_e64 v46, 0, 1, s[6:7]
	v_cmp_ne_u32_e64 s[6:7], 0, v43
	s_bcnt1_i32_b64 s6, s[6:7]
	v_cmp_ne_u32_e64 s[10:11], 0, v44
	v_add_co_u32_e64 v2, s[6:7], s6, v2
	v_cndmask_b32_e64 v45, 0, 1, s[8:9]
	s_bcnt1_i32_b64 s8, s[10:11]
	v_addc_co_u32_e64 v3, s[6:7], 0, v3, s[6:7]
	v_cmp_le_u64_e32 vcc, s[70:71], v[27:28]
	v_cmp_ne_u32_e64 s[12:13], 0, v45
	v_cmp_ne_u32_e64 s[14:15], 0, v46
	v_add_co_u32_e64 v4, s[6:7], s8, v4
	s_bcnt1_i32_b64 s9, s[12:13]
	s_bcnt1_i32_b64 s10, s[14:15]
	v_addc_co_u32_e64 v5, s[6:7], 0, v5, s[6:7]
	v_add_co_u32_e64 v6, s[6:7], s9, v6
	s_or_b64 s[0:1], vcc, s[0:1]
	v_add_co_u32_e32 v8, vcc, s10, v8
	v_add_u32_e32 v23, s63, v23
	v_addc_co_u32_e64 v7, s[6:7], 0, v7, s[6:7]
	v_addc_co_u32_e32 v9, vcc, 0, v9, vcc
	s_andn2_b64 exec, exec, s[0:1]
	s_cbranch_execnz .LBB124_77
; %bb.78:                               ;   in Loop: Header=BB124_20 Depth=1
	s_or_b64 exec, exec, s[0:1]
.LBB124_79:                             ;   in Loop: Header=BB124_20 Depth=1
	s_or_b64 exec, exec, s[2:3]
	s_lshl_b32 s2, s78, 6
	s_and_saveexec_b64 s[0:1], s[4:5]
	s_cbranch_execnz .LBB124_50
	s_branch .LBB124_51
.LBB124_80:                             ;   in Loop: Header=BB124_20 Depth=1
                                        ; implicit-def: $sgpr0_sgpr1
	s_branch .LBB124_59
.LBB124_81:                             ;   in Loop: Header=BB124_20 Depth=1
	v_mov_b32_e32 v2, 0
	v_mov_b32_e32 v3, 0
	s_mov_b32 s3, 0
.LBB124_82:                             ;   in Loop: Header=BB124_20 Depth=1
	v_readlane_b32 s6, v55, 23
	v_readlane_b32 s7, v55, 24
	s_andn2_b64 vcc, exec, s[6:7]
	s_cbranch_vccnz .LBB124_85
; %bb.83:                               ;   in Loop: Header=BB124_20 Depth=1
	s_lshl_b32 s6, s78, 9
	s_lshl_b32 s3, s3, 5
	s_add_i32 s6, s6, s3
	v_add_u32_e32 v4, s6, v39
	v_readlane_b32 s3, v55, 22
.LBB124_84:                             ;   Parent Loop BB124_20 Depth=1
                                        ; =>  This Inner Loop Header: Depth=2
	ds_read_b64 v[5:6], v4
	s_add_i32 s3, s3, -1
	v_add_u32_e32 v4, 32, v4
	s_cmp_lg_u32 s3, 0
	s_waitcnt lgkmcnt(0)
	v_add_co_u32_e32 v2, vcc, v5, v2
	v_addc_co_u32_e32 v3, vcc, v6, v3, vcc
	s_cbranch_scc1 .LBB124_84
.LBB124_85:                             ;   in Loop: Header=BB124_20 Depth=1
	v_add_lshl_u32 v4, s2, v29, 3
	ds_write_b64 v4, v[2:3] offset:3072
.LBB124_86:                             ;   in Loop: Header=BB124_20 Depth=1
	s_or_b64 exec, exec, s[0:1]
	s_lshl_b32 s0, s2, 3
	v_mov_b32_e32 v2, s0
	s_waitcnt lgkmcnt(0)
	s_barrier
	ds_read_b128 v[6:9], v2 offset:3088
	ds_read_b128 v[2:5], v2 offset:3072
	v_cmp_eq_u64_e64 s[6:7], 1, v[25:26]
	s_lshl_b32 s68, 3, s73
	s_not_b32 s48, s68
	s_waitcnt lgkmcnt(1)
	v_readfirstlane_b32 s18, v6
	s_waitcnt lgkmcnt(0)
	v_cmp_eq_u64_e32 vcc, 1, v[2:3]
	v_readfirstlane_b32 s19, v7
	v_readfirstlane_b32 s10, v8
	;; [unrolled: 1-line block ×3, first 2 shown]
	s_and_b64 s[14:15], vcc, s[6:7]
	s_mov_b64 s[6:7], -1
	s_mov_b64 s[8:9], -1
                                        ; implicit-def: $sgpr2_sgpr3
                                        ; implicit-def: $sgpr0_sgpr1
	s_and_saveexec_b64 s[12:13], s[14:15]
	s_cbranch_execz .LBB124_120
; %bb.87:                               ;   in Loop: Header=BB124_20 Depth=1
	ds_read_b64 v[6:7], v15 offset:5120
	s_waitcnt lgkmcnt(0)
	s_barrier
	v_readfirstlane_b32 s16, v6
	v_readfirstlane_b32 s17, v7
	s_mov_b64 s[0:1], exec
	v_readlane_b32 s2, v55, 12
	v_readlane_b32 s3, v55, 13
	s_and_b64 s[2:3], s[0:1], s[2:3]
	s_mov_b64 exec, s[2:3]
; %bb.88:                               ;   in Loop: Header=BB124_20 Depth=1
	ds_write_b32 v30, v15
; %bb.89:                               ;   in Loop: Header=BB124_20 Depth=1
	s_or_b64 exec, exec, s[0:1]
	v_and_b32_e32 v38, s48, v38
	v_or_b32_e32 v42, s68, v42
	s_mov_b64 s[0:1], -1
	s_mov_b64 s[2:3], 0
	s_cmp_eq_u64 s[16:17], 0
	s_mov_b64 s[8:9], 0
	s_mov_b64 s[20:21], -1
	s_waitcnt lgkmcnt(0)
	s_barrier
                                        ; implicit-def: $vgpr24
	s_cbranch_scc1 .LBB124_104
; %bb.90:                               ;   in Loop: Header=BB124_20 Depth=1
	v_readlane_b32 s8, v55, 18
	s_add_u32 s24, s16, s8
	v_readlane_b32 s8, v55, 19
	s_addc_u32 s9, s17, s8
	s_mov_b32 s8, s71
	s_cmp_lg_u64 s[8:9], 0
	s_cbranch_scc0 .LBB124_147
; %bb.91:                               ;   in Loop: Header=BB124_20 Depth=1
	v_cvt_f32_u32_e32 v6, s33
	s_sub_u32 s8, 0, s33
	s_subb_u32 s22, 0, 0
	v_mac_f32_e32 v6, 0, v41
	v_rcp_f32_e32 v6, v6
	v_mul_f32_e32 v6, 0x5f7ffffc, v6
	v_mul_f32_e32 v7, 0x2f800000, v6
	v_trunc_f32_e32 v7, v7
	v_mac_f32_e32 v6, 0xcf800000, v7
	v_cvt_u32_f32_e32 v7, v7
	v_cvt_u32_f32_e32 v6, v6
	v_readfirstlane_b32 s23, v7
	v_readfirstlane_b32 s20, v6
	s_mul_i32 s21, s8, s23
	s_mul_hi_u32 s28, s8, s20
	s_mul_i32 s25, s22, s20
	s_add_i32 s21, s28, s21
	s_mul_i32 s29, s8, s20
	s_add_i32 s21, s21, s25
	s_mul_hi_u32 s28, s20, s29
	s_mul_i32 s30, s20, s21
	s_mul_hi_u32 s25, s20, s21
	s_add_u32 s28, s28, s30
	s_addc_u32 s25, 0, s25
	s_mul_hi_u32 s31, s23, s29
	s_mul_i32 s29, s23, s29
	s_add_u32 s28, s28, s29
	s_mul_hi_u32 s30, s23, s21
	s_addc_u32 s25, s25, s31
	s_addc_u32 s28, s30, 0
	s_mul_i32 s21, s23, s21
	s_add_u32 s21, s25, s21
	s_addc_u32 s25, 0, s28
	s_add_u32 s28, s20, s21
	s_cselect_b64 s[20:21], -1, 0
	s_cmp_lg_u64 s[20:21], 0
	s_addc_u32 s23, s23, s25
	s_mul_i32 s20, s8, s23
	s_mul_hi_u32 s21, s8, s28
	s_add_i32 s20, s21, s20
	s_mul_i32 s22, s22, s28
	s_add_i32 s20, s20, s22
	s_mul_i32 s8, s8, s28
	s_mul_hi_u32 s22, s23, s8
	s_mul_i32 s25, s23, s8
	s_mul_i32 s30, s28, s20
	s_mul_hi_u32 s8, s28, s8
	s_mul_hi_u32 s29, s28, s20
	s_add_u32 s8, s8, s30
	s_addc_u32 s29, 0, s29
	s_add_u32 s8, s8, s25
	s_mul_hi_u32 s21, s23, s20
	s_addc_u32 s8, s29, s22
	s_addc_u32 s21, s21, 0
	s_mul_i32 s20, s23, s20
	s_add_u32 s8, s8, s20
	s_addc_u32 s22, 0, s21
	s_add_u32 s8, s28, s8
	s_cselect_b64 s[20:21], -1, 0
	s_cmp_lg_u64 s[20:21], 0
	s_addc_u32 s20, s23, s22
	s_mul_i32 s22, s24, s20
	s_mul_hi_u32 s23, s24, s8
	s_mul_hi_u32 s21, s24, s20
	s_add_u32 s22, s23, s22
	s_addc_u32 s21, 0, s21
	s_mul_hi_u32 s25, s9, s8
	s_mul_i32 s8, s9, s8
	s_add_u32 s8, s22, s8
	s_mul_hi_u32 s23, s9, s20
	s_addc_u32 s8, s21, s25
	s_addc_u32 s21, s23, 0
	s_mul_i32 s20, s9, s20
	s_add_u32 s8, s8, s20
	s_addc_u32 s20, 0, s21
	s_mul_i32 s20, s33, s20
	s_mul_hi_u32 s21, s33, s8
	s_add_i32 s22, s21, s20
	s_mul_i32 s8, s33, s8
	s_sub_u32 s8, s24, s8
	s_cselect_b64 s[20:21], -1, 0
	s_cmp_lg_u64 s[20:21], 0
	s_subb_u32 s22, s9, s22
	s_sub_u32 s23, s8, s33
	s_cselect_b64 s[20:21], -1, 0
	s_cmp_lg_u64 s[20:21], 0
	s_subb_u32 s25, s22, 0
	;; [unrolled: 4-line block ×3, first 2 shown]
	s_cmp_ge_u32 s23, s33
	s_cselect_b32 s21, -1, 0
	s_cmp_eq_u32 s25, 0
	s_cselect_b32 s21, s21, -1
	s_cmp_lg_u32 s21, 0
	s_cselect_b32 s20, s20, s25
	s_cselect_b32 s23, s28, s23
	s_cmp_ge_u32 s8, s33
	s_cselect_b32 s21, -1, 0
	s_cmp_eq_u32 s22, 0
	s_cselect_b32 s21, s21, -1
	s_cmp_lg_u32 s21, 0
	s_cselect_b32 s21, s20, s22
	s_cselect_b32 s20, s23, s8
	s_cbranch_execnz .LBB124_93
.LBB124_92:                             ;   in Loop: Header=BB124_20 Depth=1
	v_cvt_f32_u32_e32 v6, s33
	s_sub_i32 s8, 0, s33
	v_rcp_iflag_f32_e32 v6, v6
	v_mul_f32_e32 v6, 0x4f7ffffe, v6
	v_cvt_u32_f32_e32 v6, v6
	v_readfirstlane_b32 s20, v6
	s_mul_i32 s8, s8, s20
	s_mul_hi_u32 s8, s20, s8
	s_add_i32 s20, s20, s8
	s_mul_hi_u32 s8, s24, s20
	s_mul_i32 s8, s8, s33
	s_sub_i32 s8, s24, s8
	s_sub_i32 s20, s8, s33
	s_cmp_ge_u32 s8, s33
	s_cselect_b32 s8, s20, s8
	s_sub_i32 s20, s8, s33
	s_cmp_ge_u32 s8, s33
	s_cselect_b32 s70, s20, s8
	s_mov_b64 s[20:21], s[70:71]
.LBB124_93:                             ;   in Loop: Header=BB124_20 Depth=1
	s_sub_u32 s24, s24, s20
	s_subb_u32 s25, s9, s21
	v_cmp_gt_u64_e32 vcc, s[24:25], v[0:1]
	s_mov_b64 s[20:21], 0
	s_mov_b64 s[8:9], 0
                                        ; implicit-def: $vgpr24
	s_and_saveexec_b64 s[22:23], vcc
	s_cbranch_execz .LBB124_103
; %bb.94:                               ;   in Loop: Header=BB124_20 Depth=1
	v_mov_b32_e32 v7, v1
	v_mov_b32_e32 v8, v12
	;; [unrolled: 1-line block ×3, first 2 shown]
                                        ; implicit-def: $sgpr28_sgpr29
	s_branch .LBB124_98
.LBB124_95:                             ;   in Loop: Header=BB124_98 Depth=2
	s_or_b64 exec, exec, s[30:31]
	s_waitcnt lgkmcnt(0)
	s_barrier
	ds_read_b64 v[23:24], v15 offset:3072
	s_waitcnt lgkmcnt(0)
	s_barrier
	v_cmp_neq_f32_e32 vcc, 0, v23
	s_cbranch_vccnz .LBB124_101
; %bb.96:                               ;   in Loop: Header=BB124_98 Depth=2
	v_add_co_u32_e32 v6, vcc, s33, v6
	v_addc_co_u32_e32 v7, vcc, 0, v7, vcc
	v_cmp_le_u64_e32 vcc, s[24:25], v[6:7]
	v_add_u32_e32 v8, s72, v8
	s_mov_b64 s[30:31], 0
	s_orn2_b64 s[34:35], vcc, exec
.LBB124_97:                             ;   in Loop: Header=BB124_98 Depth=2
	s_and_b64 s[34:35], exec, s[34:35]
	s_or_b64 s[8:9], s[34:35], s[8:9]
	s_andn2_b64 s[28:29], s[28:29], exec
	s_and_b64 s[30:31], s[30:31], exec
	s_or_b64 s[28:29], s[28:29], s[30:31]
	s_andn2_b64 exec, exec, s[8:9]
	s_cbranch_execz .LBB124_102
.LBB124_98:                             ;   Parent Loop BB124_20 Depth=1
                                        ; =>  This Inner Loop Header: Depth=2
	v_cmp_gt_u64_e32 vcc, s[16:17], v[6:7]
	s_and_saveexec_b64 s[30:31], vcc
	s_cbranch_execz .LBB124_95
; %bb.99:                               ;   in Loop: Header=BB124_98 Depth=2
	ds_read_b32 v23, v8
	s_waitcnt lgkmcnt(0)
	v_cmp_lt_i32_e32 vcc, -1, v23
	v_cndmask_b32_e32 v9, -1, v40, vcc
	v_xor_b32_e32 v9, v9, v23
	v_cmp_o_f32_e32 vcc, v23, v23
	v_cndmask_b32_e32 v9, -1, v9, vcc
	v_and_b32_e32 v9, v9, v42
	v_cmp_eq_u32_e32 vcc, v9, v38
	s_and_b64 exec, exec, vcc
	s_cbranch_execz .LBB124_95
; %bb.100:                              ;   in Loop: Header=BB124_98 Depth=2
	ds_write_b64 v15, v[22:23] offset:3072
	s_branch .LBB124_95
.LBB124_101:                            ;   in Loop: Header=BB124_98 Depth=2
	s_mov_b64 s[34:35], -1
                                        ; implicit-def: $vgpr6_vgpr7
                                        ; implicit-def: $vgpr8
	s_mov_b64 s[30:31], -1
	s_branch .LBB124_97
.LBB124_102:                            ;   in Loop: Header=BB124_20 Depth=1
	s_or_b64 exec, exec, s[8:9]
	s_and_b64 s[8:9], s[28:29], exec
.LBB124_103:                            ;   in Loop: Header=BB124_20 Depth=1
	s_or_b64 exec, exec, s[22:23]
.LBB124_104:                            ;   in Loop: Header=BB124_20 Depth=1
	s_and_b64 vcc, exec, s[20:21]
	s_cbranch_vccz .LBB124_119
; %bb.105:                              ;   in Loop: Header=BB124_20 Depth=1
	s_mov_b32 s76, s71
	s_cmp_lg_u64 s[76:77], 0
	s_cbranch_scc0 .LBB124_151
; %bb.106:                              ;   in Loop: Header=BB124_20 Depth=1
	v_cvt_f32_u32_e32 v6, s33
	s_sub_u32 s2, 0, s33
	s_subb_u32 s3, 0, 0
	v_mac_f32_e32 v6, 0, v41
	v_rcp_f32_e32 v6, v6
	v_mul_f32_e32 v6, 0x5f7ffffc, v6
	v_mul_f32_e32 v7, 0x2f800000, v6
	v_trunc_f32_e32 v7, v7
	v_mac_f32_e32 v6, 0xcf800000, v7
	v_cvt_u32_f32_e32 v7, v7
	v_cvt_u32_f32_e32 v6, v6
	v_readfirstlane_b32 s16, v7
	v_readfirstlane_b32 s0, v6
	s_mul_i32 s1, s2, s16
	s_mul_hi_u32 s20, s2, s0
	s_mul_i32 s17, s3, s0
	s_add_i32 s1, s20, s1
	s_mul_i32 s21, s2, s0
	s_add_i32 s1, s1, s17
	s_mul_hi_u32 s20, s0, s21
	s_mul_i32 s22, s0, s1
	s_mul_hi_u32 s17, s0, s1
	s_add_u32 s20, s20, s22
	s_addc_u32 s17, 0, s17
	s_mul_hi_u32 s23, s16, s21
	s_mul_i32 s21, s16, s21
	s_add_u32 s20, s20, s21
	s_mul_hi_u32 s22, s16, s1
	s_addc_u32 s17, s17, s23
	s_addc_u32 s20, s22, 0
	s_mul_i32 s1, s16, s1
	s_add_u32 s1, s17, s1
	s_addc_u32 s17, 0, s20
	s_add_u32 s20, s0, s1
	s_cselect_b64 s[0:1], -1, 0
	s_cmp_lg_u64 s[0:1], 0
	s_addc_u32 s16, s16, s17
	s_mul_i32 s0, s2, s16
	s_mul_hi_u32 s1, s2, s20
	s_add_i32 s0, s1, s0
	s_mul_i32 s3, s3, s20
	s_add_i32 s0, s0, s3
	s_mul_i32 s2, s2, s20
	s_mul_hi_u32 s3, s16, s2
	s_mul_i32 s17, s16, s2
	s_mul_i32 s22, s20, s0
	s_mul_hi_u32 s2, s20, s2
	s_mul_hi_u32 s21, s20, s0
	s_add_u32 s2, s2, s22
	s_addc_u32 s21, 0, s21
	s_add_u32 s2, s2, s17
	s_mul_hi_u32 s1, s16, s0
	s_addc_u32 s2, s21, s3
	s_addc_u32 s1, s1, 0
	s_mul_i32 s0, s16, s0
	s_add_u32 s0, s2, s0
	s_addc_u32 s2, 0, s1
	s_add_u32 s3, s20, s0
	s_cselect_b64 s[0:1], -1, 0
	s_cmp_lg_u64 s[0:1], 0
	s_addc_u32 s0, s16, s2
	s_mul_i32 s2, s26, s0
	s_mul_hi_u32 s16, s26, s3
	s_mul_hi_u32 s1, s26, s0
	s_add_u32 s2, s16, s2
	s_addc_u32 s1, 0, s1
	s_mul_hi_u32 s17, s77, s3
	s_mul_i32 s3, s77, s3
	s_add_u32 s2, s2, s3
	s_mul_hi_u32 s16, s77, s0
	s_addc_u32 s1, s1, s17
	s_addc_u32 s2, s16, 0
	s_mul_i32 s0, s77, s0
	s_add_u32 s0, s1, s0
	s_addc_u32 s1, 0, s2
	s_mul_i32 s1, s33, s1
	s_mul_hi_u32 s2, s33, s0
	s_add_i32 s2, s2, s1
	s_mul_i32 s0, s33, s0
	s_sub_u32 s3, s26, s0
	s_cselect_b64 s[0:1], -1, 0
	s_cmp_lg_u64 s[0:1], 0
	s_subb_u32 s2, s77, s2
	s_sub_u32 s16, s3, s33
	s_cselect_b64 s[0:1], -1, 0
	s_cmp_lg_u64 s[0:1], 0
	s_subb_u32 s17, s2, 0
	;; [unrolled: 4-line block ×3, first 2 shown]
	s_cmp_ge_u32 s16, s33
	s_cselect_b32 s1, -1, 0
	s_cmp_eq_u32 s17, 0
	s_cselect_b32 s1, s1, -1
	s_cmp_lg_u32 s1, 0
	s_cselect_b32 s0, s0, s17
	s_cselect_b32 s16, s20, s16
	s_cmp_ge_u32 s3, s33
	s_cselect_b32 s1, -1, 0
	s_cmp_eq_u32 s2, 0
	s_cselect_b32 s1, s1, -1
	s_cmp_lg_u32 s1, 0
	s_cselect_b32 s1, s0, s2
	s_cselect_b32 s0, s16, s3
	s_cbranch_execnz .LBB124_108
.LBB124_107:                            ;   in Loop: Header=BB124_20 Depth=1
	v_cvt_f32_u32_e32 v6, s33
	s_sub_i32 s0, 0, s33
	v_rcp_iflag_f32_e32 v6, v6
	v_mul_f32_e32 v6, 0x4f7ffffe, v6
	v_cvt_u32_f32_e32 v6, v6
	v_readfirstlane_b32 s1, v6
	s_mul_i32 s0, s0, s1
	s_mul_hi_u32 s0, s1, s0
	s_add_i32 s1, s1, s0
	s_mul_hi_u32 s0, s26, s1
	s_mul_i32 s0, s0, s33
	s_sub_i32 s0, s26, s0
	s_sub_i32 s1, s0, s33
	s_cmp_ge_u32 s0, s33
	s_cselect_b32 s0, s1, s0
	s_sub_i32 s1, s0, s33
	s_cmp_ge_u32 s0, s33
	s_cselect_b32 s70, s1, s0
	s_mov_b64 s[0:1], s[70:71]
.LBB124_108:                            ;   in Loop: Header=BB124_20 Depth=1
	s_sub_u32 s2, s26, s0
	s_subb_u32 s3, s77, s1
	v_cmp_gt_u64_e32 vcc, s[2:3], v[0:1]
                                        ; implicit-def: $vgpr24
	s_and_saveexec_b64 s[0:1], vcc
	s_cbranch_execz .LBB124_118
; %bb.109:                              ;   in Loop: Header=BB124_20 Depth=1
	v_mov_b32_e32 v6, v10
	v_mov_b32_e32 v9, v1
	s_mov_b64 s[16:17], 0
	v_mov_b32_e32 v7, v11
	v_mov_b32_e32 v8, v0
                                        ; implicit-def: $sgpr20_sgpr21
	s_branch .LBB124_113
.LBB124_110:                            ;   in Loop: Header=BB124_113 Depth=2
	s_or_b64 exec, exec, s[22:23]
	s_waitcnt lgkmcnt(0)
	s_barrier
	ds_read_b64 v[23:24], v15 offset:3072
	s_waitcnt lgkmcnt(0)
	s_barrier
	v_cmp_neq_f32_e32 vcc, 0, v23
	s_cbranch_vccnz .LBB124_116
; %bb.111:                              ;   in Loop: Header=BB124_113 Depth=2
	v_add_co_u32_e32 v8, vcc, s33, v8
	v_addc_co_u32_e32 v9, vcc, 0, v9, vcc
	v_mov_b32_e32 v14, s67
	v_add_co_u32_e32 v6, vcc, s66, v6
	v_addc_co_u32_e32 v7, vcc, v7, v14, vcc
	v_cmp_le_u64_e32 vcc, s[2:3], v[8:9]
	s_mov_b64 s[22:23], 0
	s_orn2_b64 s[24:25], vcc, exec
.LBB124_112:                            ;   in Loop: Header=BB124_113 Depth=2
	s_and_b64 s[24:25], exec, s[24:25]
	s_or_b64 s[16:17], s[24:25], s[16:17]
	s_andn2_b64 s[20:21], s[20:21], exec
	s_and_b64 s[22:23], s[22:23], exec
	s_or_b64 s[20:21], s[20:21], s[22:23]
	s_andn2_b64 exec, exec, s[16:17]
	s_cbranch_execz .LBB124_117
.LBB124_113:                            ;   Parent Loop BB124_20 Depth=1
                                        ; =>  This Inner Loop Header: Depth=2
	v_cmp_gt_u64_e32 vcc, s[52:53], v[8:9]
	s_and_saveexec_b64 s[22:23], vcc
	s_cbranch_execz .LBB124_110
; %bb.114:                              ;   in Loop: Header=BB124_113 Depth=2
	global_load_dword v23, v[6:7], off
	s_waitcnt vmcnt(0)
	v_cmp_lt_i32_e32 vcc, -1, v23
	v_cndmask_b32_e32 v14, -1, v40, vcc
	v_xor_b32_e32 v14, v14, v23
	v_cmp_o_f32_e32 vcc, v23, v23
	v_cndmask_b32_e32 v14, -1, v14, vcc
	v_and_b32_e32 v14, v14, v42
	v_cmp_eq_u32_e32 vcc, v14, v38
	s_and_b64 exec, exec, vcc
	s_cbranch_execz .LBB124_110
; %bb.115:                              ;   in Loop: Header=BB124_113 Depth=2
	ds_write_b64 v15, v[22:23] offset:3072
	s_branch .LBB124_110
.LBB124_116:                            ;   in Loop: Header=BB124_113 Depth=2
	s_mov_b64 s[24:25], -1
                                        ; implicit-def: $vgpr8_vgpr9
                                        ; implicit-def: $vgpr6_vgpr7
	s_mov_b64 s[22:23], -1
	s_branch .LBB124_112
.LBB124_117:                            ;   in Loop: Header=BB124_20 Depth=1
	s_or_b64 exec, exec, s[16:17]
	s_andn2_b64 s[2:3], s[8:9], exec
	s_and_b64 s[8:9], s[20:21], exec
	s_or_b64 s[8:9], s[2:3], s[8:9]
.LBB124_118:                            ;   in Loop: Header=BB124_20 Depth=1
	s_or_b64 exec, exec, s[0:1]
	s_mov_b64 s[0:1], 0
	s_mov_b64 s[2:3], -1
.LBB124_119:                            ;   in Loop: Header=BB124_20 Depth=1
	s_orn2_b64 s[8:9], s[8:9], exec
.LBB124_120:                            ;   in Loop: Header=BB124_20 Depth=1
	s_or_b64 exec, exec, s[12:13]
	s_andn2_b64 s[12:13], s[60:61], exec
	s_and_b64 s[2:3], s[2:3], exec
	s_or_b64 s[60:61], s[12:13], s[2:3]
	s_andn2_b64 s[2:3], s[58:59], exec
	s_and_b64 s[0:1], s[0:1], exec
	s_andn2_b64 s[54:55], s[54:55], exec
	s_or_b64 s[58:59], s[2:3], s[0:1]
                                        ; implicit-def: $vgpr6_vgpr7
	s_and_saveexec_b64 s[12:13], s[8:9]
	s_cbranch_execz .LBB124_19
; %bb.121:                              ;   in Loop: Header=BB124_20 Depth=1
	v_mov_b32_e32 v6, 1
	s_xor_b64 s[6:7], s[14:15], -1
	v_mov_b32_e32 v14, 1
	v_mov_b32_e32 v7, 0
	s_mov_b64 s[2:3], 0
	s_and_saveexec_b64 s[0:1], s[6:7]
	s_cbranch_execz .LBB124_130
; %bb.122:                              ;   in Loop: Header=BB124_20 Depth=1
	v_cmp_le_u64_e32 vcc, v[25:26], v[2:3]
	s_and_saveexec_b64 s[2:3], vcc
	s_xor_b64 s[2:3], exec, s[2:3]
	s_cbranch_execz .LBB124_127
; %bb.123:                              ;   in Loop: Header=BB124_20 Depth=1
	ds_read_b64 v[6:7], v15 offset:5120
	v_and_b32_e32 v38, s48, v38
	v_or_b32_e32 v42, s68, v42
	s_waitcnt lgkmcnt(0)
	v_cmp_ne_u64_e32 vcc, 0, v[6:7]
	s_cbranch_vccnz .LBB124_127
; %bb.124:                              ;   in Loop: Header=BB124_20 Depth=1
	s_mov_b64 s[6:7], exec
	v_readlane_b32 s8, v55, 10
	v_readlane_b32 s9, v55, 11
	s_and_b64 s[8:9], s[6:7], s[8:9]
	s_mov_b64 exec, s[8:9]
; %bb.125:                              ;   in Loop: Header=BB124_20 Depth=1
	ds_write_b64 v15, v[2:3] offset:5128
; %bb.126:                              ;   in Loop: Header=BB124_20 Depth=1
	s_or_b64 exec, exec, s[6:7]
	s_waitcnt lgkmcnt(0)
	s_barrier
.LBB124_127:                            ;   in Loop: Header=BB124_20 Depth=1
	s_or_saveexec_b64 s[2:3], s[2:3]
	s_mov_b64 s[6:7], 0
	v_mov_b32_e32 v14, 8
	s_xor_b64 exec, exec, s[2:3]
; %bb.128:                              ;   in Loop: Header=BB124_20 Depth=1
	v_sub_co_u32_e32 v25, vcc, v25, v2
	s_mov_b64 s[6:7], exec
	v_subb_co_u32_e32 v26, vcc, v26, v3, vcc
	v_mov_b32_e32 v14, 0
; %bb.129:                              ;   in Loop: Header=BB124_20 Depth=1
	s_or_b64 exec, exec, s[2:3]
	v_mov_b32_e32 v6, v25
	s_and_b64 s[2:3], s[6:7], exec
	v_mov_b32_e32 v7, v26
.LBB124_130:                            ;   in Loop: Header=BB124_20 Depth=1
	s_or_b64 exec, exec, s[0:1]
	s_mov_b64 s[14:15], -1
	s_mov_b64 s[0:1], -1
                                        ; implicit-def: $sgpr6_sgpr7
                                        ; implicit-def: $sgpr20_sgpr21
	s_and_saveexec_b64 s[8:9], s[2:3]
	s_xor_b64 s[16:17], exec, s[8:9]
	s_cbranch_execz .LBB124_281
; %bb.131:                              ;   in Loop: Header=BB124_20 Depth=1
	v_cmp_eq_u64_e32 vcc, 1, v[4:5]
	v_cmp_eq_u64_e64 s[6:7], 1, v[6:7]
                                        ; implicit-def: $sgpr20_sgpr21
	s_and_b64 s[24:25], vcc, s[6:7]
                                        ; implicit-def: $sgpr6_sgpr7
	s_and_saveexec_b64 s[22:23], s[24:25]
	s_cbranch_execz .LBB124_170
; %bb.132:                              ;   in Loop: Header=BB124_20 Depth=1
	ds_read_b64 v[2:3], v15 offset:5120
	s_waitcnt lgkmcnt(0)
	s_barrier
	v_readfirstlane_b32 s2, v2
	v_readfirstlane_b32 s3, v3
	s_mov_b64 s[0:1], exec
	v_readlane_b32 s6, v55, 12
	v_readlane_b32 s7, v55, 13
	s_and_b64 s[6:7], s[0:1], s[6:7]
	s_mov_b64 exec, s[6:7]
; %bb.133:                              ;   in Loop: Header=BB124_20 Depth=1
	ds_write_b32 v30, v15
; %bb.134:                              ;   in Loop: Header=BB124_20 Depth=1
	s_or_b64 exec, exec, s[0:1]
	v_and_b32_e32 v2, s48, v38
	v_lshl_or_b32 v38, 1, s73, v2
	v_or_b32_e32 v42, s68, v42
	s_mov_b64 s[6:7], -1
	s_mov_b64 s[20:21], 0
	s_cmp_eq_u64 s[2:3], 0
	s_mov_b64 s[0:1], 0
	s_mov_b64 s[8:9], -1
	s_waitcnt lgkmcnt(0)
	s_barrier
                                        ; implicit-def: $vgpr24
	s_cbranch_scc1 .LBB124_154
; %bb.135:                              ;   in Loop: Header=BB124_20 Depth=1
	v_readlane_b32 s0, v55, 18
	s_add_u32 s30, s2, s0
	v_readlane_b32 s0, v55, 19
	s_addc_u32 s1, s3, s0
	s_mov_b32 s0, s71
	s_cmp_lg_u64 s[0:1], 0
	s_cbranch_scc0 .LBB124_198
; %bb.136:                              ;   in Loop: Header=BB124_20 Depth=1
	v_cvt_f32_u32_e32 v2, s33
	s_sub_u32 s0, 0, s33
	s_subb_u32 s28, 0, 0
	v_mac_f32_e32 v2, 0, v41
	v_rcp_f32_e32 v2, v2
	v_mul_f32_e32 v2, 0x5f7ffffc, v2
	v_mul_f32_e32 v3, 0x2f800000, v2
	v_trunc_f32_e32 v3, v3
	v_mac_f32_e32 v2, 0xcf800000, v3
	v_cvt_u32_f32_e32 v3, v3
	v_cvt_u32_f32_e32 v2, v2
	v_readfirstlane_b32 s29, v3
	v_readfirstlane_b32 s8, v2
	s_mul_i32 s9, s0, s29
	s_mul_hi_u32 s34, s0, s8
	s_mul_i32 s31, s28, s8
	s_add_i32 s9, s34, s9
	s_mul_i32 s35, s0, s8
	s_add_i32 s9, s9, s31
	s_mul_hi_u32 s34, s8, s35
	s_mul_i32 s36, s8, s9
	s_mul_hi_u32 s31, s8, s9
	s_add_u32 s34, s34, s36
	s_addc_u32 s31, 0, s31
	s_mul_hi_u32 s37, s29, s35
	s_mul_i32 s35, s29, s35
	s_add_u32 s34, s34, s35
	s_mul_hi_u32 s36, s29, s9
	s_addc_u32 s31, s31, s37
	s_addc_u32 s34, s36, 0
	s_mul_i32 s9, s29, s9
	s_add_u32 s9, s31, s9
	s_addc_u32 s31, 0, s34
	s_add_u32 s34, s8, s9
	s_cselect_b64 s[8:9], -1, 0
	s_cmp_lg_u64 s[8:9], 0
	s_addc_u32 s29, s29, s31
	s_mul_i32 s8, s0, s29
	s_mul_hi_u32 s9, s0, s34
	s_add_i32 s8, s9, s8
	s_mul_i32 s28, s28, s34
	s_add_i32 s8, s8, s28
	s_mul_i32 s0, s0, s34
	s_mul_hi_u32 s28, s29, s0
	s_mul_i32 s31, s29, s0
	s_mul_i32 s36, s34, s8
	s_mul_hi_u32 s0, s34, s0
	s_mul_hi_u32 s35, s34, s8
	s_add_u32 s0, s0, s36
	s_addc_u32 s35, 0, s35
	s_add_u32 s0, s0, s31
	s_mul_hi_u32 s9, s29, s8
	s_addc_u32 s0, s35, s28
	s_addc_u32 s9, s9, 0
	s_mul_i32 s8, s29, s8
	s_add_u32 s0, s0, s8
	s_addc_u32 s28, 0, s9
	s_add_u32 s0, s34, s0
	s_cselect_b64 s[8:9], -1, 0
	s_cmp_lg_u64 s[8:9], 0
	s_addc_u32 s8, s29, s28
	s_mul_i32 s28, s30, s8
	s_mul_hi_u32 s29, s30, s0
	s_mul_hi_u32 s9, s30, s8
	s_add_u32 s28, s29, s28
	s_addc_u32 s9, 0, s9
	s_mul_hi_u32 s31, s1, s0
	s_mul_i32 s0, s1, s0
	s_add_u32 s0, s28, s0
	s_mul_hi_u32 s29, s1, s8
	s_addc_u32 s0, s9, s31
	s_addc_u32 s9, s29, 0
	s_mul_i32 s8, s1, s8
	s_add_u32 s0, s0, s8
	s_addc_u32 s8, 0, s9
	s_mul_i32 s8, s33, s8
	s_mul_hi_u32 s9, s33, s0
	s_add_i32 s28, s9, s8
	s_mul_i32 s0, s33, s0
	s_sub_u32 s0, s30, s0
	s_cselect_b64 s[8:9], -1, 0
	s_cmp_lg_u64 s[8:9], 0
	s_subb_u32 s28, s1, s28
	s_sub_u32 s29, s0, s33
	s_cselect_b64 s[8:9], -1, 0
	s_cmp_lg_u64 s[8:9], 0
	s_subb_u32 s31, s28, 0
	;; [unrolled: 4-line block ×3, first 2 shown]
	s_cmp_ge_u32 s29, s33
	s_cselect_b32 s9, -1, 0
	s_cmp_eq_u32 s31, 0
	s_cselect_b32 s9, s9, -1
	s_cmp_lg_u32 s9, 0
	s_cselect_b32 s8, s8, s31
	s_cselect_b32 s29, s34, s29
	s_cmp_ge_u32 s0, s33
	s_cselect_b32 s9, -1, 0
	s_cmp_eq_u32 s28, 0
	s_cselect_b32 s9, s9, -1
	s_cmp_lg_u32 s9, 0
	s_cselect_b32 s9, s8, s28
	s_cselect_b32 s8, s29, s0
	s_cbranch_execnz .LBB124_138
.LBB124_137:                            ;   in Loop: Header=BB124_20 Depth=1
	v_cvt_f32_u32_e32 v2, s33
	s_sub_i32 s0, 0, s33
	v_rcp_iflag_f32_e32 v2, v2
	v_mul_f32_e32 v2, 0x4f7ffffe, v2
	v_cvt_u32_f32_e32 v2, v2
	v_readfirstlane_b32 s8, v2
	s_mul_i32 s0, s0, s8
	s_mul_hi_u32 s0, s8, s0
	s_add_i32 s8, s8, s0
	s_mul_hi_u32 s0, s30, s8
	s_mul_i32 s0, s0, s33
	s_sub_i32 s0, s30, s0
	s_sub_i32 s8, s0, s33
	s_cmp_ge_u32 s0, s33
	s_cselect_b32 s0, s8, s0
	s_sub_i32 s8, s0, s33
	s_cmp_ge_u32 s0, s33
	s_cselect_b32 s70, s8, s0
	s_mov_b64 s[8:9], s[70:71]
.LBB124_138:                            ;   in Loop: Header=BB124_20 Depth=1
	s_sub_u32 s30, s30, s8
	s_subb_u32 s31, s1, s9
	v_cmp_gt_u64_e32 vcc, s[30:31], v[0:1]
	s_mov_b64 s[8:9], 0
	s_mov_b64 s[0:1], 0
                                        ; implicit-def: $vgpr24
	s_and_saveexec_b64 s[28:29], vcc
	s_cbranch_execz .LBB124_153
; %bb.139:                              ;   in Loop: Header=BB124_20 Depth=1
	v_mov_b32_e32 v3, v1
	v_mov_b32_e32 v8, v12
	;; [unrolled: 1-line block ×3, first 2 shown]
                                        ; implicit-def: $sgpr34_sgpr35
	s_branch .LBB124_143
.LBB124_140:                            ;   in Loop: Header=BB124_143 Depth=2
	s_or_b64 exec, exec, s[36:37]
	s_waitcnt lgkmcnt(0)
	s_barrier
	ds_read_b64 v[23:24], v15 offset:3072
	s_waitcnt lgkmcnt(0)
	s_barrier
	v_cmp_neq_f32_e32 vcc, 0, v23
	s_cbranch_vccnz .LBB124_146
; %bb.141:                              ;   in Loop: Header=BB124_143 Depth=2
	v_add_co_u32_e32 v2, vcc, s33, v2
	v_addc_co_u32_e32 v3, vcc, 0, v3, vcc
	v_cmp_le_u64_e32 vcc, s[30:31], v[2:3]
	v_add_u32_e32 v8, s72, v8
	s_mov_b64 s[36:37], 0
	s_orn2_b64 s[38:39], vcc, exec
.LBB124_142:                            ;   in Loop: Header=BB124_143 Depth=2
	s_and_b64 s[38:39], exec, s[38:39]
	s_or_b64 s[0:1], s[38:39], s[0:1]
	s_andn2_b64 s[34:35], s[34:35], exec
	s_and_b64 s[36:37], s[36:37], exec
	s_or_b64 s[34:35], s[34:35], s[36:37]
	s_andn2_b64 exec, exec, s[0:1]
	s_cbranch_execz .LBB124_152
.LBB124_143:                            ;   Parent Loop BB124_20 Depth=1
                                        ; =>  This Inner Loop Header: Depth=2
	v_cmp_gt_u64_e32 vcc, s[2:3], v[2:3]
	s_and_saveexec_b64 s[36:37], vcc
	s_cbranch_execz .LBB124_140
; %bb.144:                              ;   in Loop: Header=BB124_143 Depth=2
	ds_read_b32 v23, v8
	s_waitcnt lgkmcnt(0)
	v_cmp_lt_i32_e32 vcc, -1, v23
	v_cndmask_b32_e32 v9, -1, v40, vcc
	v_xor_b32_e32 v9, v9, v23
	v_cmp_o_f32_e32 vcc, v23, v23
	v_cndmask_b32_e32 v9, -1, v9, vcc
	v_and_b32_e32 v9, v9, v42
	v_cmp_eq_u32_e32 vcc, v9, v38
	s_and_b64 exec, exec, vcc
	s_cbranch_execz .LBB124_140
; %bb.145:                              ;   in Loop: Header=BB124_143 Depth=2
	ds_write_b64 v15, v[22:23] offset:3072
	s_branch .LBB124_140
.LBB124_146:                            ;   in Loop: Header=BB124_143 Depth=2
	s_mov_b64 s[38:39], -1
                                        ; implicit-def: $vgpr2_vgpr3
                                        ; implicit-def: $vgpr8
	s_mov_b64 s[36:37], -1
	s_branch .LBB124_142
.LBB124_147:                            ;   in Loop: Header=BB124_20 Depth=1
                                        ; implicit-def: $sgpr20_sgpr21
	s_branch .LBB124_92
.LBB124_148:                            ;   in Loop: Header=BB124_20 Depth=1
	s_or_b64 exec, exec, s[2:3]
	s_waitcnt lgkmcnt(0)
	s_barrier
	s_mov_b64 s[2:3], exec
	v_readlane_b32 s6, v55, 10
	v_readlane_b32 s7, v55, 11
	s_and_b64 s[6:7], s[2:3], s[6:7]
	s_mov_b64 exec, s[6:7]
	s_cbranch_execz .LBB124_150
; %bb.149:                              ;   in Loop: Header=BB124_20 Depth=1
	ds_read_b32 v2, v15 offset:5144
	s_waitcnt lgkmcnt(0)
	v_ashrrev_i32_e32 v3, 31, v2
	ds_write_b64 v15, v[2:3] offset:5120
.LBB124_150:                            ;   in Loop: Header=BB124_20 Depth=1
	s_or_b64 exec, exec, s[2:3]
	s_waitcnt lgkmcnt(0)
	s_barrier
	s_mov_b64 s[2:3], -1
	s_and_b64 vcc, exec, s[0:1]
	s_cbranch_vccnz .LBB124_36
	s_branch .LBB124_45
.LBB124_151:                            ;   in Loop: Header=BB124_20 Depth=1
                                        ; implicit-def: $sgpr0_sgpr1
	s_branch .LBB124_107
.LBB124_152:                            ;   in Loop: Header=BB124_20 Depth=1
	s_or_b64 exec, exec, s[0:1]
	s_and_b64 s[0:1], s[34:35], exec
.LBB124_153:                            ;   in Loop: Header=BB124_20 Depth=1
	s_or_b64 exec, exec, s[28:29]
.LBB124_154:                            ;   in Loop: Header=BB124_20 Depth=1
	s_and_b64 vcc, exec, s[8:9]
	s_cbranch_vccz .LBB124_169
; %bb.155:                              ;   in Loop: Header=BB124_20 Depth=1
	s_mov_b32 s76, s71
	s_cmp_lg_u64 s[76:77], 0
	s_cbranch_scc0 .LBB124_199
; %bb.156:                              ;   in Loop: Header=BB124_20 Depth=1
	v_cvt_f32_u32_e32 v2, s33
	s_sub_u32 s6, 0, s33
	s_subb_u32 s7, 0, 0
	v_mac_f32_e32 v2, 0, v41
	v_rcp_f32_e32 v2, v2
	v_mul_f32_e32 v2, 0x5f7ffffc, v2
	v_mul_f32_e32 v3, 0x2f800000, v2
	v_trunc_f32_e32 v3, v3
	v_mac_f32_e32 v2, 0xcf800000, v3
	v_cvt_u32_f32_e32 v3, v3
	v_cvt_u32_f32_e32 v2, v2
	v_readfirstlane_b32 s8, v3
	v_readfirstlane_b32 s2, v2
	s_mul_i32 s3, s6, s8
	s_mul_hi_u32 s20, s6, s2
	s_mul_i32 s9, s7, s2
	s_add_i32 s3, s20, s3
	s_mul_i32 s21, s6, s2
	s_add_i32 s3, s3, s9
	s_mul_hi_u32 s20, s2, s21
	s_mul_i32 s28, s2, s3
	s_mul_hi_u32 s9, s2, s3
	s_add_u32 s20, s20, s28
	s_addc_u32 s9, 0, s9
	s_mul_hi_u32 s29, s8, s21
	s_mul_i32 s21, s8, s21
	s_add_u32 s20, s20, s21
	s_mul_hi_u32 s28, s8, s3
	s_addc_u32 s9, s9, s29
	s_addc_u32 s20, s28, 0
	s_mul_i32 s3, s8, s3
	s_add_u32 s3, s9, s3
	s_addc_u32 s9, 0, s20
	s_add_u32 s20, s2, s3
	s_cselect_b64 s[2:3], -1, 0
	s_cmp_lg_u64 s[2:3], 0
	s_addc_u32 s8, s8, s9
	s_mul_i32 s2, s6, s8
	s_mul_hi_u32 s3, s6, s20
	s_add_i32 s2, s3, s2
	s_mul_i32 s7, s7, s20
	s_add_i32 s2, s2, s7
	s_mul_i32 s6, s6, s20
	s_mul_hi_u32 s7, s8, s6
	s_mul_i32 s9, s8, s6
	s_mul_i32 s28, s20, s2
	s_mul_hi_u32 s6, s20, s6
	s_mul_hi_u32 s21, s20, s2
	s_add_u32 s6, s6, s28
	s_addc_u32 s21, 0, s21
	s_add_u32 s6, s6, s9
	s_mul_hi_u32 s3, s8, s2
	s_addc_u32 s6, s21, s7
	s_addc_u32 s3, s3, 0
	s_mul_i32 s2, s8, s2
	s_add_u32 s2, s6, s2
	s_addc_u32 s6, 0, s3
	s_add_u32 s7, s20, s2
	s_cselect_b64 s[2:3], -1, 0
	s_cmp_lg_u64 s[2:3], 0
	s_addc_u32 s2, s8, s6
	s_mul_i32 s6, s26, s2
	s_mul_hi_u32 s8, s26, s7
	s_mul_hi_u32 s3, s26, s2
	s_add_u32 s6, s8, s6
	s_addc_u32 s3, 0, s3
	s_mul_hi_u32 s9, s77, s7
	s_mul_i32 s7, s77, s7
	s_add_u32 s6, s6, s7
	s_mul_hi_u32 s8, s77, s2
	s_addc_u32 s3, s3, s9
	s_addc_u32 s6, s8, 0
	s_mul_i32 s2, s77, s2
	s_add_u32 s2, s3, s2
	s_addc_u32 s3, 0, s6
	s_mul_i32 s3, s33, s3
	s_mul_hi_u32 s6, s33, s2
	s_add_i32 s6, s6, s3
	s_mul_i32 s2, s33, s2
	s_sub_u32 s7, s26, s2
	s_cselect_b64 s[2:3], -1, 0
	s_cmp_lg_u64 s[2:3], 0
	s_subb_u32 s6, s77, s6
	s_sub_u32 s8, s7, s33
	s_cselect_b64 s[2:3], -1, 0
	s_cmp_lg_u64 s[2:3], 0
	s_subb_u32 s9, s6, 0
	;; [unrolled: 4-line block ×3, first 2 shown]
	s_cmp_ge_u32 s8, s33
	s_cselect_b32 s3, -1, 0
	s_cmp_eq_u32 s9, 0
	s_cselect_b32 s3, s3, -1
	s_cmp_lg_u32 s3, 0
	s_cselect_b32 s2, s2, s9
	s_cselect_b32 s8, s20, s8
	s_cmp_ge_u32 s7, s33
	s_cselect_b32 s3, -1, 0
	s_cmp_eq_u32 s6, 0
	s_cselect_b32 s3, s3, -1
	s_cmp_lg_u32 s3, 0
	s_cselect_b32 s3, s2, s6
	s_cselect_b32 s2, s8, s7
	s_cbranch_execnz .LBB124_158
.LBB124_157:                            ;   in Loop: Header=BB124_20 Depth=1
	v_cvt_f32_u32_e32 v2, s33
	s_sub_i32 s2, 0, s33
	v_rcp_iflag_f32_e32 v2, v2
	v_mul_f32_e32 v2, 0x4f7ffffe, v2
	v_cvt_u32_f32_e32 v2, v2
	v_readfirstlane_b32 s3, v2
	s_mul_i32 s2, s2, s3
	s_mul_hi_u32 s2, s3, s2
	s_add_i32 s3, s3, s2
	s_mul_hi_u32 s2, s26, s3
	s_mul_i32 s2, s2, s33
	s_sub_i32 s2, s26, s2
	s_sub_i32 s3, s2, s33
	s_cmp_ge_u32 s2, s33
	s_cselect_b32 s2, s3, s2
	s_sub_i32 s3, s2, s33
	s_cmp_ge_u32 s2, s33
	s_cselect_b32 s70, s3, s2
	s_mov_b64 s[2:3], s[70:71]
.LBB124_158:                            ;   in Loop: Header=BB124_20 Depth=1
	s_sub_u32 s6, s26, s2
	s_subb_u32 s7, s77, s3
	v_cmp_gt_u64_e32 vcc, s[6:7], v[0:1]
                                        ; implicit-def: $vgpr24
	s_and_saveexec_b64 s[2:3], vcc
	s_cbranch_execz .LBB124_168
; %bb.159:                              ;   in Loop: Header=BB124_20 Depth=1
	v_mov_b32_e32 v2, v10
	v_mov_b32_e32 v9, v1
	s_mov_b64 s[8:9], 0
	v_mov_b32_e32 v3, v11
	v_mov_b32_e32 v8, v0
                                        ; implicit-def: $sgpr20_sgpr21
	s_branch .LBB124_163
.LBB124_160:                            ;   in Loop: Header=BB124_163 Depth=2
	s_or_b64 exec, exec, s[28:29]
	s_waitcnt lgkmcnt(0)
	s_barrier
	ds_read_b64 v[23:24], v15 offset:3072
	s_waitcnt lgkmcnt(0)
	s_barrier
	v_cmp_eq_f32_e32 vcc, 0, v23
	s_cbranch_vccz .LBB124_166
; %bb.161:                              ;   in Loop: Header=BB124_163 Depth=2
	v_add_co_u32_e32 v8, vcc, s33, v8
	v_addc_co_u32_e32 v9, vcc, 0, v9, vcc
	v_mov_b32_e32 v23, s67
	v_add_co_u32_e32 v2, vcc, s66, v2
	v_addc_co_u32_e32 v3, vcc, v3, v23, vcc
	v_cmp_le_u64_e32 vcc, s[6:7], v[8:9]
	s_mov_b64 s[28:29], 0
	s_orn2_b64 s[30:31], vcc, exec
.LBB124_162:                            ;   in Loop: Header=BB124_163 Depth=2
	s_and_b64 s[30:31], exec, s[30:31]
	s_or_b64 s[8:9], s[30:31], s[8:9]
	s_andn2_b64 s[20:21], s[20:21], exec
	s_and_b64 s[28:29], s[28:29], exec
	s_or_b64 s[20:21], s[20:21], s[28:29]
	s_andn2_b64 exec, exec, s[8:9]
	s_cbranch_execz .LBB124_167
.LBB124_163:                            ;   Parent Loop BB124_20 Depth=1
                                        ; =>  This Inner Loop Header: Depth=2
	v_cmp_gt_u64_e32 vcc, s[52:53], v[8:9]
	s_and_saveexec_b64 s[28:29], vcc
	s_cbranch_execz .LBB124_160
; %bb.164:                              ;   in Loop: Header=BB124_163 Depth=2
	global_load_dword v23, v[2:3], off
	s_waitcnt vmcnt(0)
	v_cmp_lt_i32_e32 vcc, -1, v23
	v_cndmask_b32_e32 v24, -1, v40, vcc
	v_xor_b32_e32 v24, v24, v23
	v_cmp_o_f32_e32 vcc, v23, v23
	v_cndmask_b32_e32 v24, -1, v24, vcc
	v_and_b32_e32 v24, v24, v42
	v_cmp_eq_u32_e32 vcc, v24, v38
	s_and_b64 exec, exec, vcc
	s_cbranch_execz .LBB124_160
; %bb.165:                              ;   in Loop: Header=BB124_163 Depth=2
	ds_write_b64 v15, v[22:23] offset:3072
	s_branch .LBB124_160
.LBB124_166:                            ;   in Loop: Header=BB124_163 Depth=2
	s_mov_b64 s[30:31], -1
                                        ; implicit-def: $vgpr8_vgpr9
                                        ; implicit-def: $vgpr2_vgpr3
	s_mov_b64 s[28:29], -1
	s_branch .LBB124_162
.LBB124_167:                            ;   in Loop: Header=BB124_20 Depth=1
	s_or_b64 exec, exec, s[8:9]
	s_andn2_b64 s[0:1], s[0:1], exec
	s_and_b64 s[6:7], s[20:21], exec
	s_or_b64 s[0:1], s[0:1], s[6:7]
.LBB124_168:                            ;   in Loop: Header=BB124_20 Depth=1
	s_or_b64 exec, exec, s[2:3]
	s_mov_b64 s[6:7], 0
	s_mov_b64 s[20:21], -1
.LBB124_169:                            ;   in Loop: Header=BB124_20 Depth=1
	s_orn2_b64 s[0:1], s[0:1], exec
.LBB124_170:                            ;   in Loop: Header=BB124_20 Depth=1
	s_or_b64 exec, exec, s[22:23]
	s_mov_b64 s[2:3], 0
	s_and_saveexec_b64 s[22:23], s[0:1]
	s_cbranch_execz .LBB124_280
; %bb.171:                              ;   in Loop: Header=BB124_20 Depth=1
	v_mov_b32_e32 v2, 1
	s_xor_b64 s[8:9], s[24:25], -1
	v_mov_b32_e32 v14, 1
	v_mov_b32_e32 v3, 0
	s_and_saveexec_b64 s[0:1], s[8:9]
	s_cbranch_execz .LBB124_181
; %bb.172:                              ;   in Loop: Header=BB124_20 Depth=1
	v_cmp_le_u64_e32 vcc, v[6:7], v[4:5]
	s_and_saveexec_b64 s[2:3], vcc
	s_xor_b64 s[2:3], exec, s[2:3]
	s_cbranch_execz .LBB124_178
; %bb.173:                              ;   in Loop: Header=BB124_20 Depth=1
	ds_read_b64 v[2:3], v15 offset:5120
	v_and_b32_e32 v8, s48, v38
	v_lshl_or_b32 v38, 1, s73, v8
	v_or_b32_e32 v42, s68, v42
	s_waitcnt lgkmcnt(0)
	v_cmp_ne_u64_e32 vcc, 0, v[2:3]
	s_cbranch_vccnz .LBB124_177
; %bb.174:                              ;   in Loop: Header=BB124_20 Depth=1
	s_mov_b64 s[8:9], exec
	v_readlane_b32 s24, v55, 10
	v_readlane_b32 s25, v55, 11
	s_and_b64 s[24:25], s[8:9], s[24:25]
	s_mov_b64 exec, s[24:25]
; %bb.175:                              ;   in Loop: Header=BB124_20 Depth=1
	ds_write_b64 v15, v[4:5] offset:5128
; %bb.176:                              ;   in Loop: Header=BB124_20 Depth=1
	s_or_b64 exec, exec, s[8:9]
	s_waitcnt lgkmcnt(0)
	s_barrier
.LBB124_177:                            ;   in Loop: Header=BB124_20 Depth=1
                                        ; implicit-def: $vgpr2_vgpr3_vgpr4_vgpr5
.LBB124_178:                            ;   in Loop: Header=BB124_20 Depth=1
	s_or_saveexec_b64 s[2:3], s[2:3]
	s_mov_b64 s[8:9], 0
	v_mov_b32_e32 v14, 8
	s_xor_b64 exec, exec, s[2:3]
; %bb.179:                              ;   in Loop: Header=BB124_20 Depth=1
	v_sub_co_u32_e32 v6, vcc, v6, v4
	s_mov_b64 s[8:9], exec
	v_subb_co_u32_e32 v7, vcc, v7, v5, vcc
	v_mov_b32_e32 v14, 0
; %bb.180:                              ;   in Loop: Header=BB124_20 Depth=1
	s_or_b64 exec, exec, s[2:3]
	v_mov_b32_e32 v2, v6
	s_and_b64 s[2:3], s[8:9], exec
	v_mov_b32_e32 v3, v7
.LBB124_181:                            ;   in Loop: Header=BB124_20 Depth=1
	s_or_b64 exec, exec, s[0:1]
	s_mov_b64 s[0:1], -1
                                        ; implicit-def: $sgpr28_sgpr29
                                        ; implicit-def: $sgpr30_sgpr31
	s_and_saveexec_b64 s[24:25], s[2:3]
	s_cbranch_execz .LBB124_279
; %bb.182:                              ;   in Loop: Header=BB124_20 Depth=1
	s_cmp_eq_u64 s[18:19], 1
	v_cmp_eq_u64_e32 vcc, 1, v[2:3]
	s_cselect_b64 s[0:1], -1, 0
	s_and_b64 s[36:37], s[0:1], vcc
	s_mov_b64 s[0:1], -1
                                        ; implicit-def: $sgpr30_sgpr31
                                        ; implicit-def: $sgpr28_sgpr29
	s_and_saveexec_b64 s[34:35], s[36:37]
	s_cbranch_execz .LBB124_218
; %bb.183:                              ;   in Loop: Header=BB124_20 Depth=1
	ds_read_b64 v[4:5], v15 offset:5120
	s_waitcnt lgkmcnt(0)
	s_barrier
	v_readfirstlane_b32 s2, v4
	v_readfirstlane_b32 s3, v5
	s_mov_b64 s[0:1], exec
	v_readlane_b32 s8, v55, 12
	v_readlane_b32 s9, v55, 13
	s_and_b64 s[8:9], s[0:1], s[8:9]
	s_mov_b64 exec, s[8:9]
; %bb.184:                              ;   in Loop: Header=BB124_20 Depth=1
	ds_write_b32 v30, v15
; %bb.185:                              ;   in Loop: Header=BB124_20 Depth=1
	s_or_b64 exec, exec, s[0:1]
	v_and_b32_e32 v4, s48, v38
	v_lshl_or_b32 v38, 2, s73, v4
	v_or_b32_e32 v42, s68, v42
	s_mov_b64 s[28:29], -1
	s_mov_b64 s[30:31], 0
	s_cmp_eq_u64 s[2:3], 0
	s_mov_b64 s[0:1], 0
	s_mov_b64 s[8:9], -1
	s_waitcnt lgkmcnt(0)
	s_barrier
                                        ; implicit-def: $vgpr24
	s_cbranch_scc1 .LBB124_202
; %bb.186:                              ;   in Loop: Header=BB124_20 Depth=1
	v_readlane_b32 s0, v55, 18
	s_add_u32 s40, s2, s0
	v_readlane_b32 s0, v55, 19
	s_addc_u32 s1, s3, s0
	s_mov_b32 s0, s71
	s_cmp_lg_u64 s[0:1], 0
	s_cbranch_scc0 .LBB124_245
; %bb.187:                              ;   in Loop: Header=BB124_20 Depth=1
	v_cvt_f32_u32_e32 v4, s33
	s_sub_u32 s0, 0, s33
	s_subb_u32 s38, 0, 0
	v_mac_f32_e32 v4, 0, v41
	v_rcp_f32_e32 v4, v4
	v_mul_f32_e32 v4, 0x5f7ffffc, v4
	v_mul_f32_e32 v5, 0x2f800000, v4
	v_trunc_f32_e32 v5, v5
	v_mac_f32_e32 v4, 0xcf800000, v5
	v_cvt_u32_f32_e32 v5, v5
	v_cvt_u32_f32_e32 v4, v4
	v_readfirstlane_b32 s39, v5
	v_readfirstlane_b32 s8, v4
	s_mul_i32 s9, s0, s39
	s_mul_hi_u32 s42, s0, s8
	s_mul_i32 s41, s38, s8
	s_add_i32 s9, s42, s9
	s_mul_i32 s43, s0, s8
	s_add_i32 s9, s9, s41
	s_mul_hi_u32 s42, s8, s43
	s_mul_i32 s44, s8, s9
	s_mul_hi_u32 s41, s8, s9
	s_add_u32 s42, s42, s44
	s_addc_u32 s41, 0, s41
	s_mul_hi_u32 s45, s39, s43
	s_mul_i32 s43, s39, s43
	s_add_u32 s42, s42, s43
	s_mul_hi_u32 s44, s39, s9
	s_addc_u32 s41, s41, s45
	s_addc_u32 s42, s44, 0
	s_mul_i32 s9, s39, s9
	s_add_u32 s9, s41, s9
	s_addc_u32 s41, 0, s42
	s_add_u32 s42, s8, s9
	s_cselect_b64 s[8:9], -1, 0
	s_cmp_lg_u64 s[8:9], 0
	s_addc_u32 s39, s39, s41
	s_mul_i32 s8, s0, s39
	s_mul_hi_u32 s9, s0, s42
	s_add_i32 s8, s9, s8
	s_mul_i32 s38, s38, s42
	s_add_i32 s8, s8, s38
	s_mul_i32 s0, s0, s42
	s_mul_hi_u32 s38, s39, s0
	s_mul_i32 s41, s39, s0
	s_mul_i32 s44, s42, s8
	s_mul_hi_u32 s0, s42, s0
	s_mul_hi_u32 s43, s42, s8
	s_add_u32 s0, s0, s44
	s_addc_u32 s43, 0, s43
	s_add_u32 s0, s0, s41
	s_mul_hi_u32 s9, s39, s8
	s_addc_u32 s0, s43, s38
	s_addc_u32 s9, s9, 0
	s_mul_i32 s8, s39, s8
	s_add_u32 s0, s0, s8
	s_addc_u32 s38, 0, s9
	s_add_u32 s0, s42, s0
	s_cselect_b64 s[8:9], -1, 0
	s_cmp_lg_u64 s[8:9], 0
	s_addc_u32 s8, s39, s38
	s_mul_i32 s38, s40, s8
	s_mul_hi_u32 s39, s40, s0
	s_mul_hi_u32 s9, s40, s8
	s_add_u32 s38, s39, s38
	s_addc_u32 s9, 0, s9
	s_mul_hi_u32 s41, s1, s0
	s_mul_i32 s0, s1, s0
	s_add_u32 s0, s38, s0
	s_mul_hi_u32 s39, s1, s8
	s_addc_u32 s0, s9, s41
	s_addc_u32 s9, s39, 0
	s_mul_i32 s8, s1, s8
	s_add_u32 s0, s0, s8
	s_addc_u32 s8, 0, s9
	s_mul_i32 s8, s33, s8
	s_mul_hi_u32 s9, s33, s0
	s_add_i32 s38, s9, s8
	s_mul_i32 s0, s33, s0
	s_sub_u32 s0, s40, s0
	s_cselect_b64 s[8:9], -1, 0
	s_cmp_lg_u64 s[8:9], 0
	s_subb_u32 s38, s1, s38
	s_sub_u32 s39, s0, s33
	s_cselect_b64 s[8:9], -1, 0
	s_cmp_lg_u64 s[8:9], 0
	s_subb_u32 s41, s38, 0
	;; [unrolled: 4-line block ×3, first 2 shown]
	s_cmp_ge_u32 s39, s33
	s_cselect_b32 s9, -1, 0
	s_cmp_eq_u32 s41, 0
	s_cselect_b32 s9, s9, -1
	s_cmp_lg_u32 s9, 0
	s_cselect_b32 s8, s8, s41
	s_cselect_b32 s39, s42, s39
	s_cmp_ge_u32 s0, s33
	s_cselect_b32 s9, -1, 0
	s_cmp_eq_u32 s38, 0
	s_cselect_b32 s9, s9, -1
	s_cmp_lg_u32 s9, 0
	s_cselect_b32 s9, s8, s38
	s_cselect_b32 s8, s39, s0
	s_cbranch_execnz .LBB124_189
.LBB124_188:                            ;   in Loop: Header=BB124_20 Depth=1
	v_cvt_f32_u32_e32 v4, s33
	s_sub_i32 s0, 0, s33
	v_rcp_iflag_f32_e32 v4, v4
	v_mul_f32_e32 v4, 0x4f7ffffe, v4
	v_cvt_u32_f32_e32 v4, v4
	v_readfirstlane_b32 s8, v4
	s_mul_i32 s0, s0, s8
	s_mul_hi_u32 s0, s8, s0
	s_add_i32 s8, s8, s0
	s_mul_hi_u32 s0, s40, s8
	s_mul_i32 s0, s0, s33
	s_sub_i32 s0, s40, s0
	s_sub_i32 s8, s0, s33
	s_cmp_ge_u32 s0, s33
	s_cselect_b32 s0, s8, s0
	s_sub_i32 s8, s0, s33
	s_cmp_ge_u32 s0, s33
	s_cselect_b32 s70, s8, s0
	s_mov_b64 s[8:9], s[70:71]
.LBB124_189:                            ;   in Loop: Header=BB124_20 Depth=1
	s_sub_u32 s40, s40, s8
	s_subb_u32 s41, s1, s9
	v_cmp_gt_u64_e32 vcc, s[40:41], v[0:1]
	s_mov_b64 s[8:9], 0
	s_mov_b64 s[0:1], 0
                                        ; implicit-def: $vgpr24
	s_and_saveexec_b64 s[38:39], vcc
	s_cbranch_execz .LBB124_201
; %bb.190:                              ;   in Loop: Header=BB124_20 Depth=1
	v_mov_b32_e32 v5, v1
	v_mov_b32_e32 v6, v12
	;; [unrolled: 1-line block ×3, first 2 shown]
                                        ; implicit-def: $sgpr42_sgpr43
	s_branch .LBB124_194
.LBB124_191:                            ;   in Loop: Header=BB124_194 Depth=2
	s_or_b64 exec, exec, s[44:45]
	s_waitcnt lgkmcnt(0)
	s_barrier
	ds_read_b64 v[23:24], v15 offset:3072
	s_waitcnt lgkmcnt(0)
	s_barrier
	v_cmp_neq_f32_e32 vcc, 0, v23
	s_cbranch_vccnz .LBB124_197
; %bb.192:                              ;   in Loop: Header=BB124_194 Depth=2
	v_add_co_u32_e32 v4, vcc, s33, v4
	v_addc_co_u32_e32 v5, vcc, 0, v5, vcc
	v_cmp_le_u64_e32 vcc, s[40:41], v[4:5]
	v_add_u32_e32 v6, s72, v6
	s_mov_b64 s[44:45], 0
	s_orn2_b64 s[46:47], vcc, exec
.LBB124_193:                            ;   in Loop: Header=BB124_194 Depth=2
	s_and_b64 s[46:47], exec, s[46:47]
	s_or_b64 s[0:1], s[46:47], s[0:1]
	s_andn2_b64 s[42:43], s[42:43], exec
	s_and_b64 s[44:45], s[44:45], exec
	s_or_b64 s[42:43], s[42:43], s[44:45]
	s_andn2_b64 exec, exec, s[0:1]
	s_cbranch_execz .LBB124_200
.LBB124_194:                            ;   Parent Loop BB124_20 Depth=1
                                        ; =>  This Inner Loop Header: Depth=2
	v_cmp_gt_u64_e32 vcc, s[2:3], v[4:5]
	s_and_saveexec_b64 s[44:45], vcc
	s_cbranch_execz .LBB124_191
; %bb.195:                              ;   in Loop: Header=BB124_194 Depth=2
	ds_read_b32 v23, v6
	s_waitcnt lgkmcnt(0)
	v_cmp_lt_i32_e32 vcc, -1, v23
	v_cndmask_b32_e32 v7, -1, v40, vcc
	v_xor_b32_e32 v7, v7, v23
	v_cmp_o_f32_e32 vcc, v23, v23
	v_cndmask_b32_e32 v7, -1, v7, vcc
	v_and_b32_e32 v7, v7, v42
	v_cmp_eq_u32_e32 vcc, v7, v38
	s_and_b64 exec, exec, vcc
	s_cbranch_execz .LBB124_191
; %bb.196:                              ;   in Loop: Header=BB124_194 Depth=2
	ds_write_b64 v15, v[22:23] offset:3072
	s_branch .LBB124_191
.LBB124_197:                            ;   in Loop: Header=BB124_194 Depth=2
	s_mov_b64 s[46:47], -1
                                        ; implicit-def: $vgpr4_vgpr5
                                        ; implicit-def: $vgpr6
	s_mov_b64 s[44:45], -1
	s_branch .LBB124_193
.LBB124_198:                            ;   in Loop: Header=BB124_20 Depth=1
                                        ; implicit-def: $sgpr8_sgpr9
	s_branch .LBB124_137
.LBB124_199:                            ;   in Loop: Header=BB124_20 Depth=1
                                        ; implicit-def: $sgpr2_sgpr3
	s_branch .LBB124_157
.LBB124_200:                            ;   in Loop: Header=BB124_20 Depth=1
	s_or_b64 exec, exec, s[0:1]
	s_and_b64 s[0:1], s[42:43], exec
.LBB124_201:                            ;   in Loop: Header=BB124_20 Depth=1
	s_or_b64 exec, exec, s[38:39]
.LBB124_202:                            ;   in Loop: Header=BB124_20 Depth=1
	s_and_b64 vcc, exec, s[8:9]
	s_cbranch_vccz .LBB124_217
; %bb.203:                              ;   in Loop: Header=BB124_20 Depth=1
	s_mov_b32 s76, s71
	s_cmp_lg_u64 s[76:77], 0
	s_cbranch_scc0 .LBB124_246
; %bb.204:                              ;   in Loop: Header=BB124_20 Depth=1
	v_cvt_f32_u32_e32 v4, s33
	s_sub_u32 s8, 0, s33
	s_subb_u32 s9, 0, 0
	v_mac_f32_e32 v4, 0, v41
	v_rcp_f32_e32 v4, v4
	v_mul_f32_e32 v4, 0x5f7ffffc, v4
	v_mul_f32_e32 v5, 0x2f800000, v4
	v_trunc_f32_e32 v5, v5
	v_mac_f32_e32 v4, 0xcf800000, v5
	v_cvt_u32_f32_e32 v5, v5
	v_cvt_u32_f32_e32 v4, v4
	v_readfirstlane_b32 s28, v5
	v_readfirstlane_b32 s2, v4
	s_mul_i32 s3, s8, s28
	s_mul_hi_u32 s30, s8, s2
	s_mul_i32 s29, s9, s2
	s_add_i32 s3, s30, s3
	s_mul_i32 s31, s8, s2
	s_add_i32 s3, s3, s29
	s_mul_hi_u32 s30, s2, s31
	s_mul_i32 s38, s2, s3
	s_mul_hi_u32 s29, s2, s3
	s_add_u32 s30, s30, s38
	s_addc_u32 s29, 0, s29
	s_mul_hi_u32 s39, s28, s31
	s_mul_i32 s31, s28, s31
	s_add_u32 s30, s30, s31
	s_mul_hi_u32 s38, s28, s3
	s_addc_u32 s29, s29, s39
	s_addc_u32 s30, s38, 0
	s_mul_i32 s3, s28, s3
	s_add_u32 s3, s29, s3
	s_addc_u32 s29, 0, s30
	s_add_u32 s30, s2, s3
	s_cselect_b64 s[2:3], -1, 0
	s_cmp_lg_u64 s[2:3], 0
	s_addc_u32 s28, s28, s29
	s_mul_i32 s2, s8, s28
	s_mul_hi_u32 s3, s8, s30
	s_add_i32 s2, s3, s2
	s_mul_i32 s9, s9, s30
	s_add_i32 s2, s2, s9
	s_mul_i32 s8, s8, s30
	s_mul_hi_u32 s9, s28, s8
	s_mul_i32 s29, s28, s8
	s_mul_i32 s38, s30, s2
	s_mul_hi_u32 s8, s30, s8
	s_mul_hi_u32 s31, s30, s2
	s_add_u32 s8, s8, s38
	s_addc_u32 s31, 0, s31
	s_add_u32 s8, s8, s29
	s_mul_hi_u32 s3, s28, s2
	s_addc_u32 s8, s31, s9
	s_addc_u32 s3, s3, 0
	s_mul_i32 s2, s28, s2
	s_add_u32 s2, s8, s2
	s_addc_u32 s8, 0, s3
	s_add_u32 s9, s30, s2
	s_cselect_b64 s[2:3], -1, 0
	s_cmp_lg_u64 s[2:3], 0
	s_addc_u32 s2, s28, s8
	s_mul_i32 s8, s26, s2
	s_mul_hi_u32 s28, s26, s9
	s_mul_hi_u32 s3, s26, s2
	s_add_u32 s8, s28, s8
	s_addc_u32 s3, 0, s3
	s_mul_hi_u32 s29, s77, s9
	s_mul_i32 s9, s77, s9
	s_add_u32 s8, s8, s9
	s_mul_hi_u32 s28, s77, s2
	s_addc_u32 s3, s3, s29
	s_addc_u32 s8, s28, 0
	s_mul_i32 s2, s77, s2
	s_add_u32 s2, s3, s2
	s_addc_u32 s3, 0, s8
	s_mul_i32 s3, s33, s3
	s_mul_hi_u32 s8, s33, s2
	s_add_i32 s8, s8, s3
	s_mul_i32 s2, s33, s2
	s_sub_u32 s9, s26, s2
	s_cselect_b64 s[2:3], -1, 0
	s_cmp_lg_u64 s[2:3], 0
	s_subb_u32 s8, s77, s8
	s_sub_u32 s28, s9, s33
	s_cselect_b64 s[2:3], -1, 0
	s_cmp_lg_u64 s[2:3], 0
	s_subb_u32 s29, s8, 0
	;; [unrolled: 4-line block ×3, first 2 shown]
	s_cmp_ge_u32 s28, s33
	s_cselect_b32 s3, -1, 0
	s_cmp_eq_u32 s29, 0
	s_cselect_b32 s3, s3, -1
	s_cmp_lg_u32 s3, 0
	s_cselect_b32 s2, s2, s29
	s_cselect_b32 s28, s30, s28
	s_cmp_ge_u32 s9, s33
	s_cselect_b32 s3, -1, 0
	s_cmp_eq_u32 s8, 0
	s_cselect_b32 s3, s3, -1
	s_cmp_lg_u32 s3, 0
	s_cselect_b32 s3, s2, s8
	s_cselect_b32 s2, s28, s9
	s_cbranch_execnz .LBB124_206
.LBB124_205:                            ;   in Loop: Header=BB124_20 Depth=1
	v_cvt_f32_u32_e32 v4, s33
	s_sub_i32 s2, 0, s33
	v_rcp_iflag_f32_e32 v4, v4
	v_mul_f32_e32 v4, 0x4f7ffffe, v4
	v_cvt_u32_f32_e32 v4, v4
	v_readfirstlane_b32 s3, v4
	s_mul_i32 s2, s2, s3
	s_mul_hi_u32 s2, s3, s2
	s_add_i32 s3, s3, s2
	s_mul_hi_u32 s2, s26, s3
	s_mul_i32 s2, s2, s33
	s_sub_i32 s2, s26, s2
	s_sub_i32 s3, s2, s33
	s_cmp_ge_u32 s2, s33
	s_cselect_b32 s2, s3, s2
	s_sub_i32 s3, s2, s33
	s_cmp_ge_u32 s2, s33
	s_cselect_b32 s70, s3, s2
	s_mov_b64 s[2:3], s[70:71]
.LBB124_206:                            ;   in Loop: Header=BB124_20 Depth=1
	s_sub_u32 s8, s26, s2
	s_subb_u32 s9, s77, s3
	v_cmp_gt_u64_e32 vcc, s[8:9], v[0:1]
                                        ; implicit-def: $vgpr24
	s_and_saveexec_b64 s[2:3], vcc
	s_cbranch_execz .LBB124_216
; %bb.207:                              ;   in Loop: Header=BB124_20 Depth=1
	v_mov_b32_e32 v4, v10
	v_mov_b32_e32 v7, v1
	s_mov_b64 s[28:29], 0
	v_mov_b32_e32 v5, v11
	v_mov_b32_e32 v6, v0
                                        ; implicit-def: $sgpr30_sgpr31
	s_branch .LBB124_211
.LBB124_208:                            ;   in Loop: Header=BB124_211 Depth=2
	s_or_b64 exec, exec, s[38:39]
	s_waitcnt lgkmcnt(0)
	s_barrier
	ds_read_b64 v[23:24], v15 offset:3072
	s_waitcnt lgkmcnt(0)
	s_barrier
	v_cmp_eq_f32_e32 vcc, 0, v23
	s_cbranch_vccz .LBB124_214
; %bb.209:                              ;   in Loop: Header=BB124_211 Depth=2
	v_add_co_u32_e32 v6, vcc, s33, v6
	v_addc_co_u32_e32 v7, vcc, 0, v7, vcc
	v_mov_b32_e32 v8, s67
	v_add_co_u32_e32 v4, vcc, s66, v4
	v_addc_co_u32_e32 v5, vcc, v5, v8, vcc
	v_cmp_le_u64_e32 vcc, s[8:9], v[6:7]
	s_mov_b64 s[38:39], 0
	s_orn2_b64 s[40:41], vcc, exec
.LBB124_210:                            ;   in Loop: Header=BB124_211 Depth=2
	s_and_b64 s[40:41], exec, s[40:41]
	s_or_b64 s[28:29], s[40:41], s[28:29]
	s_andn2_b64 s[30:31], s[30:31], exec
	s_and_b64 s[38:39], s[38:39], exec
	s_or_b64 s[30:31], s[30:31], s[38:39]
	s_andn2_b64 exec, exec, s[28:29]
	s_cbranch_execz .LBB124_215
.LBB124_211:                            ;   Parent Loop BB124_20 Depth=1
                                        ; =>  This Inner Loop Header: Depth=2
	v_cmp_gt_u64_e32 vcc, s[52:53], v[6:7]
	s_and_saveexec_b64 s[38:39], vcc
	s_cbranch_execz .LBB124_208
; %bb.212:                              ;   in Loop: Header=BB124_211 Depth=2
	global_load_dword v23, v[4:5], off
	s_waitcnt vmcnt(0)
	v_cmp_lt_i32_e32 vcc, -1, v23
	v_cndmask_b32_e32 v8, -1, v40, vcc
	v_xor_b32_e32 v8, v8, v23
	v_cmp_o_f32_e32 vcc, v23, v23
	v_cndmask_b32_e32 v8, -1, v8, vcc
	v_and_b32_e32 v8, v8, v42
	v_cmp_eq_u32_e32 vcc, v8, v38
	s_and_b64 exec, exec, vcc
	s_cbranch_execz .LBB124_208
; %bb.213:                              ;   in Loop: Header=BB124_211 Depth=2
	ds_write_b64 v15, v[22:23] offset:3072
	s_branch .LBB124_208
.LBB124_214:                            ;   in Loop: Header=BB124_211 Depth=2
	s_mov_b64 s[40:41], -1
                                        ; implicit-def: $vgpr6_vgpr7
                                        ; implicit-def: $vgpr4_vgpr5
	s_mov_b64 s[38:39], -1
	s_branch .LBB124_210
.LBB124_215:                            ;   in Loop: Header=BB124_20 Depth=1
	s_or_b64 exec, exec, s[28:29]
	s_andn2_b64 s[0:1], s[0:1], exec
	s_and_b64 s[8:9], s[30:31], exec
	s_or_b64 s[0:1], s[0:1], s[8:9]
.LBB124_216:                            ;   in Loop: Header=BB124_20 Depth=1
	s_or_b64 exec, exec, s[2:3]
	s_mov_b64 s[28:29], 0
	s_mov_b64 s[30:31], -1
.LBB124_217:                            ;   in Loop: Header=BB124_20 Depth=1
	s_orn2_b64 s[0:1], s[0:1], exec
.LBB124_218:                            ;   in Loop: Header=BB124_20 Depth=1
	s_or_b64 exec, exec, s[34:35]
	s_mov_b64 s[2:3], 0
	s_and_saveexec_b64 s[34:35], s[0:1]
	s_cbranch_execz .LBB124_278
; %bb.219:                              ;   in Loop: Header=BB124_20 Depth=1
	v_mov_b32_e32 v4, 1
	s_xor_b64 s[2:3], s[36:37], -1
	v_mov_b32_e32 v14, 1
	v_mov_b32_e32 v5, 0
	s_mov_b64 s[36:37], 0
	s_and_saveexec_b64 s[0:1], s[2:3]
	s_cbranch_execz .LBB124_228
; %bb.220:                              ;   in Loop: Header=BB124_20 Depth=1
	v_cmp_ge_u64_e32 vcc, s[18:19], v[2:3]
	s_and_saveexec_b64 s[2:3], vcc
	s_xor_b64 s[2:3], exec, s[2:3]
	s_cbranch_execz .LBB124_225
; %bb.221:                              ;   in Loop: Header=BB124_20 Depth=1
	ds_read_b64 v[4:5], v15 offset:5120
	v_and_b32_e32 v6, s48, v38
	v_lshl_or_b32 v38, 2, s73, v6
	v_or_b32_e32 v42, s68, v42
	s_waitcnt lgkmcnt(0)
	v_cmp_ne_u64_e32 vcc, 0, v[4:5]
	s_cbranch_vccnz .LBB124_225
; %bb.222:                              ;   in Loop: Header=BB124_20 Depth=1
	s_mov_b64 s[8:9], exec
	v_readlane_b32 s36, v55, 10
	v_readlane_b32 s37, v55, 11
	s_and_b64 s[36:37], s[8:9], s[36:37]
	s_mov_b64 exec, s[36:37]
; %bb.223:                              ;   in Loop: Header=BB124_20 Depth=1
	v_mov_b32_e32 v4, s18
	v_mov_b32_e32 v5, s19
	ds_write_b64 v15, v[4:5] offset:5128
; %bb.224:                              ;   in Loop: Header=BB124_20 Depth=1
	s_or_b64 exec, exec, s[8:9]
	s_waitcnt lgkmcnt(0)
	s_barrier
.LBB124_225:                            ;   in Loop: Header=BB124_20 Depth=1
	s_or_saveexec_b64 s[2:3], s[2:3]
	s_mov_b64 s[8:9], 0
	v_mov_b32_e32 v14, 8
	s_xor_b64 exec, exec, s[2:3]
; %bb.226:                              ;   in Loop: Header=BB124_20 Depth=1
	v_mov_b32_e32 v4, s19
	v_subrev_co_u32_e32 v2, vcc, s18, v2
	s_mov_b64 s[8:9], exec
	v_subb_co_u32_e32 v3, vcc, v3, v4, vcc
	v_mov_b32_e32 v14, 0
; %bb.227:                              ;   in Loop: Header=BB124_20 Depth=1
	s_or_b64 exec, exec, s[2:3]
	v_mov_b32_e32 v5, v3
	s_and_b64 s[36:37], s[8:9], exec
	v_mov_b32_e32 v4, v2
.LBB124_228:                            ;   in Loop: Header=BB124_20 Depth=1
	s_or_b64 exec, exec, s[0:1]
	s_mov_b64 s[8:9], -1
                                        ; implicit-def: $sgpr2_sgpr3
                                        ; implicit-def: $sgpr0_sgpr1
	s_and_saveexec_b64 s[18:19], s[36:37]
	s_cbranch_execz .LBB124_277
; %bb.229:                              ;   in Loop: Header=BB124_20 Depth=1
	s_cmp_eq_u64 s[10:11], 1
	v_cmp_eq_u64_e32 vcc, 1, v[4:5]
	s_cselect_b64 s[0:1], -1, 0
	s_and_b64 s[36:37], s[0:1], vcc
	s_mov_b64 s[40:41], -1
                                        ; implicit-def: $sgpr2_sgpr3
                                        ; implicit-def: $sgpr0_sgpr1
	s_and_saveexec_b64 s[38:39], s[36:37]
	s_cbranch_execz .LBB124_265
; %bb.230:                              ;   in Loop: Header=BB124_20 Depth=1
	ds_read_b64 v[2:3], v15 offset:5120
	s_waitcnt lgkmcnt(0)
	s_barrier
	v_readfirstlane_b32 s40, v2
	v_readfirstlane_b32 s41, v3
	s_mov_b64 s[0:1], exec
	v_readlane_b32 s2, v55, 12
	v_readlane_b32 s3, v55, 13
	s_and_b64 s[2:3], s[0:1], s[2:3]
	s_mov_b64 exec, s[2:3]
; %bb.231:                              ;   in Loop: Header=BB124_20 Depth=1
	ds_write_b32 v30, v15
; %bb.232:                              ;   in Loop: Header=BB124_20 Depth=1
	s_or_b64 exec, exec, s[0:1]
	v_or_b32_e32 v38, s68, v38
	v_or_b32_e32 v42, s68, v42
	s_mov_b64 s[0:1], -1
	s_mov_b64 s[2:3], 0
	s_cmp_eq_u64 s[40:41], 0
	s_mov_b64 s[8:9], 0
	s_mov_b64 s[42:43], -1
	s_waitcnt lgkmcnt(0)
	s_barrier
                                        ; implicit-def: $vgpr24
	s_cbranch_scc1 .LBB124_249
; %bb.233:                              ;   in Loop: Header=BB124_20 Depth=1
	v_readlane_b32 s8, v55, 18
	s_add_u32 s46, s40, s8
	v_readlane_b32 s8, v55, 19
	s_addc_u32 s9, s41, s8
	s_mov_b32 s8, s71
	s_cmp_lg_u64 s[8:9], 0
	s_cbranch_scc0 .LBB124_284
; %bb.234:                              ;   in Loop: Header=BB124_20 Depth=1
	v_cvt_f32_u32_e32 v2, s33
	s_sub_u32 s8, 0, s33
	s_subb_u32 s44, 0, 0
	v_mac_f32_e32 v2, 0, v41
	v_rcp_f32_e32 v2, v2
	v_mul_f32_e32 v2, 0x5f7ffffc, v2
	v_mul_f32_e32 v3, 0x2f800000, v2
	v_trunc_f32_e32 v3, v3
	v_mac_f32_e32 v2, 0xcf800000, v3
	v_cvt_u32_f32_e32 v3, v3
	v_cvt_u32_f32_e32 v2, v2
	v_readfirstlane_b32 s45, v3
	v_readfirstlane_b32 s42, v2
	s_mul_i32 s43, s8, s45
	s_mul_hi_u32 s48, s8, s42
	s_mul_i32 s47, s44, s42
	s_add_i32 s43, s48, s43
	s_mul_i32 s49, s8, s42
	s_add_i32 s43, s43, s47
	s_mul_hi_u32 s48, s42, s49
	s_mul_i32 s50, s42, s43
	s_mul_hi_u32 s47, s42, s43
	s_add_u32 s48, s48, s50
	s_addc_u32 s47, 0, s47
	s_mul_hi_u32 s51, s45, s49
	s_mul_i32 s49, s45, s49
	s_add_u32 s48, s48, s49
	s_mul_hi_u32 s50, s45, s43
	s_addc_u32 s47, s47, s51
	s_addc_u32 s48, s50, 0
	s_mul_i32 s43, s45, s43
	s_add_u32 s43, s47, s43
	s_addc_u32 s47, 0, s48
	s_add_u32 s48, s42, s43
	s_cselect_b64 s[42:43], -1, 0
	s_cmp_lg_u64 s[42:43], 0
	s_addc_u32 s45, s45, s47
	s_mul_i32 s42, s8, s45
	s_mul_hi_u32 s43, s8, s48
	s_add_i32 s42, s43, s42
	s_mul_i32 s44, s44, s48
	s_add_i32 s42, s42, s44
	s_mul_i32 s8, s8, s48
	s_mul_hi_u32 s44, s45, s8
	s_mul_i32 s47, s45, s8
	s_mul_i32 s50, s48, s42
	s_mul_hi_u32 s8, s48, s8
	s_mul_hi_u32 s49, s48, s42
	s_add_u32 s8, s8, s50
	s_addc_u32 s49, 0, s49
	s_add_u32 s8, s8, s47
	s_mul_hi_u32 s43, s45, s42
	s_addc_u32 s8, s49, s44
	s_addc_u32 s43, s43, 0
	s_mul_i32 s42, s45, s42
	s_add_u32 s8, s8, s42
	s_addc_u32 s44, 0, s43
	s_add_u32 s8, s48, s8
	s_cselect_b64 s[42:43], -1, 0
	s_cmp_lg_u64 s[42:43], 0
	s_addc_u32 s42, s45, s44
	s_mul_i32 s44, s46, s42
	s_mul_hi_u32 s45, s46, s8
	s_mul_hi_u32 s43, s46, s42
	s_add_u32 s44, s45, s44
	s_addc_u32 s43, 0, s43
	s_mul_hi_u32 s47, s9, s8
	s_mul_i32 s8, s9, s8
	s_add_u32 s8, s44, s8
	s_mul_hi_u32 s45, s9, s42
	s_addc_u32 s8, s43, s47
	s_addc_u32 s43, s45, 0
	s_mul_i32 s42, s9, s42
	s_add_u32 s8, s8, s42
	s_addc_u32 s42, 0, s43
	s_mul_i32 s42, s33, s42
	s_mul_hi_u32 s43, s33, s8
	s_add_i32 s44, s43, s42
	s_mul_i32 s8, s33, s8
	s_sub_u32 s8, s46, s8
	s_cselect_b64 s[42:43], -1, 0
	s_cmp_lg_u64 s[42:43], 0
	s_subb_u32 s44, s9, s44
	s_sub_u32 s45, s8, s33
	s_cselect_b64 s[42:43], -1, 0
	s_cmp_lg_u64 s[42:43], 0
	s_subb_u32 s47, s44, 0
	;; [unrolled: 4-line block ×3, first 2 shown]
	s_cmp_ge_u32 s45, s33
	s_cselect_b32 s43, -1, 0
	s_cmp_eq_u32 s47, 0
	s_cselect_b32 s43, s43, -1
	s_cmp_lg_u32 s43, 0
	s_cselect_b32 s42, s42, s47
	s_cselect_b32 s45, s48, s45
	s_cmp_ge_u32 s8, s33
	s_cselect_b32 s43, -1, 0
	s_cmp_eq_u32 s44, 0
	s_cselect_b32 s43, s43, -1
	s_cmp_lg_u32 s43, 0
	s_cselect_b32 s43, s42, s44
	s_cselect_b32 s42, s45, s8
	s_cbranch_execnz .LBB124_236
.LBB124_235:                            ;   in Loop: Header=BB124_20 Depth=1
	v_cvt_f32_u32_e32 v2, s33
	s_sub_i32 s8, 0, s33
	v_rcp_iflag_f32_e32 v2, v2
	v_mul_f32_e32 v2, 0x4f7ffffe, v2
	v_cvt_u32_f32_e32 v2, v2
	v_readfirstlane_b32 s42, v2
	s_mul_i32 s8, s8, s42
	s_mul_hi_u32 s8, s42, s8
	s_add_i32 s42, s42, s8
	s_mul_hi_u32 s8, s46, s42
	s_mul_i32 s8, s8, s33
	s_sub_i32 s8, s46, s8
	s_sub_i32 s42, s8, s33
	s_cmp_ge_u32 s8, s33
	s_cselect_b32 s8, s42, s8
	s_sub_i32 s42, s8, s33
	s_cmp_ge_u32 s8, s33
	s_cselect_b32 s70, s42, s8
	s_mov_b64 s[42:43], s[70:71]
.LBB124_236:                            ;   in Loop: Header=BB124_20 Depth=1
	s_sub_u32 s46, s46, s42
	s_subb_u32 s47, s9, s43
	v_cmp_gt_u64_e32 vcc, s[46:47], v[0:1]
	s_mov_b64 s[42:43], 0
	s_mov_b64 s[8:9], 0
                                        ; implicit-def: $vgpr24
	s_and_saveexec_b64 s[44:45], vcc
	s_cbranch_execz .LBB124_248
; %bb.237:                              ;   in Loop: Header=BB124_20 Depth=1
	v_mov_b32_e32 v3, v1
	v_mov_b32_e32 v6, v12
	;; [unrolled: 1-line block ×3, first 2 shown]
                                        ; implicit-def: $sgpr48_sgpr49
	s_branch .LBB124_241
.LBB124_238:                            ;   in Loop: Header=BB124_241 Depth=2
	s_or_b64 exec, exec, s[50:51]
	s_waitcnt lgkmcnt(0)
	s_barrier
	ds_read_b64 v[23:24], v15 offset:3072
	s_waitcnt lgkmcnt(0)
	s_barrier
	v_cmp_neq_f32_e32 vcc, 0, v23
	s_cbranch_vccnz .LBB124_244
; %bb.239:                              ;   in Loop: Header=BB124_241 Depth=2
	v_add_co_u32_e32 v2, vcc, s33, v2
	v_addc_co_u32_e32 v3, vcc, 0, v3, vcc
	v_cmp_le_u64_e32 vcc, s[46:47], v[2:3]
	v_add_u32_e32 v6, s72, v6
	s_mov_b64 s[50:51], 0
	s_orn2_b64 s[62:63], vcc, exec
.LBB124_240:                            ;   in Loop: Header=BB124_241 Depth=2
	s_and_b64 s[62:63], exec, s[62:63]
	s_or_b64 s[8:9], s[62:63], s[8:9]
	s_andn2_b64 s[48:49], s[48:49], exec
	s_and_b64 s[50:51], s[50:51], exec
	s_or_b64 s[48:49], s[48:49], s[50:51]
	s_andn2_b64 exec, exec, s[8:9]
	s_cbranch_execz .LBB124_247
.LBB124_241:                            ;   Parent Loop BB124_20 Depth=1
                                        ; =>  This Inner Loop Header: Depth=2
	v_cmp_gt_u64_e32 vcc, s[40:41], v[2:3]
	s_and_saveexec_b64 s[50:51], vcc
	s_cbranch_execz .LBB124_238
; %bb.242:                              ;   in Loop: Header=BB124_241 Depth=2
	ds_read_b32 v23, v6
	s_waitcnt lgkmcnt(0)
	v_cmp_lt_i32_e32 vcc, -1, v23
	v_cndmask_b32_e32 v7, -1, v40, vcc
	v_xor_b32_e32 v7, v7, v23
	v_cmp_o_f32_e32 vcc, v23, v23
	v_cndmask_b32_e32 v7, -1, v7, vcc
	v_and_b32_e32 v7, v7, v42
	v_cmp_eq_u32_e32 vcc, v7, v38
	s_and_b64 exec, exec, vcc
	s_cbranch_execz .LBB124_238
; %bb.243:                              ;   in Loop: Header=BB124_241 Depth=2
	ds_write_b64 v15, v[22:23] offset:3072
	s_branch .LBB124_238
.LBB124_244:                            ;   in Loop: Header=BB124_241 Depth=2
	s_mov_b64 s[62:63], -1
                                        ; implicit-def: $vgpr2_vgpr3
                                        ; implicit-def: $vgpr6
	s_mov_b64 s[50:51], -1
	s_branch .LBB124_240
.LBB124_245:                            ;   in Loop: Header=BB124_20 Depth=1
                                        ; implicit-def: $sgpr8_sgpr9
	s_branch .LBB124_188
.LBB124_246:                            ;   in Loop: Header=BB124_20 Depth=1
                                        ; implicit-def: $sgpr2_sgpr3
	s_branch .LBB124_205
.LBB124_247:                            ;   in Loop: Header=BB124_20 Depth=1
	s_or_b64 exec, exec, s[8:9]
	s_and_b64 s[8:9], s[48:49], exec
.LBB124_248:                            ;   in Loop: Header=BB124_20 Depth=1
	s_or_b64 exec, exec, s[44:45]
	v_readlane_b32 s50, v55, 31
	v_readlane_b32 s51, v55, 32
.LBB124_249:                            ;   in Loop: Header=BB124_20 Depth=1
	s_and_b64 vcc, exec, s[42:43]
	s_cbranch_vccz .LBB124_264
; %bb.250:                              ;   in Loop: Header=BB124_20 Depth=1
	s_mov_b32 s76, s71
	s_cmp_lg_u64 s[76:77], 0
	s_cbranch_scc0 .LBB124_285
; %bb.251:                              ;   in Loop: Header=BB124_20 Depth=1
	v_cvt_f32_u32_e32 v2, s33
	s_sub_u32 s2, 0, s33
	s_subb_u32 s3, 0, 0
	v_mac_f32_e32 v2, 0, v41
	v_rcp_f32_e32 v2, v2
	v_mul_f32_e32 v2, 0x5f7ffffc, v2
	v_mul_f32_e32 v3, 0x2f800000, v2
	v_trunc_f32_e32 v3, v3
	v_mac_f32_e32 v2, 0xcf800000, v3
	v_cvt_u32_f32_e32 v3, v3
	v_cvt_u32_f32_e32 v2, v2
	v_readfirstlane_b32 s40, v3
	v_readfirstlane_b32 s0, v2
	s_mul_i32 s1, s2, s40
	s_mul_hi_u32 s42, s2, s0
	s_mul_i32 s41, s3, s0
	s_add_i32 s1, s42, s1
	s_mul_i32 s43, s2, s0
	s_add_i32 s1, s1, s41
	s_mul_hi_u32 s42, s0, s43
	s_mul_i32 s44, s0, s1
	s_mul_hi_u32 s41, s0, s1
	s_add_u32 s42, s42, s44
	s_addc_u32 s41, 0, s41
	s_mul_hi_u32 s45, s40, s43
	s_mul_i32 s43, s40, s43
	s_add_u32 s42, s42, s43
	s_mul_hi_u32 s44, s40, s1
	s_addc_u32 s41, s41, s45
	s_addc_u32 s42, s44, 0
	s_mul_i32 s1, s40, s1
	s_add_u32 s1, s41, s1
	s_addc_u32 s41, 0, s42
	s_add_u32 s42, s0, s1
	s_cselect_b64 s[0:1], -1, 0
	s_cmp_lg_u64 s[0:1], 0
	s_addc_u32 s40, s40, s41
	s_mul_i32 s0, s2, s40
	s_mul_hi_u32 s1, s2, s42
	s_add_i32 s0, s1, s0
	s_mul_i32 s3, s3, s42
	s_add_i32 s0, s0, s3
	s_mul_i32 s2, s2, s42
	s_mul_hi_u32 s3, s40, s2
	s_mul_i32 s41, s40, s2
	s_mul_i32 s44, s42, s0
	s_mul_hi_u32 s2, s42, s2
	s_mul_hi_u32 s43, s42, s0
	s_add_u32 s2, s2, s44
	s_addc_u32 s43, 0, s43
	s_add_u32 s2, s2, s41
	s_mul_hi_u32 s1, s40, s0
	s_addc_u32 s2, s43, s3
	s_addc_u32 s1, s1, 0
	s_mul_i32 s0, s40, s0
	s_add_u32 s0, s2, s0
	s_addc_u32 s2, 0, s1
	s_add_u32 s3, s42, s0
	s_cselect_b64 s[0:1], -1, 0
	s_cmp_lg_u64 s[0:1], 0
	s_addc_u32 s0, s40, s2
	s_mul_i32 s2, s26, s0
	s_mul_hi_u32 s40, s26, s3
	s_mul_hi_u32 s1, s26, s0
	s_add_u32 s2, s40, s2
	s_addc_u32 s1, 0, s1
	s_mul_hi_u32 s41, s77, s3
	s_mul_i32 s3, s77, s3
	s_add_u32 s2, s2, s3
	s_mul_hi_u32 s40, s77, s0
	s_addc_u32 s1, s1, s41
	s_addc_u32 s2, s40, 0
	s_mul_i32 s0, s77, s0
	s_add_u32 s0, s1, s0
	s_addc_u32 s1, 0, s2
	s_mul_i32 s1, s33, s1
	s_mul_hi_u32 s2, s33, s0
	s_add_i32 s2, s2, s1
	s_mul_i32 s0, s33, s0
	s_sub_u32 s3, s26, s0
	s_cselect_b64 s[0:1], -1, 0
	s_cmp_lg_u64 s[0:1], 0
	s_subb_u32 s2, s77, s2
	s_sub_u32 s40, s3, s33
	s_cselect_b64 s[0:1], -1, 0
	s_cmp_lg_u64 s[0:1], 0
	s_subb_u32 s41, s2, 0
	s_sub_u32 s42, s40, s33
	s_cselect_b64 s[0:1], -1, 0
	s_cmp_lg_u64 s[0:1], 0
	s_subb_u32 s0, s41, 0
	s_cmp_ge_u32 s40, s33
	s_cselect_b32 s1, -1, 0
	s_cmp_eq_u32 s41, 0
	s_cselect_b32 s1, s1, -1
	s_cmp_lg_u32 s1, 0
	s_cselect_b32 s0, s0, s41
	s_cselect_b32 s40, s42, s40
	s_cmp_ge_u32 s3, s33
	s_cselect_b32 s1, -1, 0
	s_cmp_eq_u32 s2, 0
	s_cselect_b32 s1, s1, -1
	s_cmp_lg_u32 s1, 0
	s_cselect_b32 s1, s0, s2
	s_cselect_b32 s0, s40, s3
	s_cbranch_execnz .LBB124_253
.LBB124_252:                            ;   in Loop: Header=BB124_20 Depth=1
	v_cvt_f32_u32_e32 v2, s33
	s_sub_i32 s0, 0, s33
	v_rcp_iflag_f32_e32 v2, v2
	v_mul_f32_e32 v2, 0x4f7ffffe, v2
	v_cvt_u32_f32_e32 v2, v2
	v_readfirstlane_b32 s1, v2
	s_mul_i32 s0, s0, s1
	s_mul_hi_u32 s0, s1, s0
	s_add_i32 s1, s1, s0
	s_mul_hi_u32 s0, s26, s1
	s_mul_i32 s0, s0, s33
	s_sub_i32 s0, s26, s0
	s_sub_i32 s1, s0, s33
	s_cmp_ge_u32 s0, s33
	s_cselect_b32 s0, s1, s0
	s_sub_i32 s1, s0, s33
	s_cmp_ge_u32 s0, s33
	s_cselect_b32 s70, s1, s0
	s_mov_b64 s[0:1], s[70:71]
.LBB124_253:                            ;   in Loop: Header=BB124_20 Depth=1
	s_sub_u32 s2, s26, s0
	s_subb_u32 s3, s77, s1
	v_cmp_gt_u64_e32 vcc, s[2:3], v[0:1]
                                        ; implicit-def: $vgpr24
	s_and_saveexec_b64 s[0:1], vcc
	s_cbranch_execz .LBB124_263
; %bb.254:                              ;   in Loop: Header=BB124_20 Depth=1
	v_mov_b32_e32 v2, v10
	v_mov_b32_e32 v7, v1
	s_mov_b64 s[40:41], 0
	v_mov_b32_e32 v3, v11
	v_mov_b32_e32 v6, v0
                                        ; implicit-def: $sgpr42_sgpr43
	s_branch .LBB124_258
.LBB124_255:                            ;   in Loop: Header=BB124_258 Depth=2
	s_or_b64 exec, exec, s[44:45]
	s_waitcnt lgkmcnt(0)
	s_barrier
	ds_read_b64 v[23:24], v15 offset:3072
	s_waitcnt lgkmcnt(0)
	s_barrier
	v_cmp_eq_f32_e32 vcc, 0, v23
	s_cbranch_vccz .LBB124_261
; %bb.256:                              ;   in Loop: Header=BB124_258 Depth=2
	v_add_co_u32_e32 v6, vcc, s33, v6
	v_addc_co_u32_e32 v7, vcc, 0, v7, vcc
	v_mov_b32_e32 v8, s67
	v_add_co_u32_e32 v2, vcc, s66, v2
	v_addc_co_u32_e32 v3, vcc, v3, v8, vcc
	v_cmp_le_u64_e32 vcc, s[2:3], v[6:7]
	s_mov_b64 s[44:45], 0
	s_orn2_b64 s[46:47], vcc, exec
.LBB124_257:                            ;   in Loop: Header=BB124_258 Depth=2
	s_and_b64 s[46:47], exec, s[46:47]
	s_or_b64 s[40:41], s[46:47], s[40:41]
	s_andn2_b64 s[42:43], s[42:43], exec
	s_and_b64 s[44:45], s[44:45], exec
	s_or_b64 s[42:43], s[42:43], s[44:45]
	s_andn2_b64 exec, exec, s[40:41]
	s_cbranch_execz .LBB124_262
.LBB124_258:                            ;   Parent Loop BB124_20 Depth=1
                                        ; =>  This Inner Loop Header: Depth=2
	v_cmp_gt_u64_e32 vcc, s[52:53], v[6:7]
	s_and_saveexec_b64 s[44:45], vcc
	s_cbranch_execz .LBB124_255
; %bb.259:                              ;   in Loop: Header=BB124_258 Depth=2
	global_load_dword v23, v[2:3], off
	s_waitcnt vmcnt(0)
	v_cmp_lt_i32_e32 vcc, -1, v23
	v_cndmask_b32_e32 v8, -1, v40, vcc
	v_xor_b32_e32 v8, v8, v23
	v_cmp_o_f32_e32 vcc, v23, v23
	v_cndmask_b32_e32 v8, -1, v8, vcc
	v_and_b32_e32 v8, v8, v42
	v_cmp_eq_u32_e32 vcc, v8, v38
	s_and_b64 exec, exec, vcc
	s_cbranch_execz .LBB124_255
; %bb.260:                              ;   in Loop: Header=BB124_258 Depth=2
	ds_write_b64 v15, v[22:23] offset:3072
	s_branch .LBB124_255
.LBB124_261:                            ;   in Loop: Header=BB124_258 Depth=2
	s_mov_b64 s[46:47], -1
                                        ; implicit-def: $vgpr6_vgpr7
                                        ; implicit-def: $vgpr2_vgpr3
	s_mov_b64 s[44:45], -1
	s_branch .LBB124_257
.LBB124_262:                            ;   in Loop: Header=BB124_20 Depth=1
	s_or_b64 exec, exec, s[40:41]
	s_andn2_b64 s[2:3], s[8:9], exec
	s_and_b64 s[8:9], s[42:43], exec
	s_or_b64 s[8:9], s[2:3], s[8:9]
.LBB124_263:                            ;   in Loop: Header=BB124_20 Depth=1
	s_or_b64 exec, exec, s[0:1]
	s_mov_b64 s[0:1], 0
	s_mov_b64 s[2:3], -1
.LBB124_264:                            ;   in Loop: Header=BB124_20 Depth=1
	s_orn2_b64 s[40:41], s[8:9], exec
.LBB124_265:                            ;   in Loop: Header=BB124_20 Depth=1
	s_or_b64 exec, exec, s[38:39]
	s_mov_b64 s[38:39], 0
	s_and_saveexec_b64 s[8:9], s[40:41]
	s_cbranch_execz .LBB124_276
; %bb.266:                              ;   in Loop: Header=BB124_20 Depth=1
	v_mov_b32_e32 v2, 1
	s_xor_b64 s[38:39], s[36:37], -1
	v_mov_b32_e32 v3, 0
	v_mov_b32_e32 v14, 1
	s_and_saveexec_b64 s[36:37], s[38:39]
	s_cbranch_execz .LBB124_275
; %bb.267:                              ;   in Loop: Header=BB124_20 Depth=1
	v_cmp_ge_u64_e32 vcc, s[10:11], v[4:5]
	s_and_saveexec_b64 s[38:39], vcc
	s_xor_b64 s[38:39], exec, s[38:39]
	s_cbranch_execz .LBB124_272
; %bb.268:                              ;   in Loop: Header=BB124_20 Depth=1
	ds_read_b64 v[2:3], v15 offset:5120
	v_or_b32_e32 v38, s68, v38
	v_or_b32_e32 v42, s68, v42
	s_waitcnt lgkmcnt(0)
	v_cmp_ne_u64_e32 vcc, 0, v[2:3]
	s_cbranch_vccnz .LBB124_272
; %bb.269:                              ;   in Loop: Header=BB124_20 Depth=1
	s_mov_b64 s[40:41], exec
	v_readlane_b32 s42, v55, 10
	v_readlane_b32 s43, v55, 11
	s_and_b64 s[42:43], s[40:41], s[42:43]
	s_mov_b64 exec, s[42:43]
; %bb.270:                              ;   in Loop: Header=BB124_20 Depth=1
	v_mov_b32_e32 v2, s10
	v_mov_b32_e32 v3, s11
	ds_write_b64 v15, v[2:3] offset:5128
; %bb.271:                              ;   in Loop: Header=BB124_20 Depth=1
	s_or_b64 exec, exec, s[40:41]
	s_waitcnt lgkmcnt(0)
	s_barrier
.LBB124_272:                            ;   in Loop: Header=BB124_20 Depth=1
	s_andn2_saveexec_b64 s[38:39], s[38:39]
; %bb.273:                              ;   in Loop: Header=BB124_20 Depth=1
	v_mov_b32_e32 v2, s11
	v_subrev_co_u32_e32 v4, vcc, s10, v4
	v_subb_co_u32_e32 v5, vcc, v5, v2, vcc
; %bb.274:                              ;   in Loop: Header=BB124_20 Depth=1
	s_or_b64 exec, exec, s[38:39]
	v_mov_b32_e32 v2, v4
	v_mov_b32_e32 v14, 8
	;; [unrolled: 1-line block ×3, first 2 shown]
.LBB124_275:                            ;   in Loop: Header=BB124_20 Depth=1
	s_or_b64 exec, exec, s[36:37]
	v_mov_b32_e32 v5, v3
	s_mov_b64 s[38:39], exec
	v_mov_b32_e32 v4, v2
.LBB124_276:                            ;   in Loop: Header=BB124_20 Depth=1
	s_or_b64 exec, exec, s[8:9]
	s_orn2_b64 s[8:9], s[38:39], exec
.LBB124_277:                            ;   in Loop: Header=BB124_20 Depth=1
	s_or_b64 exec, exec, s[18:19]
	s_andn2_b64 s[10:11], s[30:31], exec
	s_and_b64 s[2:3], s[2:3], exec
	s_or_b64 s[30:31], s[10:11], s[2:3]
	s_andn2_b64 s[2:3], s[28:29], exec
	s_and_b64 s[0:1], s[0:1], exec
	v_mov_b32_e32 v2, v4
	s_or_b64 s[28:29], s[2:3], s[0:1]
	s_and_b64 s[2:3], s[8:9], exec
	v_mov_b32_e32 v3, v5
.LBB124_278:                            ;   in Loop: Header=BB124_20 Depth=1
	s_or_b64 exec, exec, s[34:35]
	s_orn2_b64 s[0:1], s[2:3], exec
.LBB124_279:                            ;   in Loop: Header=BB124_20 Depth=1
	s_or_b64 exec, exec, s[24:25]
	s_andn2_b64 s[2:3], s[20:21], exec
	s_and_b64 s[8:9], s[30:31], exec
	s_or_b64 s[20:21], s[2:3], s[8:9]
	s_andn2_b64 s[2:3], s[6:7], exec
	s_and_b64 s[6:7], s[28:29], exec
	v_mov_b32_e32 v7, v3
	s_or_b64 s[6:7], s[2:3], s[6:7]
	s_and_b64 s[2:3], s[0:1], exec
	v_mov_b32_e32 v6, v2
.LBB124_280:                            ;   in Loop: Header=BB124_20 Depth=1
	s_or_b64 exec, exec, s[22:23]
	s_orn2_b64 s[0:1], s[2:3], exec
.LBB124_281:                            ;   in Loop: Header=BB124_20 Depth=1
	s_or_b64 exec, exec, s[16:17]
	s_mov_b64 s[2:3], 0
	s_and_saveexec_b64 s[8:9], s[0:1]
	s_xor_b64 s[0:1], exec, s[8:9]
	s_cbranch_execz .LBB124_18
; %bb.282:                              ;   in Loop: Header=BB124_20 Depth=1
	v_and_b32_e32 v2, 7, v14
	v_cmp_eq_u32_e32 vcc, 0, v2
	s_mov_b64 s[8:9], -1
	s_mov_b64 s[2:3], -1
	s_and_saveexec_b64 s[10:11], vcc
	s_cbranch_execz .LBB124_17
; %bb.283:                              ;   in Loop: Header=BB124_20 Depth=1
	s_xor_b32 s78, s78, 1
	s_add_i32 s14, s73, -2
	s_cmp_eq_u32 s73, 0
	s_cselect_b64 s[8:9], -1, 0
	s_xor_b64 s[2:3], exec, -1
	s_orn2_b64 s[8:9], s[8:9], exec
	s_mov_b32 s73, s14
	s_branch .LBB124_17
.LBB124_284:                            ;   in Loop: Header=BB124_20 Depth=1
                                        ; implicit-def: $sgpr42_sgpr43
	s_branch .LBB124_235
.LBB124_285:                            ;   in Loop: Header=BB124_20 Depth=1
                                        ; implicit-def: $sgpr0_sgpr1
	s_branch .LBB124_252
.LBB124_286:
	s_or_b64 exec, exec, s[88:89]
	s_xor_b64 s[4:5], s[94:95], -1
	s_xor_b64 s[2:3], s[90:91], -1
	s_xor_b64 s[6:7], s[92:93], -1
	s_mov_b64 s[0:1], 0
	s_and_saveexec_b64 s[8:9], s[2:3]
	s_xor_b64 s[2:3], exec, s[8:9]
	s_cbranch_execnz .LBB124_291
; %bb.287:
	s_andn2_saveexec_b64 s[2:3], s[2:3]
	s_cbranch_execnz .LBB124_304
.LBB124_288:
	s_or_b64 exec, exec, s[2:3]
	s_and_saveexec_b64 s[2:3], s[0:1]
.LBB124_289:
	; divergent unreachable
.LBB124_290:
	s_endpgm
.LBB124_291:
	s_and_saveexec_b64 s[0:1], s[4:5]
	s_xor_b64 s[4:5], exec, s[0:1]
	s_cbranch_execz .LBB124_302
; %bb.292:
	s_and_saveexec_b64 s[0:1], s[6:7]
	s_xor_b64 s[0:1], exec, s[0:1]
; %bb.293:
	v_bfrev_b32_e32 v2, 1
	v_cmp_lt_i32_e32 vcc, -1, v38
	v_cndmask_b32_e64 v2, v2, -1, vcc
	v_xor_b32_e32 v24, v2, v38
; %bb.294:
	s_or_b64 exec, exec, s[0:1]
	v_readlane_b32 s6, v55, 4
	v_readlane_b32 s7, v55, 5
	s_mul_i32 s0, s7, s74
	s_mul_hi_u32 s1, s6, s74
	s_add_i32 s1, s1, s0
	s_mul_i32 s0, s6, s74
	s_lshl_b64 s[0:1], s[0:1], 2
	v_readlane_b32 s6, v55, 6
	v_readlane_b32 s7, v55, 7
	s_add_u32 s0, s6, s0
	s_addc_u32 s1, s7, s1
	v_mov_b32_e32 v2, 0
	global_store_dword v2, v24, s[0:1]
	s_mov_b64 s[6:7], exec
	v_readlane_b32 s0, v55, 8
	v_readlane_b32 s1, v55, 9
	s_and_b64 s[0:1], s[6:7], s[0:1]
	s_mov_b64 exec, s[0:1]
	s_cbranch_execz .LBB124_301
; %bb.295:
	v_cmp_u_f32_e32 vcc, v24, v24
	s_mov_b64 s[8:9], 0
	s_xor_b64 s[12:13], vcc, -1
                                        ; implicit-def: $sgpr10_sgpr11
                                        ; implicit-def: $sgpr16_sgpr17
                                        ; implicit-def: $sgpr14_sgpr15
	s_branch .LBB124_297
.LBB124_296:                            ;   in Loop: Header=BB124_297 Depth=1
	s_or_b64 exec, exec, s[0:1]
	s_and_b64 s[0:1], exec, s[16:17]
	s_or_b64 s[8:9], s[0:1], s[8:9]
	s_andn2_b64 s[0:1], s[10:11], exec
	s_and_b64 s[10:11], s[14:15], exec
	s_or_b64 s[10:11], s[0:1], s[10:11]
	s_andn2_b64 exec, exec, s[8:9]
	s_cbranch_execz .LBB124_299
.LBB124_297:                            ; =>This Inner Loop Header: Depth=1
	global_load_dword v4, v[10:11], off
	v_mov_b32_e32 v3, v1
	v_mov_b32_e32 v2, v0
	s_or_b64 s[14:15], s[14:15], exec
	s_or_b64 s[16:17], s[16:17], exec
                                        ; implicit-def: $vgpr0_vgpr1
	s_waitcnt vmcnt(0)
	v_cmp_o_f32_e64 s[0:1], v4, v4
	v_cmp_neq_f32_e32 vcc, v4, v24
	s_or_b64 s[0:1], s[0:1], s[12:13]
	s_and_b64 s[18:19], vcc, s[0:1]
	s_and_saveexec_b64 s[0:1], s[18:19]
	s_cbranch_execz .LBB124_296
; %bb.298:                              ;   in Loop: Header=BB124_297 Depth=1
	v_add_co_u32_e32 v0, vcc, s33, v2
	v_addc_co_u32_e32 v1, vcc, 0, v3, vcc
	v_mov_b32_e32 v4, s67
	v_add_co_u32_e32 v10, vcc, s66, v10
	v_addc_co_u32_e32 v11, vcc, v11, v4, vcc
	v_cmp_le_u64_e32 vcc, s[52:53], v[0:1]
	s_andn2_b64 s[16:17], s[16:17], exec
	s_and_b64 s[18:19], vcc, exec
	s_andn2_b64 s[14:15], s[14:15], exec
	s_or_b64 s[16:17], s[16:17], s[18:19]
	s_branch .LBB124_296
.LBB124_299:
	s_or_b64 exec, exec, s[8:9]
	s_and_saveexec_b64 s[0:1], s[10:11]
	s_xor_b64 s[0:1], exec, s[0:1]
	s_cbranch_execz .LBB124_301
; %bb.300:
	v_readlane_b32 s8, v55, 0
	v_readlane_b32 s9, v55, 1
	s_mul_i32 s0, s9, s74
	s_mul_hi_u32 s1, s8, s74
	s_add_i32 s1, s1, s0
	s_mul_i32 s0, s8, s74
	s_lshl_b64 s[0:1], s[0:1], 3
	v_readlane_b32 s8, v55, 2
	v_readlane_b32 s9, v55, 3
	s_add_u32 s0, s8, s0
	s_addc_u32 s1, s9, s1
	v_mov_b32_e32 v0, 0
	global_store_dwordx2 v0, v[2:3], s[0:1]
.LBB124_301:
	s_or_b64 exec, exec, s[6:7]
.LBB124_302:
	s_or_saveexec_b64 s[0:1], s[4:5]
	s_mov_b64 s[4:5], 0
	s_xor_b64 exec, exec, s[0:1]
	s_cbranch_execnz .LBB124_305
.LBB124_303:
	s_or_b64 exec, exec, s[0:1]
	s_and_b64 s[0:1], s[4:5], exec
	s_andn2_saveexec_b64 s[2:3], s[2:3]
	s_cbranch_execz .LBB124_288
.LBB124_304:
	s_or_b64 s[0:1], s[0:1], exec
	s_trap 2
	s_or_b64 exec, exec, s[2:3]
	s_and_saveexec_b64 s[2:3], s[0:1]
	s_cbranch_execnz .LBB124_289
	s_branch .LBB124_290
.LBB124_305:
	s_mov_b64 s[4:5], exec
	s_trap 2
	s_branch .LBB124_303
	.section	.rodata,"a",@progbits
	.p2align	6, 0x0
	.amdhsa_kernel _ZN2at6native12_GLOBAL__N_112gatherMedianIfmLi1EEEvNS_4cuda6detail10TensorInfoIT_T0_EENS5_IlS7_EENS5_IKS6_S7_EES7_S7_S7_b
		.amdhsa_group_segment_fixed_size 5152
		.amdhsa_private_segment_fixed_size 0
		.amdhsa_kernarg_size 1536
		.amdhsa_user_sgpr_count 6
		.amdhsa_user_sgpr_private_segment_buffer 1
		.amdhsa_user_sgpr_dispatch_ptr 0
		.amdhsa_user_sgpr_queue_ptr 0
		.amdhsa_user_sgpr_kernarg_segment_ptr 1
		.amdhsa_user_sgpr_dispatch_id 0
		.amdhsa_user_sgpr_flat_scratch_init 0
		.amdhsa_user_sgpr_private_segment_size 0
		.amdhsa_uses_dynamic_stack 0
		.amdhsa_system_sgpr_private_segment_wavefront_offset 0
		.amdhsa_system_sgpr_workgroup_id_x 1
		.amdhsa_system_sgpr_workgroup_id_y 1
		.amdhsa_system_sgpr_workgroup_id_z 1
		.amdhsa_system_sgpr_workgroup_info 0
		.amdhsa_system_vgpr_workitem_id 0
		.amdhsa_next_free_vgpr 56
		.amdhsa_next_free_sgpr 96
		.amdhsa_reserve_vcc 1
		.amdhsa_reserve_flat_scratch 0
		.amdhsa_float_round_mode_32 0
		.amdhsa_float_round_mode_16_64 0
		.amdhsa_float_denorm_mode_32 3
		.amdhsa_float_denorm_mode_16_64 3
		.amdhsa_dx10_clamp 1
		.amdhsa_ieee_mode 1
		.amdhsa_fp16_overflow 0
		.amdhsa_exception_fp_ieee_invalid_op 0
		.amdhsa_exception_fp_denorm_src 0
		.amdhsa_exception_fp_ieee_div_zero 0
		.amdhsa_exception_fp_ieee_overflow 0
		.amdhsa_exception_fp_ieee_underflow 0
		.amdhsa_exception_fp_ieee_inexact 0
		.amdhsa_exception_int_div_zero 0
	.end_amdhsa_kernel
	.section	.text._ZN2at6native12_GLOBAL__N_112gatherMedianIfmLi1EEEvNS_4cuda6detail10TensorInfoIT_T0_EENS5_IlS7_EENS5_IKS6_S7_EES7_S7_S7_b,"axG",@progbits,_ZN2at6native12_GLOBAL__N_112gatherMedianIfmLi1EEEvNS_4cuda6detail10TensorInfoIT_T0_EENS5_IlS7_EENS5_IKS6_S7_EES7_S7_S7_b,comdat
.Lfunc_end124:
	.size	_ZN2at6native12_GLOBAL__N_112gatherMedianIfmLi1EEEvNS_4cuda6detail10TensorInfoIT_T0_EENS5_IlS7_EENS5_IKS6_S7_EES7_S7_S7_b, .Lfunc_end124-_ZN2at6native12_GLOBAL__N_112gatherMedianIfmLi1EEEvNS_4cuda6detail10TensorInfoIT_T0_EENS5_IlS7_EENS5_IKS6_S7_EES7_S7_S7_b
                                        ; -- End function
	.set _ZN2at6native12_GLOBAL__N_112gatherMedianIfmLi1EEEvNS_4cuda6detail10TensorInfoIT_T0_EENS5_IlS7_EENS5_IKS6_S7_EES7_S7_S7_b.num_vgpr, 56
	.set _ZN2at6native12_GLOBAL__N_112gatherMedianIfmLi1EEEvNS_4cuda6detail10TensorInfoIT_T0_EENS5_IlS7_EENS5_IKS6_S7_EES7_S7_S7_b.num_agpr, 0
	.set _ZN2at6native12_GLOBAL__N_112gatherMedianIfmLi1EEEvNS_4cuda6detail10TensorInfoIT_T0_EENS5_IlS7_EENS5_IKS6_S7_EES7_S7_S7_b.numbered_sgpr, 96
	.set _ZN2at6native12_GLOBAL__N_112gatherMedianIfmLi1EEEvNS_4cuda6detail10TensorInfoIT_T0_EENS5_IlS7_EENS5_IKS6_S7_EES7_S7_S7_b.num_named_barrier, 0
	.set _ZN2at6native12_GLOBAL__N_112gatherMedianIfmLi1EEEvNS_4cuda6detail10TensorInfoIT_T0_EENS5_IlS7_EENS5_IKS6_S7_EES7_S7_S7_b.private_seg_size, 0
	.set _ZN2at6native12_GLOBAL__N_112gatherMedianIfmLi1EEEvNS_4cuda6detail10TensorInfoIT_T0_EENS5_IlS7_EENS5_IKS6_S7_EES7_S7_S7_b.uses_vcc, 1
	.set _ZN2at6native12_GLOBAL__N_112gatherMedianIfmLi1EEEvNS_4cuda6detail10TensorInfoIT_T0_EENS5_IlS7_EENS5_IKS6_S7_EES7_S7_S7_b.uses_flat_scratch, 0
	.set _ZN2at6native12_GLOBAL__N_112gatherMedianIfmLi1EEEvNS_4cuda6detail10TensorInfoIT_T0_EENS5_IlS7_EENS5_IKS6_S7_EES7_S7_S7_b.has_dyn_sized_stack, 0
	.set _ZN2at6native12_GLOBAL__N_112gatherMedianIfmLi1EEEvNS_4cuda6detail10TensorInfoIT_T0_EENS5_IlS7_EENS5_IKS6_S7_EES7_S7_S7_b.has_recursion, 0
	.set _ZN2at6native12_GLOBAL__N_112gatherMedianIfmLi1EEEvNS_4cuda6detail10TensorInfoIT_T0_EENS5_IlS7_EENS5_IKS6_S7_EES7_S7_S7_b.has_indirect_call, 0
	.section	.AMDGPU.csdata,"",@progbits
; Kernel info:
; codeLenInByte = 15296
; TotalNumSgprs: 100
; NumVgprs: 56
; ScratchSize: 0
; MemoryBound: 0
; FloatMode: 240
; IeeeMode: 1
; LDSByteSize: 5152 bytes/workgroup (compile time only)
; SGPRBlocks: 12
; VGPRBlocks: 13
; NumSGPRsForWavesPerEU: 100
; NumVGPRsForWavesPerEU: 56
; Occupancy: 4
; WaveLimiterHint : 1
; COMPUTE_PGM_RSRC2:SCRATCH_EN: 0
; COMPUTE_PGM_RSRC2:USER_SGPR: 6
; COMPUTE_PGM_RSRC2:TRAP_HANDLER: 0
; COMPUTE_PGM_RSRC2:TGID_X_EN: 1
; COMPUTE_PGM_RSRC2:TGID_Y_EN: 1
; COMPUTE_PGM_RSRC2:TGID_Z_EN: 1
; COMPUTE_PGM_RSRC2:TIDIG_COMP_CNT: 0
	.section	.text._ZN2at6native12_GLOBAL__N_112gatherMedianIfmLi2EEEvNS_4cuda6detail10TensorInfoIT_T0_EENS5_IlS7_EENS5_IKS6_S7_EES7_S7_S7_b,"axG",@progbits,_ZN2at6native12_GLOBAL__N_112gatherMedianIfmLi2EEEvNS_4cuda6detail10TensorInfoIT_T0_EENS5_IlS7_EENS5_IKS6_S7_EES7_S7_S7_b,comdat
	.globl	_ZN2at6native12_GLOBAL__N_112gatherMedianIfmLi2EEEvNS_4cuda6detail10TensorInfoIT_T0_EENS5_IlS7_EENS5_IKS6_S7_EES7_S7_S7_b ; -- Begin function _ZN2at6native12_GLOBAL__N_112gatherMedianIfmLi2EEEvNS_4cuda6detail10TensorInfoIT_T0_EENS5_IlS7_EENS5_IKS6_S7_EES7_S7_S7_b
	.p2align	8
	.type	_ZN2at6native12_GLOBAL__N_112gatherMedianIfmLi2EEEvNS_4cuda6detail10TensorInfoIT_T0_EENS5_IlS7_EENS5_IKS6_S7_EES7_S7_S7_b,@function
_ZN2at6native12_GLOBAL__N_112gatherMedianIfmLi2EEEvNS_4cuda6detail10TensorInfoIT_T0_EENS5_IlS7_EENS5_IKS6_S7_EES7_S7_S7_b: ; @_ZN2at6native12_GLOBAL__N_112gatherMedianIfmLi2EEEvNS_4cuda6detail10TensorInfoIT_T0_EENS5_IlS7_EENS5_IKS6_S7_EES7_S7_S7_b
; %bb.0:
	s_load_dwordx2 s[10:11], s[4:5], 0x500
	s_load_dwordx4 s[52:55], s[4:5], 0x4e0
	s_add_u32 s12, s4, 0x500
	s_addc_u32 s13, s5, 0
	s_mov_b32 s19, 0
	s_waitcnt lgkmcnt(0)
	s_mul_i32 s0, s11, s8
	s_add_i32 s0, s0, s7
	s_mul_i32 s0, s0, s10
	s_add_i32 s18, s0, s6
	v_mov_b32_e32 v1, s18
	v_mov_b32_e32 v2, s19
	v_cmp_le_u64_e32 vcc, s[54:55], v[1:2]
	s_cbranch_vccnz .LBB125_296
; %bb.1:
	s_load_dwordx2 s[20:21], s[4:5], 0x10
	s_load_dwordx2 s[68:69], s[4:5], 0x4f0
	s_load_dwordx2 s[8:9], s[4:5], 0x350
	s_load_dwordx2 s[0:1], s[4:5], 0x1b0
                                        ; implicit-def: $vgpr48 : SGPR spill to VGPR lane
	s_waitcnt lgkmcnt(0)
	v_mov_b32_e32 v1, s20
	v_mov_b32_e32 v2, s21
	v_cmp_lt_u64_e32 vcc, s[18:19], v[1:2]
	v_writelane_b32 v48, s0, 0
	v_writelane_b32 v48, s1, 1
	s_mov_b64 s[0:1], 0
	v_writelane_b32 v48, s0, 2
	v_writelane_b32 v48, s1, 3
	s_mov_b64 s[0:1], 0
	s_cbranch_vccnz .LBB125_3
; %bb.2:
	v_cvt_f32_u32_e32 v1, s20
	s_sub_i32 s0, 0, s20
	v_rcp_iflag_f32_e32 v1, v1
	v_mul_f32_e32 v1, 0x4f7ffffe, v1
	v_cvt_u32_f32_e32 v1, v1
	v_readfirstlane_b32 s1, v1
	s_mul_i32 s0, s0, s1
	s_mul_hi_u32 s0, s1, s0
	s_add_i32 s1, s1, s0
	s_mul_hi_u32 s0, s18, s1
	s_mul_i32 s2, s0, s20
	s_sub_i32 s2, s18, s2
	s_add_i32 s1, s0, 1
	s_sub_i32 s3, s2, s20
	s_cmp_ge_u32 s2, s20
	s_cselect_b32 s0, s1, s0
	s_cselect_b32 s2, s3, s2
	s_add_i32 s1, s0, 1
	s_cmp_ge_u32 s2, s20
	s_cselect_b32 s0, s1, s0
.LBB125_3:
	v_writelane_b32 v48, s0, 4
	v_writelane_b32 v48, s1, 5
	s_load_dwordx2 s[14:15], s[4:5], 0x340
	s_load_dwordx2 s[0:1], s[4:5], 0x1b0
	s_waitcnt lgkmcnt(0)
	v_mov_b32_e32 v2, s1
	v_mov_b32_e32 v1, s0
	v_cmp_lt_u64_e32 vcc, s[18:19], v[1:2]
	s_cbranch_vccnz .LBB125_5
; %bb.4:
	s_load_dwordx2 s[16:17], s[4:5], 0x1b0
	s_waitcnt lgkmcnt(0)
	v_cvt_f32_u32_e32 v1, s16
	s_sub_i32 s0, 0, s16
	v_rcp_iflag_f32_e32 v1, v1
	v_mul_f32_e32 v1, 0x4f7ffffe, v1
	v_cvt_u32_f32_e32 v1, v1
	v_readfirstlane_b32 s1, v1
	s_mul_i32 s0, s0, s1
	s_mul_hi_u32 s0, s1, s0
	s_add_i32 s1, s1, s0
	s_mul_hi_u32 s0, s18, s1
	s_mul_i32 s2, s0, s16
	s_sub_i32 s2, s18, s2
	s_add_i32 s1, s0, 1
	s_sub_i32 s3, s2, s16
	s_cmp_ge_u32 s2, s16
	s_cselect_b32 s0, s1, s0
	s_cselect_b32 s2, s3, s2
	s_add_i32 s1, s0, 1
	s_cmp_ge_u32 s2, s16
	s_cselect_b32 s0, s1, s0
	v_writelane_b32 v48, s0, 2
	v_writelane_b32 v48, s1, 3
.LBB125_5:
	s_load_dwordx4 s[0:3], s[4:5], 0x410
	v_mov_b32_e32 v1, s8
	v_mov_b32_e32 v2, s9
	v_cmp_lt_u64_e32 vcc, s[18:19], v[1:2]
	v_writelane_b32 v48, s20, 6
	s_mov_b64 s[16:17], 0
	v_writelane_b32 v48, s21, 7
	s_cbranch_vccnz .LBB125_7
; %bb.6:
	v_cvt_f32_u32_e32 v1, s8
	s_sub_i32 s7, 0, s8
	v_rcp_iflag_f32_e32 v1, v1
	v_mul_f32_e32 v1, 0x4f7ffffe, v1
	v_cvt_u32_f32_e32 v1, v1
	v_readfirstlane_b32 s11, v1
	s_mul_i32 s7, s7, s11
	s_mul_hi_u32 s7, s11, s7
	s_add_i32 s11, s11, s7
	s_mul_hi_u32 s7, s18, s11
	s_mul_i32 s16, s7, s8
	s_sub_i32 s16, s18, s16
	s_add_i32 s11, s7, 1
	s_sub_i32 s17, s16, s8
	s_cmp_ge_u32 s16, s8
	s_cselect_b32 s7, s11, s7
	s_cselect_b32 s16, s17, s16
	s_add_i32 s11, s7, 1
	s_cmp_ge_u32 s16, s8
	s_cselect_b32 s16, s11, s7
.LBB125_7:
	s_load_dwordx2 s[20:21], s[4:5], 0x1a0
	s_mul_i32 s7, s16, s9
	s_mul_hi_u32 s9, s16, s8
	s_add_i32 s9, s9, s7
	s_mul_i32 s7, s16, s8
	s_waitcnt lgkmcnt(0)
	v_writelane_b32 v48, s20, 8
	v_writelane_b32 v48, s21, 9
	s_load_dwordx2 s[20:21], s[4:5], 0x0
	s_mov_b32 s8, s18
	s_sub_u32 s7, s18, s7
	s_mul_i32 s3, s7, s3
	s_mul_i32 s1, s16, s1
	s_waitcnt lgkmcnt(0)
	v_writelane_b32 v48, s20, 10
	v_writelane_b32 v48, s21, 11
	;; [unrolled: 1-line block ×4, first 2 shown]
	s_subb_u32 s8, 0, s9
	s_mul_hi_u32 s9, s7, s2
	s_mul_i32 s8, s8, s2
	s_mul_i32 s2, s7, s2
	s_mul_hi_u32 s7, s16, s0
	s_add_i32 s3, s9, s3
	s_add_i32 s1, s7, s1
	s_mul_i32 s0, s16, s0
	s_add_i32 s3, s3, s8
	s_lshl_b64 s[0:1], s[0:1], 2
	s_add_u32 s7, s14, s0
	s_addc_u32 s8, s15, s1
	s_lshl_b64 s[0:1], s[2:3], 2
	s_add_u32 s33, s7, s0
	v_mov_b32_e32 v2, 0
	v_mov_b32_e32 v1, 0
	;; [unrolled: 1-line block ×3, first 2 shown]
	s_addc_u32 s65, s8, s1
	v_cmp_gt_u64_e64 s[2:3], s[52:53], v[0:1]
	s_mov_b64 s[0:1], exec
	v_writelane_b32 v48, s2, 14
	v_writelane_b32 v48, s3, 15
	s_and_b64 s[2:3], s[0:1], s[2:3]
	s_mov_b64 exec, s[2:3]
	s_cbranch_execz .LBB125_11
; %bb.8:
	s_load_dword s7, s[12:13], 0xc
	v_mov_b32_e32 v2, 0
	v_mov_b32_e32 v5, v1
	s_mov_b64 s[2:3], 0
	v_mov_b32_e32 v3, 0
	v_mov_b32_e32 v6, s65
	s_waitcnt lgkmcnt(0)
	s_and_b32 s7, s7, 0xffff
	v_mov_b32_e32 v4, v0
.LBB125_9:                              ; =>This Inner Loop Header: Depth=1
	v_mul_lo_u32 v9, v5, s68
	v_mul_lo_u32 v10, v4, s69
	v_mad_u64_u32 v[7:8], s[8:9], v4, s68, 0
	v_add3_u32 v8, v8, v10, v9
	v_lshlrev_b64 v[7:8], 2, v[7:8]
	v_add_co_u32_e32 v7, vcc, s33, v7
	v_addc_co_u32_e32 v8, vcc, v6, v8, vcc
	global_load_dword v7, v[7:8], off
	v_add_co_u32_e32 v4, vcc, s7, v4
	v_addc_co_u32_e32 v5, vcc, 0, v5, vcc
	v_cmp_le_u64_e32 vcc, s[52:53], v[4:5]
	s_or_b64 s[2:3], vcc, s[2:3]
	s_waitcnt vmcnt(0)
	v_cmp_u_f32_e32 vcc, v7, v7
	v_cndmask_b32_e64 v7, 0, 1, vcc
	v_add_co_u32_e32 v2, vcc, v2, v7
	v_addc_co_u32_e32 v3, vcc, 0, v3, vcc
	s_andn2_b64 exec, exec, s[2:3]
	s_cbranch_execnz .LBB125_9
; %bb.10:
	s_or_b64 exec, exec, s[2:3]
.LBB125_11:
	s_or_b64 exec, exec, s[0:1]
	s_load_dwordx4 s[0:3], s[4:5], 0x270
	s_waitcnt lgkmcnt(0)
	v_writelane_b32 v48, s0, 18
	v_writelane_b32 v48, s1, 19
	;; [unrolled: 1-line block ×4, first 2 shown]
	s_load_dwordx4 s[0:3], s[4:5], 0xd0
	s_waitcnt lgkmcnt(0)
	v_writelane_b32 v48, s0, 22
	v_writelane_b32 v48, s1, 23
	;; [unrolled: 1-line block ×4, first 2 shown]
	v_cmp_eq_u32_e64 s[2:3], 0, v0
	s_mov_b64 s[0:1], exec
	v_writelane_b32 v48, s2, 16
	v_writelane_b32 v48, s3, 17
	s_and_b64 s[2:3], s[0:1], s[2:3]
	s_mov_b64 exec, s[2:3]
; %bb.12:
	v_mov_b32_e32 v4, 0
	v_mov_b32_e32 v5, v4
	ds_write_b64 v4, v[4:5] offset:5136
; %bb.13:
	s_or_b64 exec, exec, s[0:1]
	v_cmp_ne_u64_e32 vcc, 0, v[2:3]
	s_mov_b64 s[8:9], 0
	s_waitcnt lgkmcnt(0)
	s_barrier
	s_and_saveexec_b64 s[0:1], vcc
	s_cbranch_execz .LBB125_18
; %bb.14:
	s_mov_b64 s[14:15], exec
.LBB125_15:                             ; =>This Inner Loop Header: Depth=1
	s_ff1_i32_b64 s2, s[14:15]
	v_readlane_b32 s7, v2, s2
	v_readlane_b32 s3, v3, s2
	s_add_u32 s8, s8, s7
	s_addc_u32 s9, s9, s3
	s_lshl_b64 s[2:3], 1, s2
	s_andn2_b64 s[14:15], s[14:15], s[2:3]
	s_cmp_lg_u64 s[14:15], 0
	s_cbranch_scc1 .LBB125_15
; %bb.16:
	v_mbcnt_lo_u32_b32 v2, exec_lo, 0
	v_mbcnt_hi_u32_b32 v2, exec_hi, v2
	v_cmp_eq_u32_e32 vcc, 0, v2
	s_and_saveexec_b64 s[2:3], vcc
	s_xor_b64 s[2:3], exec, s[2:3]
; %bb.17:
	v_mov_b32_e32 v2, s8
	v_mov_b32_e32 v4, 0
	;; [unrolled: 1-line block ×3, first 2 shown]
	ds_add_u64 v4, v[2:3] offset:5136
.LBB125_18:
	s_or_b64 exec, exec, s[0:1]
	v_mov_b32_e32 v2, 0
	s_load_dword s0, s[4:5], 0x4f8
	s_waitcnt lgkmcnt(0)
	s_barrier
	ds_read_b64 v[2:3], v2 offset:5136
	s_bitcmp1_b32 s0, 0
	s_cselect_b64 s[0:1], -1, 0
	v_mov_b32_e32 v19, s52
	v_mov_b32_e32 v20, s53
	s_waitcnt lgkmcnt(0)
	v_cmp_gt_i64_e32 vcc, 1, v[2:3]
	s_or_b64 s[0:1], s[0:1], vcc
	s_andn2_b64 vcc, exec, s[0:1]
	s_cbranch_vccnz .LBB125_20
; %bb.19:
	v_not_b32_e32 v2, v2
	v_not_b32_e32 v3, v3
	v_mov_b32_e32 v4, s53
	v_add_co_u32_e32 v2, vcc, s52, v2
	v_addc_co_u32_e32 v3, vcc, v4, v3, vcc
	v_lshrrev_b64 v[2:3], 1, v[2:3]
	v_add_co_u32_e32 v19, vcc, 1, v2
	v_addc_co_u32_e32 v20, vcc, 0, v3, vcc
.LBB125_20:
	s_mov_b64 s[0:1], exec
	v_readlane_b32 s2, v48, 16
	v_readlane_b32 s3, v48, 17
	s_and_b64 s[2:3], s[0:1], s[2:3]
	s_mov_b64 exec, s[2:3]
	s_cbranch_execz .LBB125_22
; %bb.21:
	v_mov_b32_e32 v2, 0
	v_mov_b32_e32 v4, s52
	;; [unrolled: 1-line block ×4, first 2 shown]
	ds_write_b32 v2, v2 offset:5144
	ds_write_b128 v2, v[2:5] offset:5120
.LBB125_22:
	s_or_b64 exec, exec, s[0:1]
	v_mbcnt_lo_u32_b32 v2, -1, 0
	v_mbcnt_hi_u32_b32 v23, -1, v2
	v_mad_u64_u32 v[2:3], s[0:1], s68, v0, 0
	v_cmp_gt_u32_e64 s[0:1], 2, v0
	v_writelane_b32 v48, s0, 26
	v_writelane_b32 v48, s1, 27
	v_mad_u64_u32 v[3:4], s[0:1], s69, v0, v[3:4]
	v_mov_b32_e32 v4, 0x300
	v_mov_b32_e32 v5, 0
	v_cmp_gt_u64_e64 s[0:1], s[52:53], v[4:5]
	s_waitcnt lgkmcnt(0)
	v_writelane_b32 v48, s0, 28
	s_barrier
	v_writelane_b32 v48, s1, 29
	s_load_dword s0, s[12:13], 0xc
	v_cmp_gt_u32_e32 vcc, 64, v0
	v_cmp_gt_i32_e64 s[8:9], 4, v23
	s_and_b64 s[80:81], vcc, s[8:9]
	v_lshlrev_b64 v[2:3], 2, v[2:3]
	s_waitcnt lgkmcnt(0)
	s_and_b32 s64, s0, 0xffff
	s_bfe_u32 s0, s0, 0xa0006
	s_cmp_gt_u32 s64, 63
	s_cselect_b64 s[2:3], -1, 0
	v_writelane_b32 v48, s2, 30
	s_add_u32 s1, s64, -1
	v_writelane_b32 v48, s3, 31
	s_addc_u32 s3, 0, -1
	s_add_u32 s2, s1, s52
	s_addc_u32 s85, s3, s53
	s_cmp_lt_u32 s6, s10
	v_writelane_b32 v48, s1, 32
	s_cselect_b32 s1, 12, 18
	s_add_u32 s86, s12, s1
	s_addc_u32 s87, s13, 0
	s_add_i32 s1, s0, -1
	v_mov_b32_e32 v25, s65
	v_add_co_u32_e32 v12, vcc, s33, v2
	s_bfe_u32 s6, s64, 0x30006
	s_and_b32 s1, s1, 0xffff
	v_addc_co_u32_e32 v13, vcc, v25, v3, vcc
	v_lshlrev_b64 v[2:3], v23, -1
	s_cmp_gt_u32 s1, 6
	v_writelane_b32 v48, s3, 33
	s_cselect_b64 s[8:9], -1, 0
	v_not_b32_e32 v28, v2
	v_lshrrev_b32_e32 v2, 1, v0
	v_writelane_b32 v48, s8, 34
	s_and_b32 s3, s0, 0x3f8
	v_and_b32_e32 v2, 0x1e0, v2
	v_writelane_b32 v48, s9, 35
	s_cmp_lg_u32 s6, 0
	v_lshlrev_b32_e32 v10, 2, v0
	v_mov_b32_e32 v15, 0
	v_lshlrev_b32_e32 v4, 2, v23
	v_or_b32_e32 v29, 0xc00, v2
	v_writelane_b32 v48, s6, 36
	s_cselect_b64 s[0:1], -1, 0
	v_mov_b32_e32 v2, 0xc00
	s_mov_b32 s79, 0
	v_cmp_eq_u32_e64 s[4:5], 0, v23
	v_add_u32_e32 v24, 0xc00, v10
	v_mov_b32_e32 v11, v15
	v_and_b32_e32 v26, 0x100, v4
	v_not_b32_e32 v27, v3
	v_writelane_b32 v48, s0, 37
	v_lshlrev_b32_e32 v31, 4, v0
	v_lshl_or_b32 v32, v23, 3, v2
	s_lshl_b32 s82, s64, 2
	s_mov_b32 s83, 30
	s_mov_b64 s[92:93], 0
	v_mov_b32_e32 v16, 1.0
	v_bfrev_b32_e32 v33, 1
	v_mov_b32_e32 v34, 0x4f800000
	v_mov_b32_e32 v18, 0
	s_mov_b32 s26, 0
	v_mov_b32_e32 v30, 0
	v_mov_b32_e32 v35, 0
	v_writelane_b32 v48, s1, 38
                                        ; implicit-def: $sgpr94_sgpr95
                                        ; implicit-def: $sgpr56_sgpr57
                                        ; implicit-def: $sgpr70_sgpr71
                                        ; implicit-def: $sgpr76_sgpr77
                                        ; implicit-def: $sgpr66_sgpr67
                                        ; implicit-def: $sgpr58_sgpr59
	s_branch .LBB125_26
.LBB125_23:                             ;   in Loop: Header=BB125_26 Depth=1
	s_or_b64 exec, exec, s[14:15]
	s_and_b64 s[8:9], s[8:9], exec
	s_andn2_b64 s[20:21], s[20:21], exec
	s_andn2_b64 s[6:7], s[6:7], exec
	s_orn2_b64 s[14:15], s[10:11], exec
.LBB125_24:                             ;   in Loop: Header=BB125_26 Depth=1
	s_or_b64 exec, exec, s[0:1]
	s_andn2_b64 s[0:1], s[58:59], exec
	s_and_b64 s[8:9], s[8:9], exec
	s_or_b64 s[58:59], s[0:1], s[8:9]
	s_andn2_b64 s[0:1], s[66:67], exec
	s_and_b64 s[8:9], s[20:21], exec
	s_or_b64 s[66:67], s[0:1], s[8:9]
	;; [unrolled: 3-line block ×3, first 2 shown]
	s_orn2_b64 s[6:7], s[14:15], exec
.LBB125_25:                             ;   in Loop: Header=BB125_26 Depth=1
	s_or_b64 exec, exec, s[12:13]
	s_and_b64 s[0:1], exec, s[6:7]
	s_or_b64 s[92:93], s[0:1], s[92:93]
	s_andn2_b64 s[0:1], s[70:71], exec
	s_and_b64 s[6:7], s[58:59], exec
	s_or_b64 s[70:71], s[0:1], s[6:7]
	s_andn2_b64 s[0:1], s[56:57], exec
	s_and_b64 s[6:7], s[66:67], exec
	;; [unrolled: 3-line block ×3, first 2 shown]
	v_mov_b32_e32 v20, v7
	s_or_b64 s[94:95], s[0:1], s[6:7]
	v_mov_b32_e32 v19, v6
	s_andn2_b64 exec, exec, s[92:93]
	s_cbranch_execz .LBB125_292
.LBB125_26:                             ; =>This Loop Header: Depth=1
                                        ;     Child Loop BB125_32 Depth 2
                                        ;     Child Loop BB125_45 Depth 2
	;; [unrolled: 1-line block ×16, first 2 shown]
	ds_read_b128 v[2:5], v15 offset:5120
	s_waitcnt lgkmcnt(0)
	v_readfirstlane_b32 s61, v3
	v_readfirstlane_b32 s60, v2
	s_cmp_lg_u64 s[60:61], 0
	s_cbranch_scc1 .LBB125_53
; %bb.27:                               ;   in Loop: Header=BB125_26 Depth=1
	v_readlane_b32 s0, v48, 28
	v_readlane_b32 s1, v48, 29
	s_and_b64 vcc, exec, s[0:1]
	s_cbranch_vccz .LBB125_40
; %bb.28:                               ;   in Loop: Header=BB125_26 Depth=1
	s_mov_b64 s[0:1], 0x301
	v_cmp_gt_u64_e32 vcc, s[0:1], v[4:5]
	s_mov_b64 s[0:1], 0
	s_mov_b64 s[6:7], 0
	s_cbranch_vccz .LBB125_41
; %bb.29:                               ;   in Loop: Header=BB125_26 Depth=1
	s_mov_b64 s[8:9], exec
	v_readlane_b32 s6, v48, 14
	v_readlane_b32 s7, v48, 15
	s_and_b64 s[6:7], s[8:9], s[6:7]
	s_mov_b64 exec, s[6:7]
	s_cbranch_execz .LBB125_154
; %bb.30:                               ;   in Loop: Header=BB125_26 Depth=1
	global_load_dword v5, v[12:13], off
	global_load_ushort v4, v15, s[86:87]
	v_mov_b32_e32 v3, v1
	s_mov_b64 s[12:13], 0
	v_mov_b32_e32 v2, v0
	s_branch .LBB125_32
.LBB125_31:                             ;   in Loop: Header=BB125_32 Depth=2
	s_or_b64 exec, exec, s[6:7]
	s_waitcnt vmcnt(0)
	v_mov_b32_e32 v5, v6
	s_andn2_b64 exec, exec, s[12:13]
	s_cbranch_execz .LBB125_154
.LBB125_32:                             ;   Parent Loop BB125_26 Depth=1
                                        ; =>  This Inner Loop Header: Depth=2
	s_waitcnt vmcnt(0)
	v_add_co_u32_sdwa v2, vcc, v2, v4 dst_sel:DWORD dst_unused:UNUSED_PAD src0_sel:DWORD src1_sel:WORD_0
	v_addc_co_u32_e32 v3, vcc, 0, v3, vcc
	v_cmp_gt_u64_e64 s[6:7], s[52:53], v[2:3]
	v_cmp_le_u64_e32 vcc, s[52:53], v[2:3]
	s_waitcnt lgkmcnt(0)
	v_mov_b32_e32 v7, 0
	v_mov_b32_e32 v6, 0
	s_and_saveexec_b64 s[10:11], s[6:7]
	s_cbranch_execz .LBB125_34
; %bb.33:                               ;   in Loop: Header=BB125_32 Depth=2
	v_mul_lo_u32 v6, v3, s68
	v_mul_lo_u32 v14, v2, s69
	v_mad_u64_u32 v[8:9], s[6:7], v2, s68, 0
	v_add3_u32 v9, v9, v14, v6
	v_lshlrev_b64 v[8:9], 2, v[8:9]
	v_add_co_u32_e64 v8, s[6:7], s33, v8
	v_addc_co_u32_e64 v9, s[6:7], v25, v9, s[6:7]
	global_load_dword v6, v[8:9], off
.LBB125_34:                             ;   in Loop: Header=BB125_32 Depth=2
	s_or_b64 exec, exec, s[10:11]
	v_cmp_lt_i32_e64 s[6:7], -1, v5
	v_cndmask_b32_e64 v8, -1, v33, s[6:7]
	v_xor_b32_e32 v8, v8, v5
	v_cmp_o_f32_e64 s[6:7], v5, v5
	v_cndmask_b32_e64 v8, -1, v8, s[6:7]
	v_and_b32_e32 v8, v8, v35
	v_cmp_eq_u32_e64 s[10:11], v8, v30
	s_cmp_lg_u64 s[10:11], 0
	s_cselect_b64 s[6:7], -1, 0
	s_and_b64 s[6:7], s[4:5], s[6:7]
	s_and_saveexec_b64 s[14:15], s[6:7]
	s_cbranch_execz .LBB125_38
; %bb.35:                               ;   in Loop: Header=BB125_32 Depth=2
	s_mov_b64 s[18:19], exec
	v_mbcnt_lo_u32_b32 v7, s18, 0
	v_mbcnt_hi_u32_b32 v7, s19, v7
	s_bcnt1_i32_b64 s20, s[10:11]
	v_cmp_eq_u32_e64 s[6:7], 0, v7
                                        ; implicit-def: $vgpr8
	s_and_saveexec_b64 s[16:17], s[6:7]
; %bb.36:                               ;   in Loop: Header=BB125_32 Depth=2
	s_bcnt1_i32_b64 s6, s[18:19]
	s_mul_i32 s6, s20, s6
	v_mov_b32_e32 v8, s6
	ds_add_rtn_u32 v8, v15, v8 offset:5144
; %bb.37:                               ;   in Loop: Header=BB125_32 Depth=2
	s_or_b64 exec, exec, s[16:17]
	s_waitcnt lgkmcnt(0)
	v_readfirstlane_b32 s6, v8
	v_mov_b32_e32 v8, s6
	v_mad_u32_u24 v7, s20, v7, v8
.LBB125_38:                             ;   in Loop: Header=BB125_32 Depth=2
	s_or_b64 exec, exec, s[14:15]
	ds_bpermute_b32 v7, v26, v7
	s_and_b64 s[6:7], exec, vcc
	s_or_b64 s[12:13], s[6:7], s[12:13]
	s_and_saveexec_b64 s[6:7], s[10:11]
	s_cbranch_execz .LBB125_31
; %bb.39:                               ;   in Loop: Header=BB125_32 Depth=2
	v_and_b32_e32 v9, s10, v28
	v_and_b32_e32 v8, s11, v27
	v_bcnt_u32_b32 v9, v9, 0
	v_bcnt_u32_b32 v8, v8, v9
	v_lshlrev_b32_e32 v8, 2, v8
	s_waitcnt lgkmcnt(0)
	v_lshl_add_u32 v7, v7, 2, v8
	ds_write_b32 v7, v5
	s_branch .LBB125_31
.LBB125_40:                             ;   in Loop: Header=BB125_26 Depth=1
	s_mov_b64 s[0:1], -1
	s_mov_b64 s[6:7], 0
.LBB125_41:                             ;   in Loop: Header=BB125_26 Depth=1
	s_and_b64 vcc, exec, s[0:1]
	s_cbranch_vccz .LBB125_51
.LBB125_42:                             ;   in Loop: Header=BB125_26 Depth=1
	s_mov_b64 s[0:1], exec
	v_readlane_b32 s6, v48, 14
	v_readlane_b32 s7, v48, 15
	s_and_b64 s[6:7], s[0:1], s[6:7]
	s_mov_b64 exec, s[6:7]
	s_cbranch_execz .LBB125_48
; %bb.43:                               ;   in Loop: Header=BB125_26 Depth=1
	global_load_ushort v2, v15, s[86:87]
	global_load_dword v7, v[12:13], off
	s_waitcnt vmcnt(1)
	v_and_b32_e32 v6, 0xffff, v2
	v_add_u32_e32 v14, v6, v0
	v_cmp_gt_u64_e32 vcc, s[52:53], v[14:15]
	v_mov_b32_e32 v2, v0
	s_and_saveexec_b64 s[6:7], vcc
	s_cbranch_execz .LBB125_47
; %bb.44:                               ;   in Loop: Header=BB125_26 Depth=1
	v_mov_b32_e32 v4, v14
	v_mov_b32_e32 v3, v1
	s_mov_b64 s[8:9], 0
	v_mov_b32_e32 v5, v15
	v_mov_b32_e32 v2, v0
.LBB125_45:                             ;   Parent Loop BB125_26 Depth=1
                                        ; =>  This Inner Loop Header: Depth=2
	v_mov_b32_e32 v22, v5
	v_mov_b32_e32 v21, v4
	v_mul_lo_u32 v5, v22, s68
	v_mul_lo_u32 v8, v21, s69
	v_mad_u64_u32 v[3:4], s[10:11], v21, s68, 0
	v_mov_b32_e32 v9, s65
	v_lshlrev_b32_e32 v2, 2, v2
	v_add3_u32 v4, v4, v8, v5
	v_lshlrev_b64 v[3:4], 2, v[3:4]
	s_waitcnt vmcnt(0)
	ds_write_b32 v2, v7
	v_add_co_u32_e32 v3, vcc, s33, v3
	v_addc_co_u32_e32 v4, vcc, v9, v4, vcc
	global_load_dword v8, v[3:4], off
	v_add_co_u32_e32 v4, vcc, v21, v6
	v_addc_co_u32_e32 v5, vcc, 0, v22, vcc
	v_cmp_le_u64_e32 vcc, s[52:53], v[4:5]
	v_mov_b32_e32 v2, v21
	s_or_b64 s[8:9], vcc, s[8:9]
	v_mov_b32_e32 v3, v22
	s_waitcnt vmcnt(0)
	v_mov_b32_e32 v7, v8
	s_andn2_b64 exec, exec, s[8:9]
	s_cbranch_execnz .LBB125_45
; %bb.46:                               ;   in Loop: Header=BB125_26 Depth=1
	s_or_b64 exec, exec, s[8:9]
	v_sub_u32_e32 v2, v4, v6
	v_mov_b32_e32 v7, v8
.LBB125_47:                             ;   in Loop: Header=BB125_26 Depth=1
	s_or_b64 exec, exec, s[6:7]
	v_lshlrev_b32_e32 v2, 2, v2
	s_waitcnt vmcnt(0)
	ds_write_b32 v2, v7
.LBB125_48:                             ;   in Loop: Header=BB125_26 Depth=1
	s_or_b64 exec, exec, s[0:1]
	s_waitcnt lgkmcnt(0)
	s_barrier
	s_mov_b64 s[0:1], exec
	v_readlane_b32 s6, v48, 16
	v_readlane_b32 s7, v48, 17
	s_and_b64 s[6:7], s[0:1], s[6:7]
	s_mov_b64 exec, s[6:7]
; %bb.49:                               ;   in Loop: Header=BB125_26 Depth=1
	v_mov_b32_e32 v2, s52
	v_mov_b32_e32 v3, s53
	ds_write_b64 v15, v[2:3] offset:5120
; %bb.50:                               ;   in Loop: Header=BB125_26 Depth=1
	s_or_b64 exec, exec, s[0:1]
	s_mov_b64 s[6:7], -1
	s_waitcnt lgkmcnt(0)
	s_barrier
.LBB125_51:                             ;   in Loop: Header=BB125_26 Depth=1
	s_mov_b64 s[60:61], 0
	s_and_b64 vcc, exec, s[6:7]
	s_cbranch_vccz .LBB125_53
; %bb.52:                               ;   in Loop: Header=BB125_26 Depth=1
	ds_read_b64 v[2:3], v15 offset:5120
	s_waitcnt lgkmcnt(0)
	v_readfirstlane_b32 s60, v2
.LBB125_53:                             ;   in Loop: Header=BB125_26 Depth=1
	s_cmp_lt_i32 s60, 1
	s_mov_b64 s[0:1], -1
                                        ; implicit-def: $vgpr2_vgpr3
                                        ; implicit-def: $vgpr6_vgpr7
	s_cbranch_scc1 .LBB125_63
; %bb.54:                               ;   in Loop: Header=BB125_26 Depth=1
	s_and_b64 vcc, exec, s[0:1]
	s_cbranch_vccnz .LBB125_77
.LBB125_55:                             ;   in Loop: Header=BB125_26 Depth=1
	s_lshl_b32 s6, s26, 6
	s_and_saveexec_b64 s[0:1], s[4:5]
	s_cbranch_execz .LBB125_57
.LBB125_56:                             ;   in Loop: Header=BB125_26 Depth=1
	v_lshl_add_u32 v14, s6, 3, v29
	ds_write_b128 v14, v[2:5]
	ds_write_b128 v14, v[6:9] offset:16
.LBB125_57:                             ;   in Loop: Header=BB125_26 Depth=1
	s_or_b64 exec, exec, s[0:1]
	s_waitcnt lgkmcnt(0)
	s_barrier
	s_and_saveexec_b64 s[0:1], s[80:81]
	s_cbranch_execz .LBB125_92
; %bb.58:                               ;   in Loop: Header=BB125_26 Depth=1
	v_readlane_b32 s8, v48, 30
	v_mov_b32_e32 v2, 0
	v_readlane_b32 s9, v48, 31
	v_mov_b32_e32 v3, 0
	s_andn2_b64 vcc, exec, s[8:9]
	s_cbranch_vccnz .LBB125_91
; %bb.59:                               ;   in Loop: Header=BB125_26 Depth=1
	v_readlane_b32 s8, v48, 34
	v_readlane_b32 s9, v48, 35
	s_andn2_b64 vcc, exec, s[8:9]
	s_cbranch_vccnz .LBB125_87
; %bb.60:                               ;   in Loop: Header=BB125_26 Depth=1
	v_mov_b32_e32 v2, 0
	v_lshl_add_u32 v4, s26, 9, v32
	v_mov_b32_e32 v3, 0
	s_mov_b32 s7, 0
.LBB125_61:                             ;   Parent Loop BB125_26 Depth=1
                                        ; =>  This Inner Loop Header: Depth=2
	ds_read2_b64 v[5:8], v4 offset1:4
	ds_read2_b64 v[36:39], v4 offset0:8 offset1:12
	ds_read2_b64 v[40:43], v4 offset0:16 offset1:20
	;; [unrolled: 1-line block ×3, first 2 shown]
	s_add_i32 s7, s7, 8
	s_waitcnt lgkmcnt(3)
	v_add_co_u32_e32 v2, vcc, v5, v2
	v_addc_co_u32_e32 v3, vcc, v6, v3, vcc
	v_add_co_u32_e32 v2, vcc, v7, v2
	v_addc_co_u32_e32 v3, vcc, v8, v3, vcc
	s_waitcnt lgkmcnt(2)
	v_add_co_u32_e32 v2, vcc, v36, v2
	v_addc_co_u32_e32 v3, vcc, v37, v3, vcc
	v_add_co_u32_e32 v2, vcc, v38, v2
	v_addc_co_u32_e32 v3, vcc, v39, v3, vcc
	;; [unrolled: 5-line block ×3, first 2 shown]
	s_waitcnt lgkmcnt(0)
	v_add_co_u32_e32 v2, vcc, v44, v2
	v_addc_co_u32_e32 v3, vcc, v45, v3, vcc
	v_add_co_u32_e32 v2, vcc, v46, v2
	v_add_u32_e32 v4, 0x100, v4
	s_cmp_eq_u32 s3, s7
	v_addc_co_u32_e32 v3, vcc, v47, v3, vcc
	s_cbranch_scc0 .LBB125_61
; %bb.62:                               ;   in Loop: Header=BB125_26 Depth=1
	s_mov_b32 s7, s3
	s_branch .LBB125_88
.LBB125_63:                             ;   in Loop: Header=BB125_26 Depth=1
	global_load_ushort v14, v15, s[86:87]
	s_mov_b32 s0, s79
	s_waitcnt vmcnt(0)
	v_readfirstlane_b32 s1, v14
	s_and_b32 s1, 0xffff, s1
	s_lshl_b32 s8, s1, 2
	s_mov_b32 s1, s53
	s_cmp_lg_u64 s[0:1], 0
	s_cbranch_scc0 .LBB125_86
; %bb.64:                               ;   in Loop: Header=BB125_26 Depth=1
	v_cvt_f32_u32_e32 v2, s8
	s_sub_u32 s6, 0, s8
	s_subb_u32 s7, 0, 0
	v_mac_f32_e32 v2, 0, v34
	v_rcp_f32_e32 v2, v2
	v_mul_f32_e32 v2, 0x5f7ffffc, v2
	v_mul_f32_e32 v3, 0x2f800000, v2
	v_trunc_f32_e32 v3, v3
	v_mac_f32_e32 v2, 0xcf800000, v3
	v_cvt_u32_f32_e32 v3, v3
	v_cvt_u32_f32_e32 v2, v2
	v_readfirstlane_b32 s9, v3
	v_readfirstlane_b32 s0, v2
	s_mul_i32 s1, s6, s9
	s_mul_hi_u32 s11, s6, s0
	s_mul_i32 s10, s7, s0
	s_add_i32 s1, s11, s1
	s_mul_i32 s12, s6, s0
	s_add_i32 s1, s1, s10
	s_mul_hi_u32 s11, s0, s12
	s_mul_i32 s13, s0, s1
	s_mul_hi_u32 s10, s0, s1
	s_add_u32 s11, s11, s13
	s_addc_u32 s10, 0, s10
	s_mul_hi_u32 s14, s9, s12
	s_mul_i32 s12, s9, s12
	s_add_u32 s11, s11, s12
	s_mul_hi_u32 s13, s9, s1
	s_addc_u32 s10, s10, s14
	s_addc_u32 s11, s13, 0
	s_mul_i32 s1, s9, s1
	s_add_u32 s1, s10, s1
	s_addc_u32 s10, 0, s11
	s_add_u32 s11, s0, s1
	s_cselect_b64 s[0:1], -1, 0
	s_cmp_lg_u64 s[0:1], 0
	s_addc_u32 s9, s9, s10
	s_mul_i32 s0, s6, s9
	s_mul_hi_u32 s1, s6, s11
	s_add_i32 s0, s1, s0
	s_mul_i32 s7, s7, s11
	s_add_i32 s0, s0, s7
	s_mul_i32 s6, s6, s11
	s_mul_hi_u32 s7, s9, s6
	s_mul_i32 s10, s9, s6
	s_mul_i32 s13, s11, s0
	s_mul_hi_u32 s6, s11, s6
	s_mul_hi_u32 s12, s11, s0
	s_add_u32 s6, s6, s13
	s_addc_u32 s12, 0, s12
	s_add_u32 s6, s6, s10
	s_mul_hi_u32 s1, s9, s0
	s_addc_u32 s6, s12, s7
	s_addc_u32 s1, s1, 0
	s_mul_i32 s0, s9, s0
	s_add_u32 s0, s6, s0
	s_addc_u32 s6, 0, s1
	s_add_u32 s7, s11, s0
	s_cselect_b64 s[0:1], -1, 0
	s_cmp_lg_u64 s[0:1], 0
	s_addc_u32 s0, s9, s6
	s_mul_i32 s6, s52, s0
	s_mul_hi_u32 s9, s52, s7
	s_mul_hi_u32 s1, s52, s0
	s_add_u32 s6, s9, s6
	s_addc_u32 s1, 0, s1
	s_mul_hi_u32 s10, s53, s7
	s_mul_i32 s7, s53, s7
	s_add_u32 s6, s6, s7
	s_mul_hi_u32 s9, s53, s0
	s_addc_u32 s1, s1, s10
	s_addc_u32 s6, s9, 0
	s_mul_i32 s0, s53, s0
	s_add_u32 s0, s1, s0
	s_addc_u32 s1, 0, s6
	s_mul_i32 s1, s8, s1
	s_mul_hi_u32 s6, s8, s0
	s_add_i32 s6, s6, s1
	s_mul_i32 s0, s8, s0
	s_sub_u32 s7, s52, s0
	s_cselect_b64 s[0:1], -1, 0
	s_cmp_lg_u64 s[0:1], 0
	s_subb_u32 s6, s53, s6
	s_sub_u32 s9, s7, s8
	s_cselect_b64 s[0:1], -1, 0
	s_cmp_lg_u64 s[0:1], 0
	s_subb_u32 s10, s6, 0
	;; [unrolled: 4-line block ×3, first 2 shown]
	s_cmp_ge_u32 s9, s8
	s_cselect_b32 s1, -1, 0
	s_cmp_eq_u32 s10, 0
	s_cselect_b32 s1, s1, -1
	s_cmp_lg_u32 s1, 0
	s_cselect_b32 s0, s0, s10
	s_cselect_b32 s9, s11, s9
	s_cmp_ge_u32 s7, s8
	s_cselect_b32 s1, -1, 0
	s_cmp_eq_u32 s6, 0
	s_cselect_b32 s1, s1, -1
	s_cmp_lg_u32 s1, 0
	s_cselect_b32 s1, s0, s6
	s_cselect_b32 s0, s9, s7
	s_cbranch_execnz .LBB125_66
.LBB125_65:                             ;   in Loop: Header=BB125_26 Depth=1
	v_cvt_f32_u32_e32 v2, s8
	s_sub_i32 s0, 0, s8
	v_rcp_iflag_f32_e32 v2, v2
	v_mul_f32_e32 v2, 0x4f7ffffe, v2
	v_cvt_u32_f32_e32 v2, v2
	v_readfirstlane_b32 s1, v2
	s_mul_i32 s0, s0, s1
	s_mul_hi_u32 s0, s1, s0
	s_add_i32 s1, s1, s0
	s_mul_hi_u32 s0, s52, s1
	s_mul_i32 s0, s0, s8
	s_sub_i32 s0, s52, s0
	s_sub_i32 s1, s0, s8
	s_cmp_ge_u32 s0, s8
	s_cselect_b32 s0, s1, s0
	s_sub_i32 s1, s0, s8
	s_cmp_ge_u32 s0, s8
	s_cselect_b32 s78, s1, s0
	s_mov_b64 s[0:1], s[78:79]
.LBB125_66:                             ;   in Loop: Header=BB125_26 Depth=1
	s_sub_u32 s50, s52, s0
	s_subb_u32 s51, s53, s1
	v_cmp_gt_u64_e32 vcc, s[50:51], v[10:11]
	v_mov_b32_e32 v2, 0
	v_mov_b32_e32 v4, 0
	;; [unrolled: 1-line block ×8, first 2 shown]
	s_and_saveexec_b64 s[62:63], vcc
	s_cbranch_execz .LBB125_70
; %bb.67:                               ;   in Loop: Header=BB125_26 Depth=1
	v_mov_b32_e32 v22, v11
	s_mov_b64 s[74:75], 0
	s_mov_b64 s[54:55], 0
	;; [unrolled: 1-line block ×5, first 2 shown]
	v_mov_b32_e32 v21, v10
.LBB125_68:                             ;   Parent Loop BB125_26 Depth=1
                                        ; =>  This Inner Loop Header: Depth=2
	v_mul_lo_u32 v4, v22, s68
	v_mul_lo_u32 v5, v21, s69
	v_mad_u64_u32 v[2:3], s[0:1], v21, s68, 0
	v_mov_b32_e32 v6, s65
	s_lshl_b64 s[0:1], s[68:69], 2
	v_add3_u32 v3, v3, v5, v4
	v_lshlrev_b64 v[2:3], 2, v[2:3]
	v_mov_b32_e32 v7, s1
	v_add_co_u32_e64 v2, s[6:7], s33, v2
	v_addc_co_u32_e64 v3, s[6:7], v6, v3, s[6:7]
	global_load_dword v4, v[2:3], off
	v_add_co_u32_e64 v2, s[6:7], s0, v2
	v_addc_co_u32_e64 v3, s[6:7], v3, v7, s[6:7]
	global_load_dword v5, v[2:3], off
	v_add_co_u32_e64 v2, s[6:7], s0, v2
	v_addc_co_u32_e64 v3, s[6:7], v3, v7, s[6:7]
	global_load_dword v6, v[2:3], off
	v_add_co_u32_e64 v2, s[6:7], s0, v2
	v_addc_co_u32_e64 v3, s[6:7], v3, v7, s[6:7]
	global_load_dword v2, v[2:3], off
	v_add_co_u32_e32 v21, vcc, s8, v21
	v_addc_co_u32_e32 v22, vcc, 0, v22, vcc
	v_cmp_le_u64_e32 vcc, s[50:51], v[21:22]
	s_waitcnt vmcnt(3)
	v_cmp_lt_i32_e64 s[6:7], -1, v4
	v_cndmask_b32_e64 v3, -1, v33, s[6:7]
	v_xor_b32_e32 v3, v3, v4
	s_waitcnt vmcnt(2)
	v_cmp_lt_i32_e64 s[6:7], -1, v5
	v_cndmask_b32_e64 v7, -1, v33, s[6:7]
	v_cmp_o_f32_e64 s[6:7], v4, v4
	v_cndmask_b32_e64 v3, -1, v3, s[6:7]
	v_xor_b32_e32 v4, v7, v5
	s_waitcnt vmcnt(1)
	v_cmp_lt_i32_e64 s[6:7], -1, v6
	v_cndmask_b32_e64 v7, -1, v33, s[6:7]
	v_cmp_o_f32_e64 s[6:7], v5, v5
	v_cndmask_b32_e64 v4, -1, v4, s[6:7]
	v_xor_b32_e32 v5, v7, v6
	s_waitcnt vmcnt(0)
	v_cmp_lt_i32_e64 s[6:7], -1, v2
	v_cndmask_b32_e64 v7, -1, v33, s[6:7]
	v_and_b32_e32 v8, v3, v35
	v_bfe_u32 v3, v3, s83, 2
	v_cmp_o_f32_e64 s[6:7], v6, v6
	v_cndmask_b32_e64 v5, -1, v5, s[6:7]
	v_xor_b32_e32 v6, v7, v2
	v_cmp_eq_u32_e64 s[10:11], v8, v30
	v_and_b32_e32 v7, v4, v35
	v_bfe_u32 v4, v4, s83, 2
	v_cmp_eq_u32_e64 s[6:7], 0, v3
	v_cmp_o_f32_e64 s[12:13], v2, v2
	v_cmp_eq_u32_e64 s[28:29], 1, v3
	v_cmp_eq_u32_e64 s[30:31], 2, v3
	;; [unrolled: 1-line block ×3, first 2 shown]
	v_cndmask_b32_e64 v2, -1, v6, s[12:13]
	v_cmp_eq_u32_e64 s[12:13], v7, v30
	v_and_b32_e32 v3, v5, v35
	v_bfe_u32 v5, v5, s83, 2
	v_cmp_eq_u32_e64 s[22:23], 0, v4
	s_and_b64 s[0:1], s[10:11], s[6:7]
	v_cmp_eq_u32_e64 s[34:35], 1, v4
	v_cmp_eq_u32_e64 s[36:37], 2, v4
	;; [unrolled: 1-line block ×3, first 2 shown]
	v_cndmask_b32_e64 v4, 0, 1, s[0:1]
	v_cmp_eq_u32_e64 s[18:19], v3, v30
	v_and_b32_e32 v3, v2, v35
	v_bfe_u32 v2, v2, s83, 2
	v_cmp_eq_u32_e64 s[6:7], 0, v5
	s_and_b64 s[0:1], s[12:13], s[22:23]
	v_cmp_ne_u32_e64 s[42:43], 0, v4
	v_cndmask_b32_e64 v4, 0, 1, s[0:1]
	v_cmp_eq_u32_e64 s[22:23], v3, v30
	v_cmp_eq_u32_e64 s[44:45], 0, v2
	s_and_b64 s[0:1], s[18:19], s[6:7]
	v_cmp_eq_u32_e64 s[46:47], 1, v2
	v_cmp_eq_u32_e64 s[48:49], 2, v2
	;; [unrolled: 1-line block ×3, first 2 shown]
	v_cndmask_b32_e64 v2, 0, 1, s[0:1]
	s_and_b64 s[0:1], s[22:23], s[44:45]
	v_cmp_ne_u32_e64 s[6:7], 0, v2
	v_cndmask_b32_e64 v2, 0, 1, s[0:1]
	s_bcnt1_i32_b64 s9, s[42:43]
	v_cmp_ne_u32_e64 s[42:43], 0, v4
	s_bcnt1_i32_b64 s0, s[6:7]
	v_cmp_ne_u32_e64 s[6:7], 0, v2
	s_bcnt1_i32_b64 s27, s[42:43]
	s_bcnt1_i32_b64 s1, s[6:7]
	s_add_u32 s6, s9, s90
	s_addc_u32 s7, 0, s91
	s_add_u32 s6, s6, s27
	s_addc_u32 s7, s7, 0
	;; [unrolled: 2-line block ×4, first 2 shown]
	s_and_b64 s[0:1], s[10:11], s[28:29]
	v_cmp_eq_u32_e64 s[38:39], 1, v5
	v_cndmask_b32_e64 v4, 0, 1, s[0:1]
	s_and_b64 s[0:1], s[12:13], s[34:35]
	v_cmp_eq_u32_e64 s[40:41], 2, v5
	v_cmp_eq_u32_e64 s[20:21], 3, v5
	v_cndmask_b32_e64 v5, 0, 1, s[0:1]
	s_and_b64 s[0:1], s[18:19], s[38:39]
	v_cndmask_b32_e64 v6, 0, 1, s[0:1]
	s_and_b64 s[0:1], s[22:23], s[46:47]
	v_cndmask_b32_e64 v7, 0, 1, s[0:1]
	v_cmp_ne_u32_e64 s[6:7], 0, v4
	v_cmp_ne_u32_e64 s[28:29], 0, v5
	;; [unrolled: 1-line block ×4, first 2 shown]
	s_bcnt1_i32_b64 s0, s[6:7]
	s_bcnt1_i32_b64 s1, s[28:29]
	;; [unrolled: 1-line block ×4, first 2 shown]
	s_add_u32 s0, s0, s88
	s_addc_u32 s9, 0, s89
	s_add_u32 s0, s0, s1
	s_addc_u32 s1, s9, 0
	;; [unrolled: 2-line block ×4, first 2 shown]
	s_and_b64 s[0:1], s[10:11], s[30:31]
	v_cndmask_b32_e64 v6, 0, 1, s[0:1]
	s_and_b64 s[0:1], s[12:13], s[36:37]
	v_cndmask_b32_e64 v7, 0, 1, s[0:1]
	;; [unrolled: 2-line block ×4, first 2 shown]
	v_cmp_ne_u32_e64 s[6:7], 0, v6
	v_cmp_ne_u32_e64 s[28:29], 0, v7
	;; [unrolled: 1-line block ×4, first 2 shown]
	s_bcnt1_i32_b64 s0, s[6:7]
	s_bcnt1_i32_b64 s1, s[28:29]
	;; [unrolled: 1-line block ×4, first 2 shown]
	s_add_u32 s0, s0, s72
	s_addc_u32 s9, 0, s73
	s_add_u32 s0, s0, s1
	s_addc_u32 s1, s9, 0
	;; [unrolled: 2-line block ×4, first 2 shown]
	s_and_b64 s[0:1], s[10:11], s[14:15]
	v_cndmask_b32_e64 v8, 0, 1, s[0:1]
	s_and_b64 s[0:1], s[12:13], s[16:17]
	v_cndmask_b32_e64 v9, 0, 1, s[0:1]
	;; [unrolled: 2-line block ×4, first 2 shown]
	v_cmp_ne_u32_e64 s[6:7], 0, v8
	v_cmp_ne_u32_e64 s[10:11], 0, v9
	;; [unrolled: 1-line block ×4, first 2 shown]
	s_bcnt1_i32_b64 s0, s[6:7]
	s_bcnt1_i32_b64 s1, s[10:11]
	s_bcnt1_i32_b64 s6, s[12:13]
	s_bcnt1_i32_b64 s7, s[14:15]
	s_add_u32 s0, s0, s54
	s_addc_u32 s9, 0, s55
	s_add_u32 s0, s0, s1
	s_addc_u32 s1, s9, 0
	;; [unrolled: 2-line block ×3, first 2 shown]
	s_add_u32 s54, s0, s7
	v_mov_b32_e32 v2, s90
	v_mov_b32_e32 v4, s88
	;; [unrolled: 1-line block ×3, first 2 shown]
	s_addc_u32 s55, s1, 0
	v_mov_b32_e32 v8, s54
	v_mov_b32_e32 v3, s91
	;; [unrolled: 1-line block ×4, first 2 shown]
	s_or_b64 s[74:75], vcc, s[74:75]
	v_mov_b32_e32 v9, s55
	s_andn2_b64 exec, exec, s[74:75]
	s_cbranch_execnz .LBB125_68
; %bb.69:                               ;   in Loop: Header=BB125_26 Depth=1
	s_or_b64 exec, exec, s[74:75]
.LBB125_70:                             ;   in Loop: Header=BB125_26 Depth=1
	s_or_b64 exec, exec, s[62:63]
	v_mov_b32_e32 v17, s51
	v_add_co_u32_e32 v21, vcc, s50, v0
	v_addc_co_u32_e32 v22, vcc, 0, v17, vcc
	v_cmp_gt_u64_e32 vcc, s[52:53], v[21:22]
	s_and_saveexec_b64 s[0:1], vcc
	s_cbranch_execz .LBB125_76
; %bb.71:                               ;   in Loop: Header=BB125_26 Depth=1
	v_mul_lo_u32 v17, v22, s68
	v_mul_lo_u32 v38, v21, s69
	v_mad_u64_u32 v[36:37], s[6:7], v21, s68, 0
	s_mov_b64 s[8:9], 0
	v_add3_u32 v37, v37, v38, v17
	v_lshlrev_b64 v[36:37], 2, v[36:37]
	v_mov_b32_e32 v17, s65
	v_add_co_u32_e32 v36, vcc, s33, v36
	v_addc_co_u32_e32 v37, vcc, v17, v37, vcc
	global_load_dword v36, v[36:37], off
	s_branch .LBB125_73
.LBB125_72:                             ;   in Loop: Header=BB125_73 Depth=2
	s_or_b64 exec, exec, s[10:11]
	s_and_b64 s[6:7], exec, vcc
	s_waitcnt vmcnt(0)
	v_cmp_lt_i32_e32 vcc, -1, v36
	v_cndmask_b32_e32 v37, -1, v33, vcc
	v_xor_b32_e32 v37, v37, v36
	v_cmp_o_f32_e32 vcc, v36, v36
	v_cndmask_b32_e32 v36, -1, v37, vcc
	v_and_b32_e32 v37, v36, v35
	v_bfe_u32 v36, v36, s83, 2
	s_or_b64 s[8:9], s[6:7], s[8:9]
	v_cmp_eq_u32_e32 vcc, v37, v30
	v_cmp_eq_u32_e64 s[6:7], 0, v36
	s_and_b64 s[6:7], vcc, s[6:7]
	v_cndmask_b32_e64 v37, 0, 1, s[6:7]
	v_cmp_ne_u32_e64 s[6:7], 0, v37
	s_bcnt1_i32_b64 s6, s[6:7]
	v_add_co_u32_e64 v2, s[6:7], s6, v2
	v_addc_co_u32_e64 v3, s[6:7], 0, v3, s[6:7]
	v_cmp_eq_u32_e64 s[6:7], 1, v36
	s_and_b64 s[6:7], vcc, s[6:7]
	v_cndmask_b32_e64 v37, 0, 1, s[6:7]
	v_cmp_ne_u32_e64 s[6:7], 0, v37
	s_bcnt1_i32_b64 s6, s[6:7]
	v_add_co_u32_e64 v4, s[6:7], s6, v4
	v_addc_co_u32_e64 v5, s[6:7], 0, v5, s[6:7]
	;; [unrolled: 7-line block ×3, first 2 shown]
	v_cmp_eq_u32_e64 s[6:7], 3, v36
	s_and_b64 s[6:7], vcc, s[6:7]
	v_cndmask_b32_e64 v36, 0, 1, s[6:7]
	v_cmp_ne_u32_e32 vcc, 0, v36
	s_bcnt1_i32_b64 s6, vcc
	v_add_co_u32_e32 v8, vcc, s6, v8
	v_addc_co_u32_e32 v9, vcc, 0, v9, vcc
	v_mov_b32_e32 v36, v17
	s_andn2_b64 exec, exec, s[8:9]
	s_cbranch_execz .LBB125_75
.LBB125_73:                             ;   Parent Loop BB125_26 Depth=1
                                        ; =>  This Inner Loop Header: Depth=2
	v_add_co_u32_sdwa v21, vcc, v21, v14 dst_sel:DWORD dst_unused:UNUSED_PAD src0_sel:DWORD src1_sel:WORD_0
	v_addc_co_u32_e32 v22, vcc, 0, v22, vcc
	v_cmp_gt_u64_e64 s[6:7], s[52:53], v[21:22]
	v_cmp_le_u64_e32 vcc, s[52:53], v[21:22]
	v_mov_b32_e32 v17, 0
	s_and_saveexec_b64 s[10:11], s[6:7]
	s_cbranch_execz .LBB125_72
; %bb.74:                               ;   in Loop: Header=BB125_73 Depth=2
	v_mul_lo_u32 v17, v22, s68
	v_mul_lo_u32 v39, v21, s69
	v_mad_u64_u32 v[37:38], s[6:7], v21, s68, 0
	v_add3_u32 v38, v38, v39, v17
	v_lshlrev_b64 v[37:38], 2, v[37:38]
	v_mov_b32_e32 v17, s65
	v_add_co_u32_e64 v37, s[6:7], s33, v37
	v_addc_co_u32_e64 v38, s[6:7], v17, v38, s[6:7]
	global_load_dword v17, v[37:38], off
	s_branch .LBB125_72
.LBB125_75:                             ;   in Loop: Header=BB125_26 Depth=1
	s_or_b64 exec, exec, s[8:9]
.LBB125_76:                             ;   in Loop: Header=BB125_26 Depth=1
	s_or_b64 exec, exec, s[0:1]
	s_branch .LBB125_55
.LBB125_77:                             ;   in Loop: Header=BB125_26 Depth=1
	global_load_ushort v14, v15, s[86:87]
	v_mov_b32_e32 v6, 0
	v_mov_b32_e32 v7, 0
	s_waitcnt vmcnt(0)
	v_readfirstlane_b32 s0, v14
	s_and_b32 s0, 0xffff, s0
	s_lshl_b32 s27, s0, 2
	v_cvt_f32_u32_e32 v2, s27
	s_sub_i32 s1, 0, s27
	v_rcp_iflag_f32_e32 v4, v2
	v_mov_b32_e32 v2, 0
	v_mov_b32_e32 v3, 0
	v_mul_f32_e32 v4, 0x4f7ffffe, v4
	v_cvt_u32_f32_e32 v8, v4
	v_mov_b32_e32 v4, 0
	v_mov_b32_e32 v5, 0
	v_readfirstlane_b32 s6, v8
	s_mul_i32 s1, s1, s6
	s_mul_hi_u32 s1, s6, s1
	s_add_i32 s6, s6, s1
	s_mul_hi_u32 s1, s60, s6
	s_mul_i32 s6, s1, s27
	s_sub_i32 s6, s60, s6
	s_add_i32 s7, s1, 1
	s_sub_i32 s8, s6, s27
	s_cmp_ge_u32 s6, s27
	s_cselect_b32 s1, s7, s1
	s_cselect_b32 s6, s8, s6
	s_add_i32 s7, s1, 1
	s_cmp_ge_u32 s6, s27
	s_cselect_b32 s1, s7, s1
	s_mul_hi_u32 s55, s0, s1
	s_mul_i32 s54, s0, s1
	s_lshl_b64 s[62:63], s[54:55], 2
	v_cmp_gt_u64_e32 vcc, s[62:63], v[10:11]
	v_mov_b32_e32 v8, 0
	v_mov_b32_e32 v9, 0
	s_and_saveexec_b64 s[72:73], vcc
	s_cbranch_execz .LBB125_81
; %bb.78:                               ;   in Loop: Header=BB125_26 Depth=1
	v_mov_b32_e32 v22, v11
	s_lshl_b32 s55, s0, 4
	s_mov_b64 s[74:75], 0
	v_mov_b32_e32 v17, v31
	s_mov_b64 s[88:89], 0
	s_mov_b64 s[90:91], 0
	;; [unrolled: 1-line block ×4, first 2 shown]
	v_mov_b32_e32 v21, v10
.LBB125_79:                             ;   Parent Loop BB125_26 Depth=1
                                        ; =>  This Inner Loop Header: Depth=2
	ds_read_b128 v[2:5], v17
	v_add_co_u32_e32 v21, vcc, s27, v21
	v_addc_co_u32_e32 v22, vcc, 0, v22, vcc
	s_waitcnt lgkmcnt(0)
	v_cmp_lt_i32_e64 s[6:7], -1, v2
	v_cndmask_b32_e64 v6, -1, v33, s[6:7]
	v_cmp_lt_i32_e64 s[6:7], -1, v3
	v_cndmask_b32_e64 v7, -1, v33, s[6:7]
	;; [unrolled: 2-line block ×4, first 2 shown]
	v_xor_b32_e32 v7, v7, v3
	v_cmp_o_f32_e64 s[6:7], v3, v3
	v_xor_b32_e32 v3, v8, v4
	v_cmp_o_f32_e64 s[10:11], v4, v4
	;; [unrolled: 2-line block ×4, first 2 shown]
	v_cndmask_b32_e64 v2, -1, v5, s[14:15]
	v_cndmask_b32_e64 v5, -1, v7, s[6:7]
	v_and_b32_e32 v6, v2, v35
	v_bfe_u32 v2, v2, s83, 2
	v_cndmask_b32_e64 v3, -1, v3, s[10:11]
	v_and_b32_e32 v7, v5, v35
	v_bfe_u32 v5, v5, s83, 2
	v_cmp_eq_u32_e64 s[16:17], v6, v30
	v_cmp_eq_u32_e64 s[6:7], 0, v2
	v_cndmask_b32_e64 v4, -1, v4, s[12:13]
	v_and_b32_e32 v8, v3, v35
	v_bfe_u32 v3, v3, s83, 2
	v_cmp_eq_u32_e64 s[14:15], v7, v30
	v_cmp_eq_u32_e64 s[28:29], 0, v5
	s_and_b64 s[6:7], s[16:17], s[6:7]
	v_and_b32_e32 v9, v4, v35
	v_bfe_u32 v4, v4, s83, 2
	v_cmp_eq_u32_e64 s[12:13], v8, v30
	v_cmp_eq_u32_e64 s[30:31], 0, v3
	;; [unrolled: 1-line block ×5, first 2 shown]
	v_cndmask_b32_e64 v2, 0, 1, s[6:7]
	s_and_b64 s[6:7], s[14:15], s[28:29]
	v_cmp_eq_u32_e64 s[10:11], v9, v30
	v_cmp_eq_u32_e64 s[34:35], 0, v4
	;; [unrolled: 1-line block ×5, first 2 shown]
	v_cndmask_b32_e64 v3, 0, 1, s[6:7]
	s_and_b64 s[6:7], s[12:13], s[30:31]
	v_cmp_eq_u32_e64 s[42:43], 1, v4
	v_cmp_eq_u32_e64 s[50:51], 2, v4
	;; [unrolled: 1-line block ×3, first 2 shown]
	v_cndmask_b32_e64 v4, 0, 1, s[6:7]
	s_and_b64 s[6:7], s[10:11], s[34:35]
	v_cmp_eq_u32_e64 s[38:39], 1, v5
	v_cmp_eq_u32_e64 s[46:47], 2, v5
	v_cmp_eq_u32_e64 s[22:23], 3, v5
	v_cndmask_b32_e64 v5, 0, 1, s[6:7]
	v_cmp_ne_u32_e64 s[6:7], 0, v2
	v_cmp_ne_u32_e64 s[28:29], 0, v3
	v_cmp_ne_u32_e64 s[30:31], 0, v4
	v_cmp_ne_u32_e64 s[34:35], 0, v5
	s_bcnt1_i32_b64 s6, s[6:7]
	s_bcnt1_i32_b64 s7, s[28:29]
	s_bcnt1_i32_b64 s28, s[30:31]
	s_bcnt1_i32_b64 s29, s[34:35]
	s_add_u32 s6, s6, s8
	s_addc_u32 s8, 0, s9
	s_add_u32 s6, s6, s7
	s_addc_u32 s7, s8, 0
	s_add_u32 s6, s6, s28
	s_addc_u32 s7, s7, 0
	s_add_u32 s8, s6, s29
	s_addc_u32 s9, s7, 0
	s_and_b64 s[6:7], s[16:17], s[36:37]
	v_cndmask_b32_e64 v4, 0, 1, s[6:7]
	s_and_b64 s[6:7], s[14:15], s[38:39]
	v_cndmask_b32_e64 v5, 0, 1, s[6:7]
	s_and_b64 s[6:7], s[12:13], s[40:41]
	v_cndmask_b32_e64 v6, 0, 1, s[6:7]
	s_and_b64 s[6:7], s[10:11], s[42:43]
	v_cndmask_b32_e64 v7, 0, 1, s[6:7]
	v_cmp_ne_u32_e64 s[6:7], 0, v4
	v_cmp_ne_u32_e64 s[28:29], 0, v5
	v_cmp_ne_u32_e64 s[30:31], 0, v6
	v_cmp_ne_u32_e64 s[34:35], 0, v7
	s_bcnt1_i32_b64 s6, s[6:7]
	s_bcnt1_i32_b64 s7, s[28:29]
	s_bcnt1_i32_b64 s28, s[30:31]
	s_bcnt1_i32_b64 s29, s[34:35]
	s_add_u32 s0, s6, s0
	s_addc_u32 s1, 0, s1
	s_add_u32 s0, s0, s7
	s_addc_u32 s1, s1, 0
	s_add_u32 s0, s0, s28
	s_addc_u32 s1, s1, 0
	s_add_u32 s0, s0, s29
	s_addc_u32 s1, s1, 0
	s_and_b64 s[6:7], s[16:17], s[44:45]
	v_cndmask_b32_e64 v6, 0, 1, s[6:7]
	s_and_b64 s[6:7], s[14:15], s[46:47]
	v_cndmask_b32_e64 v7, 0, 1, s[6:7]
	s_and_b64 s[6:7], s[12:13], s[48:49]
	v_cndmask_b32_e64 v8, 0, 1, s[6:7]
	s_and_b64 s[6:7], s[10:11], s[50:51]
	v_cndmask_b32_e64 v9, 0, 1, s[6:7]
	v_cmp_ne_u32_e64 s[6:7], 0, v6
	v_cmp_ne_u32_e64 s[28:29], 0, v7
	v_cmp_ne_u32_e64 s[30:31], 0, v8
	v_cmp_ne_u32_e64 s[34:35], 0, v9
	s_bcnt1_i32_b64 s6, s[6:7]
	s_bcnt1_i32_b64 s7, s[28:29]
	s_bcnt1_i32_b64 s28, s[30:31]
	s_bcnt1_i32_b64 s29, s[34:35]
	s_add_u32 s6, s6, s90
	s_addc_u32 s30, 0, s91
	s_add_u32 s6, s6, s7
	s_addc_u32 s7, s30, 0
	s_add_u32 s6, s6, s28
	s_addc_u32 s7, s7, 0
	s_add_u32 s90, s6, s29
	s_addc_u32 s91, s7, 0
	s_and_b64 s[6:7], s[16:17], s[24:25]
	v_cndmask_b32_e64 v8, 0, 1, s[6:7]
	s_and_b64 s[6:7], s[14:15], s[22:23]
	v_cndmask_b32_e64 v9, 0, 1, s[6:7]
	s_and_b64 s[6:7], s[12:13], s[20:21]
	v_cndmask_b32_e64 v36, 0, 1, s[6:7]
	s_and_b64 s[6:7], s[10:11], s[18:19]
	v_cndmask_b32_e64 v37, 0, 1, s[6:7]
	v_cmp_ne_u32_e64 s[6:7], 0, v8
	v_cmp_ne_u32_e64 s[10:11], 0, v9
	;; [unrolled: 1-line block ×4, first 2 shown]
	s_bcnt1_i32_b64 s6, s[6:7]
	s_bcnt1_i32_b64 s7, s[10:11]
	;; [unrolled: 1-line block ×4, first 2 shown]
	s_add_u32 s6, s6, s88
	s_addc_u32 s12, 0, s89
	s_add_u32 s6, s6, s7
	s_addc_u32 s7, s12, 0
	;; [unrolled: 2-line block ×3, first 2 shown]
	v_cmp_le_u64_e32 vcc, s[62:63], v[21:22]
	s_add_u32 s88, s6, s11
	v_mov_b32_e32 v2, s8
	v_mov_b32_e32 v5, s1
	;; [unrolled: 1-line block ×3, first 2 shown]
	s_addc_u32 s89, s7, 0
	v_mov_b32_e32 v8, s88
	v_add_u32_e32 v17, s55, v17
	v_mov_b32_e32 v3, s9
	v_mov_b32_e32 v4, s0
	;; [unrolled: 1-line block ×3, first 2 shown]
	s_or_b64 s[74:75], vcc, s[74:75]
	v_mov_b32_e32 v9, s89
	s_andn2_b64 exec, exec, s[74:75]
	s_cbranch_execnz .LBB125_79
; %bb.80:                               ;   in Loop: Header=BB125_26 Depth=1
	s_or_b64 exec, exec, s[74:75]
.LBB125_81:                             ;   in Loop: Header=BB125_26 Depth=1
	s_or_b64 exec, exec, s[72:73]
	v_mov_b32_e32 v17, s63
	v_add_co_u32_e32 v21, vcc, s62, v0
	s_and_b32 s78, s60, 0x7fffffff
	v_addc_co_u32_e32 v22, vcc, 0, v17, vcc
	v_cmp_gt_u64_e32 vcc, s[78:79], v[21:22]
	s_and_saveexec_b64 s[0:1], vcc
	s_cbranch_execz .LBB125_85
; %bb.82:                               ;   in Loop: Header=BB125_26 Depth=1
	v_lshl_add_u32 v17, s54, 4, v10
	s_mov_b64 s[8:9], 0
.LBB125_83:                             ;   Parent Loop BB125_26 Depth=1
                                        ; =>  This Inner Loop Header: Depth=2
	ds_read_b32 v36, v17
	v_add_co_u32_sdwa v21, vcc, v21, v14 dst_sel:DWORD dst_unused:UNUSED_PAD src0_sel:DWORD src1_sel:WORD_0
	v_addc_co_u32_e32 v22, vcc, 0, v22, vcc
	s_waitcnt lgkmcnt(0)
	v_cmp_lt_i32_e64 s[6:7], -1, v36
	v_cndmask_b32_e64 v37, -1, v33, s[6:7]
	v_xor_b32_e32 v37, v37, v36
	v_cmp_o_f32_e64 s[6:7], v36, v36
	v_cndmask_b32_e64 v36, -1, v37, s[6:7]
	v_and_b32_e32 v37, v36, v35
	v_bfe_u32 v36, v36, s83, 2
	v_cmp_eq_u32_e64 s[6:7], v37, v30
	v_cmp_eq_u32_e64 s[10:11], 0, v36
	;; [unrolled: 1-line block ×3, first 2 shown]
	s_and_b64 s[10:11], s[6:7], s[10:11]
	v_cmp_eq_u32_e64 s[14:15], 2, v36
	v_cmp_eq_u32_e64 s[16:17], 3, v36
	v_cndmask_b32_e64 v36, 0, 1, s[10:11]
	s_and_b64 s[10:11], s[6:7], s[12:13]
	v_cndmask_b32_e64 v37, 0, 1, s[10:11]
	s_and_b64 s[10:11], s[6:7], s[14:15]
	s_and_b64 s[6:7], s[6:7], s[16:17]
	v_cndmask_b32_e64 v39, 0, 1, s[6:7]
	v_cmp_ne_u32_e64 s[6:7], 0, v36
	s_bcnt1_i32_b64 s6, s[6:7]
	v_cndmask_b32_e64 v38, 0, 1, s[10:11]
	v_cmp_ne_u32_e64 s[10:11], 0, v37
	v_add_co_u32_e64 v2, s[6:7], s6, v2
	s_bcnt1_i32_b64 s10, s[10:11]
	v_addc_co_u32_e64 v3, s[6:7], 0, v3, s[6:7]
	v_cmp_le_u64_e32 vcc, s[78:79], v[21:22]
	v_cmp_ne_u32_e64 s[12:13], 0, v38
	v_cmp_ne_u32_e64 s[14:15], 0, v39
	v_add_co_u32_e64 v4, s[6:7], s10, v4
	s_bcnt1_i32_b64 s11, s[12:13]
	s_bcnt1_i32_b64 s12, s[14:15]
	v_addc_co_u32_e64 v5, s[6:7], 0, v5, s[6:7]
	v_add_co_u32_e64 v6, s[6:7], s11, v6
	s_or_b64 s[8:9], vcc, s[8:9]
	v_add_co_u32_e32 v8, vcc, s12, v8
	v_add_u32_e32 v17, s27, v17
	v_addc_co_u32_e64 v7, s[6:7], 0, v7, s[6:7]
	v_addc_co_u32_e32 v9, vcc, 0, v9, vcc
	s_andn2_b64 exec, exec, s[8:9]
	s_cbranch_execnz .LBB125_83
; %bb.84:                               ;   in Loop: Header=BB125_26 Depth=1
	s_or_b64 exec, exec, s[8:9]
.LBB125_85:                             ;   in Loop: Header=BB125_26 Depth=1
	s_or_b64 exec, exec, s[0:1]
	s_lshl_b32 s6, s26, 6
	s_and_saveexec_b64 s[0:1], s[4:5]
	s_cbranch_execnz .LBB125_56
	s_branch .LBB125_57
.LBB125_86:                             ;   in Loop: Header=BB125_26 Depth=1
                                        ; implicit-def: $sgpr0_sgpr1
	s_branch .LBB125_65
.LBB125_87:                             ;   in Loop: Header=BB125_26 Depth=1
	v_mov_b32_e32 v2, 0
	v_mov_b32_e32 v3, 0
	s_mov_b32 s7, 0
.LBB125_88:                             ;   in Loop: Header=BB125_26 Depth=1
	v_readlane_b32 s8, v48, 37
	v_readlane_b32 s9, v48, 38
	s_andn2_b64 vcc, exec, s[8:9]
	s_cbranch_vccnz .LBB125_91
; %bb.89:                               ;   in Loop: Header=BB125_26 Depth=1
	s_lshl_b32 s8, s26, 9
	s_lshl_b32 s7, s7, 5
	s_add_i32 s8, s8, s7
	v_add_u32_e32 v4, s8, v32
	v_readlane_b32 s7, v48, 36
.LBB125_90:                             ;   Parent Loop BB125_26 Depth=1
                                        ; =>  This Inner Loop Header: Depth=2
	ds_read_b64 v[5:6], v4
	s_add_i32 s7, s7, -1
	v_add_u32_e32 v4, 32, v4
	s_cmp_lg_u32 s7, 0
	s_waitcnt lgkmcnt(0)
	v_add_co_u32_e32 v2, vcc, v5, v2
	v_addc_co_u32_e32 v3, vcc, v6, v3, vcc
	s_cbranch_scc1 .LBB125_90
.LBB125_91:                             ;   in Loop: Header=BB125_26 Depth=1
	v_add_lshl_u32 v4, s6, v23, 3
	ds_write_b64 v4, v[2:3] offset:3072
.LBB125_92:                             ;   in Loop: Header=BB125_26 Depth=1
	s_or_b64 exec, exec, s[0:1]
	s_lshl_b32 s0, s6, 3
	v_mov_b32_e32 v2, s0
	s_waitcnt lgkmcnt(0)
	s_barrier
	ds_read_b128 v[6:9], v2 offset:3088
	ds_read_b128 v[2:5], v2 offset:3072
	v_cmp_eq_u64_e64 s[6:7], 1, v[19:20]
	s_lshl_b32 s27, 3, s83
	s_not_b32 s50, s27
	s_waitcnt lgkmcnt(1)
	v_readfirstlane_b32 s18, v6
	s_waitcnt lgkmcnt(0)
	v_cmp_eq_u64_e32 vcc, 1, v[2:3]
	v_readfirstlane_b32 s19, v7
	v_readfirstlane_b32 s10, v8
	v_readfirstlane_b32 s11, v9
	s_and_b64 s[14:15], vcc, s[6:7]
	s_mov_b64 s[6:7], -1
	s_mov_b64 s[16:17], -1
                                        ; implicit-def: $sgpr8_sgpr9
                                        ; implicit-def: $sgpr0_sgpr1
	s_and_saveexec_b64 s[12:13], s[14:15]
	s_cbranch_execz .LBB125_126
; %bb.93:                               ;   in Loop: Header=BB125_26 Depth=1
	ds_read_b64 v[6:7], v15 offset:5120
	s_waitcnt lgkmcnt(0)
	s_barrier
	v_readfirstlane_b32 s20, v6
	v_readfirstlane_b32 s21, v7
	s_mov_b64 s[0:1], exec
	v_readlane_b32 s8, v48, 26
	v_readlane_b32 s9, v48, 27
	s_and_b64 s[8:9], s[0:1], s[8:9]
	s_mov_b64 exec, s[8:9]
; %bb.94:                               ;   in Loop: Header=BB125_26 Depth=1
	ds_write_b32 v24, v15
; %bb.95:                               ;   in Loop: Header=BB125_26 Depth=1
	s_or_b64 exec, exec, s[0:1]
	v_and_b32_e32 v30, s50, v30
	v_or_b32_e32 v35, s27, v35
	s_mov_b64 s[0:1], -1
	s_mov_b64 s[8:9], 0
	s_cmp_eq_u64 s[20:21], 0
	s_mov_b64 s[16:17], 0
	s_mov_b64 s[22:23], -1
	s_waitcnt lgkmcnt(0)
	s_barrier
                                        ; implicit-def: $vgpr18
	s_cbranch_scc1 .LBB125_110
; %bb.96:                               ;   in Loop: Header=BB125_26 Depth=1
	v_readlane_b32 s16, v48, 32
	s_add_u32 s28, s20, s16
	v_readlane_b32 s16, v48, 33
	s_addc_u32 s17, s21, s16
	s_mov_b32 s16, s79
	s_cmp_lg_u64 s[16:17], 0
	s_cbranch_scc0 .LBB125_153
; %bb.97:                               ;   in Loop: Header=BB125_26 Depth=1
	v_cvt_f32_u32_e32 v6, s64
	s_sub_u32 s16, 0, s64
	s_subb_u32 s24, 0, 0
	v_mac_f32_e32 v6, 0, v34
	v_rcp_f32_e32 v6, v6
	v_mul_f32_e32 v6, 0x5f7ffffc, v6
	v_mul_f32_e32 v7, 0x2f800000, v6
	v_trunc_f32_e32 v7, v7
	v_mac_f32_e32 v6, 0xcf800000, v7
	v_cvt_u32_f32_e32 v7, v7
	v_cvt_u32_f32_e32 v6, v6
	v_readfirstlane_b32 s25, v7
	v_readfirstlane_b32 s22, v6
	s_mul_i32 s23, s16, s25
	s_mul_hi_u32 s30, s16, s22
	s_mul_i32 s29, s24, s22
	s_add_i32 s23, s30, s23
	s_mul_i32 s31, s16, s22
	s_add_i32 s23, s23, s29
	s_mul_hi_u32 s30, s22, s31
	s_mul_i32 s34, s22, s23
	s_mul_hi_u32 s29, s22, s23
	s_add_u32 s30, s30, s34
	s_addc_u32 s29, 0, s29
	s_mul_hi_u32 s35, s25, s31
	s_mul_i32 s31, s25, s31
	s_add_u32 s30, s30, s31
	s_mul_hi_u32 s34, s25, s23
	s_addc_u32 s29, s29, s35
	s_addc_u32 s30, s34, 0
	s_mul_i32 s23, s25, s23
	s_add_u32 s23, s29, s23
	s_addc_u32 s29, 0, s30
	s_add_u32 s30, s22, s23
	s_cselect_b64 s[22:23], -1, 0
	s_cmp_lg_u64 s[22:23], 0
	s_addc_u32 s25, s25, s29
	s_mul_i32 s22, s16, s25
	s_mul_hi_u32 s23, s16, s30
	s_add_i32 s22, s23, s22
	s_mul_i32 s24, s24, s30
	s_add_i32 s22, s22, s24
	s_mul_i32 s16, s16, s30
	s_mul_hi_u32 s24, s25, s16
	s_mul_i32 s29, s25, s16
	s_mul_i32 s34, s30, s22
	s_mul_hi_u32 s16, s30, s16
	s_mul_hi_u32 s31, s30, s22
	s_add_u32 s16, s16, s34
	s_addc_u32 s31, 0, s31
	s_add_u32 s16, s16, s29
	s_mul_hi_u32 s23, s25, s22
	s_addc_u32 s16, s31, s24
	s_addc_u32 s23, s23, 0
	s_mul_i32 s22, s25, s22
	s_add_u32 s16, s16, s22
	s_addc_u32 s24, 0, s23
	s_add_u32 s16, s30, s16
	s_cselect_b64 s[22:23], -1, 0
	s_cmp_lg_u64 s[22:23], 0
	s_addc_u32 s22, s25, s24
	s_mul_i32 s24, s28, s22
	s_mul_hi_u32 s25, s28, s16
	s_mul_hi_u32 s23, s28, s22
	s_add_u32 s24, s25, s24
	s_addc_u32 s23, 0, s23
	s_mul_hi_u32 s29, s17, s16
	s_mul_i32 s16, s17, s16
	s_add_u32 s16, s24, s16
	s_mul_hi_u32 s25, s17, s22
	s_addc_u32 s16, s23, s29
	s_addc_u32 s23, s25, 0
	s_mul_i32 s22, s17, s22
	s_add_u32 s16, s16, s22
	s_addc_u32 s22, 0, s23
	s_mul_i32 s22, s64, s22
	s_mul_hi_u32 s23, s64, s16
	s_add_i32 s24, s23, s22
	s_mul_i32 s16, s64, s16
	s_sub_u32 s16, s28, s16
	s_cselect_b64 s[22:23], -1, 0
	s_cmp_lg_u64 s[22:23], 0
	s_subb_u32 s24, s17, s24
	s_sub_u32 s25, s16, s64
	s_cselect_b64 s[22:23], -1, 0
	s_cmp_lg_u64 s[22:23], 0
	s_subb_u32 s29, s24, 0
	;; [unrolled: 4-line block ×3, first 2 shown]
	s_cmp_ge_u32 s25, s64
	s_cselect_b32 s23, -1, 0
	s_cmp_eq_u32 s29, 0
	s_cselect_b32 s23, s23, -1
	s_cmp_lg_u32 s23, 0
	s_cselect_b32 s22, s22, s29
	s_cselect_b32 s25, s30, s25
	s_cmp_ge_u32 s16, s64
	s_cselect_b32 s23, -1, 0
	s_cmp_eq_u32 s24, 0
	s_cselect_b32 s23, s23, -1
	s_cmp_lg_u32 s23, 0
	s_cselect_b32 s23, s22, s24
	s_cselect_b32 s22, s25, s16
	s_cbranch_execnz .LBB125_99
.LBB125_98:                             ;   in Loop: Header=BB125_26 Depth=1
	v_cvt_f32_u32_e32 v6, s64
	s_sub_i32 s16, 0, s64
	v_rcp_iflag_f32_e32 v6, v6
	v_mul_f32_e32 v6, 0x4f7ffffe, v6
	v_cvt_u32_f32_e32 v6, v6
	v_readfirstlane_b32 s22, v6
	s_mul_i32 s16, s16, s22
	s_mul_hi_u32 s16, s22, s16
	s_add_i32 s22, s22, s16
	s_mul_hi_u32 s16, s28, s22
	s_mul_i32 s16, s16, s64
	s_sub_i32 s16, s28, s16
	s_sub_i32 s22, s16, s64
	s_cmp_ge_u32 s16, s64
	s_cselect_b32 s16, s22, s16
	s_sub_i32 s22, s16, s64
	s_cmp_ge_u32 s16, s64
	s_cselect_b32 s78, s22, s16
	s_mov_b64 s[22:23], s[78:79]
.LBB125_99:                             ;   in Loop: Header=BB125_26 Depth=1
	s_sub_u32 s28, s28, s22
	s_subb_u32 s29, s17, s23
	v_cmp_gt_u64_e32 vcc, s[28:29], v[0:1]
	s_mov_b64 s[22:23], 0
	s_mov_b64 s[16:17], 0
                                        ; implicit-def: $vgpr18
	s_and_saveexec_b64 s[24:25], vcc
	s_cbranch_execz .LBB125_109
; %bb.100:                              ;   in Loop: Header=BB125_26 Depth=1
	v_mov_b32_e32 v7, v1
	v_mov_b32_e32 v8, v10
	;; [unrolled: 1-line block ×3, first 2 shown]
                                        ; implicit-def: $sgpr30_sgpr31
	s_branch .LBB125_104
.LBB125_101:                            ;   in Loop: Header=BB125_104 Depth=2
	s_or_b64 exec, exec, s[34:35]
	s_waitcnt lgkmcnt(0)
	s_barrier
	ds_read_b64 v[17:18], v15 offset:3072
	s_waitcnt lgkmcnt(0)
	s_barrier
	v_cmp_neq_f32_e32 vcc, 0, v17
	s_cbranch_vccnz .LBB125_107
; %bb.102:                              ;   in Loop: Header=BB125_104 Depth=2
	v_add_co_u32_e32 v6, vcc, s64, v6
	v_addc_co_u32_e32 v7, vcc, 0, v7, vcc
	v_cmp_le_u64_e32 vcc, s[28:29], v[6:7]
	v_add_u32_e32 v8, s82, v8
	s_mov_b64 s[34:35], 0
	s_orn2_b64 s[36:37], vcc, exec
.LBB125_103:                            ;   in Loop: Header=BB125_104 Depth=2
	s_and_b64 s[36:37], exec, s[36:37]
	s_or_b64 s[16:17], s[36:37], s[16:17]
	s_andn2_b64 s[30:31], s[30:31], exec
	s_and_b64 s[34:35], s[34:35], exec
	s_or_b64 s[30:31], s[30:31], s[34:35]
	s_andn2_b64 exec, exec, s[16:17]
	s_cbranch_execz .LBB125_108
.LBB125_104:                            ;   Parent Loop BB125_26 Depth=1
                                        ; =>  This Inner Loop Header: Depth=2
	v_cmp_gt_u64_e32 vcc, s[20:21], v[6:7]
	s_and_saveexec_b64 s[34:35], vcc
	s_cbranch_execz .LBB125_101
; %bb.105:                              ;   in Loop: Header=BB125_104 Depth=2
	ds_read_b32 v17, v8
	s_waitcnt lgkmcnt(0)
	v_cmp_lt_i32_e32 vcc, -1, v17
	v_cndmask_b32_e32 v9, -1, v33, vcc
	v_xor_b32_e32 v9, v9, v17
	v_cmp_o_f32_e32 vcc, v17, v17
	v_cndmask_b32_e32 v9, -1, v9, vcc
	v_and_b32_e32 v9, v9, v35
	v_cmp_eq_u32_e32 vcc, v9, v30
	s_and_b64 exec, exec, vcc
	s_cbranch_execz .LBB125_101
; %bb.106:                              ;   in Loop: Header=BB125_104 Depth=2
	ds_write_b64 v15, v[16:17] offset:3072
	s_branch .LBB125_101
.LBB125_107:                            ;   in Loop: Header=BB125_104 Depth=2
	s_mov_b64 s[36:37], -1
                                        ; implicit-def: $vgpr6_vgpr7
                                        ; implicit-def: $vgpr8
	s_mov_b64 s[34:35], -1
	s_branch .LBB125_103
.LBB125_108:                            ;   in Loop: Header=BB125_26 Depth=1
	s_or_b64 exec, exec, s[16:17]
	s_and_b64 s[16:17], s[30:31], exec
.LBB125_109:                            ;   in Loop: Header=BB125_26 Depth=1
	s_or_b64 exec, exec, s[24:25]
.LBB125_110:                            ;   in Loop: Header=BB125_26 Depth=1
	s_and_b64 vcc, exec, s[22:23]
	s_cbranch_vccz .LBB125_125
; %bb.111:                              ;   in Loop: Header=BB125_26 Depth=1
	s_mov_b32 s84, s79
	s_cmp_lg_u64 s[84:85], 0
	s_cbranch_scc0 .LBB125_157
; %bb.112:                              ;   in Loop: Header=BB125_26 Depth=1
	v_cvt_f32_u32_e32 v6, s64
	s_sub_u32 s8, 0, s64
	s_subb_u32 s9, 0, 0
	v_mac_f32_e32 v6, 0, v34
	v_rcp_f32_e32 v6, v6
	v_mul_f32_e32 v6, 0x5f7ffffc, v6
	v_mul_f32_e32 v7, 0x2f800000, v6
	v_trunc_f32_e32 v7, v7
	v_mac_f32_e32 v6, 0xcf800000, v7
	v_cvt_u32_f32_e32 v7, v7
	v_cvt_u32_f32_e32 v6, v6
	v_readfirstlane_b32 s20, v7
	v_readfirstlane_b32 s0, v6
	s_mul_i32 s1, s8, s20
	s_mul_hi_u32 s22, s8, s0
	s_mul_i32 s21, s9, s0
	s_add_i32 s1, s22, s1
	s_mul_i32 s23, s8, s0
	s_add_i32 s1, s1, s21
	s_mul_hi_u32 s22, s0, s23
	s_mul_i32 s24, s0, s1
	s_mul_hi_u32 s21, s0, s1
	s_add_u32 s22, s22, s24
	s_addc_u32 s21, 0, s21
	s_mul_hi_u32 s25, s20, s23
	s_mul_i32 s23, s20, s23
	s_add_u32 s22, s22, s23
	s_mul_hi_u32 s24, s20, s1
	s_addc_u32 s21, s21, s25
	s_addc_u32 s22, s24, 0
	s_mul_i32 s1, s20, s1
	s_add_u32 s1, s21, s1
	s_addc_u32 s21, 0, s22
	s_add_u32 s22, s0, s1
	s_cselect_b64 s[0:1], -1, 0
	s_cmp_lg_u64 s[0:1], 0
	s_addc_u32 s20, s20, s21
	s_mul_i32 s0, s8, s20
	s_mul_hi_u32 s1, s8, s22
	s_add_i32 s0, s1, s0
	s_mul_i32 s9, s9, s22
	s_add_i32 s0, s0, s9
	s_mul_i32 s8, s8, s22
	s_mul_hi_u32 s9, s20, s8
	s_mul_i32 s21, s20, s8
	s_mul_i32 s24, s22, s0
	s_mul_hi_u32 s8, s22, s8
	s_mul_hi_u32 s23, s22, s0
	s_add_u32 s8, s8, s24
	s_addc_u32 s23, 0, s23
	s_add_u32 s8, s8, s21
	s_mul_hi_u32 s1, s20, s0
	s_addc_u32 s8, s23, s9
	s_addc_u32 s1, s1, 0
	s_mul_i32 s0, s20, s0
	s_add_u32 s0, s8, s0
	s_addc_u32 s8, 0, s1
	s_add_u32 s9, s22, s0
	s_cselect_b64 s[0:1], -1, 0
	s_cmp_lg_u64 s[0:1], 0
	s_addc_u32 s0, s20, s8
	s_mul_i32 s8, s2, s0
	s_mul_hi_u32 s20, s2, s9
	s_mul_hi_u32 s1, s2, s0
	s_add_u32 s8, s20, s8
	s_addc_u32 s1, 0, s1
	s_mul_hi_u32 s21, s85, s9
	s_mul_i32 s9, s85, s9
	s_add_u32 s8, s8, s9
	s_mul_hi_u32 s20, s85, s0
	s_addc_u32 s1, s1, s21
	s_addc_u32 s8, s20, 0
	s_mul_i32 s0, s85, s0
	s_add_u32 s0, s1, s0
	s_addc_u32 s1, 0, s8
	s_mul_i32 s1, s64, s1
	s_mul_hi_u32 s8, s64, s0
	s_add_i32 s8, s8, s1
	s_mul_i32 s0, s64, s0
	s_sub_u32 s9, s2, s0
	s_cselect_b64 s[0:1], -1, 0
	s_cmp_lg_u64 s[0:1], 0
	s_subb_u32 s8, s85, s8
	s_sub_u32 s20, s9, s64
	s_cselect_b64 s[0:1], -1, 0
	s_cmp_lg_u64 s[0:1], 0
	s_subb_u32 s21, s8, 0
	;; [unrolled: 4-line block ×3, first 2 shown]
	s_cmp_ge_u32 s20, s64
	s_cselect_b32 s1, -1, 0
	s_cmp_eq_u32 s21, 0
	s_cselect_b32 s1, s1, -1
	s_cmp_lg_u32 s1, 0
	s_cselect_b32 s0, s0, s21
	s_cselect_b32 s20, s22, s20
	s_cmp_ge_u32 s9, s64
	s_cselect_b32 s1, -1, 0
	s_cmp_eq_u32 s8, 0
	s_cselect_b32 s1, s1, -1
	s_cmp_lg_u32 s1, 0
	s_cselect_b32 s1, s0, s8
	s_cselect_b32 s0, s20, s9
	s_cbranch_execnz .LBB125_114
.LBB125_113:                            ;   in Loop: Header=BB125_26 Depth=1
	v_cvt_f32_u32_e32 v6, s64
	s_sub_i32 s0, 0, s64
	v_rcp_iflag_f32_e32 v6, v6
	v_mul_f32_e32 v6, 0x4f7ffffe, v6
	v_cvt_u32_f32_e32 v6, v6
	v_readfirstlane_b32 s1, v6
	s_mul_i32 s0, s0, s1
	s_mul_hi_u32 s0, s1, s0
	s_add_i32 s1, s1, s0
	s_mul_hi_u32 s0, s2, s1
	s_mul_i32 s0, s0, s64
	s_sub_i32 s0, s2, s0
	s_sub_i32 s1, s0, s64
	s_cmp_ge_u32 s0, s64
	s_cselect_b32 s0, s1, s0
	s_sub_i32 s1, s0, s64
	s_cmp_ge_u32 s0, s64
	s_cselect_b32 s78, s1, s0
	s_mov_b64 s[0:1], s[78:79]
.LBB125_114:                            ;   in Loop: Header=BB125_26 Depth=1
	s_sub_u32 s8, s2, s0
	s_subb_u32 s9, s85, s1
	v_cmp_gt_u64_e32 vcc, s[8:9], v[0:1]
                                        ; implicit-def: $vgpr18
	s_and_saveexec_b64 s[0:1], vcc
	s_cbranch_execz .LBB125_124
; %bb.115:                              ;   in Loop: Header=BB125_26 Depth=1
	v_mov_b32_e32 v7, v1
	s_mov_b64 s[20:21], 0
	v_mov_b32_e32 v6, v0
                                        ; implicit-def: $sgpr22_sgpr23
	s_branch .LBB125_119
.LBB125_116:                            ;   in Loop: Header=BB125_119 Depth=2
	s_or_b64 exec, exec, s[24:25]
	s_waitcnt lgkmcnt(0)
	s_barrier
	ds_read_b64 v[17:18], v15 offset:3072
	s_waitcnt lgkmcnt(0)
	s_barrier
	v_cmp_neq_f32_e32 vcc, 0, v17
	s_cbranch_vccnz .LBB125_122
; %bb.117:                              ;   in Loop: Header=BB125_119 Depth=2
	v_add_co_u32_e32 v6, vcc, s64, v6
	v_addc_co_u32_e32 v7, vcc, 0, v7, vcc
	v_cmp_le_u64_e32 vcc, s[8:9], v[6:7]
	s_mov_b64 s[24:25], 0
	s_orn2_b64 s[28:29], vcc, exec
.LBB125_118:                            ;   in Loop: Header=BB125_119 Depth=2
	s_and_b64 s[28:29], exec, s[28:29]
	s_or_b64 s[20:21], s[28:29], s[20:21]
	s_andn2_b64 s[22:23], s[22:23], exec
	s_and_b64 s[24:25], s[24:25], exec
	s_or_b64 s[22:23], s[22:23], s[24:25]
	s_andn2_b64 exec, exec, s[20:21]
	s_cbranch_execz .LBB125_123
.LBB125_119:                            ;   Parent Loop BB125_26 Depth=1
                                        ; =>  This Inner Loop Header: Depth=2
	v_cmp_gt_u64_e32 vcc, s[52:53], v[6:7]
	s_and_saveexec_b64 s[24:25], vcc
	s_cbranch_execz .LBB125_116
; %bb.120:                              ;   in Loop: Header=BB125_119 Depth=2
	v_mul_lo_u32 v14, v7, s68
	v_mul_lo_u32 v17, v6, s69
	v_mad_u64_u32 v[8:9], s[28:29], v6, s68, 0
	v_add3_u32 v9, v9, v17, v14
	v_lshlrev_b64 v[8:9], 2, v[8:9]
	v_mov_b32_e32 v14, s65
	v_add_co_u32_e32 v8, vcc, s33, v8
	v_addc_co_u32_e32 v9, vcc, v14, v9, vcc
	global_load_dword v17, v[8:9], off
	s_waitcnt vmcnt(0)
	v_cmp_lt_i32_e32 vcc, -1, v17
	v_cndmask_b32_e32 v8, -1, v33, vcc
	v_xor_b32_e32 v8, v8, v17
	v_cmp_o_f32_e32 vcc, v17, v17
	v_cndmask_b32_e32 v8, -1, v8, vcc
	v_and_b32_e32 v8, v8, v35
	v_cmp_eq_u32_e32 vcc, v8, v30
	s_and_b64 exec, exec, vcc
	s_cbranch_execz .LBB125_116
; %bb.121:                              ;   in Loop: Header=BB125_119 Depth=2
	ds_write_b64 v15, v[16:17] offset:3072
	s_branch .LBB125_116
.LBB125_122:                            ;   in Loop: Header=BB125_119 Depth=2
	s_mov_b64 s[28:29], -1
                                        ; implicit-def: $vgpr6_vgpr7
	s_mov_b64 s[24:25], -1
	s_branch .LBB125_118
.LBB125_123:                            ;   in Loop: Header=BB125_26 Depth=1
	s_or_b64 exec, exec, s[20:21]
	s_andn2_b64 s[8:9], s[16:17], exec
	s_and_b64 s[16:17], s[22:23], exec
	s_or_b64 s[16:17], s[8:9], s[16:17]
.LBB125_124:                            ;   in Loop: Header=BB125_26 Depth=1
	s_or_b64 exec, exec, s[0:1]
	s_mov_b64 s[0:1], 0
	s_mov_b64 s[8:9], -1
.LBB125_125:                            ;   in Loop: Header=BB125_26 Depth=1
	s_orn2_b64 s[16:17], s[16:17], exec
.LBB125_126:                            ;   in Loop: Header=BB125_26 Depth=1
	s_or_b64 exec, exec, s[12:13]
	s_andn2_b64 s[12:13], s[66:67], exec
	s_and_b64 s[8:9], s[8:9], exec
	s_or_b64 s[66:67], s[12:13], s[8:9]
	s_andn2_b64 s[8:9], s[76:77], exec
	s_and_b64 s[0:1], s[0:1], exec
	s_andn2_b64 s[58:59], s[58:59], exec
	s_or_b64 s[76:77], s[8:9], s[0:1]
                                        ; implicit-def: $vgpr6_vgpr7
	s_and_saveexec_b64 s[12:13], s[16:17]
	s_cbranch_execz .LBB125_25
; %bb.127:                              ;   in Loop: Header=BB125_26 Depth=1
	v_mov_b32_e32 v6, 1
	s_xor_b64 s[6:7], s[14:15], -1
	v_mov_b32_e32 v8, 1
	v_mov_b32_e32 v7, 0
	s_mov_b64 s[8:9], 0
	s_and_saveexec_b64 s[0:1], s[6:7]
	s_cbranch_execz .LBB125_136
; %bb.128:                              ;   in Loop: Header=BB125_26 Depth=1
	v_cmp_le_u64_e32 vcc, v[19:20], v[2:3]
	s_and_saveexec_b64 s[6:7], vcc
	s_xor_b64 s[6:7], exec, s[6:7]
	s_cbranch_execz .LBB125_133
; %bb.129:                              ;   in Loop: Header=BB125_26 Depth=1
	ds_read_b64 v[6:7], v15 offset:5120
	v_and_b32_e32 v30, s50, v30
	v_or_b32_e32 v35, s27, v35
	s_waitcnt lgkmcnt(0)
	v_cmp_ne_u64_e32 vcc, 0, v[6:7]
	s_cbranch_vccnz .LBB125_133
; %bb.130:                              ;   in Loop: Header=BB125_26 Depth=1
	s_mov_b64 s[8:9], exec
	v_readlane_b32 s14, v48, 16
	v_readlane_b32 s15, v48, 17
	s_and_b64 s[14:15], s[8:9], s[14:15]
	s_mov_b64 exec, s[14:15]
; %bb.131:                              ;   in Loop: Header=BB125_26 Depth=1
	ds_write_b64 v15, v[2:3] offset:5128
; %bb.132:                              ;   in Loop: Header=BB125_26 Depth=1
	s_or_b64 exec, exec, s[8:9]
	s_waitcnt lgkmcnt(0)
	s_barrier
.LBB125_133:                            ;   in Loop: Header=BB125_26 Depth=1
	s_or_saveexec_b64 s[6:7], s[6:7]
	s_mov_b64 s[8:9], 0
	v_mov_b32_e32 v8, 8
	s_xor_b64 exec, exec, s[6:7]
; %bb.134:                              ;   in Loop: Header=BB125_26 Depth=1
	v_sub_co_u32_e32 v19, vcc, v19, v2
	s_mov_b64 s[8:9], exec
	v_subb_co_u32_e32 v20, vcc, v20, v3, vcc
	v_mov_b32_e32 v8, 0
; %bb.135:                              ;   in Loop: Header=BB125_26 Depth=1
	s_or_b64 exec, exec, s[6:7]
	v_mov_b32_e32 v6, v19
	s_and_b64 s[8:9], s[8:9], exec
	v_mov_b32_e32 v7, v20
.LBB125_136:                            ;   in Loop: Header=BB125_26 Depth=1
	s_or_b64 exec, exec, s[0:1]
	s_mov_b64 s[14:15], -1
	s_mov_b64 s[0:1], -1
                                        ; implicit-def: $sgpr6_sgpr7
                                        ; implicit-def: $sgpr20_sgpr21
	s_and_saveexec_b64 s[16:17], s[8:9]
	s_xor_b64 s[16:17], exec, s[16:17]
	s_cbranch_execz .LBB125_287
; %bb.137:                              ;   in Loop: Header=BB125_26 Depth=1
	v_cmp_eq_u64_e32 vcc, 1, v[4:5]
	v_cmp_eq_u64_e64 s[6:7], 1, v[6:7]
                                        ; implicit-def: $sgpr20_sgpr21
	s_and_b64 s[24:25], vcc, s[6:7]
                                        ; implicit-def: $sgpr6_sgpr7
	s_and_saveexec_b64 s[22:23], s[24:25]
	s_cbranch_execz .LBB125_176
; %bb.138:                              ;   in Loop: Header=BB125_26 Depth=1
	ds_read_b64 v[2:3], v15 offset:5120
	s_waitcnt lgkmcnt(0)
	s_barrier
	v_readfirstlane_b32 s8, v2
	v_readfirstlane_b32 s9, v3
	s_mov_b64 s[0:1], exec
	v_readlane_b32 s6, v48, 26
	v_readlane_b32 s7, v48, 27
	s_and_b64 s[6:7], s[0:1], s[6:7]
	s_mov_b64 exec, s[6:7]
; %bb.139:                              ;   in Loop: Header=BB125_26 Depth=1
	ds_write_b32 v24, v15
; %bb.140:                              ;   in Loop: Header=BB125_26 Depth=1
	s_or_b64 exec, exec, s[0:1]
	v_and_b32_e32 v2, s50, v30
	v_lshl_or_b32 v30, 1, s83, v2
	v_or_b32_e32 v35, s27, v35
	s_mov_b64 s[6:7], -1
	s_mov_b64 s[20:21], 0
	s_cmp_eq_u64 s[8:9], 0
	s_mov_b64 s[0:1], 0
	s_mov_b64 s[28:29], -1
	s_waitcnt lgkmcnt(0)
	s_barrier
                                        ; implicit-def: $vgpr18
	s_cbranch_scc1 .LBB125_160
; %bb.141:                              ;   in Loop: Header=BB125_26 Depth=1
	v_readlane_b32 s0, v48, 32
	s_add_u32 s34, s8, s0
	v_readlane_b32 s0, v48, 33
	s_addc_u32 s1, s9, s0
	s_mov_b32 s0, s79
	s_cmp_lg_u64 s[0:1], 0
	s_cbranch_scc0 .LBB125_204
; %bb.142:                              ;   in Loop: Header=BB125_26 Depth=1
	v_cvt_f32_u32_e32 v2, s64
	s_sub_u32 s0, 0, s64
	s_subb_u32 s30, 0, 0
	v_mac_f32_e32 v2, 0, v34
	v_rcp_f32_e32 v2, v2
	v_mul_f32_e32 v2, 0x5f7ffffc, v2
	v_mul_f32_e32 v3, 0x2f800000, v2
	v_trunc_f32_e32 v3, v3
	v_mac_f32_e32 v2, 0xcf800000, v3
	v_cvt_u32_f32_e32 v3, v3
	v_cvt_u32_f32_e32 v2, v2
	v_readfirstlane_b32 s31, v3
	v_readfirstlane_b32 s28, v2
	s_mul_i32 s29, s0, s31
	s_mul_hi_u32 s36, s0, s28
	s_mul_i32 s35, s30, s28
	s_add_i32 s29, s36, s29
	s_mul_i32 s37, s0, s28
	s_add_i32 s29, s29, s35
	s_mul_hi_u32 s36, s28, s37
	s_mul_i32 s38, s28, s29
	s_mul_hi_u32 s35, s28, s29
	s_add_u32 s36, s36, s38
	s_addc_u32 s35, 0, s35
	s_mul_hi_u32 s39, s31, s37
	s_mul_i32 s37, s31, s37
	s_add_u32 s36, s36, s37
	s_mul_hi_u32 s38, s31, s29
	s_addc_u32 s35, s35, s39
	s_addc_u32 s36, s38, 0
	s_mul_i32 s29, s31, s29
	s_add_u32 s29, s35, s29
	s_addc_u32 s35, 0, s36
	s_add_u32 s36, s28, s29
	s_cselect_b64 s[28:29], -1, 0
	s_cmp_lg_u64 s[28:29], 0
	s_addc_u32 s31, s31, s35
	s_mul_i32 s28, s0, s31
	s_mul_hi_u32 s29, s0, s36
	s_add_i32 s28, s29, s28
	s_mul_i32 s30, s30, s36
	s_add_i32 s28, s28, s30
	s_mul_i32 s0, s0, s36
	s_mul_hi_u32 s30, s31, s0
	s_mul_i32 s35, s31, s0
	s_mul_i32 s38, s36, s28
	s_mul_hi_u32 s0, s36, s0
	s_mul_hi_u32 s37, s36, s28
	s_add_u32 s0, s0, s38
	s_addc_u32 s37, 0, s37
	s_add_u32 s0, s0, s35
	s_mul_hi_u32 s29, s31, s28
	s_addc_u32 s0, s37, s30
	s_addc_u32 s29, s29, 0
	s_mul_i32 s28, s31, s28
	s_add_u32 s0, s0, s28
	s_addc_u32 s30, 0, s29
	s_add_u32 s0, s36, s0
	s_cselect_b64 s[28:29], -1, 0
	s_cmp_lg_u64 s[28:29], 0
	s_addc_u32 s28, s31, s30
	s_mul_i32 s30, s34, s28
	s_mul_hi_u32 s31, s34, s0
	s_mul_hi_u32 s29, s34, s28
	s_add_u32 s30, s31, s30
	s_addc_u32 s29, 0, s29
	s_mul_hi_u32 s35, s1, s0
	s_mul_i32 s0, s1, s0
	s_add_u32 s0, s30, s0
	s_mul_hi_u32 s31, s1, s28
	s_addc_u32 s0, s29, s35
	s_addc_u32 s29, s31, 0
	s_mul_i32 s28, s1, s28
	s_add_u32 s0, s0, s28
	s_addc_u32 s28, 0, s29
	s_mul_i32 s28, s64, s28
	s_mul_hi_u32 s29, s64, s0
	s_add_i32 s30, s29, s28
	s_mul_i32 s0, s64, s0
	s_sub_u32 s0, s34, s0
	s_cselect_b64 s[28:29], -1, 0
	s_cmp_lg_u64 s[28:29], 0
	s_subb_u32 s30, s1, s30
	s_sub_u32 s31, s0, s64
	s_cselect_b64 s[28:29], -1, 0
	s_cmp_lg_u64 s[28:29], 0
	s_subb_u32 s35, s30, 0
	;; [unrolled: 4-line block ×3, first 2 shown]
	s_cmp_ge_u32 s31, s64
	s_cselect_b32 s29, -1, 0
	s_cmp_eq_u32 s35, 0
	s_cselect_b32 s29, s29, -1
	s_cmp_lg_u32 s29, 0
	s_cselect_b32 s28, s28, s35
	s_cselect_b32 s31, s36, s31
	s_cmp_ge_u32 s0, s64
	s_cselect_b32 s29, -1, 0
	s_cmp_eq_u32 s30, 0
	s_cselect_b32 s29, s29, -1
	s_cmp_lg_u32 s29, 0
	s_cselect_b32 s29, s28, s30
	s_cselect_b32 s28, s31, s0
	s_cbranch_execnz .LBB125_144
.LBB125_143:                            ;   in Loop: Header=BB125_26 Depth=1
	v_cvt_f32_u32_e32 v2, s64
	s_sub_i32 s0, 0, s64
	v_rcp_iflag_f32_e32 v2, v2
	v_mul_f32_e32 v2, 0x4f7ffffe, v2
	v_cvt_u32_f32_e32 v2, v2
	v_readfirstlane_b32 s28, v2
	s_mul_i32 s0, s0, s28
	s_mul_hi_u32 s0, s28, s0
	s_add_i32 s28, s28, s0
	s_mul_hi_u32 s0, s34, s28
	s_mul_i32 s0, s0, s64
	s_sub_i32 s0, s34, s0
	s_sub_i32 s28, s0, s64
	s_cmp_ge_u32 s0, s64
	s_cselect_b32 s0, s28, s0
	s_sub_i32 s28, s0, s64
	s_cmp_ge_u32 s0, s64
	s_cselect_b32 s78, s28, s0
	s_mov_b64 s[28:29], s[78:79]
.LBB125_144:                            ;   in Loop: Header=BB125_26 Depth=1
	s_sub_u32 s34, s34, s28
	s_subb_u32 s35, s1, s29
	v_cmp_gt_u64_e32 vcc, s[34:35], v[0:1]
	s_mov_b64 s[28:29], 0
	s_mov_b64 s[0:1], 0
                                        ; implicit-def: $vgpr18
	s_and_saveexec_b64 s[30:31], vcc
	s_cbranch_execz .LBB125_159
; %bb.145:                              ;   in Loop: Header=BB125_26 Depth=1
	v_mov_b32_e32 v3, v1
	v_mov_b32_e32 v9, v10
	;; [unrolled: 1-line block ×3, first 2 shown]
                                        ; implicit-def: $sgpr36_sgpr37
	s_branch .LBB125_149
.LBB125_146:                            ;   in Loop: Header=BB125_149 Depth=2
	s_or_b64 exec, exec, s[38:39]
	s_waitcnt lgkmcnt(0)
	s_barrier
	ds_read_b64 v[17:18], v15 offset:3072
	s_waitcnt lgkmcnt(0)
	s_barrier
	v_cmp_neq_f32_e32 vcc, 0, v17
	s_cbranch_vccnz .LBB125_152
; %bb.147:                              ;   in Loop: Header=BB125_149 Depth=2
	v_add_co_u32_e32 v2, vcc, s64, v2
	v_addc_co_u32_e32 v3, vcc, 0, v3, vcc
	v_cmp_le_u64_e32 vcc, s[34:35], v[2:3]
	v_add_u32_e32 v9, s82, v9
	s_mov_b64 s[38:39], 0
	s_orn2_b64 s[40:41], vcc, exec
.LBB125_148:                            ;   in Loop: Header=BB125_149 Depth=2
	s_and_b64 s[40:41], exec, s[40:41]
	s_or_b64 s[0:1], s[40:41], s[0:1]
	s_andn2_b64 s[36:37], s[36:37], exec
	s_and_b64 s[38:39], s[38:39], exec
	s_or_b64 s[36:37], s[36:37], s[38:39]
	s_andn2_b64 exec, exec, s[0:1]
	s_cbranch_execz .LBB125_158
.LBB125_149:                            ;   Parent Loop BB125_26 Depth=1
                                        ; =>  This Inner Loop Header: Depth=2
	v_cmp_gt_u64_e32 vcc, s[8:9], v[2:3]
	s_and_saveexec_b64 s[38:39], vcc
	s_cbranch_execz .LBB125_146
; %bb.150:                              ;   in Loop: Header=BB125_149 Depth=2
	ds_read_b32 v17, v9
	s_waitcnt lgkmcnt(0)
	v_cmp_lt_i32_e32 vcc, -1, v17
	v_cndmask_b32_e32 v14, -1, v33, vcc
	v_xor_b32_e32 v14, v14, v17
	v_cmp_o_f32_e32 vcc, v17, v17
	v_cndmask_b32_e32 v14, -1, v14, vcc
	v_and_b32_e32 v14, v14, v35
	v_cmp_eq_u32_e32 vcc, v14, v30
	s_and_b64 exec, exec, vcc
	s_cbranch_execz .LBB125_146
; %bb.151:                              ;   in Loop: Header=BB125_149 Depth=2
	ds_write_b64 v15, v[16:17] offset:3072
	s_branch .LBB125_146
.LBB125_152:                            ;   in Loop: Header=BB125_149 Depth=2
	s_mov_b64 s[40:41], -1
                                        ; implicit-def: $vgpr2_vgpr3
                                        ; implicit-def: $vgpr9
	s_mov_b64 s[38:39], -1
	s_branch .LBB125_148
.LBB125_153:                            ;   in Loop: Header=BB125_26 Depth=1
                                        ; implicit-def: $sgpr22_sgpr23
	s_branch .LBB125_98
.LBB125_154:                            ;   in Loop: Header=BB125_26 Depth=1
	s_or_b64 exec, exec, s[8:9]
	s_waitcnt lgkmcnt(0)
	s_barrier
	s_mov_b64 s[6:7], exec
	v_readlane_b32 s8, v48, 16
	v_readlane_b32 s9, v48, 17
	s_and_b64 s[8:9], s[6:7], s[8:9]
	s_mov_b64 exec, s[8:9]
	s_cbranch_execz .LBB125_156
; %bb.155:                              ;   in Loop: Header=BB125_26 Depth=1
	ds_read_b32 v2, v15 offset:5144
	s_waitcnt lgkmcnt(0)
	v_ashrrev_i32_e32 v3, 31, v2
	ds_write_b64 v15, v[2:3] offset:5120
.LBB125_156:                            ;   in Loop: Header=BB125_26 Depth=1
	s_or_b64 exec, exec, s[6:7]
	s_waitcnt lgkmcnt(0)
	s_barrier
	s_mov_b64 s[6:7], -1
	s_and_b64 vcc, exec, s[0:1]
	s_cbranch_vccnz .LBB125_42
	s_branch .LBB125_51
.LBB125_157:                            ;   in Loop: Header=BB125_26 Depth=1
                                        ; implicit-def: $sgpr0_sgpr1
	s_branch .LBB125_113
.LBB125_158:                            ;   in Loop: Header=BB125_26 Depth=1
	s_or_b64 exec, exec, s[0:1]
	s_and_b64 s[0:1], s[36:37], exec
.LBB125_159:                            ;   in Loop: Header=BB125_26 Depth=1
	s_or_b64 exec, exec, s[30:31]
.LBB125_160:                            ;   in Loop: Header=BB125_26 Depth=1
	s_and_b64 vcc, exec, s[28:29]
	s_cbranch_vccz .LBB125_175
; %bb.161:                              ;   in Loop: Header=BB125_26 Depth=1
	s_mov_b32 s84, s79
	s_cmp_lg_u64 s[84:85], 0
	s_cbranch_scc0 .LBB125_205
; %bb.162:                              ;   in Loop: Header=BB125_26 Depth=1
	v_cvt_f32_u32_e32 v2, s64
	s_sub_u32 s8, 0, s64
	s_subb_u32 s9, 0, 0
	v_mac_f32_e32 v2, 0, v34
	v_rcp_f32_e32 v2, v2
	v_mul_f32_e32 v2, 0x5f7ffffc, v2
	v_mul_f32_e32 v3, 0x2f800000, v2
	v_trunc_f32_e32 v3, v3
	v_mac_f32_e32 v2, 0xcf800000, v3
	v_cvt_u32_f32_e32 v3, v3
	v_cvt_u32_f32_e32 v2, v2
	v_readfirstlane_b32 s20, v3
	v_readfirstlane_b32 s6, v2
	s_mul_i32 s7, s8, s20
	s_mul_hi_u32 s28, s8, s6
	s_mul_i32 s21, s9, s6
	s_add_i32 s7, s28, s7
	s_mul_i32 s29, s8, s6
	s_add_i32 s7, s7, s21
	s_mul_hi_u32 s28, s6, s29
	s_mul_i32 s30, s6, s7
	s_mul_hi_u32 s21, s6, s7
	s_add_u32 s28, s28, s30
	s_addc_u32 s21, 0, s21
	s_mul_hi_u32 s31, s20, s29
	s_mul_i32 s29, s20, s29
	s_add_u32 s28, s28, s29
	s_mul_hi_u32 s30, s20, s7
	s_addc_u32 s21, s21, s31
	s_addc_u32 s28, s30, 0
	s_mul_i32 s7, s20, s7
	s_add_u32 s7, s21, s7
	s_addc_u32 s21, 0, s28
	s_add_u32 s28, s6, s7
	s_cselect_b64 s[6:7], -1, 0
	s_cmp_lg_u64 s[6:7], 0
	s_addc_u32 s20, s20, s21
	s_mul_i32 s6, s8, s20
	s_mul_hi_u32 s7, s8, s28
	s_add_i32 s6, s7, s6
	s_mul_i32 s9, s9, s28
	s_add_i32 s6, s6, s9
	s_mul_i32 s8, s8, s28
	s_mul_hi_u32 s9, s20, s8
	s_mul_i32 s21, s20, s8
	s_mul_i32 s30, s28, s6
	s_mul_hi_u32 s8, s28, s8
	s_mul_hi_u32 s29, s28, s6
	s_add_u32 s8, s8, s30
	s_addc_u32 s29, 0, s29
	s_add_u32 s8, s8, s21
	s_mul_hi_u32 s7, s20, s6
	s_addc_u32 s8, s29, s9
	s_addc_u32 s7, s7, 0
	s_mul_i32 s6, s20, s6
	s_add_u32 s6, s8, s6
	s_addc_u32 s8, 0, s7
	s_add_u32 s9, s28, s6
	s_cselect_b64 s[6:7], -1, 0
	s_cmp_lg_u64 s[6:7], 0
	s_addc_u32 s6, s20, s8
	s_mul_i32 s8, s2, s6
	s_mul_hi_u32 s20, s2, s9
	s_mul_hi_u32 s7, s2, s6
	s_add_u32 s8, s20, s8
	s_addc_u32 s7, 0, s7
	s_mul_hi_u32 s21, s85, s9
	s_mul_i32 s9, s85, s9
	s_add_u32 s8, s8, s9
	s_mul_hi_u32 s20, s85, s6
	s_addc_u32 s7, s7, s21
	s_addc_u32 s8, s20, 0
	s_mul_i32 s6, s85, s6
	s_add_u32 s6, s7, s6
	s_addc_u32 s7, 0, s8
	s_mul_i32 s7, s64, s7
	s_mul_hi_u32 s8, s64, s6
	s_add_i32 s8, s8, s7
	s_mul_i32 s6, s64, s6
	s_sub_u32 s9, s2, s6
	s_cselect_b64 s[6:7], -1, 0
	s_cmp_lg_u64 s[6:7], 0
	s_subb_u32 s8, s85, s8
	s_sub_u32 s20, s9, s64
	s_cselect_b64 s[6:7], -1, 0
	s_cmp_lg_u64 s[6:7], 0
	s_subb_u32 s21, s8, 0
	;; [unrolled: 4-line block ×3, first 2 shown]
	s_cmp_ge_u32 s20, s64
	s_cselect_b32 s7, -1, 0
	s_cmp_eq_u32 s21, 0
	s_cselect_b32 s7, s7, -1
	s_cmp_lg_u32 s7, 0
	s_cselect_b32 s6, s6, s21
	s_cselect_b32 s20, s28, s20
	s_cmp_ge_u32 s9, s64
	s_cselect_b32 s7, -1, 0
	s_cmp_eq_u32 s8, 0
	s_cselect_b32 s7, s7, -1
	s_cmp_lg_u32 s7, 0
	s_cselect_b32 s7, s6, s8
	s_cselect_b32 s6, s20, s9
	s_cbranch_execnz .LBB125_164
.LBB125_163:                            ;   in Loop: Header=BB125_26 Depth=1
	v_cvt_f32_u32_e32 v2, s64
	s_sub_i32 s6, 0, s64
	v_rcp_iflag_f32_e32 v2, v2
	v_mul_f32_e32 v2, 0x4f7ffffe, v2
	v_cvt_u32_f32_e32 v2, v2
	v_readfirstlane_b32 s7, v2
	s_mul_i32 s6, s6, s7
	s_mul_hi_u32 s6, s7, s6
	s_add_i32 s7, s7, s6
	s_mul_hi_u32 s6, s2, s7
	s_mul_i32 s6, s6, s64
	s_sub_i32 s6, s2, s6
	s_sub_i32 s7, s6, s64
	s_cmp_ge_u32 s6, s64
	s_cselect_b32 s6, s7, s6
	s_sub_i32 s7, s6, s64
	s_cmp_ge_u32 s6, s64
	s_cselect_b32 s78, s7, s6
	s_mov_b64 s[6:7], s[78:79]
.LBB125_164:                            ;   in Loop: Header=BB125_26 Depth=1
	s_sub_u32 s8, s2, s6
	s_subb_u32 s9, s85, s7
	v_cmp_gt_u64_e32 vcc, s[8:9], v[0:1]
                                        ; implicit-def: $vgpr18
	s_and_saveexec_b64 s[6:7], vcc
	s_cbranch_execz .LBB125_174
; %bb.165:                              ;   in Loop: Header=BB125_26 Depth=1
	v_mov_b32_e32 v3, v1
	s_mov_b64 s[20:21], 0
	v_mov_b32_e32 v2, v0
                                        ; implicit-def: $sgpr28_sgpr29
	s_branch .LBB125_169
.LBB125_166:                            ;   in Loop: Header=BB125_169 Depth=2
	s_or_b64 exec, exec, s[30:31]
	s_waitcnt lgkmcnt(0)
	s_barrier
	ds_read_b64 v[17:18], v15 offset:3072
	s_waitcnt lgkmcnt(0)
	s_barrier
	v_cmp_eq_f32_e32 vcc, 0, v17
	s_cbranch_vccz .LBB125_172
; %bb.167:                              ;   in Loop: Header=BB125_169 Depth=2
	v_add_co_u32_e32 v2, vcc, s64, v2
	v_addc_co_u32_e32 v3, vcc, 0, v3, vcc
	v_cmp_le_u64_e32 vcc, s[8:9], v[2:3]
	s_mov_b64 s[30:31], 0
	s_orn2_b64 s[34:35], vcc, exec
.LBB125_168:                            ;   in Loop: Header=BB125_169 Depth=2
	s_and_b64 s[34:35], exec, s[34:35]
	s_or_b64 s[20:21], s[34:35], s[20:21]
	s_andn2_b64 s[28:29], s[28:29], exec
	s_and_b64 s[30:31], s[30:31], exec
	s_or_b64 s[28:29], s[28:29], s[30:31]
	s_andn2_b64 exec, exec, s[20:21]
	s_cbranch_execz .LBB125_173
.LBB125_169:                            ;   Parent Loop BB125_26 Depth=1
                                        ; =>  This Inner Loop Header: Depth=2
	v_cmp_gt_u64_e32 vcc, s[52:53], v[2:3]
	s_and_saveexec_b64 s[30:31], vcc
	s_cbranch_execz .LBB125_166
; %bb.170:                              ;   in Loop: Header=BB125_169 Depth=2
	v_mul_lo_u32 v9, v3, s68
	v_mul_lo_u32 v14, v2, s69
	v_mad_u64_u32 v[17:18], s[34:35], v2, s68, 0
	v_add3_u32 v18, v18, v14, v9
	v_lshlrev_b64 v[17:18], 2, v[17:18]
	v_mov_b32_e32 v9, s65
	v_add_co_u32_e32 v17, vcc, s33, v17
	v_addc_co_u32_e32 v18, vcc, v9, v18, vcc
	global_load_dword v17, v[17:18], off
	s_waitcnt vmcnt(0)
	v_cmp_lt_i32_e32 vcc, -1, v17
	v_cndmask_b32_e32 v9, -1, v33, vcc
	v_xor_b32_e32 v9, v9, v17
	v_cmp_o_f32_e32 vcc, v17, v17
	v_cndmask_b32_e32 v9, -1, v9, vcc
	v_and_b32_e32 v9, v9, v35
	v_cmp_eq_u32_e32 vcc, v9, v30
	s_and_b64 exec, exec, vcc
	s_cbranch_execz .LBB125_166
; %bb.171:                              ;   in Loop: Header=BB125_169 Depth=2
	ds_write_b64 v15, v[16:17] offset:3072
	s_branch .LBB125_166
.LBB125_172:                            ;   in Loop: Header=BB125_169 Depth=2
	s_mov_b64 s[34:35], -1
                                        ; implicit-def: $vgpr2_vgpr3
	s_mov_b64 s[30:31], -1
	s_branch .LBB125_168
.LBB125_173:                            ;   in Loop: Header=BB125_26 Depth=1
	s_or_b64 exec, exec, s[20:21]
	s_andn2_b64 s[0:1], s[0:1], exec
	s_and_b64 s[8:9], s[28:29], exec
	s_or_b64 s[0:1], s[0:1], s[8:9]
.LBB125_174:                            ;   in Loop: Header=BB125_26 Depth=1
	s_or_b64 exec, exec, s[6:7]
	s_mov_b64 s[6:7], 0
	s_mov_b64 s[20:21], -1
.LBB125_175:                            ;   in Loop: Header=BB125_26 Depth=1
	s_orn2_b64 s[0:1], s[0:1], exec
.LBB125_176:                            ;   in Loop: Header=BB125_26 Depth=1
	s_or_b64 exec, exec, s[22:23]
	s_mov_b64 s[8:9], 0
	s_and_saveexec_b64 s[22:23], s[0:1]
	s_cbranch_execz .LBB125_286
; %bb.177:                              ;   in Loop: Header=BB125_26 Depth=1
	v_mov_b32_e32 v2, 1
	s_xor_b64 s[24:25], s[24:25], -1
	v_mov_b32_e32 v8, 1
	v_mov_b32_e32 v3, 0
	s_and_saveexec_b64 s[0:1], s[24:25]
	s_cbranch_execz .LBB125_187
; %bb.178:                              ;   in Loop: Header=BB125_26 Depth=1
	v_cmp_le_u64_e32 vcc, v[6:7], v[4:5]
	s_and_saveexec_b64 s[8:9], vcc
	s_xor_b64 s[8:9], exec, s[8:9]
	s_cbranch_execz .LBB125_184
; %bb.179:                              ;   in Loop: Header=BB125_26 Depth=1
	ds_read_b64 v[2:3], v15 offset:5120
	v_and_b32_e32 v8, s50, v30
	v_lshl_or_b32 v30, 1, s83, v8
	v_or_b32_e32 v35, s27, v35
	s_waitcnt lgkmcnt(0)
	v_cmp_ne_u64_e32 vcc, 0, v[2:3]
	s_cbranch_vccnz .LBB125_183
; %bb.180:                              ;   in Loop: Header=BB125_26 Depth=1
	s_mov_b64 s[24:25], exec
	v_readlane_b32 s28, v48, 16
	v_readlane_b32 s29, v48, 17
	s_and_b64 s[28:29], s[24:25], s[28:29]
	s_mov_b64 exec, s[28:29]
; %bb.181:                              ;   in Loop: Header=BB125_26 Depth=1
	ds_write_b64 v15, v[4:5] offset:5128
; %bb.182:                              ;   in Loop: Header=BB125_26 Depth=1
	s_or_b64 exec, exec, s[24:25]
	s_waitcnt lgkmcnt(0)
	s_barrier
.LBB125_183:                            ;   in Loop: Header=BB125_26 Depth=1
                                        ; implicit-def: $vgpr2_vgpr3_vgpr4_vgpr5
.LBB125_184:                            ;   in Loop: Header=BB125_26 Depth=1
	s_or_saveexec_b64 s[8:9], s[8:9]
	s_mov_b64 s[24:25], 0
	v_mov_b32_e32 v8, 8
	s_xor_b64 exec, exec, s[8:9]
; %bb.185:                              ;   in Loop: Header=BB125_26 Depth=1
	v_sub_co_u32_e32 v6, vcc, v6, v4
	s_mov_b64 s[24:25], exec
	v_subb_co_u32_e32 v7, vcc, v7, v5, vcc
	v_mov_b32_e32 v8, 0
; %bb.186:                              ;   in Loop: Header=BB125_26 Depth=1
	s_or_b64 exec, exec, s[8:9]
	v_mov_b32_e32 v2, v6
	s_and_b64 s[8:9], s[24:25], exec
	v_mov_b32_e32 v3, v7
.LBB125_187:                            ;   in Loop: Header=BB125_26 Depth=1
	s_or_b64 exec, exec, s[0:1]
	s_mov_b64 s[0:1], -1
                                        ; implicit-def: $sgpr28_sgpr29
                                        ; implicit-def: $sgpr30_sgpr31
	s_and_saveexec_b64 s[24:25], s[8:9]
	s_cbranch_execz .LBB125_285
; %bb.188:                              ;   in Loop: Header=BB125_26 Depth=1
	s_cmp_eq_u64 s[18:19], 1
	v_cmp_eq_u64_e32 vcc, 1, v[2:3]
	s_cselect_b64 s[0:1], -1, 0
	s_and_b64 s[36:37], s[0:1], vcc
	s_mov_b64 s[0:1], -1
                                        ; implicit-def: $sgpr30_sgpr31
                                        ; implicit-def: $sgpr28_sgpr29
	s_and_saveexec_b64 s[34:35], s[36:37]
	s_cbranch_execz .LBB125_224
; %bb.189:                              ;   in Loop: Header=BB125_26 Depth=1
	ds_read_b64 v[4:5], v15 offset:5120
	s_waitcnt lgkmcnt(0)
	s_barrier
	v_readfirstlane_b32 s8, v4
	v_readfirstlane_b32 s9, v5
	s_mov_b64 s[0:1], exec
	v_readlane_b32 s28, v48, 26
	v_readlane_b32 s29, v48, 27
	s_and_b64 s[28:29], s[0:1], s[28:29]
	s_mov_b64 exec, s[28:29]
; %bb.190:                              ;   in Loop: Header=BB125_26 Depth=1
	ds_write_b32 v24, v15
; %bb.191:                              ;   in Loop: Header=BB125_26 Depth=1
	s_or_b64 exec, exec, s[0:1]
	v_and_b32_e32 v4, s50, v30
	v_lshl_or_b32 v30, 2, s83, v4
	v_or_b32_e32 v35, s27, v35
	s_mov_b64 s[28:29], -1
	s_mov_b64 s[30:31], 0
	s_cmp_eq_u64 s[8:9], 0
	s_mov_b64 s[0:1], 0
	s_mov_b64 s[38:39], -1
	s_waitcnt lgkmcnt(0)
	s_barrier
                                        ; implicit-def: $vgpr18
	s_cbranch_scc1 .LBB125_208
; %bb.192:                              ;   in Loop: Header=BB125_26 Depth=1
	v_readlane_b32 s0, v48, 32
	s_add_u32 s42, s8, s0
	v_readlane_b32 s0, v48, 33
	s_addc_u32 s1, s9, s0
	s_mov_b32 s0, s79
	s_cmp_lg_u64 s[0:1], 0
	s_cbranch_scc0 .LBB125_251
; %bb.193:                              ;   in Loop: Header=BB125_26 Depth=1
	v_cvt_f32_u32_e32 v4, s64
	s_sub_u32 s0, 0, s64
	s_subb_u32 s40, 0, 0
	v_mac_f32_e32 v4, 0, v34
	v_rcp_f32_e32 v4, v4
	v_mul_f32_e32 v4, 0x5f7ffffc, v4
	v_mul_f32_e32 v5, 0x2f800000, v4
	v_trunc_f32_e32 v5, v5
	v_mac_f32_e32 v4, 0xcf800000, v5
	v_cvt_u32_f32_e32 v5, v5
	v_cvt_u32_f32_e32 v4, v4
	v_readfirstlane_b32 s41, v5
	v_readfirstlane_b32 s38, v4
	s_mul_i32 s39, s0, s41
	s_mul_hi_u32 s44, s0, s38
	s_mul_i32 s43, s40, s38
	s_add_i32 s39, s44, s39
	s_mul_i32 s45, s0, s38
	s_add_i32 s39, s39, s43
	s_mul_hi_u32 s44, s38, s45
	s_mul_i32 s46, s38, s39
	s_mul_hi_u32 s43, s38, s39
	s_add_u32 s44, s44, s46
	s_addc_u32 s43, 0, s43
	s_mul_hi_u32 s47, s41, s45
	s_mul_i32 s45, s41, s45
	s_add_u32 s44, s44, s45
	s_mul_hi_u32 s46, s41, s39
	s_addc_u32 s43, s43, s47
	s_addc_u32 s44, s46, 0
	s_mul_i32 s39, s41, s39
	s_add_u32 s39, s43, s39
	s_addc_u32 s43, 0, s44
	s_add_u32 s44, s38, s39
	s_cselect_b64 s[38:39], -1, 0
	s_cmp_lg_u64 s[38:39], 0
	s_addc_u32 s41, s41, s43
	s_mul_i32 s38, s0, s41
	s_mul_hi_u32 s39, s0, s44
	s_add_i32 s38, s39, s38
	s_mul_i32 s40, s40, s44
	s_add_i32 s38, s38, s40
	s_mul_i32 s0, s0, s44
	s_mul_hi_u32 s40, s41, s0
	s_mul_i32 s43, s41, s0
	s_mul_i32 s46, s44, s38
	s_mul_hi_u32 s0, s44, s0
	s_mul_hi_u32 s45, s44, s38
	s_add_u32 s0, s0, s46
	s_addc_u32 s45, 0, s45
	s_add_u32 s0, s0, s43
	s_mul_hi_u32 s39, s41, s38
	s_addc_u32 s0, s45, s40
	s_addc_u32 s39, s39, 0
	s_mul_i32 s38, s41, s38
	s_add_u32 s0, s0, s38
	s_addc_u32 s40, 0, s39
	s_add_u32 s0, s44, s0
	s_cselect_b64 s[38:39], -1, 0
	s_cmp_lg_u64 s[38:39], 0
	s_addc_u32 s38, s41, s40
	s_mul_i32 s40, s42, s38
	s_mul_hi_u32 s41, s42, s0
	s_mul_hi_u32 s39, s42, s38
	s_add_u32 s40, s41, s40
	s_addc_u32 s39, 0, s39
	s_mul_hi_u32 s43, s1, s0
	s_mul_i32 s0, s1, s0
	s_add_u32 s0, s40, s0
	s_mul_hi_u32 s41, s1, s38
	s_addc_u32 s0, s39, s43
	s_addc_u32 s39, s41, 0
	s_mul_i32 s38, s1, s38
	s_add_u32 s0, s0, s38
	s_addc_u32 s38, 0, s39
	s_mul_i32 s38, s64, s38
	s_mul_hi_u32 s39, s64, s0
	s_add_i32 s40, s39, s38
	s_mul_i32 s0, s64, s0
	s_sub_u32 s0, s42, s0
	s_cselect_b64 s[38:39], -1, 0
	s_cmp_lg_u64 s[38:39], 0
	s_subb_u32 s40, s1, s40
	s_sub_u32 s41, s0, s64
	s_cselect_b64 s[38:39], -1, 0
	s_cmp_lg_u64 s[38:39], 0
	s_subb_u32 s43, s40, 0
	;; [unrolled: 4-line block ×3, first 2 shown]
	s_cmp_ge_u32 s41, s64
	s_cselect_b32 s39, -1, 0
	s_cmp_eq_u32 s43, 0
	s_cselect_b32 s39, s39, -1
	s_cmp_lg_u32 s39, 0
	s_cselect_b32 s38, s38, s43
	s_cselect_b32 s41, s44, s41
	s_cmp_ge_u32 s0, s64
	s_cselect_b32 s39, -1, 0
	s_cmp_eq_u32 s40, 0
	s_cselect_b32 s39, s39, -1
	s_cmp_lg_u32 s39, 0
	s_cselect_b32 s39, s38, s40
	s_cselect_b32 s38, s41, s0
	s_cbranch_execnz .LBB125_195
.LBB125_194:                            ;   in Loop: Header=BB125_26 Depth=1
	v_cvt_f32_u32_e32 v4, s64
	s_sub_i32 s0, 0, s64
	v_rcp_iflag_f32_e32 v4, v4
	v_mul_f32_e32 v4, 0x4f7ffffe, v4
	v_cvt_u32_f32_e32 v4, v4
	v_readfirstlane_b32 s38, v4
	s_mul_i32 s0, s0, s38
	s_mul_hi_u32 s0, s38, s0
	s_add_i32 s38, s38, s0
	s_mul_hi_u32 s0, s42, s38
	s_mul_i32 s0, s0, s64
	s_sub_i32 s0, s42, s0
	s_sub_i32 s38, s0, s64
	s_cmp_ge_u32 s0, s64
	s_cselect_b32 s0, s38, s0
	s_sub_i32 s38, s0, s64
	s_cmp_ge_u32 s0, s64
	s_cselect_b32 s78, s38, s0
	s_mov_b64 s[38:39], s[78:79]
.LBB125_195:                            ;   in Loop: Header=BB125_26 Depth=1
	s_sub_u32 s42, s42, s38
	s_subb_u32 s43, s1, s39
	v_cmp_gt_u64_e32 vcc, s[42:43], v[0:1]
	s_mov_b64 s[38:39], 0
	s_mov_b64 s[0:1], 0
                                        ; implicit-def: $vgpr18
	s_and_saveexec_b64 s[40:41], vcc
	s_cbranch_execz .LBB125_207
; %bb.196:                              ;   in Loop: Header=BB125_26 Depth=1
	v_mov_b32_e32 v5, v1
	v_mov_b32_e32 v6, v10
	;; [unrolled: 1-line block ×3, first 2 shown]
                                        ; implicit-def: $sgpr44_sgpr45
	s_branch .LBB125_200
.LBB125_197:                            ;   in Loop: Header=BB125_200 Depth=2
	s_or_b64 exec, exec, s[46:47]
	s_waitcnt lgkmcnt(0)
	s_barrier
	ds_read_b64 v[17:18], v15 offset:3072
	s_waitcnt lgkmcnt(0)
	s_barrier
	v_cmp_neq_f32_e32 vcc, 0, v17
	s_cbranch_vccnz .LBB125_203
; %bb.198:                              ;   in Loop: Header=BB125_200 Depth=2
	v_add_co_u32_e32 v4, vcc, s64, v4
	v_addc_co_u32_e32 v5, vcc, 0, v5, vcc
	v_cmp_le_u64_e32 vcc, s[42:43], v[4:5]
	v_add_u32_e32 v6, s82, v6
	s_mov_b64 s[46:47], 0
	s_orn2_b64 s[48:49], vcc, exec
.LBB125_199:                            ;   in Loop: Header=BB125_200 Depth=2
	s_and_b64 s[48:49], exec, s[48:49]
	s_or_b64 s[0:1], s[48:49], s[0:1]
	s_andn2_b64 s[44:45], s[44:45], exec
	s_and_b64 s[46:47], s[46:47], exec
	s_or_b64 s[44:45], s[44:45], s[46:47]
	s_andn2_b64 exec, exec, s[0:1]
	s_cbranch_execz .LBB125_206
.LBB125_200:                            ;   Parent Loop BB125_26 Depth=1
                                        ; =>  This Inner Loop Header: Depth=2
	v_cmp_gt_u64_e32 vcc, s[8:9], v[4:5]
	s_and_saveexec_b64 s[46:47], vcc
	s_cbranch_execz .LBB125_197
; %bb.201:                              ;   in Loop: Header=BB125_200 Depth=2
	ds_read_b32 v17, v6
	s_waitcnt lgkmcnt(0)
	v_cmp_lt_i32_e32 vcc, -1, v17
	v_cndmask_b32_e32 v7, -1, v33, vcc
	v_xor_b32_e32 v7, v7, v17
	v_cmp_o_f32_e32 vcc, v17, v17
	v_cndmask_b32_e32 v7, -1, v7, vcc
	v_and_b32_e32 v7, v7, v35
	v_cmp_eq_u32_e32 vcc, v7, v30
	s_and_b64 exec, exec, vcc
	s_cbranch_execz .LBB125_197
; %bb.202:                              ;   in Loop: Header=BB125_200 Depth=2
	ds_write_b64 v15, v[16:17] offset:3072
	s_branch .LBB125_197
.LBB125_203:                            ;   in Loop: Header=BB125_200 Depth=2
	s_mov_b64 s[48:49], -1
                                        ; implicit-def: $vgpr4_vgpr5
                                        ; implicit-def: $vgpr6
	s_mov_b64 s[46:47], -1
	s_branch .LBB125_199
.LBB125_204:                            ;   in Loop: Header=BB125_26 Depth=1
                                        ; implicit-def: $sgpr28_sgpr29
	s_branch .LBB125_143
.LBB125_205:                            ;   in Loop: Header=BB125_26 Depth=1
                                        ; implicit-def: $sgpr6_sgpr7
	s_branch .LBB125_163
.LBB125_206:                            ;   in Loop: Header=BB125_26 Depth=1
	s_or_b64 exec, exec, s[0:1]
	s_and_b64 s[0:1], s[44:45], exec
.LBB125_207:                            ;   in Loop: Header=BB125_26 Depth=1
	s_or_b64 exec, exec, s[40:41]
.LBB125_208:                            ;   in Loop: Header=BB125_26 Depth=1
	s_and_b64 vcc, exec, s[38:39]
	s_cbranch_vccz .LBB125_223
; %bb.209:                              ;   in Loop: Header=BB125_26 Depth=1
	s_mov_b32 s84, s79
	s_cmp_lg_u64 s[84:85], 0
	s_cbranch_scc0 .LBB125_252
; %bb.210:                              ;   in Loop: Header=BB125_26 Depth=1
	v_cvt_f32_u32_e32 v4, s64
	s_sub_u32 s28, 0, s64
	s_subb_u32 s29, 0, 0
	v_mac_f32_e32 v4, 0, v34
	v_rcp_f32_e32 v4, v4
	v_mul_f32_e32 v4, 0x5f7ffffc, v4
	v_mul_f32_e32 v5, 0x2f800000, v4
	v_trunc_f32_e32 v5, v5
	v_mac_f32_e32 v4, 0xcf800000, v5
	v_cvt_u32_f32_e32 v5, v5
	v_cvt_u32_f32_e32 v4, v4
	v_readfirstlane_b32 s30, v5
	v_readfirstlane_b32 s8, v4
	s_mul_i32 s9, s28, s30
	s_mul_hi_u32 s38, s28, s8
	s_mul_i32 s31, s29, s8
	s_add_i32 s9, s38, s9
	s_mul_i32 s39, s28, s8
	s_add_i32 s9, s9, s31
	s_mul_hi_u32 s38, s8, s39
	s_mul_i32 s40, s8, s9
	s_mul_hi_u32 s31, s8, s9
	s_add_u32 s38, s38, s40
	s_addc_u32 s31, 0, s31
	s_mul_hi_u32 s41, s30, s39
	s_mul_i32 s39, s30, s39
	s_add_u32 s38, s38, s39
	s_mul_hi_u32 s40, s30, s9
	s_addc_u32 s31, s31, s41
	s_addc_u32 s38, s40, 0
	s_mul_i32 s9, s30, s9
	s_add_u32 s9, s31, s9
	s_addc_u32 s31, 0, s38
	s_add_u32 s38, s8, s9
	s_cselect_b64 s[8:9], -1, 0
	s_cmp_lg_u64 s[8:9], 0
	s_addc_u32 s30, s30, s31
	s_mul_i32 s8, s28, s30
	s_mul_hi_u32 s9, s28, s38
	s_add_i32 s8, s9, s8
	s_mul_i32 s29, s29, s38
	s_add_i32 s8, s8, s29
	s_mul_i32 s28, s28, s38
	s_mul_hi_u32 s29, s30, s28
	s_mul_i32 s31, s30, s28
	s_mul_i32 s40, s38, s8
	s_mul_hi_u32 s28, s38, s28
	s_mul_hi_u32 s39, s38, s8
	s_add_u32 s28, s28, s40
	s_addc_u32 s39, 0, s39
	s_add_u32 s28, s28, s31
	s_mul_hi_u32 s9, s30, s8
	s_addc_u32 s28, s39, s29
	s_addc_u32 s9, s9, 0
	s_mul_i32 s8, s30, s8
	s_add_u32 s8, s28, s8
	s_addc_u32 s28, 0, s9
	s_add_u32 s29, s38, s8
	s_cselect_b64 s[8:9], -1, 0
	s_cmp_lg_u64 s[8:9], 0
	s_addc_u32 s8, s30, s28
	s_mul_i32 s28, s2, s8
	s_mul_hi_u32 s30, s2, s29
	s_mul_hi_u32 s9, s2, s8
	s_add_u32 s28, s30, s28
	s_addc_u32 s9, 0, s9
	s_mul_hi_u32 s31, s85, s29
	s_mul_i32 s29, s85, s29
	s_add_u32 s28, s28, s29
	s_mul_hi_u32 s30, s85, s8
	s_addc_u32 s9, s9, s31
	s_addc_u32 s28, s30, 0
	s_mul_i32 s8, s85, s8
	s_add_u32 s8, s9, s8
	s_addc_u32 s9, 0, s28
	s_mul_i32 s9, s64, s9
	s_mul_hi_u32 s28, s64, s8
	s_add_i32 s28, s28, s9
	s_mul_i32 s8, s64, s8
	s_sub_u32 s29, s2, s8
	s_cselect_b64 s[8:9], -1, 0
	s_cmp_lg_u64 s[8:9], 0
	s_subb_u32 s28, s85, s28
	s_sub_u32 s30, s29, s64
	s_cselect_b64 s[8:9], -1, 0
	s_cmp_lg_u64 s[8:9], 0
	s_subb_u32 s31, s28, 0
	;; [unrolled: 4-line block ×3, first 2 shown]
	s_cmp_ge_u32 s30, s64
	s_cselect_b32 s9, -1, 0
	s_cmp_eq_u32 s31, 0
	s_cselect_b32 s9, s9, -1
	s_cmp_lg_u32 s9, 0
	s_cselect_b32 s8, s8, s31
	s_cselect_b32 s30, s38, s30
	s_cmp_ge_u32 s29, s64
	s_cselect_b32 s9, -1, 0
	s_cmp_eq_u32 s28, 0
	s_cselect_b32 s9, s9, -1
	s_cmp_lg_u32 s9, 0
	s_cselect_b32 s9, s8, s28
	s_cselect_b32 s8, s30, s29
	s_cbranch_execnz .LBB125_212
.LBB125_211:                            ;   in Loop: Header=BB125_26 Depth=1
	v_cvt_f32_u32_e32 v4, s64
	s_sub_i32 s8, 0, s64
	v_rcp_iflag_f32_e32 v4, v4
	v_mul_f32_e32 v4, 0x4f7ffffe, v4
	v_cvt_u32_f32_e32 v4, v4
	v_readfirstlane_b32 s9, v4
	s_mul_i32 s8, s8, s9
	s_mul_hi_u32 s8, s9, s8
	s_add_i32 s9, s9, s8
	s_mul_hi_u32 s8, s2, s9
	s_mul_i32 s8, s8, s64
	s_sub_i32 s8, s2, s8
	s_sub_i32 s9, s8, s64
	s_cmp_ge_u32 s8, s64
	s_cselect_b32 s8, s9, s8
	s_sub_i32 s9, s8, s64
	s_cmp_ge_u32 s8, s64
	s_cselect_b32 s78, s9, s8
	s_mov_b64 s[8:9], s[78:79]
.LBB125_212:                            ;   in Loop: Header=BB125_26 Depth=1
	s_sub_u32 s28, s2, s8
	s_subb_u32 s29, s85, s9
	v_cmp_gt_u64_e32 vcc, s[28:29], v[0:1]
                                        ; implicit-def: $vgpr18
	s_and_saveexec_b64 s[8:9], vcc
	s_cbranch_execz .LBB125_222
; %bb.213:                              ;   in Loop: Header=BB125_26 Depth=1
	v_mov_b32_e32 v5, v1
	s_mov_b64 s[30:31], 0
	v_mov_b32_e32 v4, v0
                                        ; implicit-def: $sgpr38_sgpr39
	s_branch .LBB125_217
.LBB125_214:                            ;   in Loop: Header=BB125_217 Depth=2
	s_or_b64 exec, exec, s[40:41]
	s_waitcnt lgkmcnt(0)
	s_barrier
	ds_read_b64 v[17:18], v15 offset:3072
	s_waitcnt lgkmcnt(0)
	s_barrier
	v_cmp_eq_f32_e32 vcc, 0, v17
	s_cbranch_vccz .LBB125_220
; %bb.215:                              ;   in Loop: Header=BB125_217 Depth=2
	v_add_co_u32_e32 v4, vcc, s64, v4
	v_addc_co_u32_e32 v5, vcc, 0, v5, vcc
	v_cmp_le_u64_e32 vcc, s[28:29], v[4:5]
	s_mov_b64 s[40:41], 0
	s_orn2_b64 s[42:43], vcc, exec
.LBB125_216:                            ;   in Loop: Header=BB125_217 Depth=2
	s_and_b64 s[42:43], exec, s[42:43]
	s_or_b64 s[30:31], s[42:43], s[30:31]
	s_andn2_b64 s[38:39], s[38:39], exec
	s_and_b64 s[40:41], s[40:41], exec
	s_or_b64 s[38:39], s[38:39], s[40:41]
	s_andn2_b64 exec, exec, s[30:31]
	s_cbranch_execz .LBB125_221
.LBB125_217:                            ;   Parent Loop BB125_26 Depth=1
                                        ; =>  This Inner Loop Header: Depth=2
	v_cmp_gt_u64_e32 vcc, s[52:53], v[4:5]
	s_and_saveexec_b64 s[40:41], vcc
	s_cbranch_execz .LBB125_214
; %bb.218:                              ;   in Loop: Header=BB125_217 Depth=2
	v_mul_lo_u32 v9, v5, s68
	v_mul_lo_u32 v14, v4, s69
	v_mad_u64_u32 v[6:7], s[42:43], v4, s68, 0
	v_add3_u32 v7, v7, v14, v9
	v_lshlrev_b64 v[6:7], 2, v[6:7]
	v_mov_b32_e32 v9, s65
	v_add_co_u32_e32 v6, vcc, s33, v6
	v_addc_co_u32_e32 v7, vcc, v9, v7, vcc
	global_load_dword v17, v[6:7], off
	s_waitcnt vmcnt(0)
	v_cmp_lt_i32_e32 vcc, -1, v17
	v_cndmask_b32_e32 v6, -1, v33, vcc
	v_xor_b32_e32 v6, v6, v17
	v_cmp_o_f32_e32 vcc, v17, v17
	v_cndmask_b32_e32 v6, -1, v6, vcc
	v_and_b32_e32 v6, v6, v35
	v_cmp_eq_u32_e32 vcc, v6, v30
	s_and_b64 exec, exec, vcc
	s_cbranch_execz .LBB125_214
; %bb.219:                              ;   in Loop: Header=BB125_217 Depth=2
	ds_write_b64 v15, v[16:17] offset:3072
	s_branch .LBB125_214
.LBB125_220:                            ;   in Loop: Header=BB125_217 Depth=2
	s_mov_b64 s[42:43], -1
                                        ; implicit-def: $vgpr4_vgpr5
	s_mov_b64 s[40:41], -1
	s_branch .LBB125_216
.LBB125_221:                            ;   in Loop: Header=BB125_26 Depth=1
	s_or_b64 exec, exec, s[30:31]
	s_andn2_b64 s[0:1], s[0:1], exec
	s_and_b64 s[28:29], s[38:39], exec
	s_or_b64 s[0:1], s[0:1], s[28:29]
.LBB125_222:                            ;   in Loop: Header=BB125_26 Depth=1
	s_or_b64 exec, exec, s[8:9]
	s_mov_b64 s[28:29], 0
	s_mov_b64 s[30:31], -1
.LBB125_223:                            ;   in Loop: Header=BB125_26 Depth=1
	s_orn2_b64 s[0:1], s[0:1], exec
.LBB125_224:                            ;   in Loop: Header=BB125_26 Depth=1
	s_or_b64 exec, exec, s[34:35]
	s_mov_b64 s[8:9], 0
	s_and_saveexec_b64 s[34:35], s[0:1]
	s_cbranch_execz .LBB125_284
; %bb.225:                              ;   in Loop: Header=BB125_26 Depth=1
	v_mov_b32_e32 v4, 1
	s_xor_b64 s[36:37], s[36:37], -1
	v_mov_b32_e32 v8, 1
	v_mov_b32_e32 v5, 0
	s_and_saveexec_b64 s[0:1], s[36:37]
	s_cbranch_execz .LBB125_234
; %bb.226:                              ;   in Loop: Header=BB125_26 Depth=1
	v_cmp_ge_u64_e32 vcc, s[18:19], v[2:3]
	s_and_saveexec_b64 s[8:9], vcc
	s_xor_b64 s[8:9], exec, s[8:9]
	s_cbranch_execz .LBB125_231
; %bb.227:                              ;   in Loop: Header=BB125_26 Depth=1
	ds_read_b64 v[4:5], v15 offset:5120
	v_and_b32_e32 v6, s50, v30
	v_lshl_or_b32 v30, 2, s83, v6
	v_or_b32_e32 v35, s27, v35
	s_waitcnt lgkmcnt(0)
	v_cmp_ne_u64_e32 vcc, 0, v[4:5]
	s_cbranch_vccnz .LBB125_231
; %bb.228:                              ;   in Loop: Header=BB125_26 Depth=1
	s_mov_b64 s[36:37], exec
	v_readlane_b32 s38, v48, 16
	v_readlane_b32 s39, v48, 17
	s_and_b64 s[38:39], s[36:37], s[38:39]
	s_mov_b64 exec, s[38:39]
; %bb.229:                              ;   in Loop: Header=BB125_26 Depth=1
	v_mov_b32_e32 v4, s18
	v_mov_b32_e32 v5, s19
	ds_write_b64 v15, v[4:5] offset:5128
; %bb.230:                              ;   in Loop: Header=BB125_26 Depth=1
	s_or_b64 exec, exec, s[36:37]
	s_waitcnt lgkmcnt(0)
	s_barrier
.LBB125_231:                            ;   in Loop: Header=BB125_26 Depth=1
	s_or_saveexec_b64 s[8:9], s[8:9]
	s_mov_b64 s[36:37], 0
	v_mov_b32_e32 v8, 8
	s_xor_b64 exec, exec, s[8:9]
; %bb.232:                              ;   in Loop: Header=BB125_26 Depth=1
	v_mov_b32_e32 v4, s19
	v_subrev_co_u32_e32 v2, vcc, s18, v2
	s_mov_b64 s[36:37], exec
	v_subb_co_u32_e32 v3, vcc, v3, v4, vcc
	v_mov_b32_e32 v8, 0
; %bb.233:                              ;   in Loop: Header=BB125_26 Depth=1
	s_or_b64 exec, exec, s[8:9]
	v_mov_b32_e32 v5, v3
	s_and_b64 s[8:9], s[36:37], exec
	v_mov_b32_e32 v4, v2
.LBB125_234:                            ;   in Loop: Header=BB125_26 Depth=1
	s_or_b64 exec, exec, s[0:1]
	s_mov_b64 s[0:1], -1
                                        ; implicit-def: $sgpr42_sgpr43
                                        ; implicit-def: $sgpr40_sgpr41
	s_and_saveexec_b64 s[18:19], s[8:9]
	s_cbranch_execz .LBB125_283
; %bb.235:                              ;   in Loop: Header=BB125_26 Depth=1
	s_cmp_eq_u64 s[10:11], 1
	v_cmp_eq_u64_e32 vcc, 1, v[4:5]
	s_cselect_b64 s[0:1], -1, 0
	s_and_b64 s[36:37], s[0:1], vcc
	s_mov_b64 s[8:9], -1
                                        ; implicit-def: $sgpr42_sgpr43
                                        ; implicit-def: $sgpr40_sgpr41
	s_and_saveexec_b64 s[38:39], s[36:37]
	s_cbranch_execz .LBB125_271
; %bb.236:                              ;   in Loop: Header=BB125_26 Depth=1
	ds_read_b64 v[2:3], v15 offset:5120
	s_waitcnt lgkmcnt(0)
	s_barrier
	v_readfirstlane_b32 s8, v2
	v_readfirstlane_b32 s9, v3
	s_mov_b64 s[0:1], exec
	v_readlane_b32 s40, v48, 26
	v_readlane_b32 s41, v48, 27
	s_and_b64 s[40:41], s[0:1], s[40:41]
	s_mov_b64 exec, s[40:41]
; %bb.237:                              ;   in Loop: Header=BB125_26 Depth=1
	ds_write_b32 v24, v15
; %bb.238:                              ;   in Loop: Header=BB125_26 Depth=1
	s_or_b64 exec, exec, s[0:1]
	v_or_b32_e32 v30, s27, v30
	v_or_b32_e32 v35, s27, v35
	s_mov_b64 s[40:41], -1
	s_mov_b64 s[42:43], 0
	s_cmp_eq_u64 s[8:9], 0
	s_mov_b64 s[0:1], 0
	s_mov_b64 s[44:45], -1
	s_waitcnt lgkmcnt(0)
	s_barrier
                                        ; implicit-def: $vgpr18
	s_cbranch_scc1 .LBB125_255
; %bb.239:                              ;   in Loop: Header=BB125_26 Depth=1
	v_readlane_b32 s0, v48, 32
	s_add_u32 s48, s8, s0
	v_readlane_b32 s0, v48, 33
	s_addc_u32 s1, s9, s0
	s_mov_b32 s0, s79
	s_cmp_lg_u64 s[0:1], 0
	s_cbranch_scc0 .LBB125_290
; %bb.240:                              ;   in Loop: Header=BB125_26 Depth=1
	v_cvt_f32_u32_e32 v2, s64
	s_sub_u32 s0, 0, s64
	s_subb_u32 s46, 0, 0
	v_mac_f32_e32 v2, 0, v34
	v_rcp_f32_e32 v2, v2
	v_mul_f32_e32 v2, 0x5f7ffffc, v2
	v_mul_f32_e32 v3, 0x2f800000, v2
	v_trunc_f32_e32 v3, v3
	v_mac_f32_e32 v2, 0xcf800000, v3
	v_cvt_u32_f32_e32 v3, v3
	v_cvt_u32_f32_e32 v2, v2
	v_readfirstlane_b32 s47, v3
	v_readfirstlane_b32 s44, v2
	s_mul_i32 s45, s0, s47
	s_mul_hi_u32 s50, s0, s44
	s_mul_i32 s49, s46, s44
	s_add_i32 s45, s50, s45
	s_mul_i32 s51, s0, s44
	s_add_i32 s45, s45, s49
	s_mul_hi_u32 s50, s44, s51
	s_mul_i32 s54, s44, s45
	s_mul_hi_u32 s49, s44, s45
	s_add_u32 s50, s50, s54
	s_addc_u32 s49, 0, s49
	s_mul_hi_u32 s55, s47, s51
	s_mul_i32 s51, s47, s51
	s_add_u32 s50, s50, s51
	s_mul_hi_u32 s54, s47, s45
	s_addc_u32 s49, s49, s55
	s_addc_u32 s50, s54, 0
	s_mul_i32 s45, s47, s45
	s_add_u32 s45, s49, s45
	s_addc_u32 s49, 0, s50
	s_add_u32 s50, s44, s45
	s_cselect_b64 s[44:45], -1, 0
	s_cmp_lg_u64 s[44:45], 0
	s_addc_u32 s47, s47, s49
	s_mul_i32 s44, s0, s47
	s_mul_hi_u32 s45, s0, s50
	s_add_i32 s44, s45, s44
	s_mul_i32 s46, s46, s50
	s_add_i32 s44, s44, s46
	s_mul_i32 s0, s0, s50
	s_mul_hi_u32 s46, s47, s0
	s_mul_i32 s49, s47, s0
	s_mul_i32 s54, s50, s44
	s_mul_hi_u32 s0, s50, s0
	s_mul_hi_u32 s51, s50, s44
	s_add_u32 s0, s0, s54
	s_addc_u32 s51, 0, s51
	s_add_u32 s0, s0, s49
	s_mul_hi_u32 s45, s47, s44
	s_addc_u32 s0, s51, s46
	s_addc_u32 s45, s45, 0
	s_mul_i32 s44, s47, s44
	s_add_u32 s0, s0, s44
	s_addc_u32 s46, 0, s45
	s_add_u32 s0, s50, s0
	s_cselect_b64 s[44:45], -1, 0
	s_cmp_lg_u64 s[44:45], 0
	s_addc_u32 s44, s47, s46
	s_mul_i32 s46, s48, s44
	s_mul_hi_u32 s47, s48, s0
	s_mul_hi_u32 s45, s48, s44
	s_add_u32 s46, s47, s46
	s_addc_u32 s45, 0, s45
	s_mul_hi_u32 s49, s1, s0
	s_mul_i32 s0, s1, s0
	s_add_u32 s0, s46, s0
	s_mul_hi_u32 s47, s1, s44
	s_addc_u32 s0, s45, s49
	s_addc_u32 s45, s47, 0
	s_mul_i32 s44, s1, s44
	s_add_u32 s0, s0, s44
	s_addc_u32 s44, 0, s45
	s_mul_i32 s44, s64, s44
	s_mul_hi_u32 s45, s64, s0
	s_add_i32 s46, s45, s44
	s_mul_i32 s0, s64, s0
	s_sub_u32 s0, s48, s0
	s_cselect_b64 s[44:45], -1, 0
	s_cmp_lg_u64 s[44:45], 0
	s_subb_u32 s46, s1, s46
	s_sub_u32 s47, s0, s64
	s_cselect_b64 s[44:45], -1, 0
	s_cmp_lg_u64 s[44:45], 0
	s_subb_u32 s49, s46, 0
	;; [unrolled: 4-line block ×3, first 2 shown]
	s_cmp_ge_u32 s47, s64
	s_cselect_b32 s45, -1, 0
	s_cmp_eq_u32 s49, 0
	s_cselect_b32 s45, s45, -1
	s_cmp_lg_u32 s45, 0
	s_cselect_b32 s44, s44, s49
	s_cselect_b32 s47, s50, s47
	s_cmp_ge_u32 s0, s64
	s_cselect_b32 s45, -1, 0
	s_cmp_eq_u32 s46, 0
	s_cselect_b32 s45, s45, -1
	s_cmp_lg_u32 s45, 0
	s_cselect_b32 s45, s44, s46
	s_cselect_b32 s44, s47, s0
	s_cbranch_execnz .LBB125_242
.LBB125_241:                            ;   in Loop: Header=BB125_26 Depth=1
	v_cvt_f32_u32_e32 v2, s64
	s_sub_i32 s0, 0, s64
	v_rcp_iflag_f32_e32 v2, v2
	v_mul_f32_e32 v2, 0x4f7ffffe, v2
	v_cvt_u32_f32_e32 v2, v2
	v_readfirstlane_b32 s44, v2
	s_mul_i32 s0, s0, s44
	s_mul_hi_u32 s0, s44, s0
	s_add_i32 s44, s44, s0
	s_mul_hi_u32 s0, s48, s44
	s_mul_i32 s0, s0, s64
	s_sub_i32 s0, s48, s0
	s_sub_i32 s44, s0, s64
	s_cmp_ge_u32 s0, s64
	s_cselect_b32 s0, s44, s0
	s_sub_i32 s44, s0, s64
	s_cmp_ge_u32 s0, s64
	s_cselect_b32 s78, s44, s0
	s_mov_b64 s[44:45], s[78:79]
.LBB125_242:                            ;   in Loop: Header=BB125_26 Depth=1
	s_sub_u32 s48, s48, s44
	s_subb_u32 s49, s1, s45
	v_cmp_gt_u64_e32 vcc, s[48:49], v[0:1]
	s_mov_b64 s[44:45], 0
	s_mov_b64 s[0:1], 0
                                        ; implicit-def: $vgpr18
	s_and_saveexec_b64 s[46:47], vcc
	s_cbranch_execz .LBB125_254
; %bb.243:                              ;   in Loop: Header=BB125_26 Depth=1
	v_mov_b32_e32 v3, v1
	v_mov_b32_e32 v6, v10
	;; [unrolled: 1-line block ×3, first 2 shown]
                                        ; implicit-def: $sgpr50_sgpr51
	s_branch .LBB125_247
.LBB125_244:                            ;   in Loop: Header=BB125_247 Depth=2
	s_or_b64 exec, exec, s[54:55]
	s_waitcnt lgkmcnt(0)
	s_barrier
	ds_read_b64 v[17:18], v15 offset:3072
	s_waitcnt lgkmcnt(0)
	s_barrier
	v_cmp_neq_f32_e32 vcc, 0, v17
	s_cbranch_vccnz .LBB125_250
; %bb.245:                              ;   in Loop: Header=BB125_247 Depth=2
	v_add_co_u32_e32 v2, vcc, s64, v2
	v_addc_co_u32_e32 v3, vcc, 0, v3, vcc
	v_cmp_le_u64_e32 vcc, s[48:49], v[2:3]
	v_add_u32_e32 v6, s82, v6
	s_mov_b64 s[54:55], 0
	s_orn2_b64 s[60:61], vcc, exec
.LBB125_246:                            ;   in Loop: Header=BB125_247 Depth=2
	s_and_b64 s[60:61], exec, s[60:61]
	s_or_b64 s[0:1], s[60:61], s[0:1]
	s_andn2_b64 s[50:51], s[50:51], exec
	s_and_b64 s[54:55], s[54:55], exec
	s_or_b64 s[50:51], s[50:51], s[54:55]
	s_andn2_b64 exec, exec, s[0:1]
	s_cbranch_execz .LBB125_253
.LBB125_247:                            ;   Parent Loop BB125_26 Depth=1
                                        ; =>  This Inner Loop Header: Depth=2
	v_cmp_gt_u64_e32 vcc, s[8:9], v[2:3]
	s_and_saveexec_b64 s[54:55], vcc
	s_cbranch_execz .LBB125_244
; %bb.248:                              ;   in Loop: Header=BB125_247 Depth=2
	ds_read_b32 v17, v6
	s_waitcnt lgkmcnt(0)
	v_cmp_lt_i32_e32 vcc, -1, v17
	v_cndmask_b32_e32 v7, -1, v33, vcc
	v_xor_b32_e32 v7, v7, v17
	v_cmp_o_f32_e32 vcc, v17, v17
	v_cndmask_b32_e32 v7, -1, v7, vcc
	v_and_b32_e32 v7, v7, v35
	v_cmp_eq_u32_e32 vcc, v7, v30
	s_and_b64 exec, exec, vcc
	s_cbranch_execz .LBB125_244
; %bb.249:                              ;   in Loop: Header=BB125_247 Depth=2
	ds_write_b64 v15, v[16:17] offset:3072
	s_branch .LBB125_244
.LBB125_250:                            ;   in Loop: Header=BB125_247 Depth=2
	s_mov_b64 s[60:61], -1
                                        ; implicit-def: $vgpr2_vgpr3
                                        ; implicit-def: $vgpr6
	s_mov_b64 s[54:55], -1
	s_branch .LBB125_246
.LBB125_251:                            ;   in Loop: Header=BB125_26 Depth=1
                                        ; implicit-def: $sgpr38_sgpr39
	s_branch .LBB125_194
.LBB125_252:                            ;   in Loop: Header=BB125_26 Depth=1
                                        ; implicit-def: $sgpr8_sgpr9
	s_branch .LBB125_211
.LBB125_253:                            ;   in Loop: Header=BB125_26 Depth=1
	s_or_b64 exec, exec, s[0:1]
	s_and_b64 s[0:1], s[50:51], exec
.LBB125_254:                            ;   in Loop: Header=BB125_26 Depth=1
	s_or_b64 exec, exec, s[46:47]
.LBB125_255:                            ;   in Loop: Header=BB125_26 Depth=1
	s_and_b64 vcc, exec, s[44:45]
	s_cbranch_vccz .LBB125_270
; %bb.256:                              ;   in Loop: Header=BB125_26 Depth=1
	s_mov_b32 s84, s79
	s_cmp_lg_u64 s[84:85], 0
	s_cbranch_scc0 .LBB125_291
; %bb.257:                              ;   in Loop: Header=BB125_26 Depth=1
	v_cvt_f32_u32_e32 v2, s64
	s_sub_u32 s40, 0, s64
	s_subb_u32 s41, 0, 0
	v_mac_f32_e32 v2, 0, v34
	v_rcp_f32_e32 v2, v2
	v_mul_f32_e32 v2, 0x5f7ffffc, v2
	v_mul_f32_e32 v3, 0x2f800000, v2
	v_trunc_f32_e32 v3, v3
	v_mac_f32_e32 v2, 0xcf800000, v3
	v_cvt_u32_f32_e32 v3, v3
	v_cvt_u32_f32_e32 v2, v2
	v_readfirstlane_b32 s42, v3
	v_readfirstlane_b32 s8, v2
	s_mul_i32 s9, s40, s42
	s_mul_hi_u32 s44, s40, s8
	s_mul_i32 s43, s41, s8
	s_add_i32 s9, s44, s9
	s_mul_i32 s45, s40, s8
	s_add_i32 s9, s9, s43
	s_mul_hi_u32 s44, s8, s45
	s_mul_i32 s46, s8, s9
	s_mul_hi_u32 s43, s8, s9
	s_add_u32 s44, s44, s46
	s_addc_u32 s43, 0, s43
	s_mul_hi_u32 s47, s42, s45
	s_mul_i32 s45, s42, s45
	s_add_u32 s44, s44, s45
	s_mul_hi_u32 s46, s42, s9
	s_addc_u32 s43, s43, s47
	s_addc_u32 s44, s46, 0
	s_mul_i32 s9, s42, s9
	s_add_u32 s9, s43, s9
	s_addc_u32 s43, 0, s44
	s_add_u32 s44, s8, s9
	s_cselect_b64 s[8:9], -1, 0
	s_cmp_lg_u64 s[8:9], 0
	s_addc_u32 s42, s42, s43
	s_mul_i32 s8, s40, s42
	s_mul_hi_u32 s9, s40, s44
	s_add_i32 s8, s9, s8
	s_mul_i32 s41, s41, s44
	s_add_i32 s8, s8, s41
	s_mul_i32 s40, s40, s44
	s_mul_hi_u32 s41, s42, s40
	s_mul_i32 s43, s42, s40
	s_mul_i32 s46, s44, s8
	s_mul_hi_u32 s40, s44, s40
	s_mul_hi_u32 s45, s44, s8
	s_add_u32 s40, s40, s46
	s_addc_u32 s45, 0, s45
	s_add_u32 s40, s40, s43
	s_mul_hi_u32 s9, s42, s8
	s_addc_u32 s40, s45, s41
	s_addc_u32 s9, s9, 0
	s_mul_i32 s8, s42, s8
	s_add_u32 s8, s40, s8
	s_addc_u32 s40, 0, s9
	s_add_u32 s41, s44, s8
	s_cselect_b64 s[8:9], -1, 0
	s_cmp_lg_u64 s[8:9], 0
	s_addc_u32 s8, s42, s40
	s_mul_i32 s40, s2, s8
	s_mul_hi_u32 s42, s2, s41
	s_mul_hi_u32 s9, s2, s8
	s_add_u32 s40, s42, s40
	s_addc_u32 s9, 0, s9
	s_mul_hi_u32 s43, s85, s41
	s_mul_i32 s41, s85, s41
	s_add_u32 s40, s40, s41
	s_mul_hi_u32 s42, s85, s8
	s_addc_u32 s9, s9, s43
	s_addc_u32 s40, s42, 0
	s_mul_i32 s8, s85, s8
	s_add_u32 s8, s9, s8
	s_addc_u32 s9, 0, s40
	s_mul_i32 s9, s64, s9
	s_mul_hi_u32 s40, s64, s8
	s_add_i32 s40, s40, s9
	s_mul_i32 s8, s64, s8
	s_sub_u32 s41, s2, s8
	s_cselect_b64 s[8:9], -1, 0
	s_cmp_lg_u64 s[8:9], 0
	s_subb_u32 s40, s85, s40
	s_sub_u32 s42, s41, s64
	s_cselect_b64 s[8:9], -1, 0
	s_cmp_lg_u64 s[8:9], 0
	s_subb_u32 s43, s40, 0
	;; [unrolled: 4-line block ×3, first 2 shown]
	s_cmp_ge_u32 s42, s64
	s_cselect_b32 s9, -1, 0
	s_cmp_eq_u32 s43, 0
	s_cselect_b32 s9, s9, -1
	s_cmp_lg_u32 s9, 0
	s_cselect_b32 s8, s8, s43
	s_cselect_b32 s42, s44, s42
	s_cmp_ge_u32 s41, s64
	s_cselect_b32 s9, -1, 0
	s_cmp_eq_u32 s40, 0
	s_cselect_b32 s9, s9, -1
	s_cmp_lg_u32 s9, 0
	s_cselect_b32 s9, s8, s40
	s_cselect_b32 s8, s42, s41
	s_cbranch_execnz .LBB125_259
.LBB125_258:                            ;   in Loop: Header=BB125_26 Depth=1
	v_cvt_f32_u32_e32 v2, s64
	s_sub_i32 s8, 0, s64
	v_rcp_iflag_f32_e32 v2, v2
	v_mul_f32_e32 v2, 0x4f7ffffe, v2
	v_cvt_u32_f32_e32 v2, v2
	v_readfirstlane_b32 s9, v2
	s_mul_i32 s8, s8, s9
	s_mul_hi_u32 s8, s9, s8
	s_add_i32 s9, s9, s8
	s_mul_hi_u32 s8, s2, s9
	s_mul_i32 s8, s8, s64
	s_sub_i32 s8, s2, s8
	s_sub_i32 s9, s8, s64
	s_cmp_ge_u32 s8, s64
	s_cselect_b32 s8, s9, s8
	s_sub_i32 s9, s8, s64
	s_cmp_ge_u32 s8, s64
	s_cselect_b32 s78, s9, s8
	s_mov_b64 s[8:9], s[78:79]
.LBB125_259:                            ;   in Loop: Header=BB125_26 Depth=1
	s_sub_u32 s40, s2, s8
	s_subb_u32 s41, s85, s9
	v_cmp_gt_u64_e32 vcc, s[40:41], v[0:1]
                                        ; implicit-def: $vgpr18
	s_and_saveexec_b64 s[8:9], vcc
	s_cbranch_execz .LBB125_269
; %bb.260:                              ;   in Loop: Header=BB125_26 Depth=1
	v_mov_b32_e32 v3, v1
	s_mov_b64 s[42:43], 0
	v_mov_b32_e32 v2, v0
                                        ; implicit-def: $sgpr44_sgpr45
	s_branch .LBB125_264
.LBB125_261:                            ;   in Loop: Header=BB125_264 Depth=2
	s_or_b64 exec, exec, s[46:47]
	s_waitcnt lgkmcnt(0)
	s_barrier
	ds_read_b64 v[17:18], v15 offset:3072
	s_waitcnt lgkmcnt(0)
	s_barrier
	v_cmp_eq_f32_e32 vcc, 0, v17
	s_cbranch_vccz .LBB125_267
; %bb.262:                              ;   in Loop: Header=BB125_264 Depth=2
	v_add_co_u32_e32 v2, vcc, s64, v2
	v_addc_co_u32_e32 v3, vcc, 0, v3, vcc
	v_cmp_le_u64_e32 vcc, s[40:41], v[2:3]
	s_mov_b64 s[46:47], 0
	s_orn2_b64 s[48:49], vcc, exec
.LBB125_263:                            ;   in Loop: Header=BB125_264 Depth=2
	s_and_b64 s[48:49], exec, s[48:49]
	s_or_b64 s[42:43], s[48:49], s[42:43]
	s_andn2_b64 s[44:45], s[44:45], exec
	s_and_b64 s[46:47], s[46:47], exec
	s_or_b64 s[44:45], s[44:45], s[46:47]
	s_andn2_b64 exec, exec, s[42:43]
	s_cbranch_execz .LBB125_268
.LBB125_264:                            ;   Parent Loop BB125_26 Depth=1
                                        ; =>  This Inner Loop Header: Depth=2
	v_cmp_gt_u64_e32 vcc, s[52:53], v[2:3]
	s_and_saveexec_b64 s[46:47], vcc
	s_cbranch_execz .LBB125_261
; %bb.265:                              ;   in Loop: Header=BB125_264 Depth=2
	v_mul_lo_u32 v9, v3, s68
	v_mul_lo_u32 v14, v2, s69
	v_mad_u64_u32 v[6:7], s[48:49], v2, s68, 0
	v_add3_u32 v7, v7, v14, v9
	v_lshlrev_b64 v[6:7], 2, v[6:7]
	v_mov_b32_e32 v9, s65
	v_add_co_u32_e32 v6, vcc, s33, v6
	v_addc_co_u32_e32 v7, vcc, v9, v7, vcc
	global_load_dword v17, v[6:7], off
	s_waitcnt vmcnt(0)
	v_cmp_lt_i32_e32 vcc, -1, v17
	v_cndmask_b32_e32 v6, -1, v33, vcc
	v_xor_b32_e32 v6, v6, v17
	v_cmp_o_f32_e32 vcc, v17, v17
	v_cndmask_b32_e32 v6, -1, v6, vcc
	v_and_b32_e32 v6, v6, v35
	v_cmp_eq_u32_e32 vcc, v6, v30
	s_and_b64 exec, exec, vcc
	s_cbranch_execz .LBB125_261
; %bb.266:                              ;   in Loop: Header=BB125_264 Depth=2
	ds_write_b64 v15, v[16:17] offset:3072
	s_branch .LBB125_261
.LBB125_267:                            ;   in Loop: Header=BB125_264 Depth=2
	s_mov_b64 s[48:49], -1
                                        ; implicit-def: $vgpr2_vgpr3
	s_mov_b64 s[46:47], -1
	s_branch .LBB125_263
.LBB125_268:                            ;   in Loop: Header=BB125_26 Depth=1
	s_or_b64 exec, exec, s[42:43]
	s_andn2_b64 s[0:1], s[0:1], exec
	s_and_b64 s[40:41], s[44:45], exec
	s_or_b64 s[0:1], s[0:1], s[40:41]
.LBB125_269:                            ;   in Loop: Header=BB125_26 Depth=1
	s_or_b64 exec, exec, s[8:9]
	s_mov_b64 s[40:41], 0
	s_mov_b64 s[42:43], -1
.LBB125_270:                            ;   in Loop: Header=BB125_26 Depth=1
	s_orn2_b64 s[8:9], s[0:1], exec
.LBB125_271:                            ;   in Loop: Header=BB125_26 Depth=1
	s_or_b64 exec, exec, s[38:39]
	s_mov_b64 s[38:39], 0
	s_and_saveexec_b64 s[0:1], s[8:9]
	s_cbranch_execz .LBB125_282
; %bb.272:                              ;   in Loop: Header=BB125_26 Depth=1
	v_mov_b32_e32 v2, 1
	s_xor_b64 s[36:37], s[36:37], -1
	v_mov_b32_e32 v3, 0
	v_mov_b32_e32 v8, 1
	s_and_saveexec_b64 s[8:9], s[36:37]
	s_cbranch_execz .LBB125_281
; %bb.273:                              ;   in Loop: Header=BB125_26 Depth=1
	v_cmp_ge_u64_e32 vcc, s[10:11], v[4:5]
	s_and_saveexec_b64 s[36:37], vcc
	s_xor_b64 s[36:37], exec, s[36:37]
	s_cbranch_execz .LBB125_278
; %bb.274:                              ;   in Loop: Header=BB125_26 Depth=1
	ds_read_b64 v[2:3], v15 offset:5120
	v_or_b32_e32 v30, s27, v30
	v_or_b32_e32 v35, s27, v35
	s_waitcnt lgkmcnt(0)
	v_cmp_ne_u64_e32 vcc, 0, v[2:3]
	s_cbranch_vccnz .LBB125_278
; %bb.275:                              ;   in Loop: Header=BB125_26 Depth=1
	s_mov_b64 s[38:39], exec
	v_readlane_b32 s44, v48, 16
	v_readlane_b32 s45, v48, 17
	s_and_b64 s[44:45], s[38:39], s[44:45]
	s_mov_b64 exec, s[44:45]
; %bb.276:                              ;   in Loop: Header=BB125_26 Depth=1
	v_mov_b32_e32 v2, s10
	v_mov_b32_e32 v3, s11
	ds_write_b64 v15, v[2:3] offset:5128
; %bb.277:                              ;   in Loop: Header=BB125_26 Depth=1
	s_or_b64 exec, exec, s[38:39]
	s_waitcnt lgkmcnt(0)
	s_barrier
.LBB125_278:                            ;   in Loop: Header=BB125_26 Depth=1
	s_andn2_saveexec_b64 s[36:37], s[36:37]
; %bb.279:                              ;   in Loop: Header=BB125_26 Depth=1
	v_mov_b32_e32 v2, s11
	v_subrev_co_u32_e32 v4, vcc, s10, v4
	v_subb_co_u32_e32 v5, vcc, v5, v2, vcc
; %bb.280:                              ;   in Loop: Header=BB125_26 Depth=1
	s_or_b64 exec, exec, s[36:37]
	v_mov_b32_e32 v2, v4
	v_mov_b32_e32 v8, 8
	;; [unrolled: 1-line block ×3, first 2 shown]
.LBB125_281:                            ;   in Loop: Header=BB125_26 Depth=1
	s_or_b64 exec, exec, s[8:9]
	v_mov_b32_e32 v5, v3
	s_mov_b64 s[38:39], exec
	v_mov_b32_e32 v4, v2
.LBB125_282:                            ;   in Loop: Header=BB125_26 Depth=1
	s_or_b64 exec, exec, s[0:1]
	s_orn2_b64 s[0:1], s[38:39], exec
.LBB125_283:                            ;   in Loop: Header=BB125_26 Depth=1
	s_or_b64 exec, exec, s[18:19]
	s_andn2_b64 s[8:9], s[30:31], exec
	s_and_b64 s[10:11], s[42:43], exec
	s_or_b64 s[30:31], s[8:9], s[10:11]
	s_andn2_b64 s[8:9], s[28:29], exec
	s_and_b64 s[10:11], s[40:41], exec
	v_mov_b32_e32 v2, v4
	s_or_b64 s[28:29], s[8:9], s[10:11]
	s_and_b64 s[8:9], s[0:1], exec
	v_mov_b32_e32 v3, v5
.LBB125_284:                            ;   in Loop: Header=BB125_26 Depth=1
	s_or_b64 exec, exec, s[34:35]
	s_orn2_b64 s[0:1], s[8:9], exec
.LBB125_285:                            ;   in Loop: Header=BB125_26 Depth=1
	s_or_b64 exec, exec, s[24:25]
	s_andn2_b64 s[8:9], s[20:21], exec
	s_and_b64 s[10:11], s[30:31], exec
	s_or_b64 s[20:21], s[8:9], s[10:11]
	s_andn2_b64 s[6:7], s[6:7], exec
	s_and_b64 s[8:9], s[28:29], exec
	v_mov_b32_e32 v7, v3
	s_or_b64 s[6:7], s[6:7], s[8:9]
	s_and_b64 s[8:9], s[0:1], exec
	v_mov_b32_e32 v6, v2
.LBB125_286:                            ;   in Loop: Header=BB125_26 Depth=1
	s_or_b64 exec, exec, s[22:23]
	s_orn2_b64 s[0:1], s[8:9], exec
.LBB125_287:                            ;   in Loop: Header=BB125_26 Depth=1
	s_or_b64 exec, exec, s[16:17]
	s_mov_b64 s[8:9], 0
	s_and_saveexec_b64 s[10:11], s[0:1]
	s_xor_b64 s[0:1], exec, s[10:11]
	s_cbranch_execz .LBB125_24
; %bb.288:                              ;   in Loop: Header=BB125_26 Depth=1
	v_and_b32_e32 v2, 7, v8
	v_cmp_eq_u32_e32 vcc, 0, v2
	s_mov_b64 s[10:11], -1
	s_mov_b64 s[8:9], -1
	s_and_saveexec_b64 s[14:15], vcc
	s_cbranch_execz .LBB125_23
; %bb.289:                              ;   in Loop: Header=BB125_26 Depth=1
	s_xor_b32 s26, s26, 1
	s_add_i32 s16, s83, -2
	s_cmp_eq_u32 s83, 0
	s_cselect_b64 s[10:11], -1, 0
	s_xor_b64 s[8:9], exec, -1
	s_orn2_b64 s[10:11], s[10:11], exec
	s_mov_b32 s83, s16
	s_branch .LBB125_23
.LBB125_290:                            ;   in Loop: Header=BB125_26 Depth=1
                                        ; implicit-def: $sgpr44_sgpr45
	s_branch .LBB125_241
.LBB125_291:                            ;   in Loop: Header=BB125_26 Depth=1
                                        ; implicit-def: $sgpr8_sgpr9
	s_branch .LBB125_258
.LBB125_292:
	s_or_b64 exec, exec, s[92:93]
	s_xor_b64 s[4:5], s[56:57], -1
	s_xor_b64 s[2:3], s[94:95], -1
	;; [unrolled: 1-line block ×3, first 2 shown]
	s_mov_b64 s[0:1], 0
	s_and_saveexec_b64 s[8:9], s[2:3]
	s_xor_b64 s[2:3], exec, s[8:9]
	s_cbranch_execnz .LBB125_297
; %bb.293:
	s_andn2_saveexec_b64 s[2:3], s[2:3]
	s_cbranch_execnz .LBB125_310
.LBB125_294:
	s_or_b64 exec, exec, s[2:3]
	s_and_saveexec_b64 s[2:3], s[0:1]
.LBB125_295:
	; divergent unreachable
.LBB125_296:
	s_endpgm
.LBB125_297:
	s_and_saveexec_b64 s[0:1], s[4:5]
	s_xor_b64 s[4:5], exec, s[0:1]
	s_cbranch_execz .LBB125_308
; %bb.298:
	s_and_saveexec_b64 s[0:1], s[6:7]
	s_xor_b64 s[0:1], exec, s[0:1]
; %bb.299:
	v_bfrev_b32_e32 v2, 1
	v_cmp_lt_i32_e32 vcc, -1, v30
	v_cndmask_b32_e64 v2, v2, -1, vcc
	v_xor_b32_e32 v18, v2, v30
; %bb.300:
	s_or_b64 exec, exec, s[0:1]
	v_readlane_b32 s6, v48, 6
	v_readlane_b32 s0, v48, 4
	;; [unrolled: 1-line block ×4, first 2 shown]
	s_mov_b32 s8, s0
	s_mul_i32 s0, s0, s7
	s_mul_hi_u32 s1, s8, s6
	s_add_i32 s1, s1, s0
	s_mul_i32 s0, s8, s6
	v_readlane_b32 s6, v48, 12
	v_readlane_b32 s12, v48, 22
	;; [unrolled: 1-line block ×3, first 2 shown]
	s_sub_u32 s0, s6, s0
	v_readlane_b32 s14, v48, 24
	v_readlane_b32 s15, v48, 25
	s_subb_u32 s1, 0, s1
	s_mul_i32 s6, s0, s15
	s_mul_hi_u32 s7, s0, s14
	v_readlane_b32 s13, v48, 23
	s_add_i32 s6, s7, s6
	s_mul_i32 s1, s1, s14
	s_add_i32 s1, s6, s1
	s_mul_i32 s6, s8, s13
	s_mul_hi_u32 s7, s8, s12
	s_add_i32 s7, s7, s6
	s_mul_i32 s6, s8, s12
	s_lshl_b64 s[6:7], s[6:7], 2
	v_readlane_b32 s8, v48, 10
	s_mul_i32 s0, s0, s14
	v_readlane_b32 s9, v48, 11
	s_add_u32 s6, s8, s6
	s_addc_u32 s7, s9, s7
	s_lshl_b64 s[0:1], s[0:1], 2
	s_add_u32 s0, s6, s0
	s_addc_u32 s1, s7, s1
	v_mov_b32_e32 v2, 0
	global_store_dword v2, v18, s[0:1]
	s_mov_b64 s[6:7], exec
	v_readlane_b32 s0, v48, 14
	v_readlane_b32 s1, v48, 15
	s_and_b64 s[0:1], s[6:7], s[0:1]
	s_mov_b64 exec, s[0:1]
	s_cbranch_execz .LBB125_307
; %bb.301:
	v_cmp_u_f32_e32 vcc, v18, v18
	s_mov_b64 s[8:9], 0
	v_mov_b32_e32 v4, s65
	s_xor_b64 s[12:13], vcc, -1
                                        ; implicit-def: $sgpr10_sgpr11
                                        ; implicit-def: $sgpr16_sgpr17
                                        ; implicit-def: $sgpr14_sgpr15
	s_branch .LBB125_303
.LBB125_302:                            ;   in Loop: Header=BB125_303 Depth=1
	s_or_b64 exec, exec, s[0:1]
	s_and_b64 s[0:1], exec, s[16:17]
	s_or_b64 s[8:9], s[0:1], s[8:9]
	s_andn2_b64 s[0:1], s[10:11], exec
	s_and_b64 s[10:11], s[14:15], exec
	s_or_b64 s[10:11], s[0:1], s[10:11]
	s_andn2_b64 exec, exec, s[8:9]
	s_cbranch_execz .LBB125_305
.LBB125_303:                            ; =>This Inner Loop Header: Depth=1
	v_mov_b32_e32 v3, v1
	v_mov_b32_e32 v2, v0
	v_mul_lo_u32 v5, v3, s68
	v_mul_lo_u32 v6, v2, s69
	v_mad_u64_u32 v[0:1], s[0:1], v2, s68, 0
	s_or_b64 s[14:15], s[14:15], exec
	s_or_b64 s[16:17], s[16:17], exec
	v_add3_u32 v1, v1, v6, v5
	v_lshlrev_b64 v[0:1], 2, v[0:1]
	v_add_co_u32_e32 v0, vcc, s33, v0
	v_addc_co_u32_e32 v1, vcc, v4, v1, vcc
	global_load_dword v0, v[0:1], off
	s_waitcnt vmcnt(0)
	v_cmp_o_f32_e64 s[0:1], v0, v0
	v_cmp_neq_f32_e32 vcc, v0, v18
	s_or_b64 s[0:1], s[0:1], s[12:13]
	s_and_b64 s[18:19], vcc, s[0:1]
                                        ; implicit-def: $vgpr0_vgpr1
	s_and_saveexec_b64 s[0:1], s[18:19]
	s_cbranch_execz .LBB125_302
; %bb.304:                              ;   in Loop: Header=BB125_303 Depth=1
	v_add_co_u32_e32 v0, vcc, s64, v2
	v_addc_co_u32_e32 v1, vcc, 0, v3, vcc
	v_cmp_le_u64_e32 vcc, s[52:53], v[0:1]
	s_andn2_b64 s[16:17], s[16:17], exec
	s_and_b64 s[18:19], vcc, exec
	s_andn2_b64 s[14:15], s[14:15], exec
	s_or_b64 s[16:17], s[16:17], s[18:19]
	s_branch .LBB125_302
.LBB125_305:
	s_or_b64 exec, exec, s[8:9]
	s_and_saveexec_b64 s[0:1], s[10:11]
	s_xor_b64 s[0:1], exec, s[0:1]
	s_cbranch_execz .LBB125_307
; %bb.306:
	v_readlane_b32 s8, v48, 0
	v_readlane_b32 s0, v48, 2
	;; [unrolled: 1-line block ×4, first 2 shown]
	s_mov_b32 s10, s0
	s_mul_i32 s0, s0, s9
	s_mul_hi_u32 s1, s10, s8
	s_add_i32 s1, s1, s0
	s_mul_i32 s0, s10, s8
	v_readlane_b32 s8, v48, 12
	v_readlane_b32 s12, v48, 18
	;; [unrolled: 1-line block ×3, first 2 shown]
	s_sub_u32 s0, s8, s0
	v_readlane_b32 s14, v48, 20
	v_readlane_b32 s15, v48, 21
	s_subb_u32 s1, 0, s1
	s_mul_i32 s8, s0, s15
	s_mul_hi_u32 s9, s0, s14
	v_readlane_b32 s13, v48, 19
	s_add_i32 s8, s9, s8
	s_mul_i32 s1, s1, s14
	s_add_i32 s1, s8, s1
	s_mul_i32 s8, s10, s13
	s_mul_hi_u32 s9, s10, s12
	s_add_i32 s9, s9, s8
	s_mul_i32 s8, s10, s12
	s_lshl_b64 s[8:9], s[8:9], 3
	v_readlane_b32 s10, v48, 8
	s_mul_i32 s0, s0, s14
	v_readlane_b32 s11, v48, 9
	s_add_u32 s8, s10, s8
	s_addc_u32 s9, s11, s9
	s_lshl_b64 s[0:1], s[0:1], 3
	s_add_u32 s0, s8, s0
	s_addc_u32 s1, s9, s1
	v_mov_b32_e32 v0, 0
	global_store_dwordx2 v0, v[2:3], s[0:1]
.LBB125_307:
	s_or_b64 exec, exec, s[6:7]
.LBB125_308:
	s_or_saveexec_b64 s[0:1], s[4:5]
	s_mov_b64 s[4:5], 0
	s_xor_b64 exec, exec, s[0:1]
	s_cbranch_execnz .LBB125_311
.LBB125_309:
	s_or_b64 exec, exec, s[0:1]
	s_and_b64 s[0:1], s[4:5], exec
	s_andn2_saveexec_b64 s[2:3], s[2:3]
	s_cbranch_execz .LBB125_294
.LBB125_310:
	s_or_b64 s[0:1], s[0:1], exec
	s_trap 2
	s_or_b64 exec, exec, s[2:3]
	s_and_saveexec_b64 s[2:3], s[0:1]
	s_cbranch_execnz .LBB125_295
	s_branch .LBB125_296
.LBB125_311:
	s_mov_b64 s[4:5], exec
	s_trap 2
	s_branch .LBB125_309
	.section	.rodata,"a",@progbits
	.p2align	6, 0x0
	.amdhsa_kernel _ZN2at6native12_GLOBAL__N_112gatherMedianIfmLi2EEEvNS_4cuda6detail10TensorInfoIT_T0_EENS5_IlS7_EENS5_IKS6_S7_EES7_S7_S7_b
		.amdhsa_group_segment_fixed_size 5152
		.amdhsa_private_segment_fixed_size 0
		.amdhsa_kernarg_size 1536
		.amdhsa_user_sgpr_count 6
		.amdhsa_user_sgpr_private_segment_buffer 1
		.amdhsa_user_sgpr_dispatch_ptr 0
		.amdhsa_user_sgpr_queue_ptr 0
		.amdhsa_user_sgpr_kernarg_segment_ptr 1
		.amdhsa_user_sgpr_dispatch_id 0
		.amdhsa_user_sgpr_flat_scratch_init 0
		.amdhsa_user_sgpr_private_segment_size 0
		.amdhsa_uses_dynamic_stack 0
		.amdhsa_system_sgpr_private_segment_wavefront_offset 0
		.amdhsa_system_sgpr_workgroup_id_x 1
		.amdhsa_system_sgpr_workgroup_id_y 1
		.amdhsa_system_sgpr_workgroup_id_z 1
		.amdhsa_system_sgpr_workgroup_info 0
		.amdhsa_system_vgpr_workitem_id 0
		.amdhsa_next_free_vgpr 49
		.amdhsa_next_free_sgpr 96
		.amdhsa_reserve_vcc 1
		.amdhsa_reserve_flat_scratch 0
		.amdhsa_float_round_mode_32 0
		.amdhsa_float_round_mode_16_64 0
		.amdhsa_float_denorm_mode_32 3
		.amdhsa_float_denorm_mode_16_64 3
		.amdhsa_dx10_clamp 1
		.amdhsa_ieee_mode 1
		.amdhsa_fp16_overflow 0
		.amdhsa_exception_fp_ieee_invalid_op 0
		.amdhsa_exception_fp_denorm_src 0
		.amdhsa_exception_fp_ieee_div_zero 0
		.amdhsa_exception_fp_ieee_overflow 0
		.amdhsa_exception_fp_ieee_underflow 0
		.amdhsa_exception_fp_ieee_inexact 0
		.amdhsa_exception_int_div_zero 0
	.end_amdhsa_kernel
	.section	.text._ZN2at6native12_GLOBAL__N_112gatherMedianIfmLi2EEEvNS_4cuda6detail10TensorInfoIT_T0_EENS5_IlS7_EENS5_IKS6_S7_EES7_S7_S7_b,"axG",@progbits,_ZN2at6native12_GLOBAL__N_112gatherMedianIfmLi2EEEvNS_4cuda6detail10TensorInfoIT_T0_EENS5_IlS7_EENS5_IKS6_S7_EES7_S7_S7_b,comdat
.Lfunc_end125:
	.size	_ZN2at6native12_GLOBAL__N_112gatherMedianIfmLi2EEEvNS_4cuda6detail10TensorInfoIT_T0_EENS5_IlS7_EENS5_IKS6_S7_EES7_S7_S7_b, .Lfunc_end125-_ZN2at6native12_GLOBAL__N_112gatherMedianIfmLi2EEEvNS_4cuda6detail10TensorInfoIT_T0_EENS5_IlS7_EENS5_IKS6_S7_EES7_S7_S7_b
                                        ; -- End function
	.set _ZN2at6native12_GLOBAL__N_112gatherMedianIfmLi2EEEvNS_4cuda6detail10TensorInfoIT_T0_EENS5_IlS7_EENS5_IKS6_S7_EES7_S7_S7_b.num_vgpr, 49
	.set _ZN2at6native12_GLOBAL__N_112gatherMedianIfmLi2EEEvNS_4cuda6detail10TensorInfoIT_T0_EENS5_IlS7_EENS5_IKS6_S7_EES7_S7_S7_b.num_agpr, 0
	.set _ZN2at6native12_GLOBAL__N_112gatherMedianIfmLi2EEEvNS_4cuda6detail10TensorInfoIT_T0_EENS5_IlS7_EENS5_IKS6_S7_EES7_S7_S7_b.numbered_sgpr, 96
	.set _ZN2at6native12_GLOBAL__N_112gatherMedianIfmLi2EEEvNS_4cuda6detail10TensorInfoIT_T0_EENS5_IlS7_EENS5_IKS6_S7_EES7_S7_S7_b.num_named_barrier, 0
	.set _ZN2at6native12_GLOBAL__N_112gatherMedianIfmLi2EEEvNS_4cuda6detail10TensorInfoIT_T0_EENS5_IlS7_EENS5_IKS6_S7_EES7_S7_S7_b.private_seg_size, 0
	.set _ZN2at6native12_GLOBAL__N_112gatherMedianIfmLi2EEEvNS_4cuda6detail10TensorInfoIT_T0_EENS5_IlS7_EENS5_IKS6_S7_EES7_S7_S7_b.uses_vcc, 1
	.set _ZN2at6native12_GLOBAL__N_112gatherMedianIfmLi2EEEvNS_4cuda6detail10TensorInfoIT_T0_EENS5_IlS7_EENS5_IKS6_S7_EES7_S7_S7_b.uses_flat_scratch, 0
	.set _ZN2at6native12_GLOBAL__N_112gatherMedianIfmLi2EEEvNS_4cuda6detail10TensorInfoIT_T0_EENS5_IlS7_EENS5_IKS6_S7_EES7_S7_S7_b.has_dyn_sized_stack, 0
	.set _ZN2at6native12_GLOBAL__N_112gatherMedianIfmLi2EEEvNS_4cuda6detail10TensorInfoIT_T0_EENS5_IlS7_EENS5_IKS6_S7_EES7_S7_S7_b.has_recursion, 0
	.set _ZN2at6native12_GLOBAL__N_112gatherMedianIfmLi2EEEvNS_4cuda6detail10TensorInfoIT_T0_EENS5_IlS7_EENS5_IKS6_S7_EES7_S7_S7_b.has_indirect_call, 0
	.section	.AMDGPU.csdata,"",@progbits
; Kernel info:
; codeLenInByte = 15892
; TotalNumSgprs: 100
; NumVgprs: 49
; ScratchSize: 0
; MemoryBound: 0
; FloatMode: 240
; IeeeMode: 1
; LDSByteSize: 5152 bytes/workgroup (compile time only)
; SGPRBlocks: 12
; VGPRBlocks: 12
; NumSGPRsForWavesPerEU: 100
; NumVGPRsForWavesPerEU: 49
; Occupancy: 4
; WaveLimiterHint : 1
; COMPUTE_PGM_RSRC2:SCRATCH_EN: 0
; COMPUTE_PGM_RSRC2:USER_SGPR: 6
; COMPUTE_PGM_RSRC2:TRAP_HANDLER: 0
; COMPUTE_PGM_RSRC2:TGID_X_EN: 1
; COMPUTE_PGM_RSRC2:TGID_Y_EN: 1
; COMPUTE_PGM_RSRC2:TGID_Z_EN: 1
; COMPUTE_PGM_RSRC2:TIDIG_COMP_CNT: 0
	.section	.text._ZN2at6native12_GLOBAL__N_112gatherMedianIfmLi3EEEvNS_4cuda6detail10TensorInfoIT_T0_EENS5_IlS7_EENS5_IKS6_S7_EES7_S7_S7_b,"axG",@progbits,_ZN2at6native12_GLOBAL__N_112gatherMedianIfmLi3EEEvNS_4cuda6detail10TensorInfoIT_T0_EENS5_IlS7_EENS5_IKS6_S7_EES7_S7_S7_b,comdat
	.globl	_ZN2at6native12_GLOBAL__N_112gatherMedianIfmLi3EEEvNS_4cuda6detail10TensorInfoIT_T0_EENS5_IlS7_EENS5_IKS6_S7_EES7_S7_S7_b ; -- Begin function _ZN2at6native12_GLOBAL__N_112gatherMedianIfmLi3EEEvNS_4cuda6detail10TensorInfoIT_T0_EENS5_IlS7_EENS5_IKS6_S7_EES7_S7_S7_b
	.p2align	8
	.type	_ZN2at6native12_GLOBAL__N_112gatherMedianIfmLi3EEEvNS_4cuda6detail10TensorInfoIT_T0_EENS5_IlS7_EENS5_IKS6_S7_EES7_S7_S7_b,@function
_ZN2at6native12_GLOBAL__N_112gatherMedianIfmLi3EEEvNS_4cuda6detail10TensorInfoIT_T0_EENS5_IlS7_EENS5_IKS6_S7_EES7_S7_S7_b: ; @_ZN2at6native12_GLOBAL__N_112gatherMedianIfmLi3EEEvNS_4cuda6detail10TensorInfoIT_T0_EENS5_IlS7_EENS5_IKS6_S7_EES7_S7_S7_b
; %bb.0:
	s_load_dwordx2 s[12:13], s[4:5], 0x500
	s_load_dwordx4 s[52:55], s[4:5], 0x4e0
	s_add_u32 s14, s4, 0x500
	s_addc_u32 s15, s5, 0
	s_mov_b32 s25, 0
	s_waitcnt lgkmcnt(0)
	s_mul_i32 s0, s13, s8
	s_add_i32 s0, s0, s7
	s_mul_i32 s0, s0, s12
	s_add_i32 s24, s0, s6
	v_mov_b32_e32 v1, s24
	v_mov_b32_e32 v2, s25
	v_cmp_le_u64_e32 vcc, s[54:55], v[1:2]
	s_cbranch_vccnz .LBB126_302
; %bb.1:
	s_load_dwordx4 s[28:31], s[4:5], 0x10
	s_mov_b64 s[10:11], 0
	s_mov_b64 s[8:9], 0
	s_waitcnt lgkmcnt(0)
	v_mov_b32_e32 v1, s30
	v_mov_b32_e32 v2, s31
	v_cmp_lt_u64_e32 vcc, s[24:25], v[1:2]
	s_cbranch_vccnz .LBB126_3
; %bb.2:
	v_cvt_f32_u32_e32 v1, s30
	s_sub_i32 s0, 0, s30
	s_mov_b32 s9, 0
	v_rcp_iflag_f32_e32 v1, v1
	v_mul_f32_e32 v1, 0x4f7ffffe, v1
	v_cvt_u32_f32_e32 v1, v1
	v_readfirstlane_b32 s1, v1
	s_mul_i32 s0, s0, s1
	s_mul_hi_u32 s0, s1, s0
	s_add_i32 s1, s1, s0
	s_mul_hi_u32 s0, s24, s1
	s_mul_i32 s2, s0, s30
	s_sub_i32 s2, s24, s2
	s_add_i32 s1, s0, 1
	s_sub_i32 s3, s2, s30
	s_cmp_ge_u32 s2, s30
	s_cselect_b32 s0, s1, s0
	s_cselect_b32 s2, s3, s2
	s_add_i32 s1, s0, 1
	s_cmp_ge_u32 s2, s30
	s_cselect_b32 s8, s1, s0
.LBB126_3:
	s_load_dwordx4 s[20:23], s[4:5], 0x1b0
	v_mov_b32_e32 v1, s28
	v_mov_b32_e32 v2, s29
                                        ; implicit-def: $vgpr48 : SGPR spill to VGPR lane
	v_cmp_lt_u64_e32 vcc, s[8:9], v[1:2]
	s_and_b64 vcc, exec, vcc
	s_waitcnt lgkmcnt(0)
	v_writelane_b32 v48, s20, 0
	v_writelane_b32 v48, s21, 1
	;; [unrolled: 1-line block ×4, first 2 shown]
	s_cbranch_vccnz .LBB126_5
; %bb.4:
	v_cvt_f32_u32_e32 v1, s28
	s_sub_i32 s0, 0, s28
	s_load_dwordx4 s[20:23], s[4:5], 0x1b0
	v_rcp_iflag_f32_e32 v1, v1
	v_mul_f32_e32 v1, 0x4f7ffffe, v1
	v_cvt_u32_f32_e32 v1, v1
	v_readfirstlane_b32 s1, v1
	s_mul_i32 s0, s0, s1
	s_mul_hi_u32 s0, s1, s0
	s_add_i32 s1, s1, s0
	s_mul_hi_u32 s0, s8, s1
	s_mul_i32 s2, s0, s28
	s_sub_i32 s2, s8, s2
	s_add_i32 s1, s0, 1
	s_sub_i32 s3, s2, s28
	s_cmp_ge_u32 s2, s28
	s_cselect_b32 s0, s1, s0
	s_cselect_b32 s2, s3, s2
	s_add_i32 s1, s0, 1
	s_cmp_ge_u32 s2, s28
	s_cselect_b32 s10, s1, s0
.LBB126_5:
	v_writelane_b32 v48, s10, 4
	v_writelane_b32 v48, s11, 5
	s_waitcnt lgkmcnt(0)
	v_mov_b32_e32 v1, s22
	v_writelane_b32 v48, s8, 6
	v_mov_b32_e32 v2, s23
	v_writelane_b32 v48, s9, 7
	v_cmp_lt_u64_e32 vcc, s[24:25], v[1:2]
	s_mov_b64 s[0:1], 0
	v_writelane_b32 v48, s0, 8
	v_writelane_b32 v48, s1, 9
	s_mov_b64 s[0:1], 0
	s_cbranch_vccnz .LBB126_7
; %bb.6:
	v_cvt_f32_u32_e32 v1, s22
	s_sub_i32 s0, 0, s22
	s_mov_b32 s9, 0
	v_rcp_iflag_f32_e32 v1, v1
	v_mul_f32_e32 v1, 0x4f7ffffe, v1
	v_cvt_u32_f32_e32 v1, v1
	v_readfirstlane_b32 s1, v1
	s_mul_i32 s0, s0, s1
	s_mul_hi_u32 s0, s1, s0
	s_add_i32 s1, s1, s0
	s_mul_hi_u32 s0, s24, s1
	s_mul_i32 s2, s0, s22
	s_sub_i32 s2, s24, s2
	s_add_i32 s1, s0, 1
	s_sub_i32 s3, s2, s22
	s_cmp_ge_u32 s2, s22
	s_cselect_b32 s0, s1, s0
	s_cselect_b32 s2, s3, s2
	s_add_i32 s1, s0, 1
	s_cmp_ge_u32 s2, s22
	s_cselect_b32 s8, s1, s0
	s_mov_b64 s[0:1], s[8:9]
.LBB126_7:
	s_load_dwordx2 s[76:77], s[4:5], 0x4f0
	s_load_dwordx2 s[16:17], s[4:5], 0x420
	s_mov_b64 s[18:19], s[0:1]
	s_load_dwordx4 s[0:3], s[4:5], 0x410
	s_load_dwordx4 s[8:11], s[4:5], 0x350
	v_mov_b32_e32 v1, s20
	v_mov_b32_e32 v2, s21
	v_writelane_b32 v48, s18, 10
	v_cmp_lt_u64_e32 vcc, s[18:19], v[1:2]
	v_writelane_b32 v48, s19, 11
	s_cbranch_vccnz .LBB126_9
; %bb.8:
	s_load_dwordx4 s[20:23], s[4:5], 0x1b0
	s_waitcnt lgkmcnt(0)
	v_readlane_b32 s22, v48, 10
	v_readlane_b32 s23, v48, 11
	v_cvt_f32_u32_e32 v1, s20
	s_sub_i32 s7, 0, s20
	v_rcp_iflag_f32_e32 v1, v1
	v_mul_f32_e32 v1, 0x4f7ffffe, v1
	v_cvt_u32_f32_e32 v1, v1
	v_readfirstlane_b32 s13, v1
	s_mul_i32 s7, s7, s13
	s_mul_hi_u32 s7, s13, s7
	s_add_i32 s13, s13, s7
	s_mul_hi_u32 s7, s22, s13
	s_mul_i32 s18, s7, s20
	s_sub_i32 s18, s22, s18
	s_add_i32 s13, s7, 1
	s_sub_i32 s19, s18, s20
	s_cmp_ge_u32 s18, s20
	s_cselect_b32 s7, s13, s7
	s_cselect_b32 s18, s19, s18
	s_add_i32 s13, s7, 1
	s_cmp_ge_u32 s18, s20
	s_cselect_b32 s18, s13, s7
	v_writelane_b32 v48, s18, 8
	v_writelane_b32 v48, s19, 9
.LBB126_9:
	s_load_dwordx2 s[18:19], s[4:5], 0x340
	s_waitcnt lgkmcnt(0)
	v_mov_b32_e32 v1, s10
	v_mov_b32_e32 v2, s11
	v_cmp_lt_u64_e32 vcc, s[24:25], v[1:2]
	s_mov_b64 s[20:21], 0
	s_mov_b64 s[22:23], 0
	s_cbranch_vccnz .LBB126_11
; %bb.10:
	v_cvt_f32_u32_e32 v1, s10
	s_sub_i32 s7, 0, s10
	s_mov_b32 s23, 0
	v_rcp_iflag_f32_e32 v1, v1
	v_mul_f32_e32 v1, 0x4f7ffffe, v1
	v_cvt_u32_f32_e32 v1, v1
	v_readfirstlane_b32 s13, v1
	s_mul_i32 s7, s7, s13
	s_mul_hi_u32 s7, s13, s7
	s_add_i32 s13, s13, s7
	s_mul_hi_u32 s7, s24, s13
	s_mul_i32 s21, s7, s10
	s_sub_i32 s21, s24, s21
	s_add_i32 s13, s7, 1
	s_sub_i32 s22, s21, s10
	s_cmp_ge_u32 s21, s10
	s_cselect_b32 s7, s13, s7
	s_cselect_b32 s21, s22, s21
	s_add_i32 s13, s7, 1
	s_cmp_ge_u32 s21, s10
	s_cselect_b32 s22, s13, s7
.LBB126_11:
	v_writelane_b32 v48, s28, 12
	v_writelane_b32 v48, s29, 13
	s_load_dwordx2 s[26:27], s[4:5], 0x280
	v_writelane_b32 v48, s30, 14
	v_writelane_b32 v48, s31, 15
	s_load_dwordx4 s[28:31], s[4:5], 0x270
	v_mov_b32_e32 v1, s8
	s_waitcnt lgkmcnt(0)
	v_writelane_b32 v48, s26, 16
	v_writelane_b32 v48, s27, 17
	s_load_dwordx2 s[26:27], s[4:5], 0xe0
	v_writelane_b32 v48, s28, 18
	v_writelane_b32 v48, s29, 19
	;; [unrolled: 1-line block ×4, first 2 shown]
	s_load_dwordx4 s[28:31], s[4:5], 0xd0
	s_waitcnt lgkmcnt(0)
	v_writelane_b32 v48, s26, 22
	v_writelane_b32 v48, s27, 23
	v_mov_b32_e32 v2, s9
	v_cmp_lt_u64_e32 vcc, s[22:23], v[1:2]
	v_writelane_b32 v48, s28, 24
	v_writelane_b32 v48, s29, 25
	;; [unrolled: 1-line block ×4, first 2 shown]
	s_cbranch_vccnz .LBB126_13
; %bb.12:
	v_cvt_f32_u32_e32 v1, s8
	s_sub_i32 s7, 0, s8
	v_rcp_iflag_f32_e32 v1, v1
	v_mul_f32_e32 v1, 0x4f7ffffe, v1
	v_cvt_u32_f32_e32 v1, v1
	v_readfirstlane_b32 s13, v1
	s_mul_i32 s7, s7, s13
	s_mul_hi_u32 s7, s13, s7
	s_add_i32 s13, s13, s7
	s_mul_hi_u32 s7, s22, s13
	s_mul_i32 s20, s7, s8
	s_sub_i32 s20, s22, s20
	s_add_i32 s13, s7, 1
	s_sub_i32 s21, s20, s8
	s_cmp_ge_u32 s20, s8
	s_cselect_b32 s7, s13, s7
	s_cselect_b32 s20, s21, s20
	s_add_i32 s13, s7, 1
	s_cmp_ge_u32 s20, s8
	s_cselect_b32 s20, s13, s7
.LBB126_13:
	s_load_dwordx2 s[26:27], s[4:5], 0x1a0
	s_mul_i32 s7, s22, s11
	s_mul_hi_u32 s11, s22, s10
	s_add_i32 s11, s11, s7
	s_mul_i32 s7, s22, s10
	s_waitcnt lgkmcnt(0)
	v_writelane_b32 v48, s26, 28
	v_writelane_b32 v48, s27, 29
	s_load_dwordx2 s[26:27], s[4:5], 0x0
	s_mov_b32 s10, s24
	s_sub_u32 s7, s24, s7
	s_mul_hi_u32 s13, s7, s16
	s_mul_i32 s1, s20, s1
	s_waitcnt lgkmcnt(0)
	v_writelane_b32 v48, s26, 30
	v_writelane_b32 v48, s27, 31
	;; [unrolled: 1-line block ×4, first 2 shown]
	s_subb_u32 s10, 0, s11
	s_mul_i32 s11, s7, s17
	s_add_i32 s11, s13, s11
	s_mul_i32 s10, s10, s16
	s_add_i32 s11, s11, s10
	s_mul_i32 s10, s7, s16
	s_mul_i32 s7, s20, s9
	s_mul_hi_u32 s9, s20, s8
	s_add_i32 s9, s9, s7
	s_mul_i32 s7, s20, s8
	s_sub_u32 s7, s22, s7
	s_subb_u32 s8, s23, s9
	s_mul_i32 s3, s7, s3
	s_mul_hi_u32 s9, s7, s2
	s_mul_i32 s8, s8, s2
	s_mul_i32 s2, s7, s2
	s_mul_hi_u32 s7, s20, s0
	s_add_i32 s3, s9, s3
	s_add_i32 s1, s7, s1
	s_mul_i32 s0, s20, s0
	s_add_i32 s3, s3, s8
	s_lshl_b64 s[0:1], s[0:1], 2
	s_add_u32 s7, s18, s0
	s_addc_u32 s8, s19, s1
	s_lshl_b64 s[0:1], s[2:3], 2
	s_add_u32 s2, s7, s0
	v_mov_b32_e32 v1, 0
	s_addc_u32 s3, s8, s1
	s_lshl_b64 s[0:1], s[10:11], 2
	v_cmp_gt_u64_e64 s[8:9], s[52:53], v[0:1]
	s_add_u32 s33, s2, s0
	v_mov_b32_e32 v2, 0
	v_mov_b32_e32 v3, 0
	s_addc_u32 s73, s3, s1
	v_writelane_b32 v48, s8, 34
	v_writelane_b32 v48, s9, 35
	s_and_saveexec_b64 s[0:1], s[8:9]
	s_cbranch_execz .LBB126_17
; %bb.14:
	s_load_dword s7, s[14:15], 0xc
	v_mov_b32_e32 v2, 0
	v_mov_b32_e32 v5, v1
	s_mov_b64 s[2:3], 0
	v_mov_b32_e32 v3, 0
	v_mov_b32_e32 v6, s73
	s_waitcnt lgkmcnt(0)
	s_and_b32 s7, s7, 0xffff
	v_mov_b32_e32 v4, v0
.LBB126_15:                             ; =>This Inner Loop Header: Depth=1
	v_mul_lo_u32 v9, v5, s76
	v_mul_lo_u32 v10, v4, s77
	v_mad_u64_u32 v[7:8], s[8:9], v4, s76, 0
	v_add3_u32 v8, v8, v10, v9
	v_lshlrev_b64 v[7:8], 2, v[7:8]
	v_add_co_u32_e32 v7, vcc, s33, v7
	v_addc_co_u32_e32 v8, vcc, v6, v8, vcc
	global_load_dword v7, v[7:8], off
	v_add_co_u32_e32 v4, vcc, s7, v4
	v_addc_co_u32_e32 v5, vcc, 0, v5, vcc
	v_cmp_le_u64_e32 vcc, s[52:53], v[4:5]
	s_or_b64 s[2:3], vcc, s[2:3]
	s_waitcnt vmcnt(0)
	v_cmp_u_f32_e32 vcc, v7, v7
	v_cndmask_b32_e64 v7, 0, 1, vcc
	v_add_co_u32_e32 v2, vcc, v2, v7
	v_addc_co_u32_e32 v3, vcc, 0, v3, vcc
	s_andn2_b64 exec, exec, s[2:3]
	s_cbranch_execnz .LBB126_15
; %bb.16:
	s_or_b64 exec, exec, s[2:3]
.LBB126_17:
	s_or_b64 exec, exec, s[0:1]
	v_cmp_eq_u32_e64 s[2:3], 0, v0
	s_mov_b64 s[0:1], exec
	v_writelane_b32 v48, s2, 36
	v_writelane_b32 v48, s3, 37
	s_and_b64 s[2:3], s[0:1], s[2:3]
	s_mov_b64 exec, s[2:3]
; %bb.18:
	v_mov_b32_e32 v4, 0
	v_mov_b32_e32 v5, v4
	ds_write_b64 v4, v[4:5] offset:5136
; %bb.19:
	s_or_b64 exec, exec, s[0:1]
	v_cmp_ne_u64_e32 vcc, 0, v[2:3]
	s_mov_b64 s[8:9], 0
	s_waitcnt lgkmcnt(0)
	s_barrier
	s_and_saveexec_b64 s[0:1], vcc
	s_cbranch_execz .LBB126_24
; %bb.20:
	s_mov_b64 s[10:11], exec
.LBB126_21:                             ; =>This Inner Loop Header: Depth=1
	s_ff1_i32_b64 s2, s[10:11]
	v_readlane_b32 s7, v2, s2
	v_readlane_b32 s3, v3, s2
	s_add_u32 s8, s8, s7
	s_addc_u32 s9, s9, s3
	s_lshl_b64 s[2:3], 1, s2
	s_andn2_b64 s[10:11], s[10:11], s[2:3]
	s_cmp_lg_u64 s[10:11], 0
	s_cbranch_scc1 .LBB126_21
; %bb.22:
	v_mbcnt_lo_u32_b32 v2, exec_lo, 0
	v_mbcnt_hi_u32_b32 v2, exec_hi, v2
	v_cmp_eq_u32_e32 vcc, 0, v2
	s_and_saveexec_b64 s[2:3], vcc
	s_xor_b64 s[2:3], exec, s[2:3]
; %bb.23:
	v_mov_b32_e32 v2, s8
	v_mov_b32_e32 v4, 0
	;; [unrolled: 1-line block ×3, first 2 shown]
	ds_add_u64 v4, v[2:3] offset:5136
.LBB126_24:
	s_or_b64 exec, exec, s[0:1]
	v_mov_b32_e32 v2, 0
	s_load_dword s0, s[4:5], 0x4f8
	s_waitcnt lgkmcnt(0)
	s_barrier
	ds_read_b64 v[2:3], v2 offset:5136
	s_bitcmp1_b32 s0, 0
	s_cselect_b64 s[0:1], -1, 0
	v_mov_b32_e32 v19, s52
	v_mov_b32_e32 v20, s53
	s_waitcnt lgkmcnt(0)
	v_cmp_gt_i64_e32 vcc, 1, v[2:3]
	s_or_b64 s[0:1], s[0:1], vcc
	s_andn2_b64 vcc, exec, s[0:1]
	s_cbranch_vccnz .LBB126_26
; %bb.25:
	v_not_b32_e32 v2, v2
	v_not_b32_e32 v3, v3
	v_mov_b32_e32 v4, s53
	v_add_co_u32_e32 v2, vcc, s52, v2
	v_addc_co_u32_e32 v3, vcc, v4, v3, vcc
	v_lshrrev_b64 v[2:3], 1, v[2:3]
	v_add_co_u32_e32 v19, vcc, 1, v2
	v_addc_co_u32_e32 v20, vcc, 0, v3, vcc
.LBB126_26:
	s_mov_b64 s[0:1], exec
	v_readlane_b32 s2, v48, 36
	v_readlane_b32 s3, v48, 37
	s_and_b64 s[2:3], s[0:1], s[2:3]
	s_mov_b64 exec, s[2:3]
	s_cbranch_execz .LBB126_28
; %bb.27:
	v_mov_b32_e32 v2, 0
	v_mov_b32_e32 v4, s52
	;; [unrolled: 1-line block ×4, first 2 shown]
	ds_write_b32 v2, v2 offset:5144
	ds_write_b128 v2, v[2:5] offset:5120
.LBB126_28:
	s_or_b64 exec, exec, s[0:1]
	v_mbcnt_lo_u32_b32 v2, -1, 0
	v_mbcnt_hi_u32_b32 v23, -1, v2
	v_mad_u64_u32 v[2:3], s[0:1], s76, v0, 0
	v_cmp_gt_u32_e64 s[0:1], 2, v0
	v_writelane_b32 v48, s0, 38
	v_writelane_b32 v48, s1, 39
	v_mad_u64_u32 v[3:4], s[0:1], s77, v0, v[3:4]
	v_mov_b32_e32 v4, 0x300
	v_mov_b32_e32 v5, 0
	v_cmp_gt_u64_e64 s[0:1], s[52:53], v[4:5]
	s_waitcnt lgkmcnt(0)
	v_writelane_b32 v48, s0, 40
	s_barrier
	v_writelane_b32 v48, s1, 41
	s_load_dword s0, s[14:15], 0xc
	v_cmp_gt_u32_e32 vcc, 64, v0
	v_cmp_gt_i32_e64 s[8:9], 4, v23
	s_and_b64 s[92:93], vcc, s[8:9]
	v_lshlrev_b64 v[2:3], 2, v[2:3]
	s_waitcnt lgkmcnt(0)
	s_and_b32 s72, s0, 0xffff
	s_bfe_u32 s0, s0, 0xa0006
	s_cmp_gt_u32 s72, 63
	s_cselect_b64 s[2:3], -1, 0
	v_writelane_b32 v48, s2, 42
	s_add_u32 s1, s72, -1
	v_writelane_b32 v48, s3, 43
	s_addc_u32 s3, 0, -1
	s_add_u32 s2, s1, s52
	s_addc_u32 s85, s3, s53
	s_cmp_lt_u32 s6, s12
	v_writelane_b32 v48, s1, 44
	s_cselect_b32 s1, 12, 18
	s_add_u32 s82, s14, s1
	s_addc_u32 s83, s15, 0
	s_add_i32 s1, s0, -1
	v_mov_b32_e32 v25, s73
	v_add_co_u32_e32 v12, vcc, s33, v2
	s_bfe_u32 s6, s72, 0x30006
	s_and_b32 s1, s1, 0xffff
	v_addc_co_u32_e32 v13, vcc, v25, v3, vcc
	v_lshlrev_b64 v[2:3], v23, -1
	s_cmp_gt_u32 s1, 6
	v_writelane_b32 v48, s3, 45
	s_cselect_b64 s[8:9], -1, 0
	v_not_b32_e32 v28, v2
	v_lshrrev_b32_e32 v2, 1, v0
	v_writelane_b32 v48, s8, 46
	s_and_b32 s3, s0, 0x3f8
	v_and_b32_e32 v2, 0x1e0, v2
	v_writelane_b32 v48, s9, 47
	s_cmp_lg_u32 s6, 0
	v_lshlrev_b32_e32 v10, 2, v0
	v_mov_b32_e32 v15, 0
	v_lshlrev_b32_e32 v4, 2, v23
	v_or_b32_e32 v29, 0xc00, v2
	v_writelane_b32 v48, s6, 48
	s_cselect_b64 s[0:1], -1, 0
	v_mov_b32_e32 v2, 0xc00
	s_mov_b32 s91, 0
	v_cmp_eq_u32_e64 s[4:5], 0, v23
	v_add_u32_e32 v24, 0xc00, v10
	v_mov_b32_e32 v11, v15
	v_and_b32_e32 v26, 0x100, v4
	v_not_b32_e32 v27, v3
	v_writelane_b32 v48, s0, 49
	v_lshlrev_b32_e32 v31, 4, v0
	v_lshl_or_b32 v32, v23, 3, v2
	s_lshl_b32 s94, s72, 2
	s_mov_b32 s95, 30
	s_mov_b64 s[88:89], 0
	v_mov_b32_e32 v16, 1.0
	v_bfrev_b32_e32 v33, 1
	v_mov_b32_e32 v34, 0x4f800000
	v_mov_b32_e32 v18, 0
	s_mov_b32 s26, 0
	v_mov_b32_e32 v30, 0
	v_mov_b32_e32 v35, 0
	v_writelane_b32 v48, s1, 50
                                        ; implicit-def: $sgpr74_sgpr75
                                        ; implicit-def: $sgpr68_sgpr69
                                        ; implicit-def: $sgpr86_sgpr87
                                        ; implicit-def: $sgpr80_sgpr81
                                        ; implicit-def: $sgpr54_sgpr55
                                        ; implicit-def: $sgpr70_sgpr71
	s_branch .LBB126_32
.LBB126_29:                             ;   in Loop: Header=BB126_32 Depth=1
	s_or_b64 exec, exec, s[14:15]
	s_and_b64 s[8:9], s[8:9], exec
	s_andn2_b64 s[20:21], s[20:21], exec
	s_andn2_b64 s[6:7], s[6:7], exec
	s_orn2_b64 s[14:15], s[10:11], exec
.LBB126_30:                             ;   in Loop: Header=BB126_32 Depth=1
	s_or_b64 exec, exec, s[0:1]
	s_andn2_b64 s[0:1], s[70:71], exec
	s_and_b64 s[8:9], s[8:9], exec
	s_or_b64 s[70:71], s[0:1], s[8:9]
	s_andn2_b64 s[0:1], s[54:55], exec
	s_and_b64 s[8:9], s[20:21], exec
	s_or_b64 s[54:55], s[0:1], s[8:9]
	;; [unrolled: 3-line block ×3, first 2 shown]
	s_orn2_b64 s[6:7], s[14:15], exec
.LBB126_31:                             ;   in Loop: Header=BB126_32 Depth=1
	s_or_b64 exec, exec, s[12:13]
	s_and_b64 s[0:1], exec, s[6:7]
	s_or_b64 s[88:89], s[0:1], s[88:89]
	s_andn2_b64 s[0:1], s[86:87], exec
	s_and_b64 s[6:7], s[70:71], exec
	s_or_b64 s[86:87], s[0:1], s[6:7]
	s_andn2_b64 s[0:1], s[68:69], exec
	s_and_b64 s[6:7], s[54:55], exec
	s_or_b64 s[68:69], s[0:1], s[6:7]
	s_andn2_b64 s[0:1], s[74:75], exec
	s_and_b64 s[6:7], s[80:81], exec
	v_mov_b32_e32 v20, v7
	s_or_b64 s[74:75], s[0:1], s[6:7]
	v_mov_b32_e32 v19, v6
	s_andn2_b64 exec, exec, s[88:89]
	s_cbranch_execz .LBB126_298
.LBB126_32:                             ; =>This Loop Header: Depth=1
                                        ;     Child Loop BB126_38 Depth 2
                                        ;     Child Loop BB126_51 Depth 2
	;; [unrolled: 1-line block ×16, first 2 shown]
	ds_read_b128 v[2:5], v15 offset:5120
	s_waitcnt lgkmcnt(0)
	v_readfirstlane_b32 s79, v3
	v_readfirstlane_b32 s78, v2
	s_cmp_lg_u64 s[78:79], 0
	s_cbranch_scc1 .LBB126_59
; %bb.33:                               ;   in Loop: Header=BB126_32 Depth=1
	v_readlane_b32 s0, v48, 40
	v_readlane_b32 s1, v48, 41
	s_and_b64 vcc, exec, s[0:1]
	s_cbranch_vccz .LBB126_46
; %bb.34:                               ;   in Loop: Header=BB126_32 Depth=1
	s_mov_b64 s[0:1], 0x301
	v_cmp_gt_u64_e32 vcc, s[0:1], v[4:5]
	s_mov_b64 s[0:1], 0
	s_mov_b64 s[6:7], 0
	s_cbranch_vccz .LBB126_47
; %bb.35:                               ;   in Loop: Header=BB126_32 Depth=1
	s_mov_b64 s[8:9], exec
	v_readlane_b32 s6, v48, 34
	v_readlane_b32 s7, v48, 35
	s_and_b64 s[6:7], s[8:9], s[6:7]
	s_mov_b64 exec, s[6:7]
	s_cbranch_execz .LBB126_160
; %bb.36:                               ;   in Loop: Header=BB126_32 Depth=1
	global_load_dword v5, v[12:13], off
	global_load_ushort v4, v15, s[82:83]
	v_mov_b32_e32 v3, v1
	s_mov_b64 s[12:13], 0
	v_mov_b32_e32 v2, v0
	s_branch .LBB126_38
.LBB126_37:                             ;   in Loop: Header=BB126_38 Depth=2
	s_or_b64 exec, exec, s[6:7]
	s_waitcnt vmcnt(0)
	v_mov_b32_e32 v5, v6
	s_andn2_b64 exec, exec, s[12:13]
	s_cbranch_execz .LBB126_160
.LBB126_38:                             ;   Parent Loop BB126_32 Depth=1
                                        ; =>  This Inner Loop Header: Depth=2
	s_waitcnt vmcnt(0)
	v_add_co_u32_sdwa v2, vcc, v2, v4 dst_sel:DWORD dst_unused:UNUSED_PAD src0_sel:DWORD src1_sel:WORD_0
	v_addc_co_u32_e32 v3, vcc, 0, v3, vcc
	v_cmp_gt_u64_e64 s[6:7], s[52:53], v[2:3]
	v_cmp_le_u64_e32 vcc, s[52:53], v[2:3]
	s_waitcnt lgkmcnt(0)
	v_mov_b32_e32 v7, 0
	v_mov_b32_e32 v6, 0
	s_and_saveexec_b64 s[10:11], s[6:7]
	s_cbranch_execz .LBB126_40
; %bb.39:                               ;   in Loop: Header=BB126_38 Depth=2
	v_mul_lo_u32 v6, v3, s76
	v_mul_lo_u32 v14, v2, s77
	v_mad_u64_u32 v[8:9], s[6:7], v2, s76, 0
	v_add3_u32 v9, v9, v14, v6
	v_lshlrev_b64 v[8:9], 2, v[8:9]
	v_add_co_u32_e64 v8, s[6:7], s33, v8
	v_addc_co_u32_e64 v9, s[6:7], v25, v9, s[6:7]
	global_load_dword v6, v[8:9], off
.LBB126_40:                             ;   in Loop: Header=BB126_38 Depth=2
	s_or_b64 exec, exec, s[10:11]
	v_cmp_lt_i32_e64 s[6:7], -1, v5
	v_cndmask_b32_e64 v8, -1, v33, s[6:7]
	v_xor_b32_e32 v8, v8, v5
	v_cmp_o_f32_e64 s[6:7], v5, v5
	v_cndmask_b32_e64 v8, -1, v8, s[6:7]
	v_and_b32_e32 v8, v8, v35
	v_cmp_eq_u32_e64 s[10:11], v8, v30
	s_cmp_lg_u64 s[10:11], 0
	s_cselect_b64 s[6:7], -1, 0
	s_and_b64 s[6:7], s[4:5], s[6:7]
	s_and_saveexec_b64 s[14:15], s[6:7]
	s_cbranch_execz .LBB126_44
; %bb.41:                               ;   in Loop: Header=BB126_38 Depth=2
	s_mov_b64 s[18:19], exec
	v_mbcnt_lo_u32_b32 v7, s18, 0
	v_mbcnt_hi_u32_b32 v7, s19, v7
	s_bcnt1_i32_b64 s20, s[10:11]
	v_cmp_eq_u32_e64 s[6:7], 0, v7
                                        ; implicit-def: $vgpr8
	s_and_saveexec_b64 s[16:17], s[6:7]
; %bb.42:                               ;   in Loop: Header=BB126_38 Depth=2
	s_bcnt1_i32_b64 s6, s[18:19]
	s_mul_i32 s6, s20, s6
	v_mov_b32_e32 v8, s6
	ds_add_rtn_u32 v8, v15, v8 offset:5144
; %bb.43:                               ;   in Loop: Header=BB126_38 Depth=2
	s_or_b64 exec, exec, s[16:17]
	s_waitcnt lgkmcnt(0)
	v_readfirstlane_b32 s6, v8
	v_mov_b32_e32 v8, s6
	v_mad_u32_u24 v7, s20, v7, v8
.LBB126_44:                             ;   in Loop: Header=BB126_38 Depth=2
	s_or_b64 exec, exec, s[14:15]
	ds_bpermute_b32 v7, v26, v7
	s_and_b64 s[6:7], exec, vcc
	s_or_b64 s[12:13], s[6:7], s[12:13]
	s_and_saveexec_b64 s[6:7], s[10:11]
	s_cbranch_execz .LBB126_37
; %bb.45:                               ;   in Loop: Header=BB126_38 Depth=2
	v_and_b32_e32 v9, s10, v28
	v_and_b32_e32 v8, s11, v27
	v_bcnt_u32_b32 v9, v9, 0
	v_bcnt_u32_b32 v8, v8, v9
	v_lshlrev_b32_e32 v8, 2, v8
	s_waitcnt lgkmcnt(0)
	v_lshl_add_u32 v7, v7, 2, v8
	ds_write_b32 v7, v5
	s_branch .LBB126_37
.LBB126_46:                             ;   in Loop: Header=BB126_32 Depth=1
	s_mov_b64 s[0:1], -1
	s_mov_b64 s[6:7], 0
.LBB126_47:                             ;   in Loop: Header=BB126_32 Depth=1
	s_and_b64 vcc, exec, s[0:1]
	s_cbranch_vccz .LBB126_57
.LBB126_48:                             ;   in Loop: Header=BB126_32 Depth=1
	s_mov_b64 s[0:1], exec
	v_readlane_b32 s6, v48, 34
	v_readlane_b32 s7, v48, 35
	s_and_b64 s[6:7], s[0:1], s[6:7]
	s_mov_b64 exec, s[6:7]
	s_cbranch_execz .LBB126_54
; %bb.49:                               ;   in Loop: Header=BB126_32 Depth=1
	global_load_ushort v2, v15, s[82:83]
	global_load_dword v7, v[12:13], off
	s_waitcnt vmcnt(1)
	v_and_b32_e32 v6, 0xffff, v2
	v_add_u32_e32 v14, v6, v0
	v_cmp_gt_u64_e32 vcc, s[52:53], v[14:15]
	v_mov_b32_e32 v2, v0
	s_and_saveexec_b64 s[6:7], vcc
	s_cbranch_execz .LBB126_53
; %bb.50:                               ;   in Loop: Header=BB126_32 Depth=1
	v_mov_b32_e32 v4, v14
	v_mov_b32_e32 v3, v1
	s_mov_b64 s[8:9], 0
	v_mov_b32_e32 v5, v15
	v_mov_b32_e32 v2, v0
.LBB126_51:                             ;   Parent Loop BB126_32 Depth=1
                                        ; =>  This Inner Loop Header: Depth=2
	v_mov_b32_e32 v22, v5
	v_mov_b32_e32 v21, v4
	v_mul_lo_u32 v5, v22, s76
	v_mul_lo_u32 v8, v21, s77
	v_mad_u64_u32 v[3:4], s[10:11], v21, s76, 0
	v_mov_b32_e32 v9, s73
	v_lshlrev_b32_e32 v2, 2, v2
	v_add3_u32 v4, v4, v8, v5
	v_lshlrev_b64 v[3:4], 2, v[3:4]
	s_waitcnt vmcnt(0)
	ds_write_b32 v2, v7
	v_add_co_u32_e32 v3, vcc, s33, v3
	v_addc_co_u32_e32 v4, vcc, v9, v4, vcc
	global_load_dword v8, v[3:4], off
	v_add_co_u32_e32 v4, vcc, v21, v6
	v_addc_co_u32_e32 v5, vcc, 0, v22, vcc
	v_cmp_le_u64_e32 vcc, s[52:53], v[4:5]
	v_mov_b32_e32 v2, v21
	s_or_b64 s[8:9], vcc, s[8:9]
	v_mov_b32_e32 v3, v22
	s_waitcnt vmcnt(0)
	v_mov_b32_e32 v7, v8
	s_andn2_b64 exec, exec, s[8:9]
	s_cbranch_execnz .LBB126_51
; %bb.52:                               ;   in Loop: Header=BB126_32 Depth=1
	s_or_b64 exec, exec, s[8:9]
	v_sub_u32_e32 v2, v4, v6
	v_mov_b32_e32 v7, v8
.LBB126_53:                             ;   in Loop: Header=BB126_32 Depth=1
	s_or_b64 exec, exec, s[6:7]
	v_lshlrev_b32_e32 v2, 2, v2
	s_waitcnt vmcnt(0)
	ds_write_b32 v2, v7
.LBB126_54:                             ;   in Loop: Header=BB126_32 Depth=1
	s_or_b64 exec, exec, s[0:1]
	s_waitcnt lgkmcnt(0)
	s_barrier
	s_mov_b64 s[0:1], exec
	v_readlane_b32 s6, v48, 36
	v_readlane_b32 s7, v48, 37
	s_and_b64 s[6:7], s[0:1], s[6:7]
	s_mov_b64 exec, s[6:7]
; %bb.55:                               ;   in Loop: Header=BB126_32 Depth=1
	v_mov_b32_e32 v2, s52
	v_mov_b32_e32 v3, s53
	ds_write_b64 v15, v[2:3] offset:5120
; %bb.56:                               ;   in Loop: Header=BB126_32 Depth=1
	s_or_b64 exec, exec, s[0:1]
	s_mov_b64 s[6:7], -1
	s_waitcnt lgkmcnt(0)
	s_barrier
.LBB126_57:                             ;   in Loop: Header=BB126_32 Depth=1
	s_mov_b64 s[78:79], 0
	s_and_b64 vcc, exec, s[6:7]
	s_cbranch_vccz .LBB126_59
; %bb.58:                               ;   in Loop: Header=BB126_32 Depth=1
	ds_read_b64 v[2:3], v15 offset:5120
	s_waitcnt lgkmcnt(0)
	v_readfirstlane_b32 s78, v2
.LBB126_59:                             ;   in Loop: Header=BB126_32 Depth=1
	s_cmp_lt_i32 s78, 1
	s_mov_b64 s[0:1], -1
                                        ; implicit-def: $vgpr2_vgpr3
                                        ; implicit-def: $vgpr6_vgpr7
	s_cbranch_scc1 .LBB126_69
; %bb.60:                               ;   in Loop: Header=BB126_32 Depth=1
	s_and_b64 vcc, exec, s[0:1]
	s_cbranch_vccnz .LBB126_83
.LBB126_61:                             ;   in Loop: Header=BB126_32 Depth=1
	s_lshl_b32 s6, s26, 6
	s_and_saveexec_b64 s[0:1], s[4:5]
	s_cbranch_execz .LBB126_63
.LBB126_62:                             ;   in Loop: Header=BB126_32 Depth=1
	v_lshl_add_u32 v14, s6, 3, v29
	ds_write_b128 v14, v[2:5]
	ds_write_b128 v14, v[6:9] offset:16
.LBB126_63:                             ;   in Loop: Header=BB126_32 Depth=1
	s_or_b64 exec, exec, s[0:1]
	s_waitcnt lgkmcnt(0)
	s_barrier
	s_and_saveexec_b64 s[0:1], s[92:93]
	s_cbranch_execz .LBB126_98
; %bb.64:                               ;   in Loop: Header=BB126_32 Depth=1
	v_readlane_b32 s8, v48, 42
	v_mov_b32_e32 v2, 0
	v_readlane_b32 s9, v48, 43
	v_mov_b32_e32 v3, 0
	s_andn2_b64 vcc, exec, s[8:9]
	s_cbranch_vccnz .LBB126_97
; %bb.65:                               ;   in Loop: Header=BB126_32 Depth=1
	v_readlane_b32 s8, v48, 46
	v_readlane_b32 s9, v48, 47
	s_andn2_b64 vcc, exec, s[8:9]
	s_cbranch_vccnz .LBB126_93
; %bb.66:                               ;   in Loop: Header=BB126_32 Depth=1
	v_mov_b32_e32 v2, 0
	v_lshl_add_u32 v4, s26, 9, v32
	v_mov_b32_e32 v3, 0
	s_mov_b32 s7, 0
.LBB126_67:                             ;   Parent Loop BB126_32 Depth=1
                                        ; =>  This Inner Loop Header: Depth=2
	ds_read2_b64 v[5:8], v4 offset1:4
	ds_read2_b64 v[36:39], v4 offset0:8 offset1:12
	ds_read2_b64 v[40:43], v4 offset0:16 offset1:20
	;; [unrolled: 1-line block ×3, first 2 shown]
	s_add_i32 s7, s7, 8
	s_waitcnt lgkmcnt(3)
	v_add_co_u32_e32 v2, vcc, v5, v2
	v_addc_co_u32_e32 v3, vcc, v6, v3, vcc
	v_add_co_u32_e32 v2, vcc, v7, v2
	v_addc_co_u32_e32 v3, vcc, v8, v3, vcc
	s_waitcnt lgkmcnt(2)
	v_add_co_u32_e32 v2, vcc, v36, v2
	v_addc_co_u32_e32 v3, vcc, v37, v3, vcc
	v_add_co_u32_e32 v2, vcc, v38, v2
	v_addc_co_u32_e32 v3, vcc, v39, v3, vcc
	;; [unrolled: 5-line block ×3, first 2 shown]
	s_waitcnt lgkmcnt(0)
	v_add_co_u32_e32 v2, vcc, v44, v2
	v_addc_co_u32_e32 v3, vcc, v45, v3, vcc
	v_add_co_u32_e32 v2, vcc, v46, v2
	v_add_u32_e32 v4, 0x100, v4
	s_cmp_eq_u32 s3, s7
	v_addc_co_u32_e32 v3, vcc, v47, v3, vcc
	s_cbranch_scc0 .LBB126_67
; %bb.68:                               ;   in Loop: Header=BB126_32 Depth=1
	s_mov_b32 s7, s3
	s_branch .LBB126_94
.LBB126_69:                             ;   in Loop: Header=BB126_32 Depth=1
	global_load_ushort v14, v15, s[82:83]
	s_mov_b32 s0, s91
	s_waitcnt vmcnt(0)
	v_readfirstlane_b32 s1, v14
	s_and_b32 s1, 0xffff, s1
	s_lshl_b32 s8, s1, 2
	s_mov_b32 s1, s53
	s_cmp_lg_u64 s[0:1], 0
	s_cbranch_scc0 .LBB126_92
; %bb.70:                               ;   in Loop: Header=BB126_32 Depth=1
	v_cvt_f32_u32_e32 v2, s8
	s_sub_u32 s6, 0, s8
	s_subb_u32 s7, 0, 0
	v_mac_f32_e32 v2, 0, v34
	v_rcp_f32_e32 v2, v2
	v_mul_f32_e32 v2, 0x5f7ffffc, v2
	v_mul_f32_e32 v3, 0x2f800000, v2
	v_trunc_f32_e32 v3, v3
	v_mac_f32_e32 v2, 0xcf800000, v3
	v_cvt_u32_f32_e32 v3, v3
	v_cvt_u32_f32_e32 v2, v2
	v_readfirstlane_b32 s9, v3
	v_readfirstlane_b32 s0, v2
	s_mul_i32 s1, s6, s9
	s_mul_hi_u32 s11, s6, s0
	s_mul_i32 s10, s7, s0
	s_add_i32 s1, s11, s1
	s_mul_i32 s12, s6, s0
	s_add_i32 s1, s1, s10
	s_mul_hi_u32 s11, s0, s12
	s_mul_i32 s13, s0, s1
	s_mul_hi_u32 s10, s0, s1
	s_add_u32 s11, s11, s13
	s_addc_u32 s10, 0, s10
	s_mul_hi_u32 s14, s9, s12
	s_mul_i32 s12, s9, s12
	s_add_u32 s11, s11, s12
	s_mul_hi_u32 s13, s9, s1
	s_addc_u32 s10, s10, s14
	s_addc_u32 s11, s13, 0
	s_mul_i32 s1, s9, s1
	s_add_u32 s1, s10, s1
	s_addc_u32 s10, 0, s11
	s_add_u32 s11, s0, s1
	s_cselect_b64 s[0:1], -1, 0
	s_cmp_lg_u64 s[0:1], 0
	s_addc_u32 s9, s9, s10
	s_mul_i32 s0, s6, s9
	s_mul_hi_u32 s1, s6, s11
	s_add_i32 s0, s1, s0
	s_mul_i32 s7, s7, s11
	s_add_i32 s0, s0, s7
	s_mul_i32 s6, s6, s11
	s_mul_hi_u32 s7, s9, s6
	s_mul_i32 s10, s9, s6
	s_mul_i32 s13, s11, s0
	s_mul_hi_u32 s6, s11, s6
	s_mul_hi_u32 s12, s11, s0
	s_add_u32 s6, s6, s13
	s_addc_u32 s12, 0, s12
	s_add_u32 s6, s6, s10
	s_mul_hi_u32 s1, s9, s0
	s_addc_u32 s6, s12, s7
	s_addc_u32 s1, s1, 0
	s_mul_i32 s0, s9, s0
	s_add_u32 s0, s6, s0
	s_addc_u32 s6, 0, s1
	s_add_u32 s7, s11, s0
	s_cselect_b64 s[0:1], -1, 0
	s_cmp_lg_u64 s[0:1], 0
	s_addc_u32 s0, s9, s6
	s_mul_i32 s6, s52, s0
	s_mul_hi_u32 s9, s52, s7
	s_mul_hi_u32 s1, s52, s0
	s_add_u32 s6, s9, s6
	s_addc_u32 s1, 0, s1
	s_mul_hi_u32 s10, s53, s7
	s_mul_i32 s7, s53, s7
	s_add_u32 s6, s6, s7
	s_mul_hi_u32 s9, s53, s0
	s_addc_u32 s1, s1, s10
	s_addc_u32 s6, s9, 0
	s_mul_i32 s0, s53, s0
	s_add_u32 s0, s1, s0
	s_addc_u32 s1, 0, s6
	s_mul_i32 s1, s8, s1
	s_mul_hi_u32 s6, s8, s0
	s_add_i32 s6, s6, s1
	s_mul_i32 s0, s8, s0
	s_sub_u32 s7, s52, s0
	s_cselect_b64 s[0:1], -1, 0
	s_cmp_lg_u64 s[0:1], 0
	s_subb_u32 s6, s53, s6
	s_sub_u32 s9, s7, s8
	s_cselect_b64 s[0:1], -1, 0
	s_cmp_lg_u64 s[0:1], 0
	s_subb_u32 s10, s6, 0
	;; [unrolled: 4-line block ×3, first 2 shown]
	s_cmp_ge_u32 s9, s8
	s_cselect_b32 s1, -1, 0
	s_cmp_eq_u32 s10, 0
	s_cselect_b32 s1, s1, -1
	s_cmp_lg_u32 s1, 0
	s_cselect_b32 s0, s0, s10
	s_cselect_b32 s9, s11, s9
	s_cmp_ge_u32 s7, s8
	s_cselect_b32 s1, -1, 0
	s_cmp_eq_u32 s6, 0
	s_cselect_b32 s1, s1, -1
	s_cmp_lg_u32 s1, 0
	s_cselect_b32 s1, s0, s6
	s_cselect_b32 s0, s9, s7
	s_cbranch_execnz .LBB126_72
.LBB126_71:                             ;   in Loop: Header=BB126_32 Depth=1
	v_cvt_f32_u32_e32 v2, s8
	s_sub_i32 s0, 0, s8
	v_rcp_iflag_f32_e32 v2, v2
	v_mul_f32_e32 v2, 0x4f7ffffe, v2
	v_cvt_u32_f32_e32 v2, v2
	v_readfirstlane_b32 s1, v2
	s_mul_i32 s0, s0, s1
	s_mul_hi_u32 s0, s1, s0
	s_add_i32 s1, s1, s0
	s_mul_hi_u32 s0, s52, s1
	s_mul_i32 s0, s0, s8
	s_sub_i32 s0, s52, s0
	s_sub_i32 s1, s0, s8
	s_cmp_ge_u32 s0, s8
	s_cselect_b32 s0, s1, s0
	s_sub_i32 s1, s0, s8
	s_cmp_ge_u32 s0, s8
	s_cselect_b32 s90, s1, s0
	s_mov_b64 s[0:1], s[90:91]
.LBB126_72:                             ;   in Loop: Header=BB126_32 Depth=1
	s_sub_u32 s50, s52, s0
	s_subb_u32 s51, s53, s1
	v_cmp_gt_u64_e32 vcc, s[50:51], v[10:11]
	v_mov_b32_e32 v2, 0
	v_mov_b32_e32 v4, 0
	;; [unrolled: 1-line block ×8, first 2 shown]
	s_and_saveexec_b64 s[56:57], vcc
	s_cbranch_execz .LBB126_76
; %bb.73:                               ;   in Loop: Header=BB126_32 Depth=1
	v_mov_b32_e32 v22, v11
	s_mov_b64 s[58:59], 0
	s_mov_b64 s[64:65], 0
	s_mov_b64 s[66:67], 0
	s_mov_b64 s[60:61], 0
	s_mov_b64 s[62:63], 0
	v_mov_b32_e32 v21, v10
.LBB126_74:                             ;   Parent Loop BB126_32 Depth=1
                                        ; =>  This Inner Loop Header: Depth=2
	v_mul_lo_u32 v4, v22, s76
	v_mul_lo_u32 v5, v21, s77
	v_mad_u64_u32 v[2:3], s[0:1], v21, s76, 0
	v_mov_b32_e32 v6, s73
	s_lshl_b64 s[0:1], s[76:77], 2
	v_add3_u32 v3, v3, v5, v4
	v_lshlrev_b64 v[2:3], 2, v[2:3]
	v_mov_b32_e32 v7, s1
	v_add_co_u32_e64 v2, s[6:7], s33, v2
	v_addc_co_u32_e64 v3, s[6:7], v6, v3, s[6:7]
	global_load_dword v4, v[2:3], off
	v_add_co_u32_e64 v2, s[6:7], s0, v2
	v_addc_co_u32_e64 v3, s[6:7], v3, v7, s[6:7]
	global_load_dword v5, v[2:3], off
	v_add_co_u32_e64 v2, s[6:7], s0, v2
	v_addc_co_u32_e64 v3, s[6:7], v3, v7, s[6:7]
	global_load_dword v6, v[2:3], off
	v_add_co_u32_e64 v2, s[6:7], s0, v2
	v_addc_co_u32_e64 v3, s[6:7], v3, v7, s[6:7]
	global_load_dword v2, v[2:3], off
	v_add_co_u32_e32 v21, vcc, s8, v21
	v_addc_co_u32_e32 v22, vcc, 0, v22, vcc
	v_cmp_le_u64_e32 vcc, s[50:51], v[21:22]
	s_waitcnt vmcnt(3)
	v_cmp_lt_i32_e64 s[6:7], -1, v4
	v_cndmask_b32_e64 v3, -1, v33, s[6:7]
	v_xor_b32_e32 v3, v3, v4
	s_waitcnt vmcnt(2)
	v_cmp_lt_i32_e64 s[6:7], -1, v5
	v_cndmask_b32_e64 v7, -1, v33, s[6:7]
	v_cmp_o_f32_e64 s[6:7], v4, v4
	v_cndmask_b32_e64 v3, -1, v3, s[6:7]
	v_xor_b32_e32 v4, v7, v5
	s_waitcnt vmcnt(1)
	v_cmp_lt_i32_e64 s[6:7], -1, v6
	v_cndmask_b32_e64 v7, -1, v33, s[6:7]
	v_cmp_o_f32_e64 s[6:7], v5, v5
	v_cndmask_b32_e64 v4, -1, v4, s[6:7]
	v_xor_b32_e32 v5, v7, v6
	s_waitcnt vmcnt(0)
	v_cmp_lt_i32_e64 s[6:7], -1, v2
	v_cndmask_b32_e64 v7, -1, v33, s[6:7]
	v_and_b32_e32 v8, v3, v35
	v_bfe_u32 v3, v3, s95, 2
	v_cmp_o_f32_e64 s[6:7], v6, v6
	v_cndmask_b32_e64 v5, -1, v5, s[6:7]
	v_xor_b32_e32 v6, v7, v2
	v_cmp_eq_u32_e64 s[10:11], v8, v30
	v_and_b32_e32 v7, v4, v35
	v_bfe_u32 v4, v4, s95, 2
	v_cmp_eq_u32_e64 s[6:7], 0, v3
	v_cmp_o_f32_e64 s[12:13], v2, v2
	v_cmp_eq_u32_e64 s[28:29], 1, v3
	v_cmp_eq_u32_e64 s[30:31], 2, v3
	;; [unrolled: 1-line block ×3, first 2 shown]
	v_cndmask_b32_e64 v2, -1, v6, s[12:13]
	v_cmp_eq_u32_e64 s[12:13], v7, v30
	v_and_b32_e32 v3, v5, v35
	v_bfe_u32 v5, v5, s95, 2
	v_cmp_eq_u32_e64 s[22:23], 0, v4
	s_and_b64 s[0:1], s[10:11], s[6:7]
	v_cmp_eq_u32_e64 s[34:35], 1, v4
	v_cmp_eq_u32_e64 s[36:37], 2, v4
	;; [unrolled: 1-line block ×3, first 2 shown]
	v_cndmask_b32_e64 v4, 0, 1, s[0:1]
	v_cmp_eq_u32_e64 s[18:19], v3, v30
	v_and_b32_e32 v3, v2, v35
	v_bfe_u32 v2, v2, s95, 2
	v_cmp_eq_u32_e64 s[6:7], 0, v5
	s_and_b64 s[0:1], s[12:13], s[22:23]
	v_cmp_ne_u32_e64 s[42:43], 0, v4
	v_cndmask_b32_e64 v4, 0, 1, s[0:1]
	v_cmp_eq_u32_e64 s[22:23], v3, v30
	v_cmp_eq_u32_e64 s[44:45], 0, v2
	s_and_b64 s[0:1], s[18:19], s[6:7]
	v_cmp_eq_u32_e64 s[46:47], 1, v2
	v_cmp_eq_u32_e64 s[48:49], 2, v2
	;; [unrolled: 1-line block ×3, first 2 shown]
	v_cndmask_b32_e64 v2, 0, 1, s[0:1]
	s_and_b64 s[0:1], s[22:23], s[44:45]
	v_cmp_ne_u32_e64 s[6:7], 0, v2
	v_cndmask_b32_e64 v2, 0, 1, s[0:1]
	s_bcnt1_i32_b64 s9, s[42:43]
	v_cmp_ne_u32_e64 s[42:43], 0, v4
	s_bcnt1_i32_b64 s0, s[6:7]
	v_cmp_ne_u32_e64 s[6:7], 0, v2
	s_bcnt1_i32_b64 s27, s[42:43]
	s_bcnt1_i32_b64 s1, s[6:7]
	s_add_u32 s6, s9, s62
	s_addc_u32 s7, 0, s63
	s_add_u32 s6, s6, s27
	s_addc_u32 s7, s7, 0
	;; [unrolled: 2-line block ×4, first 2 shown]
	s_and_b64 s[0:1], s[10:11], s[28:29]
	v_cmp_eq_u32_e64 s[38:39], 1, v5
	v_cndmask_b32_e64 v4, 0, 1, s[0:1]
	s_and_b64 s[0:1], s[12:13], s[34:35]
	v_cmp_eq_u32_e64 s[40:41], 2, v5
	v_cmp_eq_u32_e64 s[20:21], 3, v5
	v_cndmask_b32_e64 v5, 0, 1, s[0:1]
	s_and_b64 s[0:1], s[18:19], s[38:39]
	v_cndmask_b32_e64 v6, 0, 1, s[0:1]
	s_and_b64 s[0:1], s[22:23], s[46:47]
	v_cndmask_b32_e64 v7, 0, 1, s[0:1]
	v_cmp_ne_u32_e64 s[6:7], 0, v4
	v_cmp_ne_u32_e64 s[28:29], 0, v5
	;; [unrolled: 1-line block ×4, first 2 shown]
	s_bcnt1_i32_b64 s0, s[6:7]
	s_bcnt1_i32_b64 s1, s[28:29]
	;; [unrolled: 1-line block ×4, first 2 shown]
	s_add_u32 s0, s0, s60
	s_addc_u32 s9, 0, s61
	s_add_u32 s0, s0, s1
	s_addc_u32 s1, s9, 0
	;; [unrolled: 2-line block ×4, first 2 shown]
	s_and_b64 s[0:1], s[10:11], s[30:31]
	v_cndmask_b32_e64 v6, 0, 1, s[0:1]
	s_and_b64 s[0:1], s[12:13], s[36:37]
	v_cndmask_b32_e64 v7, 0, 1, s[0:1]
	;; [unrolled: 2-line block ×4, first 2 shown]
	v_cmp_ne_u32_e64 s[6:7], 0, v6
	v_cmp_ne_u32_e64 s[28:29], 0, v7
	;; [unrolled: 1-line block ×4, first 2 shown]
	s_bcnt1_i32_b64 s0, s[6:7]
	s_bcnt1_i32_b64 s1, s[28:29]
	;; [unrolled: 1-line block ×4, first 2 shown]
	s_add_u32 s0, s0, s66
	s_addc_u32 s9, 0, s67
	s_add_u32 s0, s0, s1
	s_addc_u32 s1, s9, 0
	;; [unrolled: 2-line block ×4, first 2 shown]
	s_and_b64 s[0:1], s[10:11], s[14:15]
	v_cndmask_b32_e64 v8, 0, 1, s[0:1]
	s_and_b64 s[0:1], s[12:13], s[16:17]
	v_cndmask_b32_e64 v9, 0, 1, s[0:1]
	;; [unrolled: 2-line block ×4, first 2 shown]
	v_cmp_ne_u32_e64 s[6:7], 0, v8
	v_cmp_ne_u32_e64 s[10:11], 0, v9
	;; [unrolled: 1-line block ×4, first 2 shown]
	s_bcnt1_i32_b64 s0, s[6:7]
	s_bcnt1_i32_b64 s1, s[10:11]
	;; [unrolled: 1-line block ×4, first 2 shown]
	s_add_u32 s0, s0, s64
	s_addc_u32 s9, 0, s65
	s_add_u32 s0, s0, s1
	s_addc_u32 s1, s9, 0
	;; [unrolled: 2-line block ×3, first 2 shown]
	s_add_u32 s64, s0, s7
	v_mov_b32_e32 v2, s62
	v_mov_b32_e32 v4, s60
	;; [unrolled: 1-line block ×3, first 2 shown]
	s_addc_u32 s65, s1, 0
	v_mov_b32_e32 v8, s64
	v_mov_b32_e32 v3, s63
	;; [unrolled: 1-line block ×4, first 2 shown]
	s_or_b64 s[58:59], vcc, s[58:59]
	v_mov_b32_e32 v9, s65
	s_andn2_b64 exec, exec, s[58:59]
	s_cbranch_execnz .LBB126_74
; %bb.75:                               ;   in Loop: Header=BB126_32 Depth=1
	s_or_b64 exec, exec, s[58:59]
.LBB126_76:                             ;   in Loop: Header=BB126_32 Depth=1
	s_or_b64 exec, exec, s[56:57]
	v_mov_b32_e32 v17, s51
	v_add_co_u32_e32 v21, vcc, s50, v0
	v_addc_co_u32_e32 v22, vcc, 0, v17, vcc
	v_cmp_gt_u64_e32 vcc, s[52:53], v[21:22]
	s_and_saveexec_b64 s[0:1], vcc
	s_cbranch_execz .LBB126_82
; %bb.77:                               ;   in Loop: Header=BB126_32 Depth=1
	v_mul_lo_u32 v17, v22, s76
	v_mul_lo_u32 v38, v21, s77
	v_mad_u64_u32 v[36:37], s[6:7], v21, s76, 0
	s_mov_b64 s[8:9], 0
	v_add3_u32 v37, v37, v38, v17
	v_lshlrev_b64 v[36:37], 2, v[36:37]
	v_mov_b32_e32 v17, s73
	v_add_co_u32_e32 v36, vcc, s33, v36
	v_addc_co_u32_e32 v37, vcc, v17, v37, vcc
	global_load_dword v36, v[36:37], off
	s_branch .LBB126_79
.LBB126_78:                             ;   in Loop: Header=BB126_79 Depth=2
	s_or_b64 exec, exec, s[10:11]
	s_and_b64 s[6:7], exec, vcc
	s_waitcnt vmcnt(0)
	v_cmp_lt_i32_e32 vcc, -1, v36
	v_cndmask_b32_e32 v37, -1, v33, vcc
	v_xor_b32_e32 v37, v37, v36
	v_cmp_o_f32_e32 vcc, v36, v36
	v_cndmask_b32_e32 v36, -1, v37, vcc
	v_and_b32_e32 v37, v36, v35
	v_bfe_u32 v36, v36, s95, 2
	s_or_b64 s[8:9], s[6:7], s[8:9]
	v_cmp_eq_u32_e32 vcc, v37, v30
	v_cmp_eq_u32_e64 s[6:7], 0, v36
	s_and_b64 s[6:7], vcc, s[6:7]
	v_cndmask_b32_e64 v37, 0, 1, s[6:7]
	v_cmp_ne_u32_e64 s[6:7], 0, v37
	s_bcnt1_i32_b64 s6, s[6:7]
	v_add_co_u32_e64 v2, s[6:7], s6, v2
	v_addc_co_u32_e64 v3, s[6:7], 0, v3, s[6:7]
	v_cmp_eq_u32_e64 s[6:7], 1, v36
	s_and_b64 s[6:7], vcc, s[6:7]
	v_cndmask_b32_e64 v37, 0, 1, s[6:7]
	v_cmp_ne_u32_e64 s[6:7], 0, v37
	s_bcnt1_i32_b64 s6, s[6:7]
	v_add_co_u32_e64 v4, s[6:7], s6, v4
	v_addc_co_u32_e64 v5, s[6:7], 0, v5, s[6:7]
	v_cmp_eq_u32_e64 s[6:7], 2, v36
	s_and_b64 s[6:7], vcc, s[6:7]
	v_cndmask_b32_e64 v37, 0, 1, s[6:7]
	v_cmp_ne_u32_e64 s[6:7], 0, v37
	s_bcnt1_i32_b64 s6, s[6:7]
	v_add_co_u32_e64 v6, s[6:7], s6, v6
	v_addc_co_u32_e64 v7, s[6:7], 0, v7, s[6:7]
	v_cmp_eq_u32_e64 s[6:7], 3, v36
	s_and_b64 s[6:7], vcc, s[6:7]
	v_cndmask_b32_e64 v36, 0, 1, s[6:7]
	v_cmp_ne_u32_e32 vcc, 0, v36
	s_bcnt1_i32_b64 s6, vcc
	v_add_co_u32_e32 v8, vcc, s6, v8
	v_addc_co_u32_e32 v9, vcc, 0, v9, vcc
	v_mov_b32_e32 v36, v17
	s_andn2_b64 exec, exec, s[8:9]
	s_cbranch_execz .LBB126_81
.LBB126_79:                             ;   Parent Loop BB126_32 Depth=1
                                        ; =>  This Inner Loop Header: Depth=2
	v_add_co_u32_sdwa v21, vcc, v21, v14 dst_sel:DWORD dst_unused:UNUSED_PAD src0_sel:DWORD src1_sel:WORD_0
	v_addc_co_u32_e32 v22, vcc, 0, v22, vcc
	v_cmp_gt_u64_e64 s[6:7], s[52:53], v[21:22]
	v_cmp_le_u64_e32 vcc, s[52:53], v[21:22]
	v_mov_b32_e32 v17, 0
	s_and_saveexec_b64 s[10:11], s[6:7]
	s_cbranch_execz .LBB126_78
; %bb.80:                               ;   in Loop: Header=BB126_79 Depth=2
	v_mul_lo_u32 v17, v22, s76
	v_mul_lo_u32 v39, v21, s77
	v_mad_u64_u32 v[37:38], s[6:7], v21, s76, 0
	v_add3_u32 v38, v38, v39, v17
	v_lshlrev_b64 v[37:38], 2, v[37:38]
	v_mov_b32_e32 v17, s73
	v_add_co_u32_e64 v37, s[6:7], s33, v37
	v_addc_co_u32_e64 v38, s[6:7], v17, v38, s[6:7]
	global_load_dword v17, v[37:38], off
	s_branch .LBB126_78
.LBB126_81:                             ;   in Loop: Header=BB126_32 Depth=1
	s_or_b64 exec, exec, s[8:9]
.LBB126_82:                             ;   in Loop: Header=BB126_32 Depth=1
	s_or_b64 exec, exec, s[0:1]
	s_branch .LBB126_61
.LBB126_83:                             ;   in Loop: Header=BB126_32 Depth=1
	global_load_ushort v14, v15, s[82:83]
	v_mov_b32_e32 v6, 0
	v_mov_b32_e32 v7, 0
	s_waitcnt vmcnt(0)
	v_readfirstlane_b32 s0, v14
	s_and_b32 s0, 0xffff, s0
	s_lshl_b32 s27, s0, 2
	v_cvt_f32_u32_e32 v2, s27
	s_sub_i32 s1, 0, s27
	v_rcp_iflag_f32_e32 v4, v2
	v_mov_b32_e32 v2, 0
	v_mov_b32_e32 v3, 0
	v_mul_f32_e32 v4, 0x4f7ffffe, v4
	v_cvt_u32_f32_e32 v8, v4
	v_mov_b32_e32 v4, 0
	v_mov_b32_e32 v5, 0
	v_readfirstlane_b32 s6, v8
	s_mul_i32 s1, s1, s6
	s_mul_hi_u32 s1, s6, s1
	s_add_i32 s6, s6, s1
	s_mul_hi_u32 s1, s78, s6
	s_mul_i32 s6, s1, s27
	s_sub_i32 s6, s78, s6
	s_add_i32 s7, s1, 1
	s_sub_i32 s8, s6, s27
	s_cmp_ge_u32 s6, s27
	s_cselect_b32 s1, s7, s1
	s_cselect_b32 s6, s8, s6
	s_add_i32 s7, s1, 1
	s_cmp_ge_u32 s6, s27
	s_cselect_b32 s1, s7, s1
	s_mul_hi_u32 s57, s0, s1
	s_mul_i32 s56, s0, s1
	s_lshl_b64 s[58:59], s[56:57], 2
	v_cmp_gt_u64_e32 vcc, s[58:59], v[10:11]
	v_mov_b32_e32 v8, 0
	v_mov_b32_e32 v9, 0
	s_and_saveexec_b64 s[60:61], vcc
	s_cbranch_execz .LBB126_87
; %bb.84:                               ;   in Loop: Header=BB126_32 Depth=1
	v_mov_b32_e32 v22, v11
	s_lshl_b32 s57, s0, 4
	s_mov_b64 s[62:63], 0
	v_mov_b32_e32 v17, v31
	s_mov_b64 s[64:65], 0
	s_mov_b64 s[66:67], 0
	;; [unrolled: 1-line block ×4, first 2 shown]
	v_mov_b32_e32 v21, v10
.LBB126_85:                             ;   Parent Loop BB126_32 Depth=1
                                        ; =>  This Inner Loop Header: Depth=2
	ds_read_b128 v[2:5], v17
	v_add_co_u32_e32 v21, vcc, s27, v21
	v_addc_co_u32_e32 v22, vcc, 0, v22, vcc
	s_waitcnt lgkmcnt(0)
	v_cmp_lt_i32_e64 s[6:7], -1, v2
	v_cndmask_b32_e64 v6, -1, v33, s[6:7]
	v_cmp_lt_i32_e64 s[6:7], -1, v3
	v_cndmask_b32_e64 v7, -1, v33, s[6:7]
	;; [unrolled: 2-line block ×4, first 2 shown]
	v_xor_b32_e32 v7, v7, v3
	v_cmp_o_f32_e64 s[6:7], v3, v3
	v_xor_b32_e32 v3, v8, v4
	v_cmp_o_f32_e64 s[10:11], v4, v4
	;; [unrolled: 2-line block ×4, first 2 shown]
	v_cndmask_b32_e64 v2, -1, v5, s[14:15]
	v_cndmask_b32_e64 v5, -1, v7, s[6:7]
	v_and_b32_e32 v6, v2, v35
	v_bfe_u32 v2, v2, s95, 2
	v_cndmask_b32_e64 v3, -1, v3, s[10:11]
	v_and_b32_e32 v7, v5, v35
	v_bfe_u32 v5, v5, s95, 2
	v_cmp_eq_u32_e64 s[16:17], v6, v30
	v_cmp_eq_u32_e64 s[6:7], 0, v2
	v_cndmask_b32_e64 v4, -1, v4, s[12:13]
	v_and_b32_e32 v8, v3, v35
	v_bfe_u32 v3, v3, s95, 2
	v_cmp_eq_u32_e64 s[14:15], v7, v30
	v_cmp_eq_u32_e64 s[28:29], 0, v5
	s_and_b64 s[6:7], s[16:17], s[6:7]
	v_and_b32_e32 v9, v4, v35
	v_bfe_u32 v4, v4, s95, 2
	v_cmp_eq_u32_e64 s[12:13], v8, v30
	v_cmp_eq_u32_e64 s[30:31], 0, v3
	v_cmp_eq_u32_e64 s[36:37], 1, v2
	v_cmp_eq_u32_e64 s[44:45], 2, v2
	v_cmp_eq_u32_e64 s[24:25], 3, v2
	v_cndmask_b32_e64 v2, 0, 1, s[6:7]
	s_and_b64 s[6:7], s[14:15], s[28:29]
	v_cmp_eq_u32_e64 s[10:11], v9, v30
	v_cmp_eq_u32_e64 s[34:35], 0, v4
	v_cmp_eq_u32_e64 s[40:41], 1, v3
	v_cmp_eq_u32_e64 s[48:49], 2, v3
	v_cmp_eq_u32_e64 s[20:21], 3, v3
	v_cndmask_b32_e64 v3, 0, 1, s[6:7]
	s_and_b64 s[6:7], s[12:13], s[30:31]
	v_cmp_eq_u32_e64 s[42:43], 1, v4
	v_cmp_eq_u32_e64 s[50:51], 2, v4
	;; [unrolled: 1-line block ×3, first 2 shown]
	v_cndmask_b32_e64 v4, 0, 1, s[6:7]
	s_and_b64 s[6:7], s[10:11], s[34:35]
	v_cmp_eq_u32_e64 s[38:39], 1, v5
	v_cmp_eq_u32_e64 s[46:47], 2, v5
	;; [unrolled: 1-line block ×3, first 2 shown]
	v_cndmask_b32_e64 v5, 0, 1, s[6:7]
	v_cmp_ne_u32_e64 s[6:7], 0, v2
	v_cmp_ne_u32_e64 s[28:29], 0, v3
	v_cmp_ne_u32_e64 s[30:31], 0, v4
	v_cmp_ne_u32_e64 s[34:35], 0, v5
	s_bcnt1_i32_b64 s6, s[6:7]
	s_bcnt1_i32_b64 s7, s[28:29]
	s_bcnt1_i32_b64 s28, s[30:31]
	s_bcnt1_i32_b64 s29, s[34:35]
	s_add_u32 s6, s6, s8
	s_addc_u32 s8, 0, s9
	s_add_u32 s6, s6, s7
	s_addc_u32 s7, s8, 0
	s_add_u32 s6, s6, s28
	s_addc_u32 s7, s7, 0
	s_add_u32 s8, s6, s29
	s_addc_u32 s9, s7, 0
	s_and_b64 s[6:7], s[16:17], s[36:37]
	v_cndmask_b32_e64 v4, 0, 1, s[6:7]
	s_and_b64 s[6:7], s[14:15], s[38:39]
	v_cndmask_b32_e64 v5, 0, 1, s[6:7]
	s_and_b64 s[6:7], s[12:13], s[40:41]
	v_cndmask_b32_e64 v6, 0, 1, s[6:7]
	s_and_b64 s[6:7], s[10:11], s[42:43]
	v_cndmask_b32_e64 v7, 0, 1, s[6:7]
	v_cmp_ne_u32_e64 s[6:7], 0, v4
	v_cmp_ne_u32_e64 s[28:29], 0, v5
	v_cmp_ne_u32_e64 s[30:31], 0, v6
	v_cmp_ne_u32_e64 s[34:35], 0, v7
	s_bcnt1_i32_b64 s6, s[6:7]
	s_bcnt1_i32_b64 s7, s[28:29]
	s_bcnt1_i32_b64 s28, s[30:31]
	s_bcnt1_i32_b64 s29, s[34:35]
	s_add_u32 s0, s6, s0
	s_addc_u32 s1, 0, s1
	s_add_u32 s0, s0, s7
	s_addc_u32 s1, s1, 0
	s_add_u32 s0, s0, s28
	s_addc_u32 s1, s1, 0
	s_add_u32 s0, s0, s29
	s_addc_u32 s1, s1, 0
	s_and_b64 s[6:7], s[16:17], s[44:45]
	v_cndmask_b32_e64 v6, 0, 1, s[6:7]
	s_and_b64 s[6:7], s[14:15], s[46:47]
	v_cndmask_b32_e64 v7, 0, 1, s[6:7]
	s_and_b64 s[6:7], s[12:13], s[48:49]
	v_cndmask_b32_e64 v8, 0, 1, s[6:7]
	s_and_b64 s[6:7], s[10:11], s[50:51]
	;; [unrolled: 24-line block ×3, first 2 shown]
	v_cndmask_b32_e64 v37, 0, 1, s[6:7]
	v_cmp_ne_u32_e64 s[6:7], 0, v8
	v_cmp_ne_u32_e64 s[10:11], 0, v9
	;; [unrolled: 1-line block ×4, first 2 shown]
	s_bcnt1_i32_b64 s6, s[6:7]
	s_bcnt1_i32_b64 s7, s[10:11]
	;; [unrolled: 1-line block ×4, first 2 shown]
	s_add_u32 s6, s6, s64
	s_addc_u32 s12, 0, s65
	s_add_u32 s6, s6, s7
	s_addc_u32 s7, s12, 0
	;; [unrolled: 2-line block ×3, first 2 shown]
	v_cmp_le_u64_e32 vcc, s[58:59], v[21:22]
	s_add_u32 s64, s6, s11
	v_mov_b32_e32 v2, s8
	v_mov_b32_e32 v5, s1
	;; [unrolled: 1-line block ×3, first 2 shown]
	s_addc_u32 s65, s7, 0
	v_mov_b32_e32 v8, s64
	v_add_u32_e32 v17, s57, v17
	v_mov_b32_e32 v3, s9
	v_mov_b32_e32 v4, s0
	v_mov_b32_e32 v7, s67
	s_or_b64 s[62:63], vcc, s[62:63]
	v_mov_b32_e32 v9, s65
	s_andn2_b64 exec, exec, s[62:63]
	s_cbranch_execnz .LBB126_85
; %bb.86:                               ;   in Loop: Header=BB126_32 Depth=1
	s_or_b64 exec, exec, s[62:63]
.LBB126_87:                             ;   in Loop: Header=BB126_32 Depth=1
	s_or_b64 exec, exec, s[60:61]
	v_mov_b32_e32 v17, s59
	v_add_co_u32_e32 v21, vcc, s58, v0
	s_and_b32 s90, s78, 0x7fffffff
	v_addc_co_u32_e32 v22, vcc, 0, v17, vcc
	v_cmp_gt_u64_e32 vcc, s[90:91], v[21:22]
	s_and_saveexec_b64 s[0:1], vcc
	s_cbranch_execz .LBB126_91
; %bb.88:                               ;   in Loop: Header=BB126_32 Depth=1
	v_lshl_add_u32 v17, s56, 4, v10
	s_mov_b64 s[8:9], 0
.LBB126_89:                             ;   Parent Loop BB126_32 Depth=1
                                        ; =>  This Inner Loop Header: Depth=2
	ds_read_b32 v36, v17
	v_add_co_u32_sdwa v21, vcc, v21, v14 dst_sel:DWORD dst_unused:UNUSED_PAD src0_sel:DWORD src1_sel:WORD_0
	v_addc_co_u32_e32 v22, vcc, 0, v22, vcc
	s_waitcnt lgkmcnt(0)
	v_cmp_lt_i32_e64 s[6:7], -1, v36
	v_cndmask_b32_e64 v37, -1, v33, s[6:7]
	v_xor_b32_e32 v37, v37, v36
	v_cmp_o_f32_e64 s[6:7], v36, v36
	v_cndmask_b32_e64 v36, -1, v37, s[6:7]
	v_and_b32_e32 v37, v36, v35
	v_bfe_u32 v36, v36, s95, 2
	v_cmp_eq_u32_e64 s[6:7], v37, v30
	v_cmp_eq_u32_e64 s[10:11], 0, v36
	;; [unrolled: 1-line block ×3, first 2 shown]
	s_and_b64 s[10:11], s[6:7], s[10:11]
	v_cmp_eq_u32_e64 s[14:15], 2, v36
	v_cmp_eq_u32_e64 s[16:17], 3, v36
	v_cndmask_b32_e64 v36, 0, 1, s[10:11]
	s_and_b64 s[10:11], s[6:7], s[12:13]
	v_cndmask_b32_e64 v37, 0, 1, s[10:11]
	s_and_b64 s[10:11], s[6:7], s[14:15]
	s_and_b64 s[6:7], s[6:7], s[16:17]
	v_cndmask_b32_e64 v38, 0, 1, s[10:11]
	v_cndmask_b32_e64 v39, 0, 1, s[6:7]
	v_cmp_le_u64_e32 vcc, s[90:91], v[21:22]
	v_cmp_ne_u32_e64 s[6:7], 0, v36
	v_cmp_ne_u32_e64 s[10:11], 0, v37
	;; [unrolled: 1-line block ×4, first 2 shown]
	s_bcnt1_i32_b64 s6, s[6:7]
	s_bcnt1_i32_b64 s7, s[10:11]
	;; [unrolled: 1-line block ×4, first 2 shown]
	s_or_b64 s[8:9], vcc, s[8:9]
	v_add_co_u32_e32 v2, vcc, s6, v2
	v_addc_co_u32_e32 v3, vcc, 0, v3, vcc
	v_add_co_u32_e32 v4, vcc, s7, v4
	v_addc_co_u32_e32 v5, vcc, 0, v5, vcc
	;; [unrolled: 2-line block ×3, first 2 shown]
	v_add_co_u32_e32 v8, vcc, s11, v8
	v_add_u32_e32 v17, s27, v17
	v_addc_co_u32_e32 v9, vcc, 0, v9, vcc
	s_andn2_b64 exec, exec, s[8:9]
	s_cbranch_execnz .LBB126_89
; %bb.90:                               ;   in Loop: Header=BB126_32 Depth=1
	s_or_b64 exec, exec, s[8:9]
.LBB126_91:                             ;   in Loop: Header=BB126_32 Depth=1
	s_or_b64 exec, exec, s[0:1]
	s_lshl_b32 s6, s26, 6
	s_and_saveexec_b64 s[0:1], s[4:5]
	s_cbranch_execnz .LBB126_62
	s_branch .LBB126_63
.LBB126_92:                             ;   in Loop: Header=BB126_32 Depth=1
                                        ; implicit-def: $sgpr0_sgpr1
	s_branch .LBB126_71
.LBB126_93:                             ;   in Loop: Header=BB126_32 Depth=1
	v_mov_b32_e32 v2, 0
	v_mov_b32_e32 v3, 0
	s_mov_b32 s7, 0
.LBB126_94:                             ;   in Loop: Header=BB126_32 Depth=1
	v_readlane_b32 s8, v48, 49
	v_readlane_b32 s9, v48, 50
	s_andn2_b64 vcc, exec, s[8:9]
	s_cbranch_vccnz .LBB126_97
; %bb.95:                               ;   in Loop: Header=BB126_32 Depth=1
	s_lshl_b32 s8, s26, 9
	s_lshl_b32 s7, s7, 5
	s_add_i32 s8, s8, s7
	v_add_u32_e32 v4, s8, v32
	v_readlane_b32 s7, v48, 48
.LBB126_96:                             ;   Parent Loop BB126_32 Depth=1
                                        ; =>  This Inner Loop Header: Depth=2
	ds_read_b64 v[5:6], v4
	s_add_i32 s7, s7, -1
	v_add_u32_e32 v4, 32, v4
	s_cmp_lg_u32 s7, 0
	s_waitcnt lgkmcnt(0)
	v_add_co_u32_e32 v2, vcc, v5, v2
	v_addc_co_u32_e32 v3, vcc, v6, v3, vcc
	s_cbranch_scc1 .LBB126_96
.LBB126_97:                             ;   in Loop: Header=BB126_32 Depth=1
	v_add_lshl_u32 v4, s6, v23, 3
	ds_write_b64 v4, v[2:3] offset:3072
.LBB126_98:                             ;   in Loop: Header=BB126_32 Depth=1
	s_or_b64 exec, exec, s[0:1]
	s_lshl_b32 s0, s6, 3
	v_mov_b32_e32 v2, s0
	s_waitcnt lgkmcnt(0)
	s_barrier
	ds_read_b128 v[6:9], v2 offset:3088
	ds_read_b128 v[2:5], v2 offset:3072
	v_cmp_eq_u64_e64 s[6:7], 1, v[19:20]
	s_lshl_b32 s27, 3, s95
	s_not_b32 s50, s27
	s_waitcnt lgkmcnt(1)
	v_readfirstlane_b32 s18, v6
	s_waitcnt lgkmcnt(0)
	v_cmp_eq_u64_e32 vcc, 1, v[2:3]
	v_readfirstlane_b32 s19, v7
	v_readfirstlane_b32 s10, v8
	;; [unrolled: 1-line block ×3, first 2 shown]
	s_and_b64 s[14:15], vcc, s[6:7]
	s_mov_b64 s[6:7], -1
	s_mov_b64 s[16:17], -1
                                        ; implicit-def: $sgpr8_sgpr9
                                        ; implicit-def: $sgpr0_sgpr1
	s_and_saveexec_b64 s[12:13], s[14:15]
	s_cbranch_execz .LBB126_132
; %bb.99:                               ;   in Loop: Header=BB126_32 Depth=1
	ds_read_b64 v[6:7], v15 offset:5120
	s_waitcnt lgkmcnt(0)
	s_barrier
	v_readfirstlane_b32 s20, v6
	v_readfirstlane_b32 s21, v7
	s_mov_b64 s[0:1], exec
	v_readlane_b32 s8, v48, 38
	v_readlane_b32 s9, v48, 39
	s_and_b64 s[8:9], s[0:1], s[8:9]
	s_mov_b64 exec, s[8:9]
; %bb.100:                              ;   in Loop: Header=BB126_32 Depth=1
	ds_write_b32 v24, v15
; %bb.101:                              ;   in Loop: Header=BB126_32 Depth=1
	s_or_b64 exec, exec, s[0:1]
	v_and_b32_e32 v30, s50, v30
	v_or_b32_e32 v35, s27, v35
	s_mov_b64 s[0:1], -1
	s_mov_b64 s[8:9], 0
	s_cmp_eq_u64 s[20:21], 0
	s_mov_b64 s[16:17], 0
	s_mov_b64 s[22:23], -1
	s_waitcnt lgkmcnt(0)
	s_barrier
                                        ; implicit-def: $vgpr18
	s_cbranch_scc1 .LBB126_116
; %bb.102:                              ;   in Loop: Header=BB126_32 Depth=1
	v_readlane_b32 s16, v48, 44
	s_add_u32 s28, s20, s16
	v_readlane_b32 s16, v48, 45
	s_addc_u32 s17, s21, s16
	s_mov_b32 s16, s91
	s_cmp_lg_u64 s[16:17], 0
	s_cbranch_scc0 .LBB126_159
; %bb.103:                              ;   in Loop: Header=BB126_32 Depth=1
	v_cvt_f32_u32_e32 v6, s72
	s_sub_u32 s16, 0, s72
	s_subb_u32 s24, 0, 0
	v_mac_f32_e32 v6, 0, v34
	v_rcp_f32_e32 v6, v6
	v_mul_f32_e32 v6, 0x5f7ffffc, v6
	v_mul_f32_e32 v7, 0x2f800000, v6
	v_trunc_f32_e32 v7, v7
	v_mac_f32_e32 v6, 0xcf800000, v7
	v_cvt_u32_f32_e32 v7, v7
	v_cvt_u32_f32_e32 v6, v6
	v_readfirstlane_b32 s25, v7
	v_readfirstlane_b32 s22, v6
	s_mul_i32 s23, s16, s25
	s_mul_hi_u32 s30, s16, s22
	s_mul_i32 s29, s24, s22
	s_add_i32 s23, s30, s23
	s_mul_i32 s31, s16, s22
	s_add_i32 s23, s23, s29
	s_mul_hi_u32 s30, s22, s31
	s_mul_i32 s34, s22, s23
	s_mul_hi_u32 s29, s22, s23
	s_add_u32 s30, s30, s34
	s_addc_u32 s29, 0, s29
	s_mul_hi_u32 s35, s25, s31
	s_mul_i32 s31, s25, s31
	s_add_u32 s30, s30, s31
	s_mul_hi_u32 s34, s25, s23
	s_addc_u32 s29, s29, s35
	s_addc_u32 s30, s34, 0
	s_mul_i32 s23, s25, s23
	s_add_u32 s23, s29, s23
	s_addc_u32 s29, 0, s30
	s_add_u32 s30, s22, s23
	s_cselect_b64 s[22:23], -1, 0
	s_cmp_lg_u64 s[22:23], 0
	s_addc_u32 s25, s25, s29
	s_mul_i32 s22, s16, s25
	s_mul_hi_u32 s23, s16, s30
	s_add_i32 s22, s23, s22
	s_mul_i32 s24, s24, s30
	s_add_i32 s22, s22, s24
	s_mul_i32 s16, s16, s30
	s_mul_hi_u32 s24, s25, s16
	s_mul_i32 s29, s25, s16
	s_mul_i32 s34, s30, s22
	s_mul_hi_u32 s16, s30, s16
	s_mul_hi_u32 s31, s30, s22
	s_add_u32 s16, s16, s34
	s_addc_u32 s31, 0, s31
	s_add_u32 s16, s16, s29
	s_mul_hi_u32 s23, s25, s22
	s_addc_u32 s16, s31, s24
	s_addc_u32 s23, s23, 0
	s_mul_i32 s22, s25, s22
	s_add_u32 s16, s16, s22
	s_addc_u32 s24, 0, s23
	s_add_u32 s16, s30, s16
	s_cselect_b64 s[22:23], -1, 0
	s_cmp_lg_u64 s[22:23], 0
	s_addc_u32 s22, s25, s24
	s_mul_i32 s24, s28, s22
	s_mul_hi_u32 s25, s28, s16
	s_mul_hi_u32 s23, s28, s22
	s_add_u32 s24, s25, s24
	s_addc_u32 s23, 0, s23
	s_mul_hi_u32 s29, s17, s16
	s_mul_i32 s16, s17, s16
	s_add_u32 s16, s24, s16
	s_mul_hi_u32 s25, s17, s22
	s_addc_u32 s16, s23, s29
	s_addc_u32 s23, s25, 0
	s_mul_i32 s22, s17, s22
	s_add_u32 s16, s16, s22
	s_addc_u32 s22, 0, s23
	s_mul_i32 s22, s72, s22
	s_mul_hi_u32 s23, s72, s16
	s_add_i32 s24, s23, s22
	s_mul_i32 s16, s72, s16
	s_sub_u32 s16, s28, s16
	s_cselect_b64 s[22:23], -1, 0
	s_cmp_lg_u64 s[22:23], 0
	s_subb_u32 s24, s17, s24
	s_sub_u32 s25, s16, s72
	s_cselect_b64 s[22:23], -1, 0
	s_cmp_lg_u64 s[22:23], 0
	s_subb_u32 s29, s24, 0
	;; [unrolled: 4-line block ×3, first 2 shown]
	s_cmp_ge_u32 s25, s72
	s_cselect_b32 s23, -1, 0
	s_cmp_eq_u32 s29, 0
	s_cselect_b32 s23, s23, -1
	s_cmp_lg_u32 s23, 0
	s_cselect_b32 s22, s22, s29
	s_cselect_b32 s25, s30, s25
	s_cmp_ge_u32 s16, s72
	s_cselect_b32 s23, -1, 0
	s_cmp_eq_u32 s24, 0
	s_cselect_b32 s23, s23, -1
	s_cmp_lg_u32 s23, 0
	s_cselect_b32 s23, s22, s24
	s_cselect_b32 s22, s25, s16
	s_cbranch_execnz .LBB126_105
.LBB126_104:                            ;   in Loop: Header=BB126_32 Depth=1
	v_cvt_f32_u32_e32 v6, s72
	s_sub_i32 s16, 0, s72
	v_rcp_iflag_f32_e32 v6, v6
	v_mul_f32_e32 v6, 0x4f7ffffe, v6
	v_cvt_u32_f32_e32 v6, v6
	v_readfirstlane_b32 s22, v6
	s_mul_i32 s16, s16, s22
	s_mul_hi_u32 s16, s22, s16
	s_add_i32 s22, s22, s16
	s_mul_hi_u32 s16, s28, s22
	s_mul_i32 s16, s16, s72
	s_sub_i32 s16, s28, s16
	s_sub_i32 s22, s16, s72
	s_cmp_ge_u32 s16, s72
	s_cselect_b32 s16, s22, s16
	s_sub_i32 s22, s16, s72
	s_cmp_ge_u32 s16, s72
	s_cselect_b32 s90, s22, s16
	s_mov_b64 s[22:23], s[90:91]
.LBB126_105:                            ;   in Loop: Header=BB126_32 Depth=1
	s_sub_u32 s28, s28, s22
	s_subb_u32 s29, s17, s23
	v_cmp_gt_u64_e32 vcc, s[28:29], v[0:1]
	s_mov_b64 s[22:23], 0
	s_mov_b64 s[16:17], 0
                                        ; implicit-def: $vgpr18
	s_and_saveexec_b64 s[24:25], vcc
	s_cbranch_execz .LBB126_115
; %bb.106:                              ;   in Loop: Header=BB126_32 Depth=1
	v_mov_b32_e32 v7, v1
	v_mov_b32_e32 v8, v10
	;; [unrolled: 1-line block ×3, first 2 shown]
                                        ; implicit-def: $sgpr30_sgpr31
	s_branch .LBB126_110
.LBB126_107:                            ;   in Loop: Header=BB126_110 Depth=2
	s_or_b64 exec, exec, s[34:35]
	s_waitcnt lgkmcnt(0)
	s_barrier
	ds_read_b64 v[17:18], v15 offset:3072
	s_waitcnt lgkmcnt(0)
	s_barrier
	v_cmp_neq_f32_e32 vcc, 0, v17
	s_cbranch_vccnz .LBB126_113
; %bb.108:                              ;   in Loop: Header=BB126_110 Depth=2
	v_add_co_u32_e32 v6, vcc, s72, v6
	v_addc_co_u32_e32 v7, vcc, 0, v7, vcc
	v_cmp_le_u64_e32 vcc, s[28:29], v[6:7]
	v_add_u32_e32 v8, s94, v8
	s_mov_b64 s[34:35], 0
	s_orn2_b64 s[36:37], vcc, exec
.LBB126_109:                            ;   in Loop: Header=BB126_110 Depth=2
	s_and_b64 s[36:37], exec, s[36:37]
	s_or_b64 s[16:17], s[36:37], s[16:17]
	s_andn2_b64 s[30:31], s[30:31], exec
	s_and_b64 s[34:35], s[34:35], exec
	s_or_b64 s[30:31], s[30:31], s[34:35]
	s_andn2_b64 exec, exec, s[16:17]
	s_cbranch_execz .LBB126_114
.LBB126_110:                            ;   Parent Loop BB126_32 Depth=1
                                        ; =>  This Inner Loop Header: Depth=2
	v_cmp_gt_u64_e32 vcc, s[20:21], v[6:7]
	s_and_saveexec_b64 s[34:35], vcc
	s_cbranch_execz .LBB126_107
; %bb.111:                              ;   in Loop: Header=BB126_110 Depth=2
	ds_read_b32 v17, v8
	s_waitcnt lgkmcnt(0)
	v_cmp_lt_i32_e32 vcc, -1, v17
	v_cndmask_b32_e32 v9, -1, v33, vcc
	v_xor_b32_e32 v9, v9, v17
	v_cmp_o_f32_e32 vcc, v17, v17
	v_cndmask_b32_e32 v9, -1, v9, vcc
	v_and_b32_e32 v9, v9, v35
	v_cmp_eq_u32_e32 vcc, v9, v30
	s_and_b64 exec, exec, vcc
	s_cbranch_execz .LBB126_107
; %bb.112:                              ;   in Loop: Header=BB126_110 Depth=2
	ds_write_b64 v15, v[16:17] offset:3072
	s_branch .LBB126_107
.LBB126_113:                            ;   in Loop: Header=BB126_110 Depth=2
	s_mov_b64 s[36:37], -1
                                        ; implicit-def: $vgpr6_vgpr7
                                        ; implicit-def: $vgpr8
	s_mov_b64 s[34:35], -1
	s_branch .LBB126_109
.LBB126_114:                            ;   in Loop: Header=BB126_32 Depth=1
	s_or_b64 exec, exec, s[16:17]
	s_and_b64 s[16:17], s[30:31], exec
.LBB126_115:                            ;   in Loop: Header=BB126_32 Depth=1
	s_or_b64 exec, exec, s[24:25]
.LBB126_116:                            ;   in Loop: Header=BB126_32 Depth=1
	s_and_b64 vcc, exec, s[22:23]
	s_cbranch_vccz .LBB126_131
; %bb.117:                              ;   in Loop: Header=BB126_32 Depth=1
	s_mov_b32 s84, s91
	s_cmp_lg_u64 s[84:85], 0
	s_cbranch_scc0 .LBB126_163
; %bb.118:                              ;   in Loop: Header=BB126_32 Depth=1
	v_cvt_f32_u32_e32 v6, s72
	s_sub_u32 s8, 0, s72
	s_subb_u32 s9, 0, 0
	v_mac_f32_e32 v6, 0, v34
	v_rcp_f32_e32 v6, v6
	v_mul_f32_e32 v6, 0x5f7ffffc, v6
	v_mul_f32_e32 v7, 0x2f800000, v6
	v_trunc_f32_e32 v7, v7
	v_mac_f32_e32 v6, 0xcf800000, v7
	v_cvt_u32_f32_e32 v7, v7
	v_cvt_u32_f32_e32 v6, v6
	v_readfirstlane_b32 s20, v7
	v_readfirstlane_b32 s0, v6
	s_mul_i32 s1, s8, s20
	s_mul_hi_u32 s22, s8, s0
	s_mul_i32 s21, s9, s0
	s_add_i32 s1, s22, s1
	s_mul_i32 s23, s8, s0
	s_add_i32 s1, s1, s21
	s_mul_hi_u32 s22, s0, s23
	s_mul_i32 s24, s0, s1
	s_mul_hi_u32 s21, s0, s1
	s_add_u32 s22, s22, s24
	s_addc_u32 s21, 0, s21
	s_mul_hi_u32 s25, s20, s23
	s_mul_i32 s23, s20, s23
	s_add_u32 s22, s22, s23
	s_mul_hi_u32 s24, s20, s1
	s_addc_u32 s21, s21, s25
	s_addc_u32 s22, s24, 0
	s_mul_i32 s1, s20, s1
	s_add_u32 s1, s21, s1
	s_addc_u32 s21, 0, s22
	s_add_u32 s22, s0, s1
	s_cselect_b64 s[0:1], -1, 0
	s_cmp_lg_u64 s[0:1], 0
	s_addc_u32 s20, s20, s21
	s_mul_i32 s0, s8, s20
	s_mul_hi_u32 s1, s8, s22
	s_add_i32 s0, s1, s0
	s_mul_i32 s9, s9, s22
	s_add_i32 s0, s0, s9
	s_mul_i32 s8, s8, s22
	s_mul_hi_u32 s9, s20, s8
	s_mul_i32 s21, s20, s8
	s_mul_i32 s24, s22, s0
	s_mul_hi_u32 s8, s22, s8
	s_mul_hi_u32 s23, s22, s0
	s_add_u32 s8, s8, s24
	s_addc_u32 s23, 0, s23
	s_add_u32 s8, s8, s21
	s_mul_hi_u32 s1, s20, s0
	s_addc_u32 s8, s23, s9
	s_addc_u32 s1, s1, 0
	s_mul_i32 s0, s20, s0
	s_add_u32 s0, s8, s0
	s_addc_u32 s8, 0, s1
	s_add_u32 s9, s22, s0
	s_cselect_b64 s[0:1], -1, 0
	s_cmp_lg_u64 s[0:1], 0
	s_addc_u32 s0, s20, s8
	s_mul_i32 s8, s2, s0
	s_mul_hi_u32 s20, s2, s9
	s_mul_hi_u32 s1, s2, s0
	s_add_u32 s8, s20, s8
	s_addc_u32 s1, 0, s1
	s_mul_hi_u32 s21, s85, s9
	s_mul_i32 s9, s85, s9
	s_add_u32 s8, s8, s9
	s_mul_hi_u32 s20, s85, s0
	s_addc_u32 s1, s1, s21
	s_addc_u32 s8, s20, 0
	s_mul_i32 s0, s85, s0
	s_add_u32 s0, s1, s0
	s_addc_u32 s1, 0, s8
	s_mul_i32 s1, s72, s1
	s_mul_hi_u32 s8, s72, s0
	s_add_i32 s8, s8, s1
	s_mul_i32 s0, s72, s0
	s_sub_u32 s9, s2, s0
	s_cselect_b64 s[0:1], -1, 0
	s_cmp_lg_u64 s[0:1], 0
	s_subb_u32 s8, s85, s8
	s_sub_u32 s20, s9, s72
	s_cselect_b64 s[0:1], -1, 0
	s_cmp_lg_u64 s[0:1], 0
	s_subb_u32 s21, s8, 0
	;; [unrolled: 4-line block ×3, first 2 shown]
	s_cmp_ge_u32 s20, s72
	s_cselect_b32 s1, -1, 0
	s_cmp_eq_u32 s21, 0
	s_cselect_b32 s1, s1, -1
	s_cmp_lg_u32 s1, 0
	s_cselect_b32 s0, s0, s21
	s_cselect_b32 s20, s22, s20
	s_cmp_ge_u32 s9, s72
	s_cselect_b32 s1, -1, 0
	s_cmp_eq_u32 s8, 0
	s_cselect_b32 s1, s1, -1
	s_cmp_lg_u32 s1, 0
	s_cselect_b32 s1, s0, s8
	s_cselect_b32 s0, s20, s9
	s_cbranch_execnz .LBB126_120
.LBB126_119:                            ;   in Loop: Header=BB126_32 Depth=1
	v_cvt_f32_u32_e32 v6, s72
	s_sub_i32 s0, 0, s72
	v_rcp_iflag_f32_e32 v6, v6
	v_mul_f32_e32 v6, 0x4f7ffffe, v6
	v_cvt_u32_f32_e32 v6, v6
	v_readfirstlane_b32 s1, v6
	s_mul_i32 s0, s0, s1
	s_mul_hi_u32 s0, s1, s0
	s_add_i32 s1, s1, s0
	s_mul_hi_u32 s0, s2, s1
	s_mul_i32 s0, s0, s72
	s_sub_i32 s0, s2, s0
	s_sub_i32 s1, s0, s72
	s_cmp_ge_u32 s0, s72
	s_cselect_b32 s0, s1, s0
	s_sub_i32 s1, s0, s72
	s_cmp_ge_u32 s0, s72
	s_cselect_b32 s90, s1, s0
	s_mov_b64 s[0:1], s[90:91]
.LBB126_120:                            ;   in Loop: Header=BB126_32 Depth=1
	s_sub_u32 s8, s2, s0
	s_subb_u32 s9, s85, s1
	v_cmp_gt_u64_e32 vcc, s[8:9], v[0:1]
                                        ; implicit-def: $vgpr18
	s_and_saveexec_b64 s[0:1], vcc
	s_cbranch_execz .LBB126_130
; %bb.121:                              ;   in Loop: Header=BB126_32 Depth=1
	v_mov_b32_e32 v7, v1
	s_mov_b64 s[20:21], 0
	v_mov_b32_e32 v6, v0
                                        ; implicit-def: $sgpr22_sgpr23
	s_branch .LBB126_125
.LBB126_122:                            ;   in Loop: Header=BB126_125 Depth=2
	s_or_b64 exec, exec, s[24:25]
	s_waitcnt lgkmcnt(0)
	s_barrier
	ds_read_b64 v[17:18], v15 offset:3072
	s_waitcnt lgkmcnt(0)
	s_barrier
	v_cmp_neq_f32_e32 vcc, 0, v17
	s_cbranch_vccnz .LBB126_128
; %bb.123:                              ;   in Loop: Header=BB126_125 Depth=2
	v_add_co_u32_e32 v6, vcc, s72, v6
	v_addc_co_u32_e32 v7, vcc, 0, v7, vcc
	v_cmp_le_u64_e32 vcc, s[8:9], v[6:7]
	s_mov_b64 s[24:25], 0
	s_orn2_b64 s[28:29], vcc, exec
.LBB126_124:                            ;   in Loop: Header=BB126_125 Depth=2
	s_and_b64 s[28:29], exec, s[28:29]
	s_or_b64 s[20:21], s[28:29], s[20:21]
	s_andn2_b64 s[22:23], s[22:23], exec
	s_and_b64 s[24:25], s[24:25], exec
	s_or_b64 s[22:23], s[22:23], s[24:25]
	s_andn2_b64 exec, exec, s[20:21]
	s_cbranch_execz .LBB126_129
.LBB126_125:                            ;   Parent Loop BB126_32 Depth=1
                                        ; =>  This Inner Loop Header: Depth=2
	v_cmp_gt_u64_e32 vcc, s[52:53], v[6:7]
	s_and_saveexec_b64 s[24:25], vcc
	s_cbranch_execz .LBB126_122
; %bb.126:                              ;   in Loop: Header=BB126_125 Depth=2
	v_mul_lo_u32 v14, v7, s76
	v_mul_lo_u32 v17, v6, s77
	v_mad_u64_u32 v[8:9], s[28:29], v6, s76, 0
	v_add3_u32 v9, v9, v17, v14
	v_lshlrev_b64 v[8:9], 2, v[8:9]
	v_mov_b32_e32 v14, s73
	v_add_co_u32_e32 v8, vcc, s33, v8
	v_addc_co_u32_e32 v9, vcc, v14, v9, vcc
	global_load_dword v17, v[8:9], off
	s_waitcnt vmcnt(0)
	v_cmp_lt_i32_e32 vcc, -1, v17
	v_cndmask_b32_e32 v8, -1, v33, vcc
	v_xor_b32_e32 v8, v8, v17
	v_cmp_o_f32_e32 vcc, v17, v17
	v_cndmask_b32_e32 v8, -1, v8, vcc
	v_and_b32_e32 v8, v8, v35
	v_cmp_eq_u32_e32 vcc, v8, v30
	s_and_b64 exec, exec, vcc
	s_cbranch_execz .LBB126_122
; %bb.127:                              ;   in Loop: Header=BB126_125 Depth=2
	ds_write_b64 v15, v[16:17] offset:3072
	s_branch .LBB126_122
.LBB126_128:                            ;   in Loop: Header=BB126_125 Depth=2
	s_mov_b64 s[28:29], -1
                                        ; implicit-def: $vgpr6_vgpr7
	s_mov_b64 s[24:25], -1
	s_branch .LBB126_124
.LBB126_129:                            ;   in Loop: Header=BB126_32 Depth=1
	s_or_b64 exec, exec, s[20:21]
	s_andn2_b64 s[8:9], s[16:17], exec
	s_and_b64 s[16:17], s[22:23], exec
	s_or_b64 s[16:17], s[8:9], s[16:17]
.LBB126_130:                            ;   in Loop: Header=BB126_32 Depth=1
	s_or_b64 exec, exec, s[0:1]
	s_mov_b64 s[0:1], 0
	s_mov_b64 s[8:9], -1
.LBB126_131:                            ;   in Loop: Header=BB126_32 Depth=1
	s_orn2_b64 s[16:17], s[16:17], exec
.LBB126_132:                            ;   in Loop: Header=BB126_32 Depth=1
	s_or_b64 exec, exec, s[12:13]
	s_andn2_b64 s[12:13], s[54:55], exec
	s_and_b64 s[8:9], s[8:9], exec
	s_or_b64 s[54:55], s[12:13], s[8:9]
	s_andn2_b64 s[8:9], s[80:81], exec
	s_and_b64 s[0:1], s[0:1], exec
	s_andn2_b64 s[70:71], s[70:71], exec
	s_or_b64 s[80:81], s[8:9], s[0:1]
                                        ; implicit-def: $vgpr6_vgpr7
	s_and_saveexec_b64 s[12:13], s[16:17]
	s_cbranch_execz .LBB126_31
; %bb.133:                              ;   in Loop: Header=BB126_32 Depth=1
	v_mov_b32_e32 v6, 1
	s_xor_b64 s[6:7], s[14:15], -1
	v_mov_b32_e32 v8, 1
	v_mov_b32_e32 v7, 0
	s_mov_b64 s[8:9], 0
	s_and_saveexec_b64 s[0:1], s[6:7]
	s_cbranch_execz .LBB126_142
; %bb.134:                              ;   in Loop: Header=BB126_32 Depth=1
	v_cmp_le_u64_e32 vcc, v[19:20], v[2:3]
	s_and_saveexec_b64 s[6:7], vcc
	s_xor_b64 s[6:7], exec, s[6:7]
	s_cbranch_execz .LBB126_139
; %bb.135:                              ;   in Loop: Header=BB126_32 Depth=1
	ds_read_b64 v[6:7], v15 offset:5120
	v_and_b32_e32 v30, s50, v30
	v_or_b32_e32 v35, s27, v35
	s_waitcnt lgkmcnt(0)
	v_cmp_ne_u64_e32 vcc, 0, v[6:7]
	s_cbranch_vccnz .LBB126_139
; %bb.136:                              ;   in Loop: Header=BB126_32 Depth=1
	s_mov_b64 s[8:9], exec
	v_readlane_b32 s14, v48, 36
	v_readlane_b32 s15, v48, 37
	s_and_b64 s[14:15], s[8:9], s[14:15]
	s_mov_b64 exec, s[14:15]
; %bb.137:                              ;   in Loop: Header=BB126_32 Depth=1
	ds_write_b64 v15, v[2:3] offset:5128
; %bb.138:                              ;   in Loop: Header=BB126_32 Depth=1
	s_or_b64 exec, exec, s[8:9]
	s_waitcnt lgkmcnt(0)
	s_barrier
.LBB126_139:                            ;   in Loop: Header=BB126_32 Depth=1
	s_or_saveexec_b64 s[6:7], s[6:7]
	s_mov_b64 s[8:9], 0
	v_mov_b32_e32 v8, 8
	s_xor_b64 exec, exec, s[6:7]
; %bb.140:                              ;   in Loop: Header=BB126_32 Depth=1
	v_sub_co_u32_e32 v19, vcc, v19, v2
	s_mov_b64 s[8:9], exec
	v_subb_co_u32_e32 v20, vcc, v20, v3, vcc
	v_mov_b32_e32 v8, 0
; %bb.141:                              ;   in Loop: Header=BB126_32 Depth=1
	s_or_b64 exec, exec, s[6:7]
	v_mov_b32_e32 v6, v19
	s_and_b64 s[8:9], s[8:9], exec
	v_mov_b32_e32 v7, v20
.LBB126_142:                            ;   in Loop: Header=BB126_32 Depth=1
	s_or_b64 exec, exec, s[0:1]
	s_mov_b64 s[14:15], -1
	s_mov_b64 s[0:1], -1
                                        ; implicit-def: $sgpr6_sgpr7
                                        ; implicit-def: $sgpr20_sgpr21
	s_and_saveexec_b64 s[16:17], s[8:9]
	s_xor_b64 s[16:17], exec, s[16:17]
	s_cbranch_execz .LBB126_293
; %bb.143:                              ;   in Loop: Header=BB126_32 Depth=1
	v_cmp_eq_u64_e32 vcc, 1, v[4:5]
	v_cmp_eq_u64_e64 s[6:7], 1, v[6:7]
                                        ; implicit-def: $sgpr20_sgpr21
	s_and_b64 s[24:25], vcc, s[6:7]
                                        ; implicit-def: $sgpr6_sgpr7
	s_and_saveexec_b64 s[22:23], s[24:25]
	s_cbranch_execz .LBB126_182
; %bb.144:                              ;   in Loop: Header=BB126_32 Depth=1
	ds_read_b64 v[2:3], v15 offset:5120
	s_waitcnt lgkmcnt(0)
	s_barrier
	v_readfirstlane_b32 s8, v2
	v_readfirstlane_b32 s9, v3
	s_mov_b64 s[0:1], exec
	v_readlane_b32 s6, v48, 38
	v_readlane_b32 s7, v48, 39
	s_and_b64 s[6:7], s[0:1], s[6:7]
	s_mov_b64 exec, s[6:7]
; %bb.145:                              ;   in Loop: Header=BB126_32 Depth=1
	ds_write_b32 v24, v15
; %bb.146:                              ;   in Loop: Header=BB126_32 Depth=1
	s_or_b64 exec, exec, s[0:1]
	v_and_b32_e32 v2, s50, v30
	v_lshl_or_b32 v30, 1, s95, v2
	v_or_b32_e32 v35, s27, v35
	s_mov_b64 s[6:7], -1
	s_mov_b64 s[20:21], 0
	s_cmp_eq_u64 s[8:9], 0
	s_mov_b64 s[0:1], 0
	s_mov_b64 s[28:29], -1
	s_waitcnt lgkmcnt(0)
	s_barrier
                                        ; implicit-def: $vgpr18
	s_cbranch_scc1 .LBB126_166
; %bb.147:                              ;   in Loop: Header=BB126_32 Depth=1
	v_readlane_b32 s0, v48, 44
	s_add_u32 s34, s8, s0
	v_readlane_b32 s0, v48, 45
	s_addc_u32 s1, s9, s0
	s_mov_b32 s0, s91
	s_cmp_lg_u64 s[0:1], 0
	s_cbranch_scc0 .LBB126_210
; %bb.148:                              ;   in Loop: Header=BB126_32 Depth=1
	v_cvt_f32_u32_e32 v2, s72
	s_sub_u32 s0, 0, s72
	s_subb_u32 s30, 0, 0
	v_mac_f32_e32 v2, 0, v34
	v_rcp_f32_e32 v2, v2
	v_mul_f32_e32 v2, 0x5f7ffffc, v2
	v_mul_f32_e32 v3, 0x2f800000, v2
	v_trunc_f32_e32 v3, v3
	v_mac_f32_e32 v2, 0xcf800000, v3
	v_cvt_u32_f32_e32 v3, v3
	v_cvt_u32_f32_e32 v2, v2
	v_readfirstlane_b32 s31, v3
	v_readfirstlane_b32 s28, v2
	s_mul_i32 s29, s0, s31
	s_mul_hi_u32 s36, s0, s28
	s_mul_i32 s35, s30, s28
	s_add_i32 s29, s36, s29
	s_mul_i32 s37, s0, s28
	s_add_i32 s29, s29, s35
	s_mul_hi_u32 s36, s28, s37
	s_mul_i32 s38, s28, s29
	s_mul_hi_u32 s35, s28, s29
	s_add_u32 s36, s36, s38
	s_addc_u32 s35, 0, s35
	s_mul_hi_u32 s39, s31, s37
	s_mul_i32 s37, s31, s37
	s_add_u32 s36, s36, s37
	s_mul_hi_u32 s38, s31, s29
	s_addc_u32 s35, s35, s39
	s_addc_u32 s36, s38, 0
	s_mul_i32 s29, s31, s29
	s_add_u32 s29, s35, s29
	s_addc_u32 s35, 0, s36
	s_add_u32 s36, s28, s29
	s_cselect_b64 s[28:29], -1, 0
	s_cmp_lg_u64 s[28:29], 0
	s_addc_u32 s31, s31, s35
	s_mul_i32 s28, s0, s31
	s_mul_hi_u32 s29, s0, s36
	s_add_i32 s28, s29, s28
	s_mul_i32 s30, s30, s36
	s_add_i32 s28, s28, s30
	s_mul_i32 s0, s0, s36
	s_mul_hi_u32 s30, s31, s0
	s_mul_i32 s35, s31, s0
	s_mul_i32 s38, s36, s28
	s_mul_hi_u32 s0, s36, s0
	s_mul_hi_u32 s37, s36, s28
	s_add_u32 s0, s0, s38
	s_addc_u32 s37, 0, s37
	s_add_u32 s0, s0, s35
	s_mul_hi_u32 s29, s31, s28
	s_addc_u32 s0, s37, s30
	s_addc_u32 s29, s29, 0
	s_mul_i32 s28, s31, s28
	s_add_u32 s0, s0, s28
	s_addc_u32 s30, 0, s29
	s_add_u32 s0, s36, s0
	s_cselect_b64 s[28:29], -1, 0
	s_cmp_lg_u64 s[28:29], 0
	s_addc_u32 s28, s31, s30
	s_mul_i32 s30, s34, s28
	s_mul_hi_u32 s31, s34, s0
	s_mul_hi_u32 s29, s34, s28
	s_add_u32 s30, s31, s30
	s_addc_u32 s29, 0, s29
	s_mul_hi_u32 s35, s1, s0
	s_mul_i32 s0, s1, s0
	s_add_u32 s0, s30, s0
	s_mul_hi_u32 s31, s1, s28
	s_addc_u32 s0, s29, s35
	s_addc_u32 s29, s31, 0
	s_mul_i32 s28, s1, s28
	s_add_u32 s0, s0, s28
	s_addc_u32 s28, 0, s29
	s_mul_i32 s28, s72, s28
	s_mul_hi_u32 s29, s72, s0
	s_add_i32 s30, s29, s28
	s_mul_i32 s0, s72, s0
	s_sub_u32 s0, s34, s0
	s_cselect_b64 s[28:29], -1, 0
	s_cmp_lg_u64 s[28:29], 0
	s_subb_u32 s30, s1, s30
	s_sub_u32 s31, s0, s72
	s_cselect_b64 s[28:29], -1, 0
	s_cmp_lg_u64 s[28:29], 0
	s_subb_u32 s35, s30, 0
	;; [unrolled: 4-line block ×3, first 2 shown]
	s_cmp_ge_u32 s31, s72
	s_cselect_b32 s29, -1, 0
	s_cmp_eq_u32 s35, 0
	s_cselect_b32 s29, s29, -1
	s_cmp_lg_u32 s29, 0
	s_cselect_b32 s28, s28, s35
	s_cselect_b32 s31, s36, s31
	s_cmp_ge_u32 s0, s72
	s_cselect_b32 s29, -1, 0
	s_cmp_eq_u32 s30, 0
	s_cselect_b32 s29, s29, -1
	s_cmp_lg_u32 s29, 0
	s_cselect_b32 s29, s28, s30
	s_cselect_b32 s28, s31, s0
	s_cbranch_execnz .LBB126_150
.LBB126_149:                            ;   in Loop: Header=BB126_32 Depth=1
	v_cvt_f32_u32_e32 v2, s72
	s_sub_i32 s0, 0, s72
	v_rcp_iflag_f32_e32 v2, v2
	v_mul_f32_e32 v2, 0x4f7ffffe, v2
	v_cvt_u32_f32_e32 v2, v2
	v_readfirstlane_b32 s28, v2
	s_mul_i32 s0, s0, s28
	s_mul_hi_u32 s0, s28, s0
	s_add_i32 s28, s28, s0
	s_mul_hi_u32 s0, s34, s28
	s_mul_i32 s0, s0, s72
	s_sub_i32 s0, s34, s0
	s_sub_i32 s28, s0, s72
	s_cmp_ge_u32 s0, s72
	s_cselect_b32 s0, s28, s0
	s_sub_i32 s28, s0, s72
	s_cmp_ge_u32 s0, s72
	s_cselect_b32 s90, s28, s0
	s_mov_b64 s[28:29], s[90:91]
.LBB126_150:                            ;   in Loop: Header=BB126_32 Depth=1
	s_sub_u32 s34, s34, s28
	s_subb_u32 s35, s1, s29
	v_cmp_gt_u64_e32 vcc, s[34:35], v[0:1]
	s_mov_b64 s[28:29], 0
	s_mov_b64 s[0:1], 0
                                        ; implicit-def: $vgpr18
	s_and_saveexec_b64 s[30:31], vcc
	s_cbranch_execz .LBB126_165
; %bb.151:                              ;   in Loop: Header=BB126_32 Depth=1
	v_mov_b32_e32 v3, v1
	v_mov_b32_e32 v9, v10
	;; [unrolled: 1-line block ×3, first 2 shown]
                                        ; implicit-def: $sgpr36_sgpr37
	s_branch .LBB126_155
.LBB126_152:                            ;   in Loop: Header=BB126_155 Depth=2
	s_or_b64 exec, exec, s[38:39]
	s_waitcnt lgkmcnt(0)
	s_barrier
	ds_read_b64 v[17:18], v15 offset:3072
	s_waitcnt lgkmcnt(0)
	s_barrier
	v_cmp_neq_f32_e32 vcc, 0, v17
	s_cbranch_vccnz .LBB126_158
; %bb.153:                              ;   in Loop: Header=BB126_155 Depth=2
	v_add_co_u32_e32 v2, vcc, s72, v2
	v_addc_co_u32_e32 v3, vcc, 0, v3, vcc
	v_cmp_le_u64_e32 vcc, s[34:35], v[2:3]
	v_add_u32_e32 v9, s94, v9
	s_mov_b64 s[38:39], 0
	s_orn2_b64 s[40:41], vcc, exec
.LBB126_154:                            ;   in Loop: Header=BB126_155 Depth=2
	s_and_b64 s[40:41], exec, s[40:41]
	s_or_b64 s[0:1], s[40:41], s[0:1]
	s_andn2_b64 s[36:37], s[36:37], exec
	s_and_b64 s[38:39], s[38:39], exec
	s_or_b64 s[36:37], s[36:37], s[38:39]
	s_andn2_b64 exec, exec, s[0:1]
	s_cbranch_execz .LBB126_164
.LBB126_155:                            ;   Parent Loop BB126_32 Depth=1
                                        ; =>  This Inner Loop Header: Depth=2
	v_cmp_gt_u64_e32 vcc, s[8:9], v[2:3]
	s_and_saveexec_b64 s[38:39], vcc
	s_cbranch_execz .LBB126_152
; %bb.156:                              ;   in Loop: Header=BB126_155 Depth=2
	ds_read_b32 v17, v9
	s_waitcnt lgkmcnt(0)
	v_cmp_lt_i32_e32 vcc, -1, v17
	v_cndmask_b32_e32 v14, -1, v33, vcc
	v_xor_b32_e32 v14, v14, v17
	v_cmp_o_f32_e32 vcc, v17, v17
	v_cndmask_b32_e32 v14, -1, v14, vcc
	v_and_b32_e32 v14, v14, v35
	v_cmp_eq_u32_e32 vcc, v14, v30
	s_and_b64 exec, exec, vcc
	s_cbranch_execz .LBB126_152
; %bb.157:                              ;   in Loop: Header=BB126_155 Depth=2
	ds_write_b64 v15, v[16:17] offset:3072
	s_branch .LBB126_152
.LBB126_158:                            ;   in Loop: Header=BB126_155 Depth=2
	s_mov_b64 s[40:41], -1
                                        ; implicit-def: $vgpr2_vgpr3
                                        ; implicit-def: $vgpr9
	s_mov_b64 s[38:39], -1
	s_branch .LBB126_154
.LBB126_159:                            ;   in Loop: Header=BB126_32 Depth=1
                                        ; implicit-def: $sgpr22_sgpr23
	s_branch .LBB126_104
.LBB126_160:                            ;   in Loop: Header=BB126_32 Depth=1
	s_or_b64 exec, exec, s[8:9]
	s_waitcnt lgkmcnt(0)
	s_barrier
	s_mov_b64 s[6:7], exec
	v_readlane_b32 s8, v48, 36
	v_readlane_b32 s9, v48, 37
	s_and_b64 s[8:9], s[6:7], s[8:9]
	s_mov_b64 exec, s[8:9]
	s_cbranch_execz .LBB126_162
; %bb.161:                              ;   in Loop: Header=BB126_32 Depth=1
	ds_read_b32 v2, v15 offset:5144
	s_waitcnt lgkmcnt(0)
	v_ashrrev_i32_e32 v3, 31, v2
	ds_write_b64 v15, v[2:3] offset:5120
.LBB126_162:                            ;   in Loop: Header=BB126_32 Depth=1
	s_or_b64 exec, exec, s[6:7]
	s_waitcnt lgkmcnt(0)
	s_barrier
	s_mov_b64 s[6:7], -1
	s_and_b64 vcc, exec, s[0:1]
	s_cbranch_vccnz .LBB126_48
	s_branch .LBB126_57
.LBB126_163:                            ;   in Loop: Header=BB126_32 Depth=1
                                        ; implicit-def: $sgpr0_sgpr1
	s_branch .LBB126_119
.LBB126_164:                            ;   in Loop: Header=BB126_32 Depth=1
	s_or_b64 exec, exec, s[0:1]
	s_and_b64 s[0:1], s[36:37], exec
.LBB126_165:                            ;   in Loop: Header=BB126_32 Depth=1
	s_or_b64 exec, exec, s[30:31]
.LBB126_166:                            ;   in Loop: Header=BB126_32 Depth=1
	s_and_b64 vcc, exec, s[28:29]
	s_cbranch_vccz .LBB126_181
; %bb.167:                              ;   in Loop: Header=BB126_32 Depth=1
	s_mov_b32 s84, s91
	s_cmp_lg_u64 s[84:85], 0
	s_cbranch_scc0 .LBB126_211
; %bb.168:                              ;   in Loop: Header=BB126_32 Depth=1
	v_cvt_f32_u32_e32 v2, s72
	s_sub_u32 s8, 0, s72
	s_subb_u32 s9, 0, 0
	v_mac_f32_e32 v2, 0, v34
	v_rcp_f32_e32 v2, v2
	v_mul_f32_e32 v2, 0x5f7ffffc, v2
	v_mul_f32_e32 v3, 0x2f800000, v2
	v_trunc_f32_e32 v3, v3
	v_mac_f32_e32 v2, 0xcf800000, v3
	v_cvt_u32_f32_e32 v3, v3
	v_cvt_u32_f32_e32 v2, v2
	v_readfirstlane_b32 s20, v3
	v_readfirstlane_b32 s6, v2
	s_mul_i32 s7, s8, s20
	s_mul_hi_u32 s28, s8, s6
	s_mul_i32 s21, s9, s6
	s_add_i32 s7, s28, s7
	s_mul_i32 s29, s8, s6
	s_add_i32 s7, s7, s21
	s_mul_hi_u32 s28, s6, s29
	s_mul_i32 s30, s6, s7
	s_mul_hi_u32 s21, s6, s7
	s_add_u32 s28, s28, s30
	s_addc_u32 s21, 0, s21
	s_mul_hi_u32 s31, s20, s29
	s_mul_i32 s29, s20, s29
	s_add_u32 s28, s28, s29
	s_mul_hi_u32 s30, s20, s7
	s_addc_u32 s21, s21, s31
	s_addc_u32 s28, s30, 0
	s_mul_i32 s7, s20, s7
	s_add_u32 s7, s21, s7
	s_addc_u32 s21, 0, s28
	s_add_u32 s28, s6, s7
	s_cselect_b64 s[6:7], -1, 0
	s_cmp_lg_u64 s[6:7], 0
	s_addc_u32 s20, s20, s21
	s_mul_i32 s6, s8, s20
	s_mul_hi_u32 s7, s8, s28
	s_add_i32 s6, s7, s6
	s_mul_i32 s9, s9, s28
	s_add_i32 s6, s6, s9
	s_mul_i32 s8, s8, s28
	s_mul_hi_u32 s9, s20, s8
	s_mul_i32 s21, s20, s8
	s_mul_i32 s30, s28, s6
	s_mul_hi_u32 s8, s28, s8
	s_mul_hi_u32 s29, s28, s6
	s_add_u32 s8, s8, s30
	s_addc_u32 s29, 0, s29
	s_add_u32 s8, s8, s21
	s_mul_hi_u32 s7, s20, s6
	s_addc_u32 s8, s29, s9
	s_addc_u32 s7, s7, 0
	s_mul_i32 s6, s20, s6
	s_add_u32 s6, s8, s6
	s_addc_u32 s8, 0, s7
	s_add_u32 s9, s28, s6
	s_cselect_b64 s[6:7], -1, 0
	s_cmp_lg_u64 s[6:7], 0
	s_addc_u32 s6, s20, s8
	s_mul_i32 s8, s2, s6
	s_mul_hi_u32 s20, s2, s9
	s_mul_hi_u32 s7, s2, s6
	s_add_u32 s8, s20, s8
	s_addc_u32 s7, 0, s7
	s_mul_hi_u32 s21, s85, s9
	s_mul_i32 s9, s85, s9
	s_add_u32 s8, s8, s9
	s_mul_hi_u32 s20, s85, s6
	s_addc_u32 s7, s7, s21
	s_addc_u32 s8, s20, 0
	s_mul_i32 s6, s85, s6
	s_add_u32 s6, s7, s6
	s_addc_u32 s7, 0, s8
	s_mul_i32 s7, s72, s7
	s_mul_hi_u32 s8, s72, s6
	s_add_i32 s8, s8, s7
	s_mul_i32 s6, s72, s6
	s_sub_u32 s9, s2, s6
	s_cselect_b64 s[6:7], -1, 0
	s_cmp_lg_u64 s[6:7], 0
	s_subb_u32 s8, s85, s8
	s_sub_u32 s20, s9, s72
	s_cselect_b64 s[6:7], -1, 0
	s_cmp_lg_u64 s[6:7], 0
	s_subb_u32 s21, s8, 0
	;; [unrolled: 4-line block ×3, first 2 shown]
	s_cmp_ge_u32 s20, s72
	s_cselect_b32 s7, -1, 0
	s_cmp_eq_u32 s21, 0
	s_cselect_b32 s7, s7, -1
	s_cmp_lg_u32 s7, 0
	s_cselect_b32 s6, s6, s21
	s_cselect_b32 s20, s28, s20
	s_cmp_ge_u32 s9, s72
	s_cselect_b32 s7, -1, 0
	s_cmp_eq_u32 s8, 0
	s_cselect_b32 s7, s7, -1
	s_cmp_lg_u32 s7, 0
	s_cselect_b32 s7, s6, s8
	s_cselect_b32 s6, s20, s9
	s_cbranch_execnz .LBB126_170
.LBB126_169:                            ;   in Loop: Header=BB126_32 Depth=1
	v_cvt_f32_u32_e32 v2, s72
	s_sub_i32 s6, 0, s72
	v_rcp_iflag_f32_e32 v2, v2
	v_mul_f32_e32 v2, 0x4f7ffffe, v2
	v_cvt_u32_f32_e32 v2, v2
	v_readfirstlane_b32 s7, v2
	s_mul_i32 s6, s6, s7
	s_mul_hi_u32 s6, s7, s6
	s_add_i32 s7, s7, s6
	s_mul_hi_u32 s6, s2, s7
	s_mul_i32 s6, s6, s72
	s_sub_i32 s6, s2, s6
	s_sub_i32 s7, s6, s72
	s_cmp_ge_u32 s6, s72
	s_cselect_b32 s6, s7, s6
	s_sub_i32 s7, s6, s72
	s_cmp_ge_u32 s6, s72
	s_cselect_b32 s90, s7, s6
	s_mov_b64 s[6:7], s[90:91]
.LBB126_170:                            ;   in Loop: Header=BB126_32 Depth=1
	s_sub_u32 s8, s2, s6
	s_subb_u32 s9, s85, s7
	v_cmp_gt_u64_e32 vcc, s[8:9], v[0:1]
                                        ; implicit-def: $vgpr18
	s_and_saveexec_b64 s[6:7], vcc
	s_cbranch_execz .LBB126_180
; %bb.171:                              ;   in Loop: Header=BB126_32 Depth=1
	v_mov_b32_e32 v3, v1
	s_mov_b64 s[20:21], 0
	v_mov_b32_e32 v2, v0
                                        ; implicit-def: $sgpr28_sgpr29
	s_branch .LBB126_175
.LBB126_172:                            ;   in Loop: Header=BB126_175 Depth=2
	s_or_b64 exec, exec, s[30:31]
	s_waitcnt lgkmcnt(0)
	s_barrier
	ds_read_b64 v[17:18], v15 offset:3072
	s_waitcnt lgkmcnt(0)
	s_barrier
	v_cmp_eq_f32_e32 vcc, 0, v17
	s_cbranch_vccz .LBB126_178
; %bb.173:                              ;   in Loop: Header=BB126_175 Depth=2
	v_add_co_u32_e32 v2, vcc, s72, v2
	v_addc_co_u32_e32 v3, vcc, 0, v3, vcc
	v_cmp_le_u64_e32 vcc, s[8:9], v[2:3]
	s_mov_b64 s[30:31], 0
	s_orn2_b64 s[34:35], vcc, exec
.LBB126_174:                            ;   in Loop: Header=BB126_175 Depth=2
	s_and_b64 s[34:35], exec, s[34:35]
	s_or_b64 s[20:21], s[34:35], s[20:21]
	s_andn2_b64 s[28:29], s[28:29], exec
	s_and_b64 s[30:31], s[30:31], exec
	s_or_b64 s[28:29], s[28:29], s[30:31]
	s_andn2_b64 exec, exec, s[20:21]
	s_cbranch_execz .LBB126_179
.LBB126_175:                            ;   Parent Loop BB126_32 Depth=1
                                        ; =>  This Inner Loop Header: Depth=2
	v_cmp_gt_u64_e32 vcc, s[52:53], v[2:3]
	s_and_saveexec_b64 s[30:31], vcc
	s_cbranch_execz .LBB126_172
; %bb.176:                              ;   in Loop: Header=BB126_175 Depth=2
	v_mul_lo_u32 v9, v3, s76
	v_mul_lo_u32 v14, v2, s77
	v_mad_u64_u32 v[17:18], s[34:35], v2, s76, 0
	v_add3_u32 v18, v18, v14, v9
	v_lshlrev_b64 v[17:18], 2, v[17:18]
	v_mov_b32_e32 v9, s73
	v_add_co_u32_e32 v17, vcc, s33, v17
	v_addc_co_u32_e32 v18, vcc, v9, v18, vcc
	global_load_dword v17, v[17:18], off
	s_waitcnt vmcnt(0)
	v_cmp_lt_i32_e32 vcc, -1, v17
	v_cndmask_b32_e32 v9, -1, v33, vcc
	v_xor_b32_e32 v9, v9, v17
	v_cmp_o_f32_e32 vcc, v17, v17
	v_cndmask_b32_e32 v9, -1, v9, vcc
	v_and_b32_e32 v9, v9, v35
	v_cmp_eq_u32_e32 vcc, v9, v30
	s_and_b64 exec, exec, vcc
	s_cbranch_execz .LBB126_172
; %bb.177:                              ;   in Loop: Header=BB126_175 Depth=2
	ds_write_b64 v15, v[16:17] offset:3072
	s_branch .LBB126_172
.LBB126_178:                            ;   in Loop: Header=BB126_175 Depth=2
	s_mov_b64 s[34:35], -1
                                        ; implicit-def: $vgpr2_vgpr3
	s_mov_b64 s[30:31], -1
	s_branch .LBB126_174
.LBB126_179:                            ;   in Loop: Header=BB126_32 Depth=1
	s_or_b64 exec, exec, s[20:21]
	s_andn2_b64 s[0:1], s[0:1], exec
	s_and_b64 s[8:9], s[28:29], exec
	s_or_b64 s[0:1], s[0:1], s[8:9]
.LBB126_180:                            ;   in Loop: Header=BB126_32 Depth=1
	s_or_b64 exec, exec, s[6:7]
	s_mov_b64 s[6:7], 0
	s_mov_b64 s[20:21], -1
.LBB126_181:                            ;   in Loop: Header=BB126_32 Depth=1
	s_orn2_b64 s[0:1], s[0:1], exec
.LBB126_182:                            ;   in Loop: Header=BB126_32 Depth=1
	s_or_b64 exec, exec, s[22:23]
	s_mov_b64 s[8:9], 0
	s_and_saveexec_b64 s[22:23], s[0:1]
	s_cbranch_execz .LBB126_292
; %bb.183:                              ;   in Loop: Header=BB126_32 Depth=1
	v_mov_b32_e32 v2, 1
	s_xor_b64 s[24:25], s[24:25], -1
	v_mov_b32_e32 v8, 1
	v_mov_b32_e32 v3, 0
	s_and_saveexec_b64 s[0:1], s[24:25]
	s_cbranch_execz .LBB126_193
; %bb.184:                              ;   in Loop: Header=BB126_32 Depth=1
	v_cmp_le_u64_e32 vcc, v[6:7], v[4:5]
	s_and_saveexec_b64 s[8:9], vcc
	s_xor_b64 s[8:9], exec, s[8:9]
	s_cbranch_execz .LBB126_190
; %bb.185:                              ;   in Loop: Header=BB126_32 Depth=1
	ds_read_b64 v[2:3], v15 offset:5120
	v_and_b32_e32 v8, s50, v30
	v_lshl_or_b32 v30, 1, s95, v8
	v_or_b32_e32 v35, s27, v35
	s_waitcnt lgkmcnt(0)
	v_cmp_ne_u64_e32 vcc, 0, v[2:3]
	s_cbranch_vccnz .LBB126_189
; %bb.186:                              ;   in Loop: Header=BB126_32 Depth=1
	s_mov_b64 s[24:25], exec
	v_readlane_b32 s28, v48, 36
	v_readlane_b32 s29, v48, 37
	s_and_b64 s[28:29], s[24:25], s[28:29]
	s_mov_b64 exec, s[28:29]
; %bb.187:                              ;   in Loop: Header=BB126_32 Depth=1
	ds_write_b64 v15, v[4:5] offset:5128
; %bb.188:                              ;   in Loop: Header=BB126_32 Depth=1
	s_or_b64 exec, exec, s[24:25]
	s_waitcnt lgkmcnt(0)
	s_barrier
.LBB126_189:                            ;   in Loop: Header=BB126_32 Depth=1
                                        ; implicit-def: $vgpr2_vgpr3_vgpr4_vgpr5
.LBB126_190:                            ;   in Loop: Header=BB126_32 Depth=1
	s_or_saveexec_b64 s[8:9], s[8:9]
	s_mov_b64 s[24:25], 0
	v_mov_b32_e32 v8, 8
	s_xor_b64 exec, exec, s[8:9]
; %bb.191:                              ;   in Loop: Header=BB126_32 Depth=1
	v_sub_co_u32_e32 v6, vcc, v6, v4
	s_mov_b64 s[24:25], exec
	v_subb_co_u32_e32 v7, vcc, v7, v5, vcc
	v_mov_b32_e32 v8, 0
; %bb.192:                              ;   in Loop: Header=BB126_32 Depth=1
	s_or_b64 exec, exec, s[8:9]
	v_mov_b32_e32 v2, v6
	s_and_b64 s[8:9], s[24:25], exec
	v_mov_b32_e32 v3, v7
.LBB126_193:                            ;   in Loop: Header=BB126_32 Depth=1
	s_or_b64 exec, exec, s[0:1]
	s_mov_b64 s[0:1], -1
                                        ; implicit-def: $sgpr28_sgpr29
                                        ; implicit-def: $sgpr30_sgpr31
	s_and_saveexec_b64 s[24:25], s[8:9]
	s_cbranch_execz .LBB126_291
; %bb.194:                              ;   in Loop: Header=BB126_32 Depth=1
	s_cmp_eq_u64 s[18:19], 1
	v_cmp_eq_u64_e32 vcc, 1, v[2:3]
	s_cselect_b64 s[0:1], -1, 0
	s_and_b64 s[36:37], s[0:1], vcc
	s_mov_b64 s[0:1], -1
                                        ; implicit-def: $sgpr30_sgpr31
                                        ; implicit-def: $sgpr28_sgpr29
	s_and_saveexec_b64 s[34:35], s[36:37]
	s_cbranch_execz .LBB126_230
; %bb.195:                              ;   in Loop: Header=BB126_32 Depth=1
	ds_read_b64 v[4:5], v15 offset:5120
	s_waitcnt lgkmcnt(0)
	s_barrier
	v_readfirstlane_b32 s8, v4
	v_readfirstlane_b32 s9, v5
	s_mov_b64 s[0:1], exec
	v_readlane_b32 s28, v48, 38
	v_readlane_b32 s29, v48, 39
	s_and_b64 s[28:29], s[0:1], s[28:29]
	s_mov_b64 exec, s[28:29]
; %bb.196:                              ;   in Loop: Header=BB126_32 Depth=1
	ds_write_b32 v24, v15
; %bb.197:                              ;   in Loop: Header=BB126_32 Depth=1
	s_or_b64 exec, exec, s[0:1]
	v_and_b32_e32 v4, s50, v30
	v_lshl_or_b32 v30, 2, s95, v4
	v_or_b32_e32 v35, s27, v35
	s_mov_b64 s[28:29], -1
	s_mov_b64 s[30:31], 0
	s_cmp_eq_u64 s[8:9], 0
	s_mov_b64 s[0:1], 0
	s_mov_b64 s[38:39], -1
	s_waitcnt lgkmcnt(0)
	s_barrier
                                        ; implicit-def: $vgpr18
	s_cbranch_scc1 .LBB126_214
; %bb.198:                              ;   in Loop: Header=BB126_32 Depth=1
	v_readlane_b32 s0, v48, 44
	s_add_u32 s42, s8, s0
	v_readlane_b32 s0, v48, 45
	s_addc_u32 s1, s9, s0
	s_mov_b32 s0, s91
	s_cmp_lg_u64 s[0:1], 0
	s_cbranch_scc0 .LBB126_257
; %bb.199:                              ;   in Loop: Header=BB126_32 Depth=1
	v_cvt_f32_u32_e32 v4, s72
	s_sub_u32 s0, 0, s72
	s_subb_u32 s40, 0, 0
	v_mac_f32_e32 v4, 0, v34
	v_rcp_f32_e32 v4, v4
	v_mul_f32_e32 v4, 0x5f7ffffc, v4
	v_mul_f32_e32 v5, 0x2f800000, v4
	v_trunc_f32_e32 v5, v5
	v_mac_f32_e32 v4, 0xcf800000, v5
	v_cvt_u32_f32_e32 v5, v5
	v_cvt_u32_f32_e32 v4, v4
	v_readfirstlane_b32 s41, v5
	v_readfirstlane_b32 s38, v4
	s_mul_i32 s39, s0, s41
	s_mul_hi_u32 s44, s0, s38
	s_mul_i32 s43, s40, s38
	s_add_i32 s39, s44, s39
	s_mul_i32 s45, s0, s38
	s_add_i32 s39, s39, s43
	s_mul_hi_u32 s44, s38, s45
	s_mul_i32 s46, s38, s39
	s_mul_hi_u32 s43, s38, s39
	s_add_u32 s44, s44, s46
	s_addc_u32 s43, 0, s43
	s_mul_hi_u32 s47, s41, s45
	s_mul_i32 s45, s41, s45
	s_add_u32 s44, s44, s45
	s_mul_hi_u32 s46, s41, s39
	s_addc_u32 s43, s43, s47
	s_addc_u32 s44, s46, 0
	s_mul_i32 s39, s41, s39
	s_add_u32 s39, s43, s39
	s_addc_u32 s43, 0, s44
	s_add_u32 s44, s38, s39
	s_cselect_b64 s[38:39], -1, 0
	s_cmp_lg_u64 s[38:39], 0
	s_addc_u32 s41, s41, s43
	s_mul_i32 s38, s0, s41
	s_mul_hi_u32 s39, s0, s44
	s_add_i32 s38, s39, s38
	s_mul_i32 s40, s40, s44
	s_add_i32 s38, s38, s40
	s_mul_i32 s0, s0, s44
	s_mul_hi_u32 s40, s41, s0
	s_mul_i32 s43, s41, s0
	s_mul_i32 s46, s44, s38
	s_mul_hi_u32 s0, s44, s0
	s_mul_hi_u32 s45, s44, s38
	s_add_u32 s0, s0, s46
	s_addc_u32 s45, 0, s45
	s_add_u32 s0, s0, s43
	s_mul_hi_u32 s39, s41, s38
	s_addc_u32 s0, s45, s40
	s_addc_u32 s39, s39, 0
	s_mul_i32 s38, s41, s38
	s_add_u32 s0, s0, s38
	s_addc_u32 s40, 0, s39
	s_add_u32 s0, s44, s0
	s_cselect_b64 s[38:39], -1, 0
	s_cmp_lg_u64 s[38:39], 0
	s_addc_u32 s38, s41, s40
	s_mul_i32 s40, s42, s38
	s_mul_hi_u32 s41, s42, s0
	s_mul_hi_u32 s39, s42, s38
	s_add_u32 s40, s41, s40
	s_addc_u32 s39, 0, s39
	s_mul_hi_u32 s43, s1, s0
	s_mul_i32 s0, s1, s0
	s_add_u32 s0, s40, s0
	s_mul_hi_u32 s41, s1, s38
	s_addc_u32 s0, s39, s43
	s_addc_u32 s39, s41, 0
	s_mul_i32 s38, s1, s38
	s_add_u32 s0, s0, s38
	s_addc_u32 s38, 0, s39
	s_mul_i32 s38, s72, s38
	s_mul_hi_u32 s39, s72, s0
	s_add_i32 s40, s39, s38
	s_mul_i32 s0, s72, s0
	s_sub_u32 s0, s42, s0
	s_cselect_b64 s[38:39], -1, 0
	s_cmp_lg_u64 s[38:39], 0
	s_subb_u32 s40, s1, s40
	s_sub_u32 s41, s0, s72
	s_cselect_b64 s[38:39], -1, 0
	s_cmp_lg_u64 s[38:39], 0
	s_subb_u32 s43, s40, 0
	;; [unrolled: 4-line block ×3, first 2 shown]
	s_cmp_ge_u32 s41, s72
	s_cselect_b32 s39, -1, 0
	s_cmp_eq_u32 s43, 0
	s_cselect_b32 s39, s39, -1
	s_cmp_lg_u32 s39, 0
	s_cselect_b32 s38, s38, s43
	s_cselect_b32 s41, s44, s41
	s_cmp_ge_u32 s0, s72
	s_cselect_b32 s39, -1, 0
	s_cmp_eq_u32 s40, 0
	s_cselect_b32 s39, s39, -1
	s_cmp_lg_u32 s39, 0
	s_cselect_b32 s39, s38, s40
	s_cselect_b32 s38, s41, s0
	s_cbranch_execnz .LBB126_201
.LBB126_200:                            ;   in Loop: Header=BB126_32 Depth=1
	v_cvt_f32_u32_e32 v4, s72
	s_sub_i32 s0, 0, s72
	v_rcp_iflag_f32_e32 v4, v4
	v_mul_f32_e32 v4, 0x4f7ffffe, v4
	v_cvt_u32_f32_e32 v4, v4
	v_readfirstlane_b32 s38, v4
	s_mul_i32 s0, s0, s38
	s_mul_hi_u32 s0, s38, s0
	s_add_i32 s38, s38, s0
	s_mul_hi_u32 s0, s42, s38
	s_mul_i32 s0, s0, s72
	s_sub_i32 s0, s42, s0
	s_sub_i32 s38, s0, s72
	s_cmp_ge_u32 s0, s72
	s_cselect_b32 s0, s38, s0
	s_sub_i32 s38, s0, s72
	s_cmp_ge_u32 s0, s72
	s_cselect_b32 s90, s38, s0
	s_mov_b64 s[38:39], s[90:91]
.LBB126_201:                            ;   in Loop: Header=BB126_32 Depth=1
	s_sub_u32 s42, s42, s38
	s_subb_u32 s43, s1, s39
	v_cmp_gt_u64_e32 vcc, s[42:43], v[0:1]
	s_mov_b64 s[38:39], 0
	s_mov_b64 s[0:1], 0
                                        ; implicit-def: $vgpr18
	s_and_saveexec_b64 s[40:41], vcc
	s_cbranch_execz .LBB126_213
; %bb.202:                              ;   in Loop: Header=BB126_32 Depth=1
	v_mov_b32_e32 v5, v1
	v_mov_b32_e32 v6, v10
	;; [unrolled: 1-line block ×3, first 2 shown]
                                        ; implicit-def: $sgpr44_sgpr45
	s_branch .LBB126_206
.LBB126_203:                            ;   in Loop: Header=BB126_206 Depth=2
	s_or_b64 exec, exec, s[46:47]
	s_waitcnt lgkmcnt(0)
	s_barrier
	ds_read_b64 v[17:18], v15 offset:3072
	s_waitcnt lgkmcnt(0)
	s_barrier
	v_cmp_neq_f32_e32 vcc, 0, v17
	s_cbranch_vccnz .LBB126_209
; %bb.204:                              ;   in Loop: Header=BB126_206 Depth=2
	v_add_co_u32_e32 v4, vcc, s72, v4
	v_addc_co_u32_e32 v5, vcc, 0, v5, vcc
	v_cmp_le_u64_e32 vcc, s[42:43], v[4:5]
	v_add_u32_e32 v6, s94, v6
	s_mov_b64 s[46:47], 0
	s_orn2_b64 s[48:49], vcc, exec
.LBB126_205:                            ;   in Loop: Header=BB126_206 Depth=2
	s_and_b64 s[48:49], exec, s[48:49]
	s_or_b64 s[0:1], s[48:49], s[0:1]
	s_andn2_b64 s[44:45], s[44:45], exec
	s_and_b64 s[46:47], s[46:47], exec
	s_or_b64 s[44:45], s[44:45], s[46:47]
	s_andn2_b64 exec, exec, s[0:1]
	s_cbranch_execz .LBB126_212
.LBB126_206:                            ;   Parent Loop BB126_32 Depth=1
                                        ; =>  This Inner Loop Header: Depth=2
	v_cmp_gt_u64_e32 vcc, s[8:9], v[4:5]
	s_and_saveexec_b64 s[46:47], vcc
	s_cbranch_execz .LBB126_203
; %bb.207:                              ;   in Loop: Header=BB126_206 Depth=2
	ds_read_b32 v17, v6
	s_waitcnt lgkmcnt(0)
	v_cmp_lt_i32_e32 vcc, -1, v17
	v_cndmask_b32_e32 v7, -1, v33, vcc
	v_xor_b32_e32 v7, v7, v17
	v_cmp_o_f32_e32 vcc, v17, v17
	v_cndmask_b32_e32 v7, -1, v7, vcc
	v_and_b32_e32 v7, v7, v35
	v_cmp_eq_u32_e32 vcc, v7, v30
	s_and_b64 exec, exec, vcc
	s_cbranch_execz .LBB126_203
; %bb.208:                              ;   in Loop: Header=BB126_206 Depth=2
	ds_write_b64 v15, v[16:17] offset:3072
	s_branch .LBB126_203
.LBB126_209:                            ;   in Loop: Header=BB126_206 Depth=2
	s_mov_b64 s[48:49], -1
                                        ; implicit-def: $vgpr4_vgpr5
                                        ; implicit-def: $vgpr6
	s_mov_b64 s[46:47], -1
	s_branch .LBB126_205
.LBB126_210:                            ;   in Loop: Header=BB126_32 Depth=1
                                        ; implicit-def: $sgpr28_sgpr29
	s_branch .LBB126_149
.LBB126_211:                            ;   in Loop: Header=BB126_32 Depth=1
                                        ; implicit-def: $sgpr6_sgpr7
	s_branch .LBB126_169
.LBB126_212:                            ;   in Loop: Header=BB126_32 Depth=1
	s_or_b64 exec, exec, s[0:1]
	s_and_b64 s[0:1], s[44:45], exec
.LBB126_213:                            ;   in Loop: Header=BB126_32 Depth=1
	s_or_b64 exec, exec, s[40:41]
.LBB126_214:                            ;   in Loop: Header=BB126_32 Depth=1
	s_and_b64 vcc, exec, s[38:39]
	s_cbranch_vccz .LBB126_229
; %bb.215:                              ;   in Loop: Header=BB126_32 Depth=1
	s_mov_b32 s84, s91
	s_cmp_lg_u64 s[84:85], 0
	s_cbranch_scc0 .LBB126_258
; %bb.216:                              ;   in Loop: Header=BB126_32 Depth=1
	v_cvt_f32_u32_e32 v4, s72
	s_sub_u32 s28, 0, s72
	s_subb_u32 s29, 0, 0
	v_mac_f32_e32 v4, 0, v34
	v_rcp_f32_e32 v4, v4
	v_mul_f32_e32 v4, 0x5f7ffffc, v4
	v_mul_f32_e32 v5, 0x2f800000, v4
	v_trunc_f32_e32 v5, v5
	v_mac_f32_e32 v4, 0xcf800000, v5
	v_cvt_u32_f32_e32 v5, v5
	v_cvt_u32_f32_e32 v4, v4
	v_readfirstlane_b32 s30, v5
	v_readfirstlane_b32 s8, v4
	s_mul_i32 s9, s28, s30
	s_mul_hi_u32 s38, s28, s8
	s_mul_i32 s31, s29, s8
	s_add_i32 s9, s38, s9
	s_mul_i32 s39, s28, s8
	s_add_i32 s9, s9, s31
	s_mul_hi_u32 s38, s8, s39
	s_mul_i32 s40, s8, s9
	s_mul_hi_u32 s31, s8, s9
	s_add_u32 s38, s38, s40
	s_addc_u32 s31, 0, s31
	s_mul_hi_u32 s41, s30, s39
	s_mul_i32 s39, s30, s39
	s_add_u32 s38, s38, s39
	s_mul_hi_u32 s40, s30, s9
	s_addc_u32 s31, s31, s41
	s_addc_u32 s38, s40, 0
	s_mul_i32 s9, s30, s9
	s_add_u32 s9, s31, s9
	s_addc_u32 s31, 0, s38
	s_add_u32 s38, s8, s9
	s_cselect_b64 s[8:9], -1, 0
	s_cmp_lg_u64 s[8:9], 0
	s_addc_u32 s30, s30, s31
	s_mul_i32 s8, s28, s30
	s_mul_hi_u32 s9, s28, s38
	s_add_i32 s8, s9, s8
	s_mul_i32 s29, s29, s38
	s_add_i32 s8, s8, s29
	s_mul_i32 s28, s28, s38
	s_mul_hi_u32 s29, s30, s28
	s_mul_i32 s31, s30, s28
	s_mul_i32 s40, s38, s8
	s_mul_hi_u32 s28, s38, s28
	s_mul_hi_u32 s39, s38, s8
	s_add_u32 s28, s28, s40
	s_addc_u32 s39, 0, s39
	s_add_u32 s28, s28, s31
	s_mul_hi_u32 s9, s30, s8
	s_addc_u32 s28, s39, s29
	s_addc_u32 s9, s9, 0
	s_mul_i32 s8, s30, s8
	s_add_u32 s8, s28, s8
	s_addc_u32 s28, 0, s9
	s_add_u32 s29, s38, s8
	s_cselect_b64 s[8:9], -1, 0
	s_cmp_lg_u64 s[8:9], 0
	s_addc_u32 s8, s30, s28
	s_mul_i32 s28, s2, s8
	s_mul_hi_u32 s30, s2, s29
	s_mul_hi_u32 s9, s2, s8
	s_add_u32 s28, s30, s28
	s_addc_u32 s9, 0, s9
	s_mul_hi_u32 s31, s85, s29
	s_mul_i32 s29, s85, s29
	s_add_u32 s28, s28, s29
	s_mul_hi_u32 s30, s85, s8
	s_addc_u32 s9, s9, s31
	s_addc_u32 s28, s30, 0
	s_mul_i32 s8, s85, s8
	s_add_u32 s8, s9, s8
	s_addc_u32 s9, 0, s28
	s_mul_i32 s9, s72, s9
	s_mul_hi_u32 s28, s72, s8
	s_add_i32 s28, s28, s9
	s_mul_i32 s8, s72, s8
	s_sub_u32 s29, s2, s8
	s_cselect_b64 s[8:9], -1, 0
	s_cmp_lg_u64 s[8:9], 0
	s_subb_u32 s28, s85, s28
	s_sub_u32 s30, s29, s72
	s_cselect_b64 s[8:9], -1, 0
	s_cmp_lg_u64 s[8:9], 0
	s_subb_u32 s31, s28, 0
	;; [unrolled: 4-line block ×3, first 2 shown]
	s_cmp_ge_u32 s30, s72
	s_cselect_b32 s9, -1, 0
	s_cmp_eq_u32 s31, 0
	s_cselect_b32 s9, s9, -1
	s_cmp_lg_u32 s9, 0
	s_cselect_b32 s8, s8, s31
	s_cselect_b32 s30, s38, s30
	s_cmp_ge_u32 s29, s72
	s_cselect_b32 s9, -1, 0
	s_cmp_eq_u32 s28, 0
	s_cselect_b32 s9, s9, -1
	s_cmp_lg_u32 s9, 0
	s_cselect_b32 s9, s8, s28
	s_cselect_b32 s8, s30, s29
	s_cbranch_execnz .LBB126_218
.LBB126_217:                            ;   in Loop: Header=BB126_32 Depth=1
	v_cvt_f32_u32_e32 v4, s72
	s_sub_i32 s8, 0, s72
	v_rcp_iflag_f32_e32 v4, v4
	v_mul_f32_e32 v4, 0x4f7ffffe, v4
	v_cvt_u32_f32_e32 v4, v4
	v_readfirstlane_b32 s9, v4
	s_mul_i32 s8, s8, s9
	s_mul_hi_u32 s8, s9, s8
	s_add_i32 s9, s9, s8
	s_mul_hi_u32 s8, s2, s9
	s_mul_i32 s8, s8, s72
	s_sub_i32 s8, s2, s8
	s_sub_i32 s9, s8, s72
	s_cmp_ge_u32 s8, s72
	s_cselect_b32 s8, s9, s8
	s_sub_i32 s9, s8, s72
	s_cmp_ge_u32 s8, s72
	s_cselect_b32 s90, s9, s8
	s_mov_b64 s[8:9], s[90:91]
.LBB126_218:                            ;   in Loop: Header=BB126_32 Depth=1
	s_sub_u32 s28, s2, s8
	s_subb_u32 s29, s85, s9
	v_cmp_gt_u64_e32 vcc, s[28:29], v[0:1]
                                        ; implicit-def: $vgpr18
	s_and_saveexec_b64 s[8:9], vcc
	s_cbranch_execz .LBB126_228
; %bb.219:                              ;   in Loop: Header=BB126_32 Depth=1
	v_mov_b32_e32 v5, v1
	s_mov_b64 s[30:31], 0
	v_mov_b32_e32 v4, v0
                                        ; implicit-def: $sgpr38_sgpr39
	s_branch .LBB126_223
.LBB126_220:                            ;   in Loop: Header=BB126_223 Depth=2
	s_or_b64 exec, exec, s[40:41]
	s_waitcnt lgkmcnt(0)
	s_barrier
	ds_read_b64 v[17:18], v15 offset:3072
	s_waitcnt lgkmcnt(0)
	s_barrier
	v_cmp_eq_f32_e32 vcc, 0, v17
	s_cbranch_vccz .LBB126_226
; %bb.221:                              ;   in Loop: Header=BB126_223 Depth=2
	v_add_co_u32_e32 v4, vcc, s72, v4
	v_addc_co_u32_e32 v5, vcc, 0, v5, vcc
	v_cmp_le_u64_e32 vcc, s[28:29], v[4:5]
	s_mov_b64 s[40:41], 0
	s_orn2_b64 s[42:43], vcc, exec
.LBB126_222:                            ;   in Loop: Header=BB126_223 Depth=2
	s_and_b64 s[42:43], exec, s[42:43]
	s_or_b64 s[30:31], s[42:43], s[30:31]
	s_andn2_b64 s[38:39], s[38:39], exec
	s_and_b64 s[40:41], s[40:41], exec
	s_or_b64 s[38:39], s[38:39], s[40:41]
	s_andn2_b64 exec, exec, s[30:31]
	s_cbranch_execz .LBB126_227
.LBB126_223:                            ;   Parent Loop BB126_32 Depth=1
                                        ; =>  This Inner Loop Header: Depth=2
	v_cmp_gt_u64_e32 vcc, s[52:53], v[4:5]
	s_and_saveexec_b64 s[40:41], vcc
	s_cbranch_execz .LBB126_220
; %bb.224:                              ;   in Loop: Header=BB126_223 Depth=2
	v_mul_lo_u32 v9, v5, s76
	v_mul_lo_u32 v14, v4, s77
	v_mad_u64_u32 v[6:7], s[42:43], v4, s76, 0
	v_add3_u32 v7, v7, v14, v9
	v_lshlrev_b64 v[6:7], 2, v[6:7]
	v_mov_b32_e32 v9, s73
	v_add_co_u32_e32 v6, vcc, s33, v6
	v_addc_co_u32_e32 v7, vcc, v9, v7, vcc
	global_load_dword v17, v[6:7], off
	s_waitcnt vmcnt(0)
	v_cmp_lt_i32_e32 vcc, -1, v17
	v_cndmask_b32_e32 v6, -1, v33, vcc
	v_xor_b32_e32 v6, v6, v17
	v_cmp_o_f32_e32 vcc, v17, v17
	v_cndmask_b32_e32 v6, -1, v6, vcc
	v_and_b32_e32 v6, v6, v35
	v_cmp_eq_u32_e32 vcc, v6, v30
	s_and_b64 exec, exec, vcc
	s_cbranch_execz .LBB126_220
; %bb.225:                              ;   in Loop: Header=BB126_223 Depth=2
	ds_write_b64 v15, v[16:17] offset:3072
	s_branch .LBB126_220
.LBB126_226:                            ;   in Loop: Header=BB126_223 Depth=2
	s_mov_b64 s[42:43], -1
                                        ; implicit-def: $vgpr4_vgpr5
	s_mov_b64 s[40:41], -1
	s_branch .LBB126_222
.LBB126_227:                            ;   in Loop: Header=BB126_32 Depth=1
	s_or_b64 exec, exec, s[30:31]
	s_andn2_b64 s[0:1], s[0:1], exec
	s_and_b64 s[28:29], s[38:39], exec
	s_or_b64 s[0:1], s[0:1], s[28:29]
.LBB126_228:                            ;   in Loop: Header=BB126_32 Depth=1
	s_or_b64 exec, exec, s[8:9]
	s_mov_b64 s[28:29], 0
	s_mov_b64 s[30:31], -1
.LBB126_229:                            ;   in Loop: Header=BB126_32 Depth=1
	s_orn2_b64 s[0:1], s[0:1], exec
.LBB126_230:                            ;   in Loop: Header=BB126_32 Depth=1
	s_or_b64 exec, exec, s[34:35]
	s_mov_b64 s[8:9], 0
	s_and_saveexec_b64 s[34:35], s[0:1]
	s_cbranch_execz .LBB126_290
; %bb.231:                              ;   in Loop: Header=BB126_32 Depth=1
	v_mov_b32_e32 v4, 1
	s_xor_b64 s[36:37], s[36:37], -1
	v_mov_b32_e32 v8, 1
	v_mov_b32_e32 v5, 0
	s_and_saveexec_b64 s[0:1], s[36:37]
	s_cbranch_execz .LBB126_240
; %bb.232:                              ;   in Loop: Header=BB126_32 Depth=1
	v_cmp_ge_u64_e32 vcc, s[18:19], v[2:3]
	s_and_saveexec_b64 s[8:9], vcc
	s_xor_b64 s[8:9], exec, s[8:9]
	s_cbranch_execz .LBB126_237
; %bb.233:                              ;   in Loop: Header=BB126_32 Depth=1
	ds_read_b64 v[4:5], v15 offset:5120
	v_and_b32_e32 v6, s50, v30
	v_lshl_or_b32 v30, 2, s95, v6
	v_or_b32_e32 v35, s27, v35
	s_waitcnt lgkmcnt(0)
	v_cmp_ne_u64_e32 vcc, 0, v[4:5]
	s_cbranch_vccnz .LBB126_237
; %bb.234:                              ;   in Loop: Header=BB126_32 Depth=1
	s_mov_b64 s[36:37], exec
	v_readlane_b32 s38, v48, 36
	v_readlane_b32 s39, v48, 37
	s_and_b64 s[38:39], s[36:37], s[38:39]
	s_mov_b64 exec, s[38:39]
; %bb.235:                              ;   in Loop: Header=BB126_32 Depth=1
	v_mov_b32_e32 v4, s18
	v_mov_b32_e32 v5, s19
	ds_write_b64 v15, v[4:5] offset:5128
; %bb.236:                              ;   in Loop: Header=BB126_32 Depth=1
	s_or_b64 exec, exec, s[36:37]
	s_waitcnt lgkmcnt(0)
	s_barrier
.LBB126_237:                            ;   in Loop: Header=BB126_32 Depth=1
	s_or_saveexec_b64 s[8:9], s[8:9]
	s_mov_b64 s[36:37], 0
	v_mov_b32_e32 v8, 8
	s_xor_b64 exec, exec, s[8:9]
; %bb.238:                              ;   in Loop: Header=BB126_32 Depth=1
	v_mov_b32_e32 v4, s19
	v_subrev_co_u32_e32 v2, vcc, s18, v2
	s_mov_b64 s[36:37], exec
	v_subb_co_u32_e32 v3, vcc, v3, v4, vcc
	v_mov_b32_e32 v8, 0
; %bb.239:                              ;   in Loop: Header=BB126_32 Depth=1
	s_or_b64 exec, exec, s[8:9]
	v_mov_b32_e32 v5, v3
	s_and_b64 s[8:9], s[36:37], exec
	v_mov_b32_e32 v4, v2
.LBB126_240:                            ;   in Loop: Header=BB126_32 Depth=1
	s_or_b64 exec, exec, s[0:1]
	s_mov_b64 s[0:1], -1
                                        ; implicit-def: $sgpr42_sgpr43
                                        ; implicit-def: $sgpr40_sgpr41
	s_and_saveexec_b64 s[18:19], s[8:9]
	s_cbranch_execz .LBB126_289
; %bb.241:                              ;   in Loop: Header=BB126_32 Depth=1
	s_cmp_eq_u64 s[10:11], 1
	v_cmp_eq_u64_e32 vcc, 1, v[4:5]
	s_cselect_b64 s[0:1], -1, 0
	s_and_b64 s[36:37], s[0:1], vcc
	s_mov_b64 s[8:9], -1
                                        ; implicit-def: $sgpr42_sgpr43
                                        ; implicit-def: $sgpr40_sgpr41
	s_and_saveexec_b64 s[38:39], s[36:37]
	s_cbranch_execz .LBB126_277
; %bb.242:                              ;   in Loop: Header=BB126_32 Depth=1
	ds_read_b64 v[2:3], v15 offset:5120
	s_waitcnt lgkmcnt(0)
	s_barrier
	v_readfirstlane_b32 s8, v2
	v_readfirstlane_b32 s9, v3
	s_mov_b64 s[0:1], exec
	v_readlane_b32 s40, v48, 38
	v_readlane_b32 s41, v48, 39
	s_and_b64 s[40:41], s[0:1], s[40:41]
	s_mov_b64 exec, s[40:41]
; %bb.243:                              ;   in Loop: Header=BB126_32 Depth=1
	ds_write_b32 v24, v15
; %bb.244:                              ;   in Loop: Header=BB126_32 Depth=1
	s_or_b64 exec, exec, s[0:1]
	v_or_b32_e32 v30, s27, v30
	v_or_b32_e32 v35, s27, v35
	s_mov_b64 s[40:41], -1
	s_mov_b64 s[42:43], 0
	s_cmp_eq_u64 s[8:9], 0
	s_mov_b64 s[0:1], 0
	s_mov_b64 s[44:45], -1
	s_waitcnt lgkmcnt(0)
	s_barrier
                                        ; implicit-def: $vgpr18
	s_cbranch_scc1 .LBB126_261
; %bb.245:                              ;   in Loop: Header=BB126_32 Depth=1
	v_readlane_b32 s0, v48, 44
	s_add_u32 s48, s8, s0
	v_readlane_b32 s0, v48, 45
	s_addc_u32 s1, s9, s0
	s_mov_b32 s0, s91
	s_cmp_lg_u64 s[0:1], 0
	s_cbranch_scc0 .LBB126_296
; %bb.246:                              ;   in Loop: Header=BB126_32 Depth=1
	v_cvt_f32_u32_e32 v2, s72
	s_sub_u32 s0, 0, s72
	s_subb_u32 s46, 0, 0
	v_mac_f32_e32 v2, 0, v34
	v_rcp_f32_e32 v2, v2
	v_mul_f32_e32 v2, 0x5f7ffffc, v2
	v_mul_f32_e32 v3, 0x2f800000, v2
	v_trunc_f32_e32 v3, v3
	v_mac_f32_e32 v2, 0xcf800000, v3
	v_cvt_u32_f32_e32 v3, v3
	v_cvt_u32_f32_e32 v2, v2
	v_readfirstlane_b32 s47, v3
	v_readfirstlane_b32 s44, v2
	s_mul_i32 s45, s0, s47
	s_mul_hi_u32 s50, s0, s44
	s_mul_i32 s49, s46, s44
	s_add_i32 s45, s50, s45
	s_mul_i32 s51, s0, s44
	s_add_i32 s45, s45, s49
	s_mul_hi_u32 s50, s44, s51
	s_mul_i32 s56, s44, s45
	s_mul_hi_u32 s49, s44, s45
	s_add_u32 s50, s50, s56
	s_addc_u32 s49, 0, s49
	s_mul_hi_u32 s57, s47, s51
	s_mul_i32 s51, s47, s51
	s_add_u32 s50, s50, s51
	s_mul_hi_u32 s56, s47, s45
	s_addc_u32 s49, s49, s57
	s_addc_u32 s50, s56, 0
	s_mul_i32 s45, s47, s45
	s_add_u32 s45, s49, s45
	s_addc_u32 s49, 0, s50
	s_add_u32 s50, s44, s45
	s_cselect_b64 s[44:45], -1, 0
	s_cmp_lg_u64 s[44:45], 0
	s_addc_u32 s47, s47, s49
	s_mul_i32 s44, s0, s47
	s_mul_hi_u32 s45, s0, s50
	s_add_i32 s44, s45, s44
	s_mul_i32 s46, s46, s50
	s_add_i32 s44, s44, s46
	s_mul_i32 s0, s0, s50
	s_mul_hi_u32 s46, s47, s0
	s_mul_i32 s49, s47, s0
	s_mul_i32 s56, s50, s44
	s_mul_hi_u32 s0, s50, s0
	s_mul_hi_u32 s51, s50, s44
	s_add_u32 s0, s0, s56
	s_addc_u32 s51, 0, s51
	s_add_u32 s0, s0, s49
	s_mul_hi_u32 s45, s47, s44
	s_addc_u32 s0, s51, s46
	s_addc_u32 s45, s45, 0
	s_mul_i32 s44, s47, s44
	s_add_u32 s0, s0, s44
	s_addc_u32 s46, 0, s45
	s_add_u32 s0, s50, s0
	s_cselect_b64 s[44:45], -1, 0
	s_cmp_lg_u64 s[44:45], 0
	s_addc_u32 s44, s47, s46
	s_mul_i32 s46, s48, s44
	s_mul_hi_u32 s47, s48, s0
	s_mul_hi_u32 s45, s48, s44
	s_add_u32 s46, s47, s46
	s_addc_u32 s45, 0, s45
	s_mul_hi_u32 s49, s1, s0
	s_mul_i32 s0, s1, s0
	s_add_u32 s0, s46, s0
	s_mul_hi_u32 s47, s1, s44
	s_addc_u32 s0, s45, s49
	s_addc_u32 s45, s47, 0
	s_mul_i32 s44, s1, s44
	s_add_u32 s0, s0, s44
	s_addc_u32 s44, 0, s45
	s_mul_i32 s44, s72, s44
	s_mul_hi_u32 s45, s72, s0
	s_add_i32 s46, s45, s44
	s_mul_i32 s0, s72, s0
	s_sub_u32 s0, s48, s0
	s_cselect_b64 s[44:45], -1, 0
	s_cmp_lg_u64 s[44:45], 0
	s_subb_u32 s46, s1, s46
	s_sub_u32 s47, s0, s72
	s_cselect_b64 s[44:45], -1, 0
	s_cmp_lg_u64 s[44:45], 0
	s_subb_u32 s49, s46, 0
	;; [unrolled: 4-line block ×3, first 2 shown]
	s_cmp_ge_u32 s47, s72
	s_cselect_b32 s45, -1, 0
	s_cmp_eq_u32 s49, 0
	s_cselect_b32 s45, s45, -1
	s_cmp_lg_u32 s45, 0
	s_cselect_b32 s44, s44, s49
	s_cselect_b32 s47, s50, s47
	s_cmp_ge_u32 s0, s72
	s_cselect_b32 s45, -1, 0
	s_cmp_eq_u32 s46, 0
	s_cselect_b32 s45, s45, -1
	s_cmp_lg_u32 s45, 0
	s_cselect_b32 s45, s44, s46
	s_cselect_b32 s44, s47, s0
	s_cbranch_execnz .LBB126_248
.LBB126_247:                            ;   in Loop: Header=BB126_32 Depth=1
	v_cvt_f32_u32_e32 v2, s72
	s_sub_i32 s0, 0, s72
	v_rcp_iflag_f32_e32 v2, v2
	v_mul_f32_e32 v2, 0x4f7ffffe, v2
	v_cvt_u32_f32_e32 v2, v2
	v_readfirstlane_b32 s44, v2
	s_mul_i32 s0, s0, s44
	s_mul_hi_u32 s0, s44, s0
	s_add_i32 s44, s44, s0
	s_mul_hi_u32 s0, s48, s44
	s_mul_i32 s0, s0, s72
	s_sub_i32 s0, s48, s0
	s_sub_i32 s44, s0, s72
	s_cmp_ge_u32 s0, s72
	s_cselect_b32 s0, s44, s0
	s_sub_i32 s44, s0, s72
	s_cmp_ge_u32 s0, s72
	s_cselect_b32 s90, s44, s0
	s_mov_b64 s[44:45], s[90:91]
.LBB126_248:                            ;   in Loop: Header=BB126_32 Depth=1
	s_sub_u32 s48, s48, s44
	s_subb_u32 s49, s1, s45
	v_cmp_gt_u64_e32 vcc, s[48:49], v[0:1]
	s_mov_b64 s[44:45], 0
	s_mov_b64 s[0:1], 0
                                        ; implicit-def: $vgpr18
	s_and_saveexec_b64 s[46:47], vcc
	s_cbranch_execz .LBB126_260
; %bb.249:                              ;   in Loop: Header=BB126_32 Depth=1
	v_mov_b32_e32 v3, v1
	v_mov_b32_e32 v6, v10
	;; [unrolled: 1-line block ×3, first 2 shown]
                                        ; implicit-def: $sgpr50_sgpr51
	s_branch .LBB126_253
.LBB126_250:                            ;   in Loop: Header=BB126_253 Depth=2
	s_or_b64 exec, exec, s[56:57]
	s_waitcnt lgkmcnt(0)
	s_barrier
	ds_read_b64 v[17:18], v15 offset:3072
	s_waitcnt lgkmcnt(0)
	s_barrier
	v_cmp_neq_f32_e32 vcc, 0, v17
	s_cbranch_vccnz .LBB126_256
; %bb.251:                              ;   in Loop: Header=BB126_253 Depth=2
	v_add_co_u32_e32 v2, vcc, s72, v2
	v_addc_co_u32_e32 v3, vcc, 0, v3, vcc
	v_cmp_le_u64_e32 vcc, s[48:49], v[2:3]
	v_add_u32_e32 v6, s94, v6
	s_mov_b64 s[56:57], 0
	s_orn2_b64 s[58:59], vcc, exec
.LBB126_252:                            ;   in Loop: Header=BB126_253 Depth=2
	s_and_b64 s[58:59], exec, s[58:59]
	s_or_b64 s[0:1], s[58:59], s[0:1]
	s_andn2_b64 s[50:51], s[50:51], exec
	s_and_b64 s[56:57], s[56:57], exec
	s_or_b64 s[50:51], s[50:51], s[56:57]
	s_andn2_b64 exec, exec, s[0:1]
	s_cbranch_execz .LBB126_259
.LBB126_253:                            ;   Parent Loop BB126_32 Depth=1
                                        ; =>  This Inner Loop Header: Depth=2
	v_cmp_gt_u64_e32 vcc, s[8:9], v[2:3]
	s_and_saveexec_b64 s[56:57], vcc
	s_cbranch_execz .LBB126_250
; %bb.254:                              ;   in Loop: Header=BB126_253 Depth=2
	ds_read_b32 v17, v6
	s_waitcnt lgkmcnt(0)
	v_cmp_lt_i32_e32 vcc, -1, v17
	v_cndmask_b32_e32 v7, -1, v33, vcc
	v_xor_b32_e32 v7, v7, v17
	v_cmp_o_f32_e32 vcc, v17, v17
	v_cndmask_b32_e32 v7, -1, v7, vcc
	v_and_b32_e32 v7, v7, v35
	v_cmp_eq_u32_e32 vcc, v7, v30
	s_and_b64 exec, exec, vcc
	s_cbranch_execz .LBB126_250
; %bb.255:                              ;   in Loop: Header=BB126_253 Depth=2
	ds_write_b64 v15, v[16:17] offset:3072
	s_branch .LBB126_250
.LBB126_256:                            ;   in Loop: Header=BB126_253 Depth=2
	s_mov_b64 s[58:59], -1
                                        ; implicit-def: $vgpr2_vgpr3
                                        ; implicit-def: $vgpr6
	s_mov_b64 s[56:57], -1
	s_branch .LBB126_252
.LBB126_257:                            ;   in Loop: Header=BB126_32 Depth=1
                                        ; implicit-def: $sgpr38_sgpr39
	s_branch .LBB126_200
.LBB126_258:                            ;   in Loop: Header=BB126_32 Depth=1
                                        ; implicit-def: $sgpr8_sgpr9
	s_branch .LBB126_217
.LBB126_259:                            ;   in Loop: Header=BB126_32 Depth=1
	s_or_b64 exec, exec, s[0:1]
	s_and_b64 s[0:1], s[50:51], exec
.LBB126_260:                            ;   in Loop: Header=BB126_32 Depth=1
	s_or_b64 exec, exec, s[46:47]
.LBB126_261:                            ;   in Loop: Header=BB126_32 Depth=1
	s_and_b64 vcc, exec, s[44:45]
	s_cbranch_vccz .LBB126_276
; %bb.262:                              ;   in Loop: Header=BB126_32 Depth=1
	s_mov_b32 s84, s91
	s_cmp_lg_u64 s[84:85], 0
	s_cbranch_scc0 .LBB126_297
; %bb.263:                              ;   in Loop: Header=BB126_32 Depth=1
	v_cvt_f32_u32_e32 v2, s72
	s_sub_u32 s40, 0, s72
	s_subb_u32 s41, 0, 0
	v_mac_f32_e32 v2, 0, v34
	v_rcp_f32_e32 v2, v2
	v_mul_f32_e32 v2, 0x5f7ffffc, v2
	v_mul_f32_e32 v3, 0x2f800000, v2
	v_trunc_f32_e32 v3, v3
	v_mac_f32_e32 v2, 0xcf800000, v3
	v_cvt_u32_f32_e32 v3, v3
	v_cvt_u32_f32_e32 v2, v2
	v_readfirstlane_b32 s42, v3
	v_readfirstlane_b32 s8, v2
	s_mul_i32 s9, s40, s42
	s_mul_hi_u32 s44, s40, s8
	s_mul_i32 s43, s41, s8
	s_add_i32 s9, s44, s9
	s_mul_i32 s45, s40, s8
	s_add_i32 s9, s9, s43
	s_mul_hi_u32 s44, s8, s45
	s_mul_i32 s46, s8, s9
	s_mul_hi_u32 s43, s8, s9
	s_add_u32 s44, s44, s46
	s_addc_u32 s43, 0, s43
	s_mul_hi_u32 s47, s42, s45
	s_mul_i32 s45, s42, s45
	s_add_u32 s44, s44, s45
	s_mul_hi_u32 s46, s42, s9
	s_addc_u32 s43, s43, s47
	s_addc_u32 s44, s46, 0
	s_mul_i32 s9, s42, s9
	s_add_u32 s9, s43, s9
	s_addc_u32 s43, 0, s44
	s_add_u32 s44, s8, s9
	s_cselect_b64 s[8:9], -1, 0
	s_cmp_lg_u64 s[8:9], 0
	s_addc_u32 s42, s42, s43
	s_mul_i32 s8, s40, s42
	s_mul_hi_u32 s9, s40, s44
	s_add_i32 s8, s9, s8
	s_mul_i32 s41, s41, s44
	s_add_i32 s8, s8, s41
	s_mul_i32 s40, s40, s44
	s_mul_hi_u32 s41, s42, s40
	s_mul_i32 s43, s42, s40
	s_mul_i32 s46, s44, s8
	s_mul_hi_u32 s40, s44, s40
	s_mul_hi_u32 s45, s44, s8
	s_add_u32 s40, s40, s46
	s_addc_u32 s45, 0, s45
	s_add_u32 s40, s40, s43
	s_mul_hi_u32 s9, s42, s8
	s_addc_u32 s40, s45, s41
	s_addc_u32 s9, s9, 0
	s_mul_i32 s8, s42, s8
	s_add_u32 s8, s40, s8
	s_addc_u32 s40, 0, s9
	s_add_u32 s41, s44, s8
	s_cselect_b64 s[8:9], -1, 0
	s_cmp_lg_u64 s[8:9], 0
	s_addc_u32 s8, s42, s40
	s_mul_i32 s40, s2, s8
	s_mul_hi_u32 s42, s2, s41
	s_mul_hi_u32 s9, s2, s8
	s_add_u32 s40, s42, s40
	s_addc_u32 s9, 0, s9
	s_mul_hi_u32 s43, s85, s41
	s_mul_i32 s41, s85, s41
	s_add_u32 s40, s40, s41
	s_mul_hi_u32 s42, s85, s8
	s_addc_u32 s9, s9, s43
	s_addc_u32 s40, s42, 0
	s_mul_i32 s8, s85, s8
	s_add_u32 s8, s9, s8
	s_addc_u32 s9, 0, s40
	s_mul_i32 s9, s72, s9
	s_mul_hi_u32 s40, s72, s8
	s_add_i32 s40, s40, s9
	s_mul_i32 s8, s72, s8
	s_sub_u32 s41, s2, s8
	s_cselect_b64 s[8:9], -1, 0
	s_cmp_lg_u64 s[8:9], 0
	s_subb_u32 s40, s85, s40
	s_sub_u32 s42, s41, s72
	s_cselect_b64 s[8:9], -1, 0
	s_cmp_lg_u64 s[8:9], 0
	s_subb_u32 s43, s40, 0
	;; [unrolled: 4-line block ×3, first 2 shown]
	s_cmp_ge_u32 s42, s72
	s_cselect_b32 s9, -1, 0
	s_cmp_eq_u32 s43, 0
	s_cselect_b32 s9, s9, -1
	s_cmp_lg_u32 s9, 0
	s_cselect_b32 s8, s8, s43
	s_cselect_b32 s42, s44, s42
	s_cmp_ge_u32 s41, s72
	s_cselect_b32 s9, -1, 0
	s_cmp_eq_u32 s40, 0
	s_cselect_b32 s9, s9, -1
	s_cmp_lg_u32 s9, 0
	s_cselect_b32 s9, s8, s40
	s_cselect_b32 s8, s42, s41
	s_cbranch_execnz .LBB126_265
.LBB126_264:                            ;   in Loop: Header=BB126_32 Depth=1
	v_cvt_f32_u32_e32 v2, s72
	s_sub_i32 s8, 0, s72
	v_rcp_iflag_f32_e32 v2, v2
	v_mul_f32_e32 v2, 0x4f7ffffe, v2
	v_cvt_u32_f32_e32 v2, v2
	v_readfirstlane_b32 s9, v2
	s_mul_i32 s8, s8, s9
	s_mul_hi_u32 s8, s9, s8
	s_add_i32 s9, s9, s8
	s_mul_hi_u32 s8, s2, s9
	s_mul_i32 s8, s8, s72
	s_sub_i32 s8, s2, s8
	s_sub_i32 s9, s8, s72
	s_cmp_ge_u32 s8, s72
	s_cselect_b32 s8, s9, s8
	s_sub_i32 s9, s8, s72
	s_cmp_ge_u32 s8, s72
	s_cselect_b32 s90, s9, s8
	s_mov_b64 s[8:9], s[90:91]
.LBB126_265:                            ;   in Loop: Header=BB126_32 Depth=1
	s_sub_u32 s40, s2, s8
	s_subb_u32 s41, s85, s9
	v_cmp_gt_u64_e32 vcc, s[40:41], v[0:1]
                                        ; implicit-def: $vgpr18
	s_and_saveexec_b64 s[8:9], vcc
	s_cbranch_execz .LBB126_275
; %bb.266:                              ;   in Loop: Header=BB126_32 Depth=1
	v_mov_b32_e32 v3, v1
	s_mov_b64 s[42:43], 0
	v_mov_b32_e32 v2, v0
                                        ; implicit-def: $sgpr44_sgpr45
	s_branch .LBB126_270
.LBB126_267:                            ;   in Loop: Header=BB126_270 Depth=2
	s_or_b64 exec, exec, s[46:47]
	s_waitcnt lgkmcnt(0)
	s_barrier
	ds_read_b64 v[17:18], v15 offset:3072
	s_waitcnt lgkmcnt(0)
	s_barrier
	v_cmp_eq_f32_e32 vcc, 0, v17
	s_cbranch_vccz .LBB126_273
; %bb.268:                              ;   in Loop: Header=BB126_270 Depth=2
	v_add_co_u32_e32 v2, vcc, s72, v2
	v_addc_co_u32_e32 v3, vcc, 0, v3, vcc
	v_cmp_le_u64_e32 vcc, s[40:41], v[2:3]
	s_mov_b64 s[46:47], 0
	s_orn2_b64 s[48:49], vcc, exec
.LBB126_269:                            ;   in Loop: Header=BB126_270 Depth=2
	s_and_b64 s[48:49], exec, s[48:49]
	s_or_b64 s[42:43], s[48:49], s[42:43]
	s_andn2_b64 s[44:45], s[44:45], exec
	s_and_b64 s[46:47], s[46:47], exec
	s_or_b64 s[44:45], s[44:45], s[46:47]
	s_andn2_b64 exec, exec, s[42:43]
	s_cbranch_execz .LBB126_274
.LBB126_270:                            ;   Parent Loop BB126_32 Depth=1
                                        ; =>  This Inner Loop Header: Depth=2
	v_cmp_gt_u64_e32 vcc, s[52:53], v[2:3]
	s_and_saveexec_b64 s[46:47], vcc
	s_cbranch_execz .LBB126_267
; %bb.271:                              ;   in Loop: Header=BB126_270 Depth=2
	v_mul_lo_u32 v9, v3, s76
	v_mul_lo_u32 v14, v2, s77
	v_mad_u64_u32 v[6:7], s[48:49], v2, s76, 0
	v_add3_u32 v7, v7, v14, v9
	v_lshlrev_b64 v[6:7], 2, v[6:7]
	v_mov_b32_e32 v9, s73
	v_add_co_u32_e32 v6, vcc, s33, v6
	v_addc_co_u32_e32 v7, vcc, v9, v7, vcc
	global_load_dword v17, v[6:7], off
	s_waitcnt vmcnt(0)
	v_cmp_lt_i32_e32 vcc, -1, v17
	v_cndmask_b32_e32 v6, -1, v33, vcc
	v_xor_b32_e32 v6, v6, v17
	v_cmp_o_f32_e32 vcc, v17, v17
	v_cndmask_b32_e32 v6, -1, v6, vcc
	v_and_b32_e32 v6, v6, v35
	v_cmp_eq_u32_e32 vcc, v6, v30
	s_and_b64 exec, exec, vcc
	s_cbranch_execz .LBB126_267
; %bb.272:                              ;   in Loop: Header=BB126_270 Depth=2
	ds_write_b64 v15, v[16:17] offset:3072
	s_branch .LBB126_267
.LBB126_273:                            ;   in Loop: Header=BB126_270 Depth=2
	s_mov_b64 s[48:49], -1
                                        ; implicit-def: $vgpr2_vgpr3
	s_mov_b64 s[46:47], -1
	s_branch .LBB126_269
.LBB126_274:                            ;   in Loop: Header=BB126_32 Depth=1
	s_or_b64 exec, exec, s[42:43]
	s_andn2_b64 s[0:1], s[0:1], exec
	s_and_b64 s[40:41], s[44:45], exec
	s_or_b64 s[0:1], s[0:1], s[40:41]
.LBB126_275:                            ;   in Loop: Header=BB126_32 Depth=1
	s_or_b64 exec, exec, s[8:9]
	s_mov_b64 s[40:41], 0
	s_mov_b64 s[42:43], -1
.LBB126_276:                            ;   in Loop: Header=BB126_32 Depth=1
	s_orn2_b64 s[8:9], s[0:1], exec
.LBB126_277:                            ;   in Loop: Header=BB126_32 Depth=1
	s_or_b64 exec, exec, s[38:39]
	s_mov_b64 s[38:39], 0
	s_and_saveexec_b64 s[0:1], s[8:9]
	s_cbranch_execz .LBB126_288
; %bb.278:                              ;   in Loop: Header=BB126_32 Depth=1
	v_mov_b32_e32 v2, 1
	s_xor_b64 s[36:37], s[36:37], -1
	v_mov_b32_e32 v3, 0
	v_mov_b32_e32 v8, 1
	s_and_saveexec_b64 s[8:9], s[36:37]
	s_cbranch_execz .LBB126_287
; %bb.279:                              ;   in Loop: Header=BB126_32 Depth=1
	v_cmp_ge_u64_e32 vcc, s[10:11], v[4:5]
	s_and_saveexec_b64 s[36:37], vcc
	s_xor_b64 s[36:37], exec, s[36:37]
	s_cbranch_execz .LBB126_284
; %bb.280:                              ;   in Loop: Header=BB126_32 Depth=1
	ds_read_b64 v[2:3], v15 offset:5120
	v_or_b32_e32 v30, s27, v30
	v_or_b32_e32 v35, s27, v35
	s_waitcnt lgkmcnt(0)
	v_cmp_ne_u64_e32 vcc, 0, v[2:3]
	s_cbranch_vccnz .LBB126_284
; %bb.281:                              ;   in Loop: Header=BB126_32 Depth=1
	s_mov_b64 s[38:39], exec
	v_readlane_b32 s44, v48, 36
	v_readlane_b32 s45, v48, 37
	s_and_b64 s[44:45], s[38:39], s[44:45]
	s_mov_b64 exec, s[44:45]
; %bb.282:                              ;   in Loop: Header=BB126_32 Depth=1
	v_mov_b32_e32 v2, s10
	v_mov_b32_e32 v3, s11
	ds_write_b64 v15, v[2:3] offset:5128
; %bb.283:                              ;   in Loop: Header=BB126_32 Depth=1
	s_or_b64 exec, exec, s[38:39]
	s_waitcnt lgkmcnt(0)
	s_barrier
.LBB126_284:                            ;   in Loop: Header=BB126_32 Depth=1
	s_andn2_saveexec_b64 s[36:37], s[36:37]
; %bb.285:                              ;   in Loop: Header=BB126_32 Depth=1
	v_mov_b32_e32 v2, s11
	v_subrev_co_u32_e32 v4, vcc, s10, v4
	v_subb_co_u32_e32 v5, vcc, v5, v2, vcc
; %bb.286:                              ;   in Loop: Header=BB126_32 Depth=1
	s_or_b64 exec, exec, s[36:37]
	v_mov_b32_e32 v2, v4
	v_mov_b32_e32 v8, 8
	;; [unrolled: 1-line block ×3, first 2 shown]
.LBB126_287:                            ;   in Loop: Header=BB126_32 Depth=1
	s_or_b64 exec, exec, s[8:9]
	v_mov_b32_e32 v5, v3
	s_mov_b64 s[38:39], exec
	v_mov_b32_e32 v4, v2
.LBB126_288:                            ;   in Loop: Header=BB126_32 Depth=1
	s_or_b64 exec, exec, s[0:1]
	s_orn2_b64 s[0:1], s[38:39], exec
.LBB126_289:                            ;   in Loop: Header=BB126_32 Depth=1
	s_or_b64 exec, exec, s[18:19]
	s_andn2_b64 s[8:9], s[30:31], exec
	s_and_b64 s[10:11], s[42:43], exec
	s_or_b64 s[30:31], s[8:9], s[10:11]
	s_andn2_b64 s[8:9], s[28:29], exec
	s_and_b64 s[10:11], s[40:41], exec
	v_mov_b32_e32 v2, v4
	s_or_b64 s[28:29], s[8:9], s[10:11]
	s_and_b64 s[8:9], s[0:1], exec
	v_mov_b32_e32 v3, v5
.LBB126_290:                            ;   in Loop: Header=BB126_32 Depth=1
	s_or_b64 exec, exec, s[34:35]
	s_orn2_b64 s[0:1], s[8:9], exec
.LBB126_291:                            ;   in Loop: Header=BB126_32 Depth=1
	s_or_b64 exec, exec, s[24:25]
	s_andn2_b64 s[8:9], s[20:21], exec
	s_and_b64 s[10:11], s[30:31], exec
	s_or_b64 s[20:21], s[8:9], s[10:11]
	s_andn2_b64 s[6:7], s[6:7], exec
	s_and_b64 s[8:9], s[28:29], exec
	v_mov_b32_e32 v7, v3
	s_or_b64 s[6:7], s[6:7], s[8:9]
	s_and_b64 s[8:9], s[0:1], exec
	v_mov_b32_e32 v6, v2
.LBB126_292:                            ;   in Loop: Header=BB126_32 Depth=1
	s_or_b64 exec, exec, s[22:23]
	s_orn2_b64 s[0:1], s[8:9], exec
.LBB126_293:                            ;   in Loop: Header=BB126_32 Depth=1
	s_or_b64 exec, exec, s[16:17]
	s_mov_b64 s[8:9], 0
	s_and_saveexec_b64 s[10:11], s[0:1]
	s_xor_b64 s[0:1], exec, s[10:11]
	s_cbranch_execz .LBB126_30
; %bb.294:                              ;   in Loop: Header=BB126_32 Depth=1
	v_and_b32_e32 v2, 7, v8
	v_cmp_eq_u32_e32 vcc, 0, v2
	s_mov_b64 s[10:11], -1
	s_mov_b64 s[8:9], -1
	s_and_saveexec_b64 s[14:15], vcc
	s_cbranch_execz .LBB126_29
; %bb.295:                              ;   in Loop: Header=BB126_32 Depth=1
	s_xor_b32 s26, s26, 1
	s_add_i32 s16, s95, -2
	s_cmp_eq_u32 s95, 0
	s_cselect_b64 s[10:11], -1, 0
	s_xor_b64 s[8:9], exec, -1
	s_orn2_b64 s[10:11], s[10:11], exec
	s_mov_b32 s95, s16
	s_branch .LBB126_29
.LBB126_296:                            ;   in Loop: Header=BB126_32 Depth=1
                                        ; implicit-def: $sgpr44_sgpr45
	s_branch .LBB126_247
.LBB126_297:                            ;   in Loop: Header=BB126_32 Depth=1
                                        ; implicit-def: $sgpr8_sgpr9
	s_branch .LBB126_264
.LBB126_298:
	s_or_b64 exec, exec, s[88:89]
	s_xor_b64 s[4:5], s[68:69], -1
	s_xor_b64 s[2:3], s[74:75], -1
	;; [unrolled: 1-line block ×3, first 2 shown]
	s_mov_b64 s[0:1], 0
	s_and_saveexec_b64 s[8:9], s[2:3]
	s_xor_b64 s[2:3], exec, s[8:9]
	s_cbranch_execnz .LBB126_303
; %bb.299:
	s_andn2_saveexec_b64 s[2:3], s[2:3]
	s_cbranch_execnz .LBB126_316
.LBB126_300:
	s_or_b64 exec, exec, s[2:3]
	s_and_saveexec_b64 s[2:3], s[0:1]
.LBB126_301:
	; divergent unreachable
.LBB126_302:
	s_endpgm
.LBB126_303:
	s_and_saveexec_b64 s[0:1], s[4:5]
	s_xor_b64 s[4:5], exec, s[0:1]
	s_cbranch_execz .LBB126_314
; %bb.304:
	s_and_saveexec_b64 s[0:1], s[6:7]
	s_xor_b64 s[0:1], exec, s[0:1]
; %bb.305:
	v_bfrev_b32_e32 v2, 1
	v_cmp_lt_i32_e32 vcc, -1, v30
	v_cndmask_b32_e64 v2, v2, -1, vcc
	v_xor_b32_e32 v18, v2, v30
; %bb.306:
	s_or_b64 exec, exec, s[0:1]
	v_readlane_b32 s8, v48, 12
	v_readlane_b32 s0, v48, 4
	;; [unrolled: 1-line block ×4, first 2 shown]
	s_mov_b32 s14, s0
	s_mul_i32 s0, s0, s9
	s_mul_hi_u32 s1, s14, s8
	s_add_i32 s1, s1, s0
	s_mul_i32 s0, s14, s8
	v_readlane_b32 s12, v48, 6
	v_readlane_b32 s16, v48, 24
	;; [unrolled: 1-line block ×3, first 2 shown]
	s_sub_u32 s0, s12, s0
	v_readlane_b32 s18, v48, 26
	v_readlane_b32 s19, v48, 27
	s_subb_u32 s1, s13, s1
	s_mul_i32 s6, s0, s19
	s_mul_hi_u32 s7, s0, s18
	v_readlane_b32 s10, v48, 14
	v_readlane_b32 s11, v48, 15
	;; [unrolled: 1-line block ×3, first 2 shown]
	s_add_i32 s6, s7, s6
	s_mul_i32 s1, s1, s18
	s_add_i32 s1, s6, s1
	s_mul_i32 s6, s14, s17
	s_mul_hi_u32 s7, s14, s16
	s_mul_i32 s8, s12, s11
	s_mul_hi_u32 s9, s12, s10
	s_add_i32 s7, s7, s6
	s_add_i32 s9, s9, s8
	s_mul_i32 s8, s12, s10
	v_readlane_b32 s10, v48, 32
	v_readlane_b32 s12, v48, 22
	;; [unrolled: 1-line block ×3, first 2 shown]
	s_sub_u32 s8, s10, s8
	v_readlane_b32 s13, v48, 23
	s_subb_u32 s9, 0, s9
	s_mul_i32 s10, s8, s13
	s_mul_hi_u32 s11, s8, s12
	s_mul_i32 s6, s14, s16
	s_add_i32 s10, s11, s10
	s_mul_i32 s9, s9, s12
	s_add_i32 s9, s10, s9
	s_lshl_b64 s[6:7], s[6:7], 2
	v_readlane_b32 s10, v48, 30
	s_mul_i32 s0, s0, s18
	v_readlane_b32 s11, v48, 31
	s_add_u32 s6, s10, s6
	s_addc_u32 s7, s11, s7
	s_lshl_b64 s[0:1], s[0:1], 2
	s_mul_i32 s8, s8, s12
	s_add_u32 s6, s6, s0
	s_addc_u32 s7, s7, s1
	s_lshl_b64 s[0:1], s[8:9], 2
	s_add_u32 s0, s6, s0
	s_addc_u32 s1, s7, s1
	v_mov_b32_e32 v2, 0
	global_store_dword v2, v18, s[0:1]
	s_mov_b64 s[6:7], exec
	v_readlane_b32 s0, v48, 34
	v_readlane_b32 s1, v48, 35
	s_and_b64 s[0:1], s[6:7], s[0:1]
	s_mov_b64 exec, s[0:1]
	s_cbranch_execz .LBB126_313
; %bb.307:
	v_cmp_u_f32_e32 vcc, v18, v18
	s_mov_b64 s[8:9], 0
	v_mov_b32_e32 v4, s73
	s_xor_b64 s[12:13], vcc, -1
                                        ; implicit-def: $sgpr10_sgpr11
                                        ; implicit-def: $sgpr16_sgpr17
                                        ; implicit-def: $sgpr14_sgpr15
	s_branch .LBB126_309
.LBB126_308:                            ;   in Loop: Header=BB126_309 Depth=1
	s_or_b64 exec, exec, s[0:1]
	s_and_b64 s[0:1], exec, s[16:17]
	s_or_b64 s[8:9], s[0:1], s[8:9]
	s_andn2_b64 s[0:1], s[10:11], exec
	s_and_b64 s[10:11], s[14:15], exec
	s_or_b64 s[10:11], s[0:1], s[10:11]
	s_andn2_b64 exec, exec, s[8:9]
	s_cbranch_execz .LBB126_311
.LBB126_309:                            ; =>This Inner Loop Header: Depth=1
	v_mov_b32_e32 v3, v1
	v_mov_b32_e32 v2, v0
	v_mul_lo_u32 v5, v3, s76
	v_mul_lo_u32 v6, v2, s77
	v_mad_u64_u32 v[0:1], s[0:1], v2, s76, 0
	s_or_b64 s[14:15], s[14:15], exec
	s_or_b64 s[16:17], s[16:17], exec
	v_add3_u32 v1, v1, v6, v5
	v_lshlrev_b64 v[0:1], 2, v[0:1]
	v_add_co_u32_e32 v0, vcc, s33, v0
	v_addc_co_u32_e32 v1, vcc, v4, v1, vcc
	global_load_dword v0, v[0:1], off
	s_waitcnt vmcnt(0)
	v_cmp_o_f32_e64 s[0:1], v0, v0
	v_cmp_neq_f32_e32 vcc, v0, v18
	s_or_b64 s[0:1], s[0:1], s[12:13]
	s_and_b64 s[18:19], vcc, s[0:1]
                                        ; implicit-def: $vgpr0_vgpr1
	s_and_saveexec_b64 s[0:1], s[18:19]
	s_cbranch_execz .LBB126_308
; %bb.310:                              ;   in Loop: Header=BB126_309 Depth=1
	v_add_co_u32_e32 v0, vcc, s72, v2
	v_addc_co_u32_e32 v1, vcc, 0, v3, vcc
	v_cmp_le_u64_e32 vcc, s[52:53], v[0:1]
	s_andn2_b64 s[16:17], s[16:17], exec
	s_and_b64 s[18:19], vcc, exec
	s_andn2_b64 s[14:15], s[14:15], exec
	s_or_b64 s[16:17], s[16:17], s[18:19]
	s_branch .LBB126_308
.LBB126_311:
	s_or_b64 exec, exec, s[8:9]
	s_and_saveexec_b64 s[0:1], s[10:11]
	s_xor_b64 s[0:1], exec, s[0:1]
	s_cbranch_execz .LBB126_313
; %bb.312:
	v_readlane_b32 s12, v48, 0
	v_readlane_b32 s0, v48, 8
	;; [unrolled: 1-line block ×4, first 2 shown]
	s_mov_b32 s10, s0
	s_mul_i32 s0, s0, s13
	s_mul_hi_u32 s1, s10, s12
	s_add_i32 s1, s1, s0
	s_mul_i32 s0, s10, s12
	v_readlane_b32 s12, v48, 10
	v_readlane_b32 s16, v48, 18
	;; [unrolled: 1-line block ×3, first 2 shown]
	s_sub_u32 s0, s12, s0
	v_readlane_b32 s18, v48, 20
	v_readlane_b32 s19, v48, 21
	s_subb_u32 s1, s13, s1
	s_mul_i32 s8, s0, s19
	s_mul_hi_u32 s9, s0, s18
	v_readlane_b32 s17, v48, 19
	s_add_i32 s8, s9, s8
	s_mul_i32 s1, s1, s18
	v_readlane_b32 s14, v48, 2
	v_readlane_b32 s15, v48, 3
	s_add_i32 s1, s8, s1
	s_mul_i32 s8, s10, s17
	s_mul_hi_u32 s9, s10, s16
	s_add_i32 s9, s9, s8
	s_mul_i32 s8, s10, s16
	s_mul_i32 s10, s12, s15
	s_mul_hi_u32 s11, s12, s14
	s_add_i32 s11, s11, s10
	s_mul_i32 s10, s12, s14
	v_readlane_b32 s12, v48, 32
	v_readlane_b32 s14, v48, 16
	;; [unrolled: 1-line block ×3, first 2 shown]
	s_sub_u32 s10, s12, s10
	v_readlane_b32 s15, v48, 17
	s_subb_u32 s11, 0, s11
	s_mul_i32 s12, s10, s15
	s_mul_hi_u32 s13, s10, s14
	s_add_i32 s12, s13, s12
	s_mul_i32 s11, s11, s14
	s_add_i32 s11, s12, s11
	s_lshl_b64 s[8:9], s[8:9], 3
	v_readlane_b32 s12, v48, 28
	s_mul_i32 s0, s0, s18
	v_readlane_b32 s13, v48, 29
	s_add_u32 s8, s12, s8
	s_addc_u32 s9, s13, s9
	s_lshl_b64 s[0:1], s[0:1], 3
	s_mul_i32 s10, s10, s14
	s_add_u32 s8, s8, s0
	s_addc_u32 s9, s9, s1
	s_lshl_b64 s[0:1], s[10:11], 3
	s_add_u32 s0, s8, s0
	s_addc_u32 s1, s9, s1
	v_mov_b32_e32 v0, 0
	global_store_dwordx2 v0, v[2:3], s[0:1]
.LBB126_313:
	s_or_b64 exec, exec, s[6:7]
.LBB126_314:
	s_or_saveexec_b64 s[0:1], s[4:5]
	s_mov_b64 s[4:5], 0
	s_xor_b64 exec, exec, s[0:1]
	s_cbranch_execnz .LBB126_317
.LBB126_315:
	s_or_b64 exec, exec, s[0:1]
	s_and_b64 s[0:1], s[4:5], exec
	s_andn2_saveexec_b64 s[2:3], s[2:3]
	s_cbranch_execz .LBB126_300
.LBB126_316:
	s_or_b64 s[0:1], s[0:1], exec
	s_trap 2
	s_or_b64 exec, exec, s[2:3]
	s_and_saveexec_b64 s[2:3], s[0:1]
	s_cbranch_execnz .LBB126_301
	s_branch .LBB126_302
.LBB126_317:
	s_mov_b64 s[4:5], exec
	s_trap 2
	s_branch .LBB126_315
	.section	.rodata,"a",@progbits
	.p2align	6, 0x0
	.amdhsa_kernel _ZN2at6native12_GLOBAL__N_112gatherMedianIfmLi3EEEvNS_4cuda6detail10TensorInfoIT_T0_EENS5_IlS7_EENS5_IKS6_S7_EES7_S7_S7_b
		.amdhsa_group_segment_fixed_size 5152
		.amdhsa_private_segment_fixed_size 0
		.amdhsa_kernarg_size 1536
		.amdhsa_user_sgpr_count 6
		.amdhsa_user_sgpr_private_segment_buffer 1
		.amdhsa_user_sgpr_dispatch_ptr 0
		.amdhsa_user_sgpr_queue_ptr 0
		.amdhsa_user_sgpr_kernarg_segment_ptr 1
		.amdhsa_user_sgpr_dispatch_id 0
		.amdhsa_user_sgpr_flat_scratch_init 0
		.amdhsa_user_sgpr_private_segment_size 0
		.amdhsa_uses_dynamic_stack 0
		.amdhsa_system_sgpr_private_segment_wavefront_offset 0
		.amdhsa_system_sgpr_workgroup_id_x 1
		.amdhsa_system_sgpr_workgroup_id_y 1
		.amdhsa_system_sgpr_workgroup_id_z 1
		.amdhsa_system_sgpr_workgroup_info 0
		.amdhsa_system_vgpr_workitem_id 0
		.amdhsa_next_free_vgpr 49
		.amdhsa_next_free_sgpr 96
		.amdhsa_reserve_vcc 1
		.amdhsa_reserve_flat_scratch 0
		.amdhsa_float_round_mode_32 0
		.amdhsa_float_round_mode_16_64 0
		.amdhsa_float_denorm_mode_32 3
		.amdhsa_float_denorm_mode_16_64 3
		.amdhsa_dx10_clamp 1
		.amdhsa_ieee_mode 1
		.amdhsa_fp16_overflow 0
		.amdhsa_exception_fp_ieee_invalid_op 0
		.amdhsa_exception_fp_denorm_src 0
		.amdhsa_exception_fp_ieee_div_zero 0
		.amdhsa_exception_fp_ieee_overflow 0
		.amdhsa_exception_fp_ieee_underflow 0
		.amdhsa_exception_fp_ieee_inexact 0
		.amdhsa_exception_int_div_zero 0
	.end_amdhsa_kernel
	.section	.text._ZN2at6native12_GLOBAL__N_112gatherMedianIfmLi3EEEvNS_4cuda6detail10TensorInfoIT_T0_EENS5_IlS7_EENS5_IKS6_S7_EES7_S7_S7_b,"axG",@progbits,_ZN2at6native12_GLOBAL__N_112gatherMedianIfmLi3EEEvNS_4cuda6detail10TensorInfoIT_T0_EENS5_IlS7_EENS5_IKS6_S7_EES7_S7_S7_b,comdat
.Lfunc_end126:
	.size	_ZN2at6native12_GLOBAL__N_112gatherMedianIfmLi3EEEvNS_4cuda6detail10TensorInfoIT_T0_EENS5_IlS7_EENS5_IKS6_S7_EES7_S7_S7_b, .Lfunc_end126-_ZN2at6native12_GLOBAL__N_112gatherMedianIfmLi3EEEvNS_4cuda6detail10TensorInfoIT_T0_EENS5_IlS7_EENS5_IKS6_S7_EES7_S7_S7_b
                                        ; -- End function
	.set _ZN2at6native12_GLOBAL__N_112gatherMedianIfmLi3EEEvNS_4cuda6detail10TensorInfoIT_T0_EENS5_IlS7_EENS5_IKS6_S7_EES7_S7_S7_b.num_vgpr, 49
	.set _ZN2at6native12_GLOBAL__N_112gatherMedianIfmLi3EEEvNS_4cuda6detail10TensorInfoIT_T0_EENS5_IlS7_EENS5_IKS6_S7_EES7_S7_S7_b.num_agpr, 0
	.set _ZN2at6native12_GLOBAL__N_112gatherMedianIfmLi3EEEvNS_4cuda6detail10TensorInfoIT_T0_EENS5_IlS7_EENS5_IKS6_S7_EES7_S7_S7_b.numbered_sgpr, 96
	.set _ZN2at6native12_GLOBAL__N_112gatherMedianIfmLi3EEEvNS_4cuda6detail10TensorInfoIT_T0_EENS5_IlS7_EENS5_IKS6_S7_EES7_S7_S7_b.num_named_barrier, 0
	.set _ZN2at6native12_GLOBAL__N_112gatherMedianIfmLi3EEEvNS_4cuda6detail10TensorInfoIT_T0_EENS5_IlS7_EENS5_IKS6_S7_EES7_S7_S7_b.private_seg_size, 0
	.set _ZN2at6native12_GLOBAL__N_112gatherMedianIfmLi3EEEvNS_4cuda6detail10TensorInfoIT_T0_EENS5_IlS7_EENS5_IKS6_S7_EES7_S7_S7_b.uses_vcc, 1
	.set _ZN2at6native12_GLOBAL__N_112gatherMedianIfmLi3EEEvNS_4cuda6detail10TensorInfoIT_T0_EENS5_IlS7_EENS5_IKS6_S7_EES7_S7_S7_b.uses_flat_scratch, 0
	.set _ZN2at6native12_GLOBAL__N_112gatherMedianIfmLi3EEEvNS_4cuda6detail10TensorInfoIT_T0_EENS5_IlS7_EENS5_IKS6_S7_EES7_S7_S7_b.has_dyn_sized_stack, 0
	.set _ZN2at6native12_GLOBAL__N_112gatherMedianIfmLi3EEEvNS_4cuda6detail10TensorInfoIT_T0_EENS5_IlS7_EENS5_IKS6_S7_EES7_S7_S7_b.has_recursion, 0
	.set _ZN2at6native12_GLOBAL__N_112gatherMedianIfmLi3EEEvNS_4cuda6detail10TensorInfoIT_T0_EENS5_IlS7_EENS5_IKS6_S7_EES7_S7_S7_b.has_indirect_call, 0
	.section	.AMDGPU.csdata,"",@progbits
; Kernel info:
; codeLenInByte = 16616
; TotalNumSgprs: 100
; NumVgprs: 49
; ScratchSize: 0
; MemoryBound: 0
; FloatMode: 240
; IeeeMode: 1
; LDSByteSize: 5152 bytes/workgroup (compile time only)
; SGPRBlocks: 12
; VGPRBlocks: 12
; NumSGPRsForWavesPerEU: 100
; NumVGPRsForWavesPerEU: 49
; Occupancy: 4
; WaveLimiterHint : 1
; COMPUTE_PGM_RSRC2:SCRATCH_EN: 0
; COMPUTE_PGM_RSRC2:USER_SGPR: 6
; COMPUTE_PGM_RSRC2:TRAP_HANDLER: 0
; COMPUTE_PGM_RSRC2:TGID_X_EN: 1
; COMPUTE_PGM_RSRC2:TGID_Y_EN: 1
; COMPUTE_PGM_RSRC2:TGID_Z_EN: 1
; COMPUTE_PGM_RSRC2:TIDIG_COMP_CNT: 0
	.section	.text._ZN2at6native12_GLOBAL__N_112gatherMedianIfmLin1EEEvNS_4cuda6detail10TensorInfoIT_T0_EENS5_IlS7_EENS5_IKS6_S7_EES7_S7_S7_b,"axG",@progbits,_ZN2at6native12_GLOBAL__N_112gatherMedianIfmLin1EEEvNS_4cuda6detail10TensorInfoIT_T0_EENS5_IlS7_EENS5_IKS6_S7_EES7_S7_S7_b,comdat
	.globl	_ZN2at6native12_GLOBAL__N_112gatherMedianIfmLin1EEEvNS_4cuda6detail10TensorInfoIT_T0_EENS5_IlS7_EENS5_IKS6_S7_EES7_S7_S7_b ; -- Begin function _ZN2at6native12_GLOBAL__N_112gatherMedianIfmLin1EEEvNS_4cuda6detail10TensorInfoIT_T0_EENS5_IlS7_EENS5_IKS6_S7_EES7_S7_S7_b
	.p2align	8
	.type	_ZN2at6native12_GLOBAL__N_112gatherMedianIfmLin1EEEvNS_4cuda6detail10TensorInfoIT_T0_EENS5_IlS7_EENS5_IKS6_S7_EES7_S7_S7_b,@function
_ZN2at6native12_GLOBAL__N_112gatherMedianIfmLin1EEEvNS_4cuda6detail10TensorInfoIT_T0_EENS5_IlS7_EENS5_IKS6_S7_EES7_S7_S7_b: ; @_ZN2at6native12_GLOBAL__N_112gatherMedianIfmLin1EEEvNS_4cuda6detail10TensorInfoIT_T0_EENS5_IlS7_EENS5_IKS6_S7_EES7_S7_S7_b
; %bb.0:
	s_load_dwordx2 s[0:1], s[4:5], 0x500
	s_load_dwordx4 s[52:55], s[4:5], 0x4e0
	s_add_u32 s10, s4, 0x500
	s_addc_u32 s11, s5, 0
	s_mov_b32 s3, 0
	s_waitcnt lgkmcnt(0)
	s_mul_i32 s1, s1, s8
	s_add_i32 s1, s1, s7
	s_mul_i32 s1, s1, s0
	s_add_i32 s2, s1, s6
	v_mov_b32_e32 v1, s2
	v_mov_b32_e32 v2, s3
	v_cmp_le_u64_e32 vcc, s[54:55], v[1:2]
	s_cbranch_vccnz .LBB127_315
; %bb.1:
	s_load_dword s7, s[4:5], 0x198
	s_load_dwordx2 s[56:57], s[4:5], 0x4f0
	s_mov_b64 s[28:29], 0
	s_mov_b64 s[20:21], s[2:3]
	s_waitcnt lgkmcnt(0)
	s_cmp_lt_i32 s7, 2
	s_cbranch_scc1 .LBB127_9
; %bb.2:
	s_mov_b32 s8, 0
	s_add_i32 s12, s7, -1
	s_mov_b32 s13, s8
	s_add_i32 s1, s7, 1
	s_lshl_b64 s[12:13], s[12:13], 3
	s_add_u32 s7, s4, s12
	s_addc_u32 s9, s5, s13
	s_add_u32 s12, s7, 8
	s_addc_u32 s13, s9, 0
	s_mov_b64 s[14:15], s[2:3]
.LBB127_3:                              ; =>This Inner Loop Header: Depth=1
	s_load_dwordx2 s[16:17], s[12:13], 0x0
	s_waitcnt lgkmcnt(0)
	s_or_b64 s[18:19], s[14:15], s[16:17]
	s_mov_b32 s9, s19
	s_cmp_lg_u64 s[8:9], 0
	s_cbranch_scc0 .LBB127_8
; %bb.4:                                ;   in Loop: Header=BB127_3 Depth=1
	v_cvt_f32_u32_e32 v1, s16
	v_cvt_f32_u32_e32 v2, s17
	s_sub_u32 s7, 0, s16
	s_subb_u32 s9, 0, s17
	v_mac_f32_e32 v1, 0x4f800000, v2
	v_rcp_f32_e32 v1, v1
	v_mul_f32_e32 v1, 0x5f7ffffc, v1
	v_mul_f32_e32 v2, 0x2f800000, v1
	v_trunc_f32_e32 v2, v2
	v_mac_f32_e32 v1, 0xcf800000, v2
	v_cvt_u32_f32_e32 v2, v2
	v_cvt_u32_f32_e32 v1, v1
	v_readfirstlane_b32 s20, v2
	v_readfirstlane_b32 s18, v1
	s_mul_i32 s19, s7, s20
	s_mul_hi_u32 s22, s7, s18
	s_mul_i32 s21, s9, s18
	s_add_i32 s19, s22, s19
	s_mul_i32 s23, s7, s18
	s_add_i32 s19, s19, s21
	s_mul_i32 s22, s18, s19
	s_mul_hi_u32 s24, s18, s23
	s_mul_hi_u32 s21, s18, s19
	s_add_u32 s22, s24, s22
	s_addc_u32 s21, 0, s21
	s_mul_hi_u32 s25, s20, s23
	s_mul_i32 s23, s20, s23
	s_add_u32 s22, s22, s23
	s_mul_hi_u32 s24, s20, s19
	s_addc_u32 s21, s21, s25
	s_addc_u32 s22, s24, 0
	s_mul_i32 s19, s20, s19
	s_add_u32 s19, s21, s19
	s_addc_u32 s21, 0, s22
	s_add_u32 s22, s18, s19
	s_cselect_b64 s[18:19], -1, 0
	s_cmp_lg_u64 s[18:19], 0
	s_addc_u32 s20, s20, s21
	s_mul_i32 s18, s7, s20
	s_mul_hi_u32 s19, s7, s22
	s_add_i32 s18, s19, s18
	s_mul_i32 s9, s9, s22
	s_add_i32 s18, s18, s9
	s_mul_i32 s7, s7, s22
	s_mul_hi_u32 s19, s20, s7
	s_mul_i32 s21, s20, s7
	s_mul_i32 s24, s22, s18
	s_mul_hi_u32 s7, s22, s7
	s_mul_hi_u32 s23, s22, s18
	s_add_u32 s7, s7, s24
	s_addc_u32 s23, 0, s23
	s_add_u32 s7, s7, s21
	s_mul_hi_u32 s9, s20, s18
	s_addc_u32 s7, s23, s19
	s_addc_u32 s9, s9, 0
	s_mul_i32 s18, s20, s18
	s_add_u32 s7, s7, s18
	s_addc_u32 s9, 0, s9
	s_add_u32 s7, s22, s7
	s_cselect_b64 s[18:19], -1, 0
	s_cmp_lg_u64 s[18:19], 0
	s_addc_u32 s9, s20, s9
	s_mul_i32 s19, s14, s9
	s_mul_hi_u32 s20, s14, s7
	s_mul_hi_u32 s18, s14, s9
	s_add_u32 s19, s20, s19
	s_addc_u32 s18, 0, s18
	s_mul_hi_u32 s21, s15, s7
	s_mul_i32 s7, s15, s7
	s_add_u32 s7, s19, s7
	s_mul_hi_u32 s20, s15, s9
	s_addc_u32 s7, s18, s21
	s_addc_u32 s18, s20, 0
	s_mul_i32 s9, s15, s9
	s_add_u32 s7, s7, s9
	s_addc_u32 s9, 0, s18
	s_mul_i32 s18, s16, s9
	s_mul_hi_u32 s19, s16, s7
	s_add_i32 s18, s19, s18
	s_mul_i32 s19, s17, s7
	s_add_i32 s22, s18, s19
	s_sub_i32 s20, s15, s22
	s_mul_i32 s18, s16, s7
	s_sub_u32 s23, s14, s18
	s_cselect_b64 s[18:19], -1, 0
	s_cmp_lg_u64 s[18:19], 0
	s_subb_u32 s24, s20, s17
	s_sub_u32 s25, s23, s16
	s_cselect_b64 s[20:21], -1, 0
	s_cmp_lg_u64 s[20:21], 0
	s_subb_u32 s20, s24, 0
	s_cmp_ge_u32 s20, s17
	s_cselect_b32 s21, -1, 0
	s_cmp_ge_u32 s25, s16
	s_cselect_b32 s24, -1, 0
	s_cmp_eq_u32 s20, s17
	s_cselect_b32 s20, s24, s21
	s_add_u32 s21, s7, 1
	s_addc_u32 s24, s9, 0
	s_add_u32 s25, s7, 2
	s_addc_u32 s26, s9, 0
	s_cmp_lg_u32 s20, 0
	s_cselect_b32 s20, s25, s21
	s_cselect_b32 s21, s26, s24
	s_cmp_lg_u64 s[18:19], 0
	s_subb_u32 s18, s15, s22
	s_cmp_ge_u32 s18, s17
	s_cselect_b32 s19, -1, 0
	s_cmp_ge_u32 s23, s16
	s_cselect_b32 s22, -1, 0
	s_cmp_eq_u32 s18, s17
	s_cselect_b32 s18, s22, s19
	s_cmp_lg_u32 s18, 0
	s_cselect_b32 s21, s21, s9
	s_cselect_b32 s20, s20, s7
	s_cbranch_execnz .LBB127_6
.LBB127_5:                              ;   in Loop: Header=BB127_3 Depth=1
	v_cvt_f32_u32_e32 v1, s16
	s_sub_i32 s7, 0, s16
	s_mov_b32 s21, s8
	v_rcp_iflag_f32_e32 v1, v1
	v_mul_f32_e32 v1, 0x4f7ffffe, v1
	v_cvt_u32_f32_e32 v1, v1
	v_readfirstlane_b32 s9, v1
	s_mul_i32 s7, s7, s9
	s_mul_hi_u32 s7, s9, s7
	s_add_i32 s9, s9, s7
	s_mul_hi_u32 s7, s14, s9
	s_mul_i32 s18, s7, s16
	s_sub_i32 s18, s14, s18
	s_add_i32 s9, s7, 1
	s_sub_i32 s19, s18, s16
	s_cmp_ge_u32 s18, s16
	s_cselect_b32 s7, s9, s7
	s_cselect_b32 s18, s19, s18
	s_add_i32 s9, s7, 1
	s_cmp_ge_u32 s18, s16
	s_cselect_b32 s20, s9, s7
.LBB127_6:                              ;   in Loop: Header=BB127_3 Depth=1
	s_mul_i32 s7, s20, s17
	s_mul_hi_u32 s9, s20, s16
	s_load_dwordx2 s[18:19], s[12:13], 0xc8
	s_add_i32 s7, s9, s7
	s_mul_i32 s9, s21, s16
	s_add_i32 s7, s7, s9
	s_mul_i32 s9, s20, s16
	s_sub_u32 s9, s14, s9
	s_subb_u32 s7, s15, s7
	s_waitcnt lgkmcnt(0)
	s_mul_i32 s7, s18, s7
	s_mul_hi_u32 s14, s18, s9
	s_add_i32 s7, s14, s7
	s_mul_i32 s14, s19, s9
	s_add_i32 s7, s7, s14
	s_mul_i32 s9, s18, s9
	s_add_u32 s28, s9, s28
	s_addc_u32 s29, s7, s29
	s_add_i32 s1, s1, -1
	s_add_u32 s12, s12, -8
	s_addc_u32 s13, s13, -1
	s_cmp_gt_u32 s1, 2
	s_cbranch_scc0 .LBB127_9
; %bb.7:                                ;   in Loop: Header=BB127_3 Depth=1
	s_mov_b64 s[14:15], s[20:21]
	s_branch .LBB127_3
.LBB127_8:                              ;   in Loop: Header=BB127_3 Depth=1
                                        ; implicit-def: $sgpr20_sgpr21
	s_branch .LBB127_5
.LBB127_9:
                                        ; implicit-def: $vgpr57 : SGPR spill to VGPR lane
	s_load_dword s7, s[4:5], 0x338
	s_load_dwordx2 s[8:9], s[4:5], 0xd0
	v_writelane_b32 v57, s28, 0
	v_writelane_b32 v57, s29, 1
	;; [unrolled: 1-line block ×4, first 2 shown]
	s_waitcnt lgkmcnt(0)
	v_writelane_b32 v57, s8, 4
	v_writelane_b32 v57, s9, 5
	s_add_u32 s8, s4, 0x1a0
	s_addc_u32 s9, s5, 0
	s_mov_b64 s[48:49], 0
	s_cmp_lt_i32 s7, 2
	s_mov_b64 s[64:65], s[2:3]
	s_cbranch_scc1 .LBB127_17
; %bb.10:
	s_mov_b32 s12, 0
	s_add_i32 s14, s7, -1
	s_mov_b32 s15, s12
	s_add_i32 s1, s7, 1
	s_lshl_b64 s[14:15], s[14:15], 3
	s_add_u32 s7, s8, s14
	s_addc_u32 s13, s9, s15
	s_add_u32 s14, s7, 8
	s_addc_u32 s15, s13, 0
	s_mov_b64 s[16:17], s[2:3]
.LBB127_11:                             ; =>This Inner Loop Header: Depth=1
	s_load_dwordx2 s[18:19], s[14:15], 0x0
	s_waitcnt lgkmcnt(0)
	s_or_b64 s[20:21], s[16:17], s[18:19]
	s_mov_b32 s13, s21
	s_cmp_lg_u64 s[12:13], 0
	s_cbranch_scc0 .LBB127_16
; %bb.12:                               ;   in Loop: Header=BB127_11 Depth=1
	v_cvt_f32_u32_e32 v1, s18
	v_cvt_f32_u32_e32 v2, s19
	s_sub_u32 s7, 0, s18
	s_subb_u32 s13, 0, s19
	v_mac_f32_e32 v1, 0x4f800000, v2
	v_rcp_f32_e32 v1, v1
	v_mul_f32_e32 v1, 0x5f7ffffc, v1
	v_mul_f32_e32 v2, 0x2f800000, v1
	v_trunc_f32_e32 v2, v2
	v_mac_f32_e32 v1, 0xcf800000, v2
	v_cvt_u32_f32_e32 v2, v2
	v_cvt_u32_f32_e32 v1, v1
	v_readfirstlane_b32 s22, v2
	v_readfirstlane_b32 s20, v1
	s_mul_i32 s21, s7, s22
	s_mul_hi_u32 s24, s7, s20
	s_mul_i32 s23, s13, s20
	s_add_i32 s21, s24, s21
	s_mul_i32 s25, s7, s20
	s_add_i32 s21, s21, s23
	s_mul_i32 s24, s20, s21
	s_mul_hi_u32 s26, s20, s25
	s_mul_hi_u32 s23, s20, s21
	s_add_u32 s24, s26, s24
	s_addc_u32 s23, 0, s23
	s_mul_hi_u32 s27, s22, s25
	s_mul_i32 s25, s22, s25
	s_add_u32 s24, s24, s25
	s_mul_hi_u32 s26, s22, s21
	s_addc_u32 s23, s23, s27
	s_addc_u32 s24, s26, 0
	s_mul_i32 s21, s22, s21
	s_add_u32 s21, s23, s21
	s_addc_u32 s23, 0, s24
	s_add_u32 s24, s20, s21
	s_cselect_b64 s[20:21], -1, 0
	s_cmp_lg_u64 s[20:21], 0
	s_addc_u32 s22, s22, s23
	s_mul_i32 s20, s7, s22
	s_mul_hi_u32 s21, s7, s24
	s_add_i32 s20, s21, s20
	s_mul_i32 s13, s13, s24
	s_add_i32 s20, s20, s13
	s_mul_i32 s7, s7, s24
	s_mul_hi_u32 s21, s22, s7
	s_mul_i32 s23, s22, s7
	s_mul_i32 s26, s24, s20
	s_mul_hi_u32 s7, s24, s7
	s_mul_hi_u32 s25, s24, s20
	s_add_u32 s7, s7, s26
	s_addc_u32 s25, 0, s25
	s_add_u32 s7, s7, s23
	s_mul_hi_u32 s13, s22, s20
	s_addc_u32 s7, s25, s21
	s_addc_u32 s13, s13, 0
	s_mul_i32 s20, s22, s20
	s_add_u32 s7, s7, s20
	s_addc_u32 s13, 0, s13
	s_add_u32 s7, s24, s7
	s_cselect_b64 s[20:21], -1, 0
	s_cmp_lg_u64 s[20:21], 0
	s_addc_u32 s13, s22, s13
	s_mul_i32 s21, s16, s13
	s_mul_hi_u32 s22, s16, s7
	s_mul_hi_u32 s20, s16, s13
	s_add_u32 s21, s22, s21
	s_addc_u32 s20, 0, s20
	s_mul_hi_u32 s23, s17, s7
	s_mul_i32 s7, s17, s7
	s_add_u32 s7, s21, s7
	s_mul_hi_u32 s22, s17, s13
	s_addc_u32 s7, s20, s23
	s_addc_u32 s20, s22, 0
	s_mul_i32 s13, s17, s13
	s_add_u32 s7, s7, s13
	s_addc_u32 s13, 0, s20
	s_mul_i32 s20, s18, s13
	s_mul_hi_u32 s21, s18, s7
	s_add_i32 s20, s21, s20
	s_mul_i32 s21, s19, s7
	s_add_i32 s24, s20, s21
	s_sub_i32 s22, s17, s24
	s_mul_i32 s20, s18, s7
	s_sub_u32 s25, s16, s20
	s_cselect_b64 s[20:21], -1, 0
	s_cmp_lg_u64 s[20:21], 0
	s_subb_u32 s26, s22, s19
	s_sub_u32 s27, s25, s18
	s_cselect_b64 s[22:23], -1, 0
	s_cmp_lg_u64 s[22:23], 0
	s_subb_u32 s22, s26, 0
	s_cmp_ge_u32 s22, s19
	s_cselect_b32 s23, -1, 0
	s_cmp_ge_u32 s27, s18
	s_cselect_b32 s26, -1, 0
	s_cmp_eq_u32 s22, s19
	s_cselect_b32 s22, s26, s23
	s_add_u32 s23, s7, 1
	s_addc_u32 s26, s13, 0
	s_add_u32 s27, s7, 2
	s_addc_u32 s28, s13, 0
	s_cmp_lg_u32 s22, 0
	s_cselect_b32 s22, s27, s23
	s_cselect_b32 s23, s28, s26
	s_cmp_lg_u64 s[20:21], 0
	s_subb_u32 s20, s17, s24
	s_cmp_ge_u32 s20, s19
	s_cselect_b32 s21, -1, 0
	s_cmp_ge_u32 s25, s18
	s_cselect_b32 s24, -1, 0
	s_cmp_eq_u32 s20, s19
	s_cselect_b32 s20, s24, s21
	s_cmp_lg_u32 s20, 0
	s_cselect_b32 s65, s23, s13
	s_cselect_b32 s64, s22, s7
	s_cbranch_execnz .LBB127_14
.LBB127_13:                             ;   in Loop: Header=BB127_11 Depth=1
	v_cvt_f32_u32_e32 v1, s18
	s_sub_i32 s7, 0, s18
	s_mov_b32 s65, s12
	v_rcp_iflag_f32_e32 v1, v1
	v_mul_f32_e32 v1, 0x4f7ffffe, v1
	v_cvt_u32_f32_e32 v1, v1
	v_readfirstlane_b32 s13, v1
	s_mul_i32 s7, s7, s13
	s_mul_hi_u32 s7, s13, s7
	s_add_i32 s13, s13, s7
	s_mul_hi_u32 s7, s16, s13
	s_mul_i32 s20, s7, s18
	s_sub_i32 s20, s16, s20
	s_add_i32 s13, s7, 1
	s_sub_i32 s21, s20, s18
	s_cmp_ge_u32 s20, s18
	s_cselect_b32 s7, s13, s7
	s_cselect_b32 s20, s21, s20
	s_add_i32 s13, s7, 1
	s_cmp_ge_u32 s20, s18
	s_cselect_b32 s64, s13, s7
.LBB127_14:                             ;   in Loop: Header=BB127_11 Depth=1
	s_mul_i32 s7, s64, s19
	s_mul_hi_u32 s13, s64, s18
	s_load_dwordx2 s[20:21], s[14:15], 0xc8
	s_add_i32 s7, s13, s7
	s_mul_i32 s13, s65, s18
	s_add_i32 s7, s7, s13
	s_mul_i32 s13, s64, s18
	s_sub_u32 s13, s16, s13
	s_subb_u32 s7, s17, s7
	s_waitcnt lgkmcnt(0)
	s_mul_i32 s7, s20, s7
	s_mul_hi_u32 s16, s20, s13
	s_add_i32 s7, s16, s7
	s_mul_i32 s16, s21, s13
	s_add_i32 s7, s7, s16
	s_mul_i32 s13, s20, s13
	s_add_u32 s48, s13, s48
	s_addc_u32 s49, s7, s49
	s_add_i32 s1, s1, -1
	s_add_u32 s14, s14, -8
	s_addc_u32 s15, s15, -1
	s_cmp_gt_u32 s1, 2
	s_cbranch_scc0 .LBB127_17
; %bb.15:                               ;   in Loop: Header=BB127_11 Depth=1
	s_mov_b64 s[16:17], s[64:65]
	s_branch .LBB127_11
.LBB127_16:                             ;   in Loop: Header=BB127_11 Depth=1
                                        ; implicit-def: $sgpr64_sgpr65
	s_branch .LBB127_13
.LBB127_17:
	s_load_dword s12, s[4:5], 0x4d8
	s_load_dwordx2 s[14:15], s[8:9], 0xd0
	s_add_u32 s7, s4, 0x340
	s_addc_u32 s13, s5, 0
                                        ; kill: killed $sgpr8 killed $sgpr9
	s_mov_b64 s[8:9], 0
	s_waitcnt lgkmcnt(0)
	s_cmp_lt_i32 s12, 2
	v_writelane_b32 v57, s14, 6
	v_writelane_b32 v57, s15, 7
	s_cbranch_scc1 .LBB127_25
; %bb.18:
	s_add_i32 s1, s12, 1
	s_add_i32 s8, s12, -1
	s_mov_b32 s12, 0
	s_mov_b32 s9, s12
	s_lshl_b64 s[8:9], s[8:9], 3
	s_add_u32 s7, s7, s8
	s_addc_u32 s8, s13, s9
	s_add_u32 s14, s7, 8
	s_addc_u32 s15, s8, 0
	s_mov_b64 s[8:9], 0
.LBB127_19:                             ; =>This Inner Loop Header: Depth=1
	s_load_dwordx2 s[16:17], s[14:15], 0x0
	s_waitcnt lgkmcnt(0)
	s_or_b64 s[18:19], s[2:3], s[16:17]
	s_mov_b32 s13, s19
	s_cmp_lg_u64 s[12:13], 0
	s_cbranch_scc0 .LBB127_24
; %bb.20:                               ;   in Loop: Header=BB127_19 Depth=1
	v_cvt_f32_u32_e32 v1, s16
	v_cvt_f32_u32_e32 v2, s17
	s_sub_u32 s7, 0, s16
	s_subb_u32 s13, 0, s17
	v_mac_f32_e32 v1, 0x4f800000, v2
	v_rcp_f32_e32 v1, v1
	v_mul_f32_e32 v1, 0x5f7ffffc, v1
	v_mul_f32_e32 v2, 0x2f800000, v1
	v_trunc_f32_e32 v2, v2
	v_mac_f32_e32 v1, 0xcf800000, v2
	v_cvt_u32_f32_e32 v2, v2
	v_cvt_u32_f32_e32 v1, v1
	v_readfirstlane_b32 s20, v2
	v_readfirstlane_b32 s18, v1
	s_mul_i32 s19, s7, s20
	s_mul_hi_u32 s22, s7, s18
	s_mul_i32 s21, s13, s18
	s_add_i32 s19, s22, s19
	s_mul_i32 s23, s7, s18
	s_add_i32 s19, s19, s21
	s_mul_i32 s22, s18, s19
	s_mul_hi_u32 s24, s18, s23
	s_mul_hi_u32 s21, s18, s19
	s_add_u32 s22, s24, s22
	s_addc_u32 s21, 0, s21
	s_mul_hi_u32 s25, s20, s23
	s_mul_i32 s23, s20, s23
	s_add_u32 s22, s22, s23
	s_mul_hi_u32 s24, s20, s19
	s_addc_u32 s21, s21, s25
	s_addc_u32 s22, s24, 0
	s_mul_i32 s19, s20, s19
	s_add_u32 s19, s21, s19
	s_addc_u32 s21, 0, s22
	s_add_u32 s22, s18, s19
	s_cselect_b64 s[18:19], -1, 0
	s_cmp_lg_u64 s[18:19], 0
	s_addc_u32 s20, s20, s21
	s_mul_i32 s18, s7, s20
	s_mul_hi_u32 s19, s7, s22
	s_add_i32 s18, s19, s18
	s_mul_i32 s13, s13, s22
	s_add_i32 s18, s18, s13
	s_mul_i32 s7, s7, s22
	s_mul_hi_u32 s19, s20, s7
	s_mul_i32 s21, s20, s7
	s_mul_i32 s24, s22, s18
	s_mul_hi_u32 s7, s22, s7
	s_mul_hi_u32 s23, s22, s18
	s_add_u32 s7, s7, s24
	s_addc_u32 s23, 0, s23
	s_add_u32 s7, s7, s21
	s_mul_hi_u32 s13, s20, s18
	s_addc_u32 s7, s23, s19
	s_addc_u32 s13, s13, 0
	s_mul_i32 s18, s20, s18
	s_add_u32 s7, s7, s18
	s_addc_u32 s13, 0, s13
	s_add_u32 s7, s22, s7
	s_cselect_b64 s[18:19], -1, 0
	s_cmp_lg_u64 s[18:19], 0
	s_addc_u32 s13, s20, s13
	s_mul_i32 s19, s2, s13
	s_mul_hi_u32 s20, s2, s7
	s_mul_hi_u32 s18, s2, s13
	s_add_u32 s19, s20, s19
	s_addc_u32 s18, 0, s18
	s_mul_hi_u32 s21, s3, s7
	s_mul_i32 s7, s3, s7
	s_add_u32 s7, s19, s7
	s_mul_hi_u32 s20, s3, s13
	s_addc_u32 s7, s18, s21
	s_addc_u32 s18, s20, 0
	s_mul_i32 s13, s3, s13
	s_add_u32 s7, s7, s13
	s_addc_u32 s13, 0, s18
	s_mul_i32 s18, s16, s13
	s_mul_hi_u32 s19, s16, s7
	s_add_i32 s18, s19, s18
	s_mul_i32 s19, s17, s7
	s_add_i32 s22, s18, s19
	s_sub_i32 s20, s3, s22
	s_mul_i32 s18, s16, s7
	s_sub_u32 s23, s2, s18
	s_cselect_b64 s[18:19], -1, 0
	s_cmp_lg_u64 s[18:19], 0
	s_subb_u32 s24, s20, s17
	s_sub_u32 s25, s23, s16
	s_cselect_b64 s[20:21], -1, 0
	s_cmp_lg_u64 s[20:21], 0
	s_subb_u32 s20, s24, 0
	s_cmp_ge_u32 s20, s17
	s_cselect_b32 s21, -1, 0
	s_cmp_ge_u32 s25, s16
	s_cselect_b32 s24, -1, 0
	s_cmp_eq_u32 s20, s17
	s_cselect_b32 s20, s24, s21
	s_add_u32 s21, s7, 1
	s_addc_u32 s24, s13, 0
	s_add_u32 s25, s7, 2
	s_addc_u32 s26, s13, 0
	s_cmp_lg_u32 s20, 0
	s_cselect_b32 s20, s25, s21
	s_cselect_b32 s21, s26, s24
	s_cmp_lg_u64 s[18:19], 0
	s_subb_u32 s18, s3, s22
	s_cmp_ge_u32 s18, s17
	s_cselect_b32 s19, -1, 0
	s_cmp_ge_u32 s23, s16
	s_cselect_b32 s22, -1, 0
	s_cmp_eq_u32 s18, s17
	s_cselect_b32 s18, s22, s19
	s_cmp_lg_u32 s18, 0
	s_cselect_b32 s19, s21, s13
	s_cselect_b32 s18, s20, s7
	s_cbranch_execnz .LBB127_22
.LBB127_21:                             ;   in Loop: Header=BB127_19 Depth=1
	v_cvt_f32_u32_e32 v1, s16
	s_sub_i32 s7, 0, s16
	v_rcp_iflag_f32_e32 v1, v1
	v_mul_f32_e32 v1, 0x4f7ffffe, v1
	v_cvt_u32_f32_e32 v1, v1
	v_readfirstlane_b32 s13, v1
	s_mul_i32 s7, s7, s13
	s_mul_hi_u32 s7, s13, s7
	s_add_i32 s13, s13, s7
	s_mul_hi_u32 s7, s2, s13
	s_mul_i32 s18, s7, s16
	s_sub_i32 s18, s2, s18
	s_add_i32 s13, s7, 1
	s_sub_i32 s19, s18, s16
	s_cmp_ge_u32 s18, s16
	s_cselect_b32 s7, s13, s7
	s_cselect_b32 s18, s19, s18
	s_add_i32 s13, s7, 1
	s_cmp_ge_u32 s18, s16
	s_cselect_b32 s18, s13, s7
	s_mov_b32 s19, s12
.LBB127_22:                             ;   in Loop: Header=BB127_19 Depth=1
	s_mul_i32 s7, s18, s17
	s_mul_hi_u32 s13, s18, s16
	s_load_dwordx2 s[20:21], s[14:15], 0xc8
	s_add_i32 s7, s13, s7
	s_mul_i32 s13, s19, s16
	s_add_i32 s7, s7, s13
	s_mul_i32 s13, s18, s16
	s_sub_u32 s2, s2, s13
	s_subb_u32 s3, s3, s7
	s_waitcnt lgkmcnt(0)
	s_mul_i32 s3, s20, s3
	s_mul_hi_u32 s7, s20, s2
	s_add_i32 s3, s7, s3
	s_mul_i32 s7, s21, s2
	s_add_i32 s3, s3, s7
	s_mul_i32 s2, s20, s2
	s_add_u32 s8, s2, s8
	s_addc_u32 s9, s3, s9
	s_add_i32 s1, s1, -1
	s_add_u32 s14, s14, -8
	s_addc_u32 s15, s15, -1
	s_cmp_gt_u32 s1, 2
	s_cbranch_scc0 .LBB127_26
; %bb.23:                               ;   in Loop: Header=BB127_19 Depth=1
	s_mov_b64 s[2:3], s[18:19]
	s_branch .LBB127_19
.LBB127_24:                             ;   in Loop: Header=BB127_19 Depth=1
                                        ; implicit-def: $sgpr18_sgpr19
	s_branch .LBB127_21
.LBB127_25:
	s_mov_b64 s[18:19], s[2:3]
.LBB127_26:
	s_load_dwordx2 s[12:13], s[4:5], 0x410
	s_load_dwordx2 s[2:3], s[4:5], 0x0
	v_mov_b32_e32 v2, 0
	v_mov_b32_e32 v1, 0
	;; [unrolled: 1-line block ×3, first 2 shown]
	s_waitcnt lgkmcnt(0)
	s_mul_i32 s1, s12, s19
	v_writelane_b32 v57, s2, 8
	v_writelane_b32 v57, s3, 9
	s_load_dwordx2 s[2:3], s[4:5], 0x1a0
	s_mul_hi_u32 s7, s12, s18
	s_add_i32 s1, s7, s1
	s_mul_i32 s7, s13, s18
	s_add_i32 s13, s1, s7
	s_waitcnt lgkmcnt(0)
	v_writelane_b32 v57, s2, 10
	v_writelane_b32 v57, s3, 11
	s_load_dwordx2 s[2:3], s[4:5], 0x340
	s_mul_i32 s12, s12, s18
	v_cmp_gt_u64_e64 s[16:17], s[52:53], v[0:1]
	s_mov_b64 s[14:15], exec
	v_writelane_b32 v57, s16, 12
	v_writelane_b32 v57, s17, 13
	s_and_b64 s[16:17], s[14:15], s[16:17]
	s_mov_b64 exec, s[16:17]
	s_cbranch_execz .LBB127_30
; %bb.27:
	v_mad_u64_u32 v[2:3], s[16:17], s56, v0, 0
	s_load_dword s1, s[10:11], 0xc
	s_lshl_b64 s[18:19], s[8:9], 2
	v_mad_u64_u32 v[3:4], s[16:17], s57, v0, v[3:4]
	s_lshl_b64 s[16:17], s[12:13], 2
	s_waitcnt lgkmcnt(0)
	s_and_b32 s1, s1, 0xffff
	s_add_u32 s7, s2, s18
	s_addc_u32 s18, s3, s19
	v_lshlrev_b64 v[2:3], 2, v[2:3]
	s_add_u32 s7, s7, s16
	s_addc_u32 s16, s18, s17
	v_mov_b32_e32 v5, s16
	v_add_co_u32_e32 v4, vcc, s7, v2
	s_mul_i32 s7, s57, s1
	s_mul_hi_u32 s16, s56, s1
	s_add_i32 s17, s16, s7
	s_mul_i32 s16, s56, s1
	v_addc_co_u32_e32 v5, vcc, v5, v3, vcc
	s_lshl_b64 s[18:19], s[16:17], 2
	v_mov_b32_e32 v2, 0
	v_mov_b32_e32 v7, v1
	s_mov_b64 s[16:17], 0
	v_mov_b32_e32 v3, 0
	v_mov_b32_e32 v8, s19
	;; [unrolled: 1-line block ×3, first 2 shown]
.LBB127_28:                             ; =>This Inner Loop Header: Depth=1
	global_load_dword v9, v[4:5], off
	v_add_co_u32_e32 v6, vcc, s1, v6
	v_addc_co_u32_e32 v7, vcc, 0, v7, vcc
	v_add_co_u32_e32 v4, vcc, s18, v4
	v_addc_co_u32_e32 v5, vcc, v5, v8, vcc
	v_cmp_le_u64_e32 vcc, s[52:53], v[6:7]
	s_or_b64 s[16:17], vcc, s[16:17]
	s_waitcnt vmcnt(0)
	v_cmp_u_f32_e32 vcc, v9, v9
	v_cndmask_b32_e64 v9, 0, 1, vcc
	v_add_co_u32_e32 v2, vcc, v2, v9
	v_addc_co_u32_e32 v3, vcc, 0, v3, vcc
	s_andn2_b64 exec, exec, s[16:17]
	s_cbranch_execnz .LBB127_28
; %bb.29:
	s_or_b64 exec, exec, s[16:17]
.LBB127_30:
	s_or_b64 exec, exec, s[14:15]
	v_cmp_eq_u32_e64 s[16:17], 0, v0
	s_mov_b64 s[14:15], exec
	v_writelane_b32 v57, s16, 14
	v_writelane_b32 v57, s17, 15
	s_and_b64 s[16:17], s[14:15], s[16:17]
	s_mov_b64 exec, s[16:17]
; %bb.31:
	v_mov_b32_e32 v4, 0
	v_mov_b32_e32 v5, v4
	ds_write_b64 v4, v[4:5] offset:5136
; %bb.32:
	s_or_b64 exec, exec, s[14:15]
	v_cmp_ne_u64_e32 vcc, 0, v[2:3]
	s_mov_b64 s[16:17], 0
	s_waitcnt lgkmcnt(0)
	s_barrier
	s_and_saveexec_b64 s[14:15], vcc
	s_cbranch_execz .LBB127_37
; %bb.33:
	s_mov_b64 s[18:19], exec
.LBB127_34:                             ; =>This Inner Loop Header: Depth=1
	s_ff1_i32_b64 s1, s[18:19]
	v_readlane_b32 s20, v2, s1
	v_readlane_b32 s7, v3, s1
	s_add_u32 s16, s16, s20
	s_addc_u32 s17, s17, s7
	s_lshl_b64 s[20:21], 1, s1
	s_andn2_b64 s[18:19], s[18:19], s[20:21]
	s_cmp_lg_u64 s[18:19], 0
	s_cbranch_scc1 .LBB127_34
; %bb.35:
	v_mbcnt_lo_u32_b32 v2, exec_lo, 0
	v_mbcnt_hi_u32_b32 v2, exec_hi, v2
	v_cmp_eq_u32_e32 vcc, 0, v2
	s_and_saveexec_b64 s[18:19], vcc
	s_xor_b64 s[18:19], exec, s[18:19]
; %bb.36:
	v_mov_b32_e32 v2, s16
	v_mov_b32_e32 v4, 0
	;; [unrolled: 1-line block ×3, first 2 shown]
	ds_add_u64 v4, v[2:3] offset:5136
.LBB127_37:
	s_or_b64 exec, exec, s[14:15]
	v_mov_b32_e32 v2, 0
	s_load_dword s1, s[4:5], 0x4f8
	s_waitcnt lgkmcnt(0)
	s_barrier
	ds_read_b64 v[2:3], v2 offset:5136
	s_bitcmp1_b32 s1, 0
	s_cselect_b64 s[4:5], -1, 0
	v_mov_b32_e32 v29, s52
	v_mov_b32_e32 v30, s53
	s_waitcnt lgkmcnt(0)
	v_cmp_gt_i64_e32 vcc, 1, v[2:3]
	s_or_b64 s[4:5], s[4:5], vcc
	s_andn2_b64 vcc, exec, s[4:5]
	s_cbranch_vccnz .LBB127_39
; %bb.38:
	v_not_b32_e32 v2, v2
	v_not_b32_e32 v3, v3
	v_mov_b32_e32 v4, s53
	v_add_co_u32_e32 v2, vcc, s52, v2
	v_addc_co_u32_e32 v3, vcc, v4, v3, vcc
	v_lshrrev_b64 v[2:3], 1, v[2:3]
	v_add_co_u32_e32 v29, vcc, 1, v2
	v_addc_co_u32_e32 v30, vcc, 0, v3, vcc
.LBB127_39:
	s_mov_b64 s[4:5], exec
	v_readlane_b32 s14, v57, 14
	v_readlane_b32 s15, v57, 15
	s_and_b64 s[14:15], s[4:5], s[14:15]
	s_mov_b64 exec, s[14:15]
	s_cbranch_execz .LBB127_41
; %bb.40:
	v_mov_b32_e32 v2, 0
	v_mov_b32_e32 v4, s52
	;; [unrolled: 1-line block ×4, first 2 shown]
	ds_write_b32 v2, v2 offset:5144
	ds_write_b128 v2, v[2:5] offset:5120
.LBB127_41:
	s_or_b64 exec, exec, s[4:5]
	v_mad_u64_u32 v[4:5], s[4:5], s56, v0, 0
	v_mbcnt_lo_u32_b32 v2, -1, 0
	v_mbcnt_hi_u32_b32 v41, -1, v2
	v_mov_b32_e32 v2, v5
	v_mad_u64_u32 v[2:3], s[4:5], s57, v0, v[2:3]
	s_lshl_b64 s[12:13], s[12:13], 2
	v_mov_b32_e32 v5, 0x300
	s_add_u32 s14, s2, s12
	v_mov_b32_e32 v6, 0
	s_addc_u32 s15, s3, s13
	s_lshl_b64 s[72:73], s[8:9], 2
	v_cmp_gt_u64_e64 s[4:5], s[52:53], v[5:6]
	v_mov_b32_e32 v5, v2
	s_add_u32 s70, s14, s72
	v_lshlrev_b64 v[2:3], 2, v[4:5]
	s_addc_u32 s71, s15, s73
	v_cmp_gt_u32_e32 vcc, 64, v0
	v_cmp_gt_i32_e64 s[8:9], 4, v41
	s_and_b64 s[84:85], vcc, s[8:9]
	v_mov_b32_e32 v6, s71
	v_add_co_u32_e32 v14, vcc, s70, v2
	v_addc_co_u32_e32 v15, vcc, v6, v3, vcc
	v_lshlrev_b64 v[6:7], v41, -1
	v_lshlrev_b32_e32 v10, 4, v0
	v_not_b32_e32 v44, v7
	v_not_b32_e32 v45, v6
	v_mov_b32_e32 v6, s14
	v_writelane_b32 v57, s4, 16
	v_or_b32_e32 v9, 12, v10
	v_mov_b32_e32 v7, s15
	s_waitcnt lgkmcnt(0)
	s_barrier
	v_writelane_b32 v57, s5, 17
	s_load_dword s1, s[10:11], 0xc
	v_mad_u64_u32 v[18:19], s[4:5], s56, v9, v[6:7]
	v_lshlrev_b32_e32 v8, 2, v41
	v_and_b32_e32 v43, 0x100, v8
	v_mov_b32_e32 v8, v19
	s_waitcnt lgkmcnt(0)
	s_and_b32 s33, s1, 0xffff
	s_bfe_u32 s1, s1, 0xa0006
	v_mad_u64_u32 v[8:9], s[4:5], s57, v9, v[8:9]
	s_cmp_gt_u32 s33, 63
	s_cselect_b64 s[88:89], -1, 0
	s_add_u32 s7, s33, -1
	s_addc_u32 s4, 0, -1
	v_writelane_b32 v57, s7, 18
	s_add_u32 s66, s7, s52
	v_mov_b32_e32 v19, v8
	v_or_b32_e32 v8, 8, v10
	v_writelane_b32 v57, s4, 19
	s_addc_u32 s91, s4, s53
	v_mad_u64_u32 v[20:21], s[4:5], s56, v8, v[6:7]
	v_or_b32_e32 v9, 4, v10
	v_mad_u64_u32 v[22:23], s[4:5], s56, v9, v[6:7]
	v_mov_b32_e32 v6, v21
	s_cmp_lt_u32 s6, s0
	v_mad_u64_u32 v[6:7], s[4:5], s57, v8, v[6:7]
	s_cselect_b32 s0, 12, 18
	v_mov_b32_e32 v7, v23
	s_add_u32 s94, s10, s0
	v_mad_u64_u32 v[7:8], s[4:5], s57, v9, v[7:8]
	s_addc_u32 s95, s11, 0
	s_add_i32 s0, s1, -1
	s_bfe_u32 s5, s33, 0x30006
	s_and_b32 s0, s0, 0xffff
	s_cmp_gt_u32 s0, 6
	s_cselect_b64 s[6:7], -1, 0
	v_writelane_b32 v57, s6, 20
	s_and_b32 s67, s1, 0x3f8
	v_writelane_b32 v57, s7, 21
	s_cmp_lg_u32 s5, 0
	v_writelane_b32 v57, s5, 22
	s_cselect_b64 s[0:1], -1, 0
	v_writelane_b32 v57, s0, 23
	v_writelane_b32 v57, s1, 24
	s_add_u32 s0, s12, s72
	s_addc_u32 s1, s13, s73
	s_add_u32 s0, s2, s0
	s_addc_u32 s1, s3, s1
	v_writelane_b32 v57, s0, 25
	v_writelane_b32 v57, s1, 26
	s_lshl_b64 s[0:1], s[56:57], 2
	v_writelane_b32 v57, s0, 27
	v_writelane_b32 v57, s1, 28
	s_lshl_b64 s[0:1], s[56:57], 4
	v_writelane_b32 v57, s0, 29
	s_lshl_b32 s4, s33, 2
	v_writelane_b32 v57, s1, 30
	v_lshlrev_b64 v[4:5], 4, v[4:5]
	s_add_u32 s0, s2, s72
	s_addc_u32 s1, s3, s73
	v_mov_b32_e32 v21, v6
	v_mov_b32_e32 v6, s15
	v_add_co_u32_e32 v24, vcc, s14, v4
	s_add_u32 s0, s0, s12
	v_addc_co_u32_e32 v25, vcc, v6, v5, vcc
	s_addc_u32 s1, s1, s13
	v_mov_b32_e32 v4, s1
	v_add_co_u32_e32 v10, vcc, s0, v2
	s_mul_i32 s0, s57, s33
	s_mul_hi_u32 s1, s56, s33
	v_lshrrev_b32_e32 v8, 1, v0
	s_add_i32 s1, s1, s0
	s_mul_i32 s0, s56, s33
	v_lshlrev_b32_e32 v12, 2, v0
	v_mov_b32_e32 v17, 0
	v_and_b32_e32 v8, 0x1e0, v8
	v_mov_b32_e32 v2, 0xc00
	s_lshl_b64 s[44:45], s[0:1], 2
	s_mov_b32 s75, 0
	v_cmp_eq_u32_e64 s[80:81], 0, v41
	v_cmp_gt_u32_e64 s[86:87], 2, v0
	v_add_u32_e32 v42, 0xc00, v12
	v_mov_b32_e32 v13, v17
	v_or_b32_e32 v46, 0xc00, v8
	v_mov_b32_e32 v23, v7
	v_lshlrev_b32_e32 v47, 4, v0
	v_addc_co_u32_e32 v11, vcc, v4, v3, vcc
	v_lshl_or_b32 v49, v41, 3, v2
	s_mov_b32 s60, 30
	s_mov_b64 s[68:69], 0
	v_bfrev_b32_e32 v50, 1
	v_mov_b32_e32 v51, 0x4f800000
	s_mov_b32 s5, 0
	v_mov_b32_e32 v48, 0
	v_mov_b32_e32 v52, 0
	v_mov_b32_e32 v26, 1.0
	v_mov_b32_e32 v28, 0
	v_writelane_b32 v57, s44, 31
                                        ; implicit-def: $sgpr62_sgpr63
                                        ; implicit-def: $sgpr0_sgpr1
                                        ; kill: killed $sgpr0_sgpr1
                                        ; implicit-def: $sgpr50_sgpr51
                                        ; implicit-def: $sgpr82_sgpr83
                                        ; implicit-def: $sgpr92_sgpr93
                                        ; implicit-def: $sgpr78_sgpr79
	v_writelane_b32 v57, s45, 32
	s_branch .LBB127_45
.LBB127_42:                             ;   in Loop: Header=BB127_45 Depth=1
	s_or_b64 exec, exec, s[14:15]
	s_and_b64 s[8:9], s[8:9], exec
	s_andn2_b64 s[6:7], s[6:7], exec
	s_andn2_b64 s[0:1], s[0:1], exec
	s_orn2_b64 s[14:15], s[10:11], exec
.LBB127_43:                             ;   in Loop: Header=BB127_45 Depth=1
	s_or_b64 exec, exec, s[2:3]
	s_andn2_b64 s[2:3], s[78:79], exec
	s_and_b64 s[8:9], s[8:9], exec
	s_or_b64 s[78:79], s[2:3], s[8:9]
	s_andn2_b64 s[2:3], s[92:93], exec
	s_and_b64 s[6:7], s[6:7], exec
	s_or_b64 s[92:93], s[2:3], s[6:7]
	s_andn2_b64 s[2:3], s[82:83], exec
	s_and_b64 s[0:1], s[0:1], exec
	s_or_b64 s[82:83], s[2:3], s[0:1]
	s_orn2_b64 s[0:1], s[14:15], exec
.LBB127_44:                             ;   in Loop: Header=BB127_45 Depth=1
	s_or_b64 exec, exec, s[12:13]
	s_and_b64 s[0:1], exec, s[0:1]
	s_or_b64 s[68:69], s[0:1], s[68:69]
	s_andn2_b64 s[0:1], s[50:51], exec
	s_and_b64 s[2:3], s[78:79], exec
	s_or_b64 s[50:51], s[0:1], s[2:3]
	v_readlane_b32 s0, v57, 39
	v_readlane_b32 s1, v57, 40
	s_andn2_b64 s[0:1], s[0:1], exec
	s_and_b64 s[2:3], s[92:93], exec
	s_or_b64 s[0:1], s[0:1], s[2:3]
	v_writelane_b32 v57, s0, 39
	v_writelane_b32 v57, s1, 40
	s_andn2_b64 s[0:1], s[62:63], exec
	s_and_b64 s[2:3], s[82:83], exec
	v_mov_b32_e32 v30, v7
	s_or_b64 s[62:63], s[0:1], s[2:3]
	v_mov_b32_e32 v29, v6
	s_andn2_b64 exec, exec, s[68:69]
	s_cbranch_execz .LBB127_311
.LBB127_45:                             ; =>This Loop Header: Depth=1
                                        ;     Child Loop BB127_51 Depth 2
                                        ;     Child Loop BB127_64 Depth 2
                                        ;     Child Loop BB127_98 Depth 2
                                        ;     Child Loop BB127_102 Depth 2
                                        ;     Child Loop BB127_87 Depth 2
                                        ;     Child Loop BB127_92 Depth 2
                                        ;     Child Loop BB127_80 Depth 2
                                        ;     Child Loop BB127_109 Depth 2
                                        ;     Child Loop BB127_123 Depth 2
                                        ;     Child Loop BB127_138 Depth 2
                                        ;     Child Loop BB127_168 Depth 2
                                        ;     Child Loop BB127_188 Depth 2
                                        ;     Child Loop BB127_219 Depth 2
                                        ;     Child Loop BB127_236 Depth 2
                                        ;     Child Loop BB127_266 Depth 2
                                        ;     Child Loop BB127_283 Depth 2
	ds_read_b128 v[2:5], v17 offset:5120
	v_writelane_b32 v57, s92, 33
	v_writelane_b32 v57, s93, 34
	;; [unrolled: 1-line block ×4, first 2 shown]
	s_waitcnt lgkmcnt(0)
	v_readfirstlane_b32 s1, v3
	v_readfirstlane_b32 s0, v2
	v_writelane_b32 v57, s78, 37
	s_cmp_lg_u64 s[0:1], 0
	v_writelane_b32 v57, s79, 38
	s_cbranch_scc1 .LBB127_72
; %bb.46:                               ;   in Loop: Header=BB127_45 Depth=1
	v_readlane_b32 s0, v57, 16
	v_readlane_b32 s1, v57, 17
	s_and_b64 vcc, exec, s[0:1]
	s_cbranch_vccz .LBB127_59
; %bb.47:                               ;   in Loop: Header=BB127_45 Depth=1
	s_mov_b64 s[0:1], 0x301
	v_cmp_gt_u64_e32 vcc, s[0:1], v[4:5]
	s_mov_b64 s[0:1], 0
	s_mov_b64 s[2:3], 0
	s_cbranch_vccz .LBB127_60
; %bb.48:                               ;   in Loop: Header=BB127_45 Depth=1
	s_mov_b64 s[2:3], exec
	v_readlane_b32 s6, v57, 12
	v_readlane_b32 s7, v57, 13
	s_and_b64 s[6:7], s[2:3], s[6:7]
	s_mov_b64 exec, s[6:7]
	s_cbranch_execz .LBB127_173
; %bb.49:                               ;   in Loop: Header=BB127_45 Depth=1
	global_load_ushort v6, v17, s[94:95]
	global_load_dword v7, v[14:15], off
	v_readlane_b32 s6, v57, 25
	v_readlane_b32 s7, v57, 26
	v_mov_b32_e32 v2, s6
	v_mov_b32_e32 v3, s7
	v_readlane_b32 s12, v57, 27
	v_readlane_b32 s13, v57, 28
	s_mov_b64 s[8:9], 0
	s_waitcnt vmcnt(1)
	v_readfirstlane_b32 s6, v6
	s_and_b32 s10, 0xffff, s6
	v_add_u32_e32 v4, s10, v0
	v_mad_u64_u32 v[2:3], s[6:7], s12, v4, v[2:3]
	s_mul_i32 s11, s13, s10
	s_mul_i32 s18, s12, s10
	v_mad_u64_u32 v[3:4], s[6:7], s13, v4, v[3:4]
	s_mul_hi_u32 s6, s12, s10
	v_mov_b32_e32 v5, v1
	s_add_i32 s19, s6, s11
	v_mov_b32_e32 v4, v0
	s_branch .LBB127_51
.LBB127_50:                             ;   in Loop: Header=BB127_51 Depth=2
	s_or_b64 exec, exec, s[6:7]
	v_mov_b32_e32 v7, s19
	v_add_co_u32_e32 v2, vcc, s18, v2
	v_addc_co_u32_e32 v3, vcc, v3, v7, vcc
	v_mov_b32_e32 v7, v8
	s_andn2_b64 exec, exec, s[8:9]
	s_cbranch_execz .LBB127_173
.LBB127_51:                             ;   Parent Loop BB127_45 Depth=1
                                        ; =>  This Inner Loop Header: Depth=2
	v_add_co_u32_sdwa v4, vcc, v4, v6 dst_sel:DWORD dst_unused:UNUSED_PAD src0_sel:DWORD src1_sel:WORD_0
	v_addc_co_u32_e32 v5, vcc, 0, v5, vcc
	v_cmp_gt_u64_e64 s[6:7], s[52:53], v[4:5]
	v_cmp_le_u64_e32 vcc, s[52:53], v[4:5]
	s_waitcnt lgkmcnt(0)
	v_mov_b32_e32 v9, 0
	v_mov_b32_e32 v8, 0
	s_and_saveexec_b64 s[10:11], s[6:7]
	s_cbranch_execz .LBB127_53
; %bb.52:                               ;   in Loop: Header=BB127_51 Depth=2
	global_load_dword v8, v[2:3], off
.LBB127_53:                             ;   in Loop: Header=BB127_51 Depth=2
	s_or_b64 exec, exec, s[10:11]
	s_waitcnt vmcnt(0)
	v_cmp_lt_i32_e64 s[6:7], -1, v7
	v_cndmask_b32_e64 v16, -1, v50, s[6:7]
	v_xor_b32_e32 v16, v16, v7
	v_cmp_o_f32_e64 s[6:7], v7, v7
	v_cndmask_b32_e64 v16, -1, v16, s[6:7]
	v_and_b32_e32 v16, v16, v52
	v_cmp_eq_u32_e64 s[10:11], v16, v48
	s_cmp_lg_u64 s[10:11], 0
	s_cselect_b64 s[6:7], -1, 0
	s_and_b64 s[6:7], s[80:81], s[6:7]
	s_and_saveexec_b64 s[12:13], s[6:7]
	s_cbranch_execz .LBB127_57
; %bb.54:                               ;   in Loop: Header=BB127_51 Depth=2
	s_mov_b64 s[16:17], exec
	v_mbcnt_lo_u32_b32 v9, s16, 0
	v_mbcnt_hi_u32_b32 v9, s17, v9
	s_bcnt1_i32_b64 s20, s[10:11]
	v_cmp_eq_u32_e64 s[6:7], 0, v9
                                        ; implicit-def: $vgpr16
	s_and_saveexec_b64 s[14:15], s[6:7]
; %bb.55:                               ;   in Loop: Header=BB127_51 Depth=2
	s_bcnt1_i32_b64 s6, s[16:17]
	s_mul_i32 s6, s20, s6
	v_mov_b32_e32 v16, s6
	ds_add_rtn_u32 v16, v17, v16 offset:5144
; %bb.56:                               ;   in Loop: Header=BB127_51 Depth=2
	s_or_b64 exec, exec, s[14:15]
	s_waitcnt lgkmcnt(0)
	v_readfirstlane_b32 s6, v16
	v_mov_b32_e32 v16, s6
	v_mad_u32_u24 v9, s20, v9, v16
.LBB127_57:                             ;   in Loop: Header=BB127_51 Depth=2
	s_or_b64 exec, exec, s[12:13]
	ds_bpermute_b32 v9, v43, v9
	s_and_b64 s[6:7], exec, vcc
	s_or_b64 s[8:9], s[6:7], s[8:9]
	s_and_saveexec_b64 s[6:7], s[10:11]
	s_cbranch_execz .LBB127_50
; %bb.58:                               ;   in Loop: Header=BB127_51 Depth=2
	v_and_b32_e32 v27, s10, v45
	v_and_b32_e32 v16, s11, v44
	v_bcnt_u32_b32 v27, v27, 0
	v_bcnt_u32_b32 v16, v16, v27
	v_lshlrev_b32_e32 v16, 2, v16
	s_waitcnt lgkmcnt(0)
	v_lshl_add_u32 v9, v9, 2, v16
	ds_write_b32 v9, v7
	s_branch .LBB127_50
.LBB127_59:                             ;   in Loop: Header=BB127_45 Depth=1
	s_mov_b64 s[0:1], -1
	s_mov_b64 s[2:3], 0
.LBB127_60:                             ;   in Loop: Header=BB127_45 Depth=1
	s_and_b64 vcc, exec, s[0:1]
	s_cbranch_vccz .LBB127_70
.LBB127_61:                             ;   in Loop: Header=BB127_45 Depth=1
	s_mov_b64 s[0:1], exec
	v_readlane_b32 s2, v57, 12
	v_readlane_b32 s3, v57, 13
	s_and_b64 s[2:3], s[0:1], s[2:3]
	s_mov_b64 exec, s[2:3]
	s_cbranch_execz .LBB127_67
; %bb.62:                               ;   in Loop: Header=BB127_45 Depth=1
	global_load_ushort v2, v17, s[94:95]
	global_load_dword v8, v[14:15], off
	s_waitcnt vmcnt(1)
	v_add_u32_sdwa v16, v2, v0 dst_sel:DWORD dst_unused:UNUSED_PAD src0_sel:WORD_0 src1_sel:DWORD
	v_cmp_gt_u64_e32 vcc, s[52:53], v[16:17]
	v_readfirstlane_b32 s6, v2
	v_mov_b32_e32 v2, v0
	s_and_saveexec_b64 s[2:3], vcc
	s_cbranch_execz .LBB127_66
; %bb.63:                               ;   in Loop: Header=BB127_45 Depth=1
	v_readlane_b32 s8, v57, 25
	v_readlane_b32 s9, v57, 26
	v_mov_b32_e32 v2, s8
	v_mov_b32_e32 v3, s9
	v_readlane_b32 s12, v57, 27
	v_mad_u64_u32 v[2:3], s[8:9], s12, v16, v[2:3]
	v_readlane_b32 s13, v57, 28
	s_and_b32 s10, s6, 0xffff
	v_mad_u64_u32 v[3:4], s[6:7], s13, v16, v[3:4]
	s_mul_i32 s6, s13, s10
	s_mul_hi_u32 s7, s12, s10
	v_mov_b32_e32 v4, v16
	v_mov_b32_e32 v7, v1
	s_add_i32 s11, s7, s6
	s_mul_i32 s12, s12, s10
	s_mov_b64 s[8:9], 0
	v_mov_b32_e32 v5, v17
	v_mov_b32_e32 v6, v0
.LBB127_64:                             ;   Parent Loop BB127_45 Depth=1
                                        ; =>  This Inner Loop Header: Depth=2
	global_load_dword v9, v[2:3], off
	v_mov_b32_e32 v32, v5
	v_mov_b32_e32 v31, v4
	v_lshlrev_b32_e32 v4, 2, v6
	v_mov_b32_e32 v6, s11
	v_add_co_u32_e32 v2, vcc, s12, v2
	s_waitcnt vmcnt(1)
	ds_write_b32 v4, v8
	v_add_co_u32_e64 v4, s[6:7], s10, v31
	v_addc_co_u32_e64 v5, s[6:7], 0, v32, s[6:7]
	v_addc_co_u32_e32 v3, vcc, v3, v6, vcc
	v_cmp_le_u64_e32 vcc, s[52:53], v[4:5]
	v_mov_b32_e32 v6, v31
	s_or_b64 s[8:9], vcc, s[8:9]
	v_mov_b32_e32 v7, v32
	s_waitcnt vmcnt(0)
	v_mov_b32_e32 v8, v9
	s_andn2_b64 exec, exec, s[8:9]
	s_cbranch_execnz .LBB127_64
; %bb.65:                               ;   in Loop: Header=BB127_45 Depth=1
	s_or_b64 exec, exec, s[8:9]
	v_subrev_u32_e32 v2, s10, v4
	v_mov_b32_e32 v8, v9
.LBB127_66:                             ;   in Loop: Header=BB127_45 Depth=1
	s_or_b64 exec, exec, s[2:3]
	v_lshlrev_b32_e32 v2, 2, v2
	s_waitcnt vmcnt(0)
	ds_write_b32 v2, v8
.LBB127_67:                             ;   in Loop: Header=BB127_45 Depth=1
	s_or_b64 exec, exec, s[0:1]
	s_waitcnt lgkmcnt(0)
	s_barrier
	s_mov_b64 s[0:1], exec
	v_readlane_b32 s2, v57, 14
	v_readlane_b32 s3, v57, 15
	s_and_b64 s[2:3], s[0:1], s[2:3]
	s_mov_b64 exec, s[2:3]
; %bb.68:                               ;   in Loop: Header=BB127_45 Depth=1
	v_mov_b32_e32 v2, s52
	v_mov_b32_e32 v3, s53
	ds_write_b64 v17, v[2:3] offset:5120
; %bb.69:                               ;   in Loop: Header=BB127_45 Depth=1
	s_or_b64 exec, exec, s[0:1]
	s_mov_b64 s[2:3], -1
	s_waitcnt lgkmcnt(0)
	s_barrier
.LBB127_70:                             ;   in Loop: Header=BB127_45 Depth=1
	s_mov_b64 s[0:1], 0
	s_and_b64 vcc, exec, s[2:3]
	s_cbranch_vccz .LBB127_72
; %bb.71:                               ;   in Loop: Header=BB127_45 Depth=1
	ds_read_b64 v[2:3], v17 offset:5120
	s_waitcnt lgkmcnt(0)
	v_readfirstlane_b32 s0, v2
.LBB127_72:                             ;   in Loop: Header=BB127_45 Depth=1
	s_cmp_lt_i32 s0, 1
	s_mov_b64 s[2:3], -1
                                        ; implicit-def: $vgpr2_vgpr3
                                        ; implicit-def: $vgpr6_vgpr7
	s_cbranch_scc1 .LBB127_82
; %bb.73:                               ;   in Loop: Header=BB127_45 Depth=1
	s_and_b64 vcc, exec, s[2:3]
	s_cbranch_vccnz .LBB127_96
.LBB127_74:                             ;   in Loop: Header=BB127_45 Depth=1
	s_lshl_b32 s2, s5, 6
	s_and_saveexec_b64 s[0:1], s[80:81]
	s_cbranch_execz .LBB127_76
.LBB127_75:                             ;   in Loop: Header=BB127_45 Depth=1
	v_lshl_add_u32 v16, s2, 3, v46
	ds_write_b128 v16, v[2:5]
	ds_write_b128 v16, v[6:9] offset:16
.LBB127_76:                             ;   in Loop: Header=BB127_45 Depth=1
	s_or_b64 exec, exec, s[0:1]
	s_waitcnt lgkmcnt(0)
	s_barrier
	s_and_saveexec_b64 s[0:1], s[84:85]
	s_cbranch_execz .LBB127_111
; %bb.77:                               ;   in Loop: Header=BB127_45 Depth=1
	v_mov_b32_e32 v2, 0
	v_mov_b32_e32 v3, 0
	s_andn2_b64 vcc, exec, s[88:89]
	s_cbranch_vccnz .LBB127_110
; %bb.78:                               ;   in Loop: Header=BB127_45 Depth=1
	v_readlane_b32 s6, v57, 20
	v_readlane_b32 s7, v57, 21
	s_andn2_b64 vcc, exec, s[6:7]
	s_cbranch_vccnz .LBB127_106
; %bb.79:                               ;   in Loop: Header=BB127_45 Depth=1
	v_mov_b32_e32 v2, 0
	v_lshl_add_u32 v4, s5, 9, v49
	v_mov_b32_e32 v3, 0
	s_mov_b32 s3, 0
.LBB127_80:                             ;   Parent Loop BB127_45 Depth=1
                                        ; =>  This Inner Loop Header: Depth=2
	ds_read2_b64 v[5:8], v4 offset1:4
	ds_read2_b64 v[31:34], v4 offset0:8 offset1:12
	ds_read2_b64 v[35:38], v4 offset0:16 offset1:20
	;; [unrolled: 1-line block ×3, first 2 shown]
	s_add_i32 s3, s3, 8
	s_waitcnt lgkmcnt(3)
	v_add_co_u32_e32 v2, vcc, v5, v2
	v_addc_co_u32_e32 v3, vcc, v6, v3, vcc
	v_add_co_u32_e32 v2, vcc, v7, v2
	v_addc_co_u32_e32 v3, vcc, v8, v3, vcc
	s_waitcnt lgkmcnt(2)
	v_add_co_u32_e32 v2, vcc, v31, v2
	v_addc_co_u32_e32 v3, vcc, v32, v3, vcc
	v_add_co_u32_e32 v2, vcc, v33, v2
	v_addc_co_u32_e32 v3, vcc, v34, v3, vcc
	;; [unrolled: 5-line block ×3, first 2 shown]
	s_waitcnt lgkmcnt(0)
	v_add_co_u32_e32 v2, vcc, v53, v2
	v_addc_co_u32_e32 v3, vcc, v54, v3, vcc
	v_add_co_u32_e32 v2, vcc, v55, v2
	v_add_u32_e32 v4, 0x100, v4
	s_cmp_eq_u32 s67, s3
	v_addc_co_u32_e32 v3, vcc, v56, v3, vcc
	s_cbranch_scc0 .LBB127_80
; %bb.81:                               ;   in Loop: Header=BB127_45 Depth=1
	s_mov_b32 s3, s67
	s_branch .LBB127_107
.LBB127_82:                             ;   in Loop: Header=BB127_45 Depth=1
	global_load_ushort v2, v17, s[94:95]
	s_mov_b32 s2, s75
	s_mov_b32 s3, s53
	s_waitcnt vmcnt(0)
	v_readfirstlane_b32 s1, v2
	s_and_b32 s1, s1, 0xffff
	s_lshl_b32 s8, s1, 2
	s_cmp_lg_u64 s[2:3], 0
	s_cbranch_scc0 .LBB127_105
; %bb.83:                               ;   in Loop: Header=BB127_45 Depth=1
	v_cvt_f32_u32_e32 v2, s8
	s_sub_u32 s6, 0, s8
	s_subb_u32 s7, 0, 0
	v_mac_f32_e32 v2, 0, v51
	v_rcp_f32_e32 v2, v2
	v_mul_f32_e32 v2, 0x5f7ffffc, v2
	v_mul_f32_e32 v3, 0x2f800000, v2
	v_trunc_f32_e32 v3, v3
	v_mac_f32_e32 v2, 0xcf800000, v3
	v_cvt_u32_f32_e32 v3, v3
	v_cvt_u32_f32_e32 v2, v2
	v_readfirstlane_b32 s9, v3
	v_readfirstlane_b32 s2, v2
	s_mul_i32 s3, s6, s9
	s_mul_hi_u32 s11, s6, s2
	s_mul_i32 s10, s7, s2
	s_add_i32 s3, s11, s3
	s_mul_i32 s12, s6, s2
	s_add_i32 s3, s3, s10
	s_mul_hi_u32 s11, s2, s12
	s_mul_i32 s13, s2, s3
	s_mul_hi_u32 s10, s2, s3
	s_add_u32 s11, s11, s13
	s_addc_u32 s10, 0, s10
	s_mul_hi_u32 s14, s9, s12
	s_mul_i32 s12, s9, s12
	s_add_u32 s11, s11, s12
	s_mul_hi_u32 s13, s9, s3
	s_addc_u32 s10, s10, s14
	s_addc_u32 s11, s13, 0
	s_mul_i32 s3, s9, s3
	s_add_u32 s3, s10, s3
	s_addc_u32 s10, 0, s11
	s_add_u32 s11, s2, s3
	s_cselect_b64 s[2:3], -1, 0
	s_cmp_lg_u64 s[2:3], 0
	s_addc_u32 s9, s9, s10
	s_mul_i32 s2, s6, s9
	s_mul_hi_u32 s3, s6, s11
	s_add_i32 s2, s3, s2
	s_mul_i32 s7, s7, s11
	s_add_i32 s2, s2, s7
	s_mul_i32 s6, s6, s11
	s_mul_hi_u32 s7, s9, s6
	s_mul_i32 s10, s9, s6
	s_mul_i32 s13, s11, s2
	s_mul_hi_u32 s6, s11, s6
	s_mul_hi_u32 s12, s11, s2
	s_add_u32 s6, s6, s13
	s_addc_u32 s12, 0, s12
	s_add_u32 s6, s6, s10
	s_mul_hi_u32 s3, s9, s2
	s_addc_u32 s6, s12, s7
	s_addc_u32 s3, s3, 0
	s_mul_i32 s2, s9, s2
	s_add_u32 s2, s6, s2
	s_addc_u32 s6, 0, s3
	s_add_u32 s7, s11, s2
	s_cselect_b64 s[2:3], -1, 0
	s_cmp_lg_u64 s[2:3], 0
	s_addc_u32 s2, s9, s6
	s_mul_i32 s6, s52, s2
	s_mul_hi_u32 s9, s52, s7
	s_mul_hi_u32 s3, s52, s2
	s_add_u32 s6, s9, s6
	s_addc_u32 s3, 0, s3
	s_mul_hi_u32 s10, s53, s7
	s_mul_i32 s7, s53, s7
	s_add_u32 s6, s6, s7
	s_mul_hi_u32 s9, s53, s2
	s_addc_u32 s3, s3, s10
	s_addc_u32 s6, s9, 0
	s_mul_i32 s2, s53, s2
	s_add_u32 s2, s3, s2
	s_addc_u32 s3, 0, s6
	s_mul_i32 s3, s8, s3
	s_mul_hi_u32 s6, s8, s2
	s_add_i32 s6, s6, s3
	s_mul_i32 s2, s8, s2
	s_sub_u32 s7, s52, s2
	s_cselect_b64 s[2:3], -1, 0
	s_cmp_lg_u64 s[2:3], 0
	s_subb_u32 s6, s53, s6
	s_sub_u32 s9, s7, s8
	s_cselect_b64 s[2:3], -1, 0
	s_cmp_lg_u64 s[2:3], 0
	s_subb_u32 s10, s6, 0
	;; [unrolled: 4-line block ×3, first 2 shown]
	s_cmp_ge_u32 s9, s8
	s_cselect_b32 s3, -1, 0
	s_cmp_eq_u32 s10, 0
	s_cselect_b32 s3, s3, -1
	s_cmp_lg_u32 s3, 0
	s_cselect_b32 s2, s2, s10
	s_cselect_b32 s9, s11, s9
	s_cmp_ge_u32 s7, s8
	s_cselect_b32 s3, -1, 0
	s_cmp_eq_u32 s6, 0
	s_cselect_b32 s3, s3, -1
	s_cmp_lg_u32 s3, 0
	s_cselect_b32 s3, s2, s6
	s_cselect_b32 s2, s9, s7
	s_cbranch_execnz .LBB127_85
.LBB127_84:                             ;   in Loop: Header=BB127_45 Depth=1
	v_cvt_f32_u32_e32 v2, s8
	s_sub_i32 s2, 0, s8
	v_rcp_iflag_f32_e32 v2, v2
	v_mul_f32_e32 v2, 0x4f7ffffe, v2
	v_cvt_u32_f32_e32 v2, v2
	v_readfirstlane_b32 s3, v2
	s_mul_i32 s2, s2, s3
	s_mul_hi_u32 s2, s3, s2
	s_add_i32 s3, s3, s2
	s_mul_hi_u32 s2, s52, s3
	s_mul_i32 s2, s2, s8
	s_sub_i32 s2, s52, s2
	s_sub_i32 s3, s2, s8
	s_cmp_ge_u32 s2, s8
	s_cselect_b32 s2, s3, s2
	s_sub_i32 s3, s2, s8
	s_cmp_ge_u32 s2, s8
	s_cselect_b32 s74, s3, s2
	s_mov_b64 s[2:3], s[74:75]
.LBB127_85:                             ;   in Loop: Header=BB127_45 Depth=1
	s_sub_u32 s16, s52, s2
	s_subb_u32 s17, s53, s3
	v_cmp_gt_u64_e32 vcc, s[16:17], v[12:13]
	v_mov_b32_e32 v2, 0
	v_mov_b32_e32 v4, 0
	;; [unrolled: 1-line block ×8, first 2 shown]
	s_and_saveexec_b64 s[18:19], vcc
	s_cbranch_execz .LBB127_89
; %bb.86:                               ;   in Loop: Header=BB127_45 Depth=1
	v_readlane_b32 s6, v57, 29
	v_readlane_b32 s7, v57, 30
	s_mul_i32 s2, s7, s1
	s_mul_hi_u32 s3, s6, s1
	v_mov_b32_e32 v32, v25
	v_mov_b32_e32 v34, v23
	;; [unrolled: 1-line block ×5, first 2 shown]
	s_add_i32 s2, s3, s2
	s_mul_i32 s3, s6, s1
	s_mov_b64 s[20:21], 0
	v_mov_b32_e32 v31, v24
	v_mov_b32_e32 v33, v22
	;; [unrolled: 1-line block ×4, first 2 shown]
	s_mov_b64 s[22:23], 0
	s_mov_b64 s[24:25], 0
	;; [unrolled: 1-line block ×4, first 2 shown]
	v_mov_b32_e32 v39, v12
.LBB127_87:                             ;   Parent Loop BB127_45 Depth=1
                                        ; =>  This Inner Loop Header: Depth=2
	v_add_co_u32_e32 v2, vcc, s72, v31
	v_mov_b32_e32 v4, s73
	v_addc_co_u32_e32 v3, vcc, v32, v4, vcc
	global_load_dword v5, v[2:3], off
	v_add_co_u32_e32 v2, vcc, s72, v33
	v_addc_co_u32_e32 v3, vcc, v34, v4, vcc
	global_load_dword v6, v[2:3], off
	v_add_co_u32_e32 v2, vcc, s72, v35
	;; [unrolled: 3-line block ×3, first 2 shown]
	v_addc_co_u32_e32 v3, vcc, v38, v4, vcc
	global_load_dword v2, v[2:3], off
	s_waitcnt vmcnt(3)
	v_cmp_lt_i32_e32 vcc, -1, v5
	v_cndmask_b32_e32 v3, -1, v50, vcc
	v_cmp_o_f32_e32 vcc, v5, v5
	v_xor_b32_e32 v3, v3, v5
	v_cndmask_b32_e32 v3, -1, v3, vcc
	s_waitcnt vmcnt(2)
	v_cmp_lt_i32_e32 vcc, -1, v6
	v_cndmask_b32_e32 v4, -1, v50, vcc
	v_cmp_o_f32_e32 vcc, v6, v6
	v_xor_b32_e32 v4, v4, v6
	v_cndmask_b32_e32 v4, -1, v4, vcc
	;; [unrolled: 6-line block ×3, first 2 shown]
	s_waitcnt vmcnt(0)
	v_cmp_lt_i32_e32 vcc, -1, v2
	v_cndmask_b32_e32 v6, -1, v50, vcc
	v_cmp_o_f32_e32 vcc, v2, v2
	v_xor_b32_e32 v2, v6, v2
	v_and_b32_e32 v6, v3, v52
	v_bfe_u32 v3, v3, s60, 2
	v_cndmask_b32_e32 v2, -1, v2, vcc
	v_cmp_eq_u32_e32 vcc, v6, v48
	v_and_b32_e32 v6, v4, v52
	v_bfe_u32 v4, v4, s60, 2
	v_cmp_eq_u32_e64 s[14:15], 0, v3
	v_cmp_eq_u32_e64 s[6:7], v6, v48
	v_and_b32_e32 v6, v5, v52
	v_bfe_u32 v5, v5, s60, 2
	s_and_b64 s[26:27], vcc, s[14:15]
	v_cmp_eq_u32_e64 s[14:15], 0, v4
	v_cmp_eq_u32_e64 s[10:11], v6, v48
	v_and_b32_e32 v6, v2, v52
	v_bfe_u32 v2, v2, s60, 2
	s_and_b64 s[34:35], s[6:7], s[14:15]
	v_cmp_eq_u32_e64 s[14:15], 0, v5
	v_cmp_eq_u32_e64 s[12:13], v6, v48
	s_and_b64 s[36:37], s[10:11], s[14:15]
	v_cmp_eq_u32_e64 s[14:15], 0, v2
	v_cndmask_b32_e64 v6, 0, 1, s[26:27]
	s_and_b64 s[38:39], s[12:13], s[14:15]
	v_cmp_ne_u32_e64 s[14:15], 0, v6
	v_cndmask_b32_e64 v6, 0, 1, s[34:35]
	s_bcnt1_i32_b64 s9, s[14:15]
	v_cmp_ne_u32_e64 s[14:15], 0, v6
	v_cndmask_b32_e64 v6, 0, 1, s[36:37]
	s_bcnt1_i32_b64 s26, s[14:15]
	;; [unrolled: 3-line block ×3, first 2 shown]
	v_cmp_ne_u32_e64 s[14:15], 0, v6
	s_bcnt1_i32_b64 s14, s[14:15]
	s_add_u32 s9, s9, s30
	s_addc_u32 s15, 0, s31
	s_add_u32 s9, s9, s26
	s_addc_u32 s15, s15, 0
	;; [unrolled: 2-line block ×4, first 2 shown]
	v_cmp_eq_u32_e64 s[14:15], 1, v3
	s_and_b64 s[26:27], vcc, s[14:15]
	v_cmp_eq_u32_e64 s[14:15], 1, v4
	s_and_b64 s[34:35], s[6:7], s[14:15]
	v_cmp_eq_u32_e64 s[14:15], 1, v5
	s_and_b64 s[36:37], s[10:11], s[14:15]
	v_cmp_eq_u32_e64 s[14:15], 1, v2
	v_cndmask_b32_e64 v6, 0, 1, s[26:27]
	s_and_b64 s[38:39], s[12:13], s[14:15]
	v_cmp_ne_u32_e64 s[14:15], 0, v6
	v_cndmask_b32_e64 v6, 0, 1, s[34:35]
	s_bcnt1_i32_b64 s9, s[14:15]
	v_cmp_ne_u32_e64 s[14:15], 0, v6
	v_cndmask_b32_e64 v6, 0, 1, s[36:37]
	s_bcnt1_i32_b64 s26, s[14:15]
	;; [unrolled: 3-line block ×3, first 2 shown]
	v_cmp_ne_u32_e64 s[14:15], 0, v6
	s_bcnt1_i32_b64 s14, s[14:15]
	s_add_u32 s9, s9, s28
	s_addc_u32 s15, 0, s29
	s_add_u32 s9, s9, s26
	s_addc_u32 s15, s15, 0
	;; [unrolled: 2-line block ×4, first 2 shown]
	v_cmp_eq_u32_e64 s[14:15], 2, v3
	s_and_b64 s[26:27], vcc, s[14:15]
	v_cmp_eq_u32_e64 s[14:15], 2, v4
	s_and_b64 s[34:35], s[6:7], s[14:15]
	v_cmp_eq_u32_e64 s[14:15], 2, v5
	s_and_b64 s[36:37], s[10:11], s[14:15]
	v_cmp_eq_u32_e64 s[14:15], 2, v2
	v_cndmask_b32_e64 v6, 0, 1, s[26:27]
	s_and_b64 s[38:39], s[12:13], s[14:15]
	v_cmp_ne_u32_e64 s[14:15], 0, v6
	v_cndmask_b32_e64 v6, 0, 1, s[34:35]
	s_bcnt1_i32_b64 s9, s[14:15]
	v_cmp_ne_u32_e64 s[14:15], 0, v6
	v_cndmask_b32_e64 v6, 0, 1, s[36:37]
	s_bcnt1_i32_b64 s26, s[14:15]
	;; [unrolled: 3-line block ×3, first 2 shown]
	v_cmp_ne_u32_e64 s[14:15], 0, v6
	s_bcnt1_i32_b64 s14, s[14:15]
	s_add_u32 s9, s9, s24
	s_addc_u32 s15, 0, s25
	s_add_u32 s9, s9, s26
	s_addc_u32 s15, s15, 0
	;; [unrolled: 2-line block ×4, first 2 shown]
	v_cmp_eq_u32_e64 s[14:15], 3, v3
	s_and_b64 s[14:15], vcc, s[14:15]
	v_cmp_eq_u32_e32 vcc, 3, v4
	s_and_b64 s[6:7], s[6:7], vcc
	v_cmp_eq_u32_e32 vcc, 3, v5
	s_and_b64 s[10:11], s[10:11], vcc
	v_cmp_eq_u32_e32 vcc, 3, v2
	v_cndmask_b32_e64 v2, 0, 1, s[14:15]
	s_and_b64 s[12:13], s[12:13], vcc
	v_cmp_ne_u32_e32 vcc, 0, v2
	v_cndmask_b32_e64 v2, 0, 1, s[6:7]
	s_bcnt1_i32_b64 s9, vcc
	v_cmp_ne_u32_e32 vcc, 0, v2
	v_cndmask_b32_e64 v2, 0, 1, s[10:11]
	s_bcnt1_i32_b64 s6, vcc
	;; [unrolled: 3-line block ×3, first 2 shown]
	v_cmp_ne_u32_e32 vcc, 0, v2
	s_bcnt1_i32_b64 s10, vcc
	v_add_co_u32_e32 v39, vcc, s8, v39
	v_addc_co_u32_e32 v40, vcc, 0, v40, vcc
	v_add_co_u32_e32 v37, vcc, s3, v37
	v_mov_b32_e32 v2, s2
	v_addc_co_u32_e32 v38, vcc, v38, v2, vcc
	s_add_u32 s9, s9, s22
	v_add_co_u32_e32 v35, vcc, s3, v35
	s_addc_u32 s11, 0, s23
	v_addc_co_u32_e32 v36, vcc, v36, v2, vcc
	s_add_u32 s6, s9, s6
	v_add_co_u32_e32 v33, vcc, s3, v33
	s_addc_u32 s9, s11, 0
	;; [unrolled: 4-line block ×3, first 2 shown]
	v_addc_co_u32_e32 v32, vcc, v32, v2, vcc
	s_add_u32 s22, s6, s10
	v_cmp_le_u64_e32 vcc, s[16:17], v[39:40]
	s_addc_u32 s23, s7, 0
	v_mov_b32_e32 v2, s30
	v_mov_b32_e32 v4, s28
	v_mov_b32_e32 v6, s24
	v_mov_b32_e32 v8, s22
	s_or_b64 s[20:21], vcc, s[20:21]
	v_mov_b32_e32 v3, s31
	v_mov_b32_e32 v5, s29
	;; [unrolled: 1-line block ×4, first 2 shown]
	s_andn2_b64 exec, exec, s[20:21]
	s_cbranch_execnz .LBB127_87
; %bb.88:                               ;   in Loop: Header=BB127_45 Depth=1
	s_or_b64 exec, exec, s[20:21]
.LBB127_89:                             ;   in Loop: Header=BB127_45 Depth=1
	s_or_b64 exec, exec, s[18:19]
	v_mov_b32_e32 v16, s17
	v_add_co_u32_e32 v31, vcc, s16, v0
	v_addc_co_u32_e32 v32, vcc, 0, v16, vcc
	v_cmp_gt_u64_e32 vcc, s[52:53], v[31:32]
	s_and_saveexec_b64 s[2:3], vcc
	s_cbranch_execz .LBB127_95
; %bb.90:                               ;   in Loop: Header=BB127_45 Depth=1
	v_mul_lo_u32 v16, v32, s56
	v_mul_lo_u32 v27, v31, s57
	v_mad_u64_u32 v[33:34], s[6:7], v31, s56, 0
	s_mov_b64 s[8:9], 0
	v_add3_u32 v34, v34, v27, v16
	v_lshlrev_b64 v[33:34], 2, v[33:34]
	v_mov_b32_e32 v16, s71
	v_add_co_u32_e32 v33, vcc, s70, v33
	v_addc_co_u32_e32 v34, vcc, v16, v34, vcc
	global_load_dword v27, v[33:34], off
	s_branch .LBB127_92
.LBB127_91:                             ;   in Loop: Header=BB127_92 Depth=2
	s_or_b64 exec, exec, s[10:11]
	s_and_b64 s[6:7], exec, vcc
	s_waitcnt vmcnt(0)
	v_cmp_lt_i32_e32 vcc, -1, v27
	v_cndmask_b32_e32 v33, -1, v50, vcc
	v_xor_b32_e32 v33, v33, v27
	v_cmp_o_f32_e32 vcc, v27, v27
	v_cndmask_b32_e32 v27, -1, v33, vcc
	v_and_b32_e32 v33, v27, v52
	v_bfe_u32 v27, v27, s60, 2
	s_or_b64 s[8:9], s[6:7], s[8:9]
	v_cmp_eq_u32_e32 vcc, v33, v48
	v_cmp_eq_u32_e64 s[6:7], 0, v27
	s_and_b64 s[6:7], vcc, s[6:7]
	v_cndmask_b32_e64 v33, 0, 1, s[6:7]
	v_cmp_ne_u32_e64 s[6:7], 0, v33
	s_bcnt1_i32_b64 s6, s[6:7]
	v_add_co_u32_e64 v2, s[6:7], s6, v2
	v_addc_co_u32_e64 v3, s[6:7], 0, v3, s[6:7]
	v_cmp_eq_u32_e64 s[6:7], 1, v27
	s_and_b64 s[6:7], vcc, s[6:7]
	v_cndmask_b32_e64 v33, 0, 1, s[6:7]
	v_cmp_ne_u32_e64 s[6:7], 0, v33
	s_bcnt1_i32_b64 s6, s[6:7]
	v_add_co_u32_e64 v4, s[6:7], s6, v4
	v_addc_co_u32_e64 v5, s[6:7], 0, v5, s[6:7]
	v_cmp_eq_u32_e64 s[6:7], 2, v27
	s_and_b64 s[6:7], vcc, s[6:7]
	v_cndmask_b32_e64 v33, 0, 1, s[6:7]
	v_cmp_ne_u32_e64 s[6:7], 0, v33
	s_bcnt1_i32_b64 s6, s[6:7]
	v_add_co_u32_e64 v6, s[6:7], s6, v6
	v_addc_co_u32_e64 v7, s[6:7], 0, v7, s[6:7]
	v_cmp_eq_u32_e64 s[6:7], 3, v27
	s_and_b64 s[6:7], vcc, s[6:7]
	v_cndmask_b32_e64 v27, 0, 1, s[6:7]
	v_cmp_ne_u32_e32 vcc, 0, v27
	s_bcnt1_i32_b64 s6, vcc
	v_add_co_u32_e32 v8, vcc, s6, v8
	v_addc_co_u32_e32 v9, vcc, 0, v9, vcc
	v_mov_b32_e32 v27, v16
	s_andn2_b64 exec, exec, s[8:9]
	s_cbranch_execz .LBB127_94
.LBB127_92:                             ;   Parent Loop BB127_45 Depth=1
                                        ; =>  This Inner Loop Header: Depth=2
	v_add_co_u32_e32 v31, vcc, s1, v31
	v_addc_co_u32_e32 v32, vcc, 0, v32, vcc
	v_cmp_gt_u64_e64 s[6:7], s[52:53], v[31:32]
	v_cmp_le_u64_e32 vcc, s[52:53], v[31:32]
	v_mov_b32_e32 v16, 0
	s_and_saveexec_b64 s[10:11], s[6:7]
	s_cbranch_execz .LBB127_91
; %bb.93:                               ;   in Loop: Header=BB127_92 Depth=2
	v_mul_lo_u32 v16, v32, s56
	v_mul_lo_u32 v35, v31, s57
	v_mad_u64_u32 v[33:34], s[6:7], v31, s56, 0
	v_add3_u32 v34, v34, v35, v16
	v_lshlrev_b64 v[33:34], 2, v[33:34]
	v_mov_b32_e32 v16, s71
	v_add_co_u32_e64 v33, s[6:7], s70, v33
	v_addc_co_u32_e64 v34, s[6:7], v16, v34, s[6:7]
	global_load_dword v16, v[33:34], off
	s_branch .LBB127_91
.LBB127_94:                             ;   in Loop: Header=BB127_45 Depth=1
	s_or_b64 exec, exec, s[8:9]
.LBB127_95:                             ;   in Loop: Header=BB127_45 Depth=1
	s_or_b64 exec, exec, s[2:3]
	s_branch .LBB127_74
.LBB127_96:                             ;   in Loop: Header=BB127_45 Depth=1
	global_load_ushort v16, v17, s[94:95]
	v_mov_b32_e32 v6, 0
	v_mov_b32_e32 v7, 0
	s_waitcnt vmcnt(0)
	v_readfirstlane_b32 s1, v16
	s_and_b32 s1, 0xffff, s1
	s_lshl_b32 s61, s1, 2
	v_cvt_f32_u32_e32 v2, s61
	s_sub_i32 s2, 0, s61
	v_rcp_iflag_f32_e32 v4, v2
	v_mov_b32_e32 v2, 0
	v_mov_b32_e32 v3, 0
	v_mul_f32_e32 v4, 0x4f7ffffe, v4
	v_cvt_u32_f32_e32 v8, v4
	v_mov_b32_e32 v4, 0
	v_mov_b32_e32 v5, 0
	v_readfirstlane_b32 s3, v8
	s_mul_i32 s2, s2, s3
	s_mul_hi_u32 s2, s3, s2
	s_add_i32 s3, s3, s2
	s_mul_hi_u32 s2, s0, s3
	s_mul_i32 s3, s2, s61
	s_sub_i32 s3, s0, s3
	s_add_i32 s6, s2, 1
	s_sub_i32 s7, s3, s61
	s_cmp_ge_u32 s3, s61
	s_cselect_b32 s2, s6, s2
	s_cselect_b32 s3, s7, s3
	s_add_i32 s6, s2, 1
	s_cmp_ge_u32 s3, s61
	s_cselect_b32 s2, s6, s2
	s_mul_hi_u32 s9, s1, s2
	s_mul_i32 s8, s1, s2
	s_lshl_b64 s[2:3], s[8:9], 2
	v_cmp_gt_u64_e32 vcc, s[2:3], v[12:13]
	v_mov_b32_e32 v8, 0
	v_mov_b32_e32 v9, 0
	s_and_saveexec_b64 s[92:93], vcc
	s_cbranch_execz .LBB127_100
; %bb.97:                               ;   in Loop: Header=BB127_45 Depth=1
	v_mov_b32_e32 v32, v13
	s_mov_b32 s55, s5
	s_mov_b64 s[78:79], s[48:49]
	s_mov_b64 s[58:59], s[50:51]
	s_mov_b32 s54, s71
	s_mov_b32 s83, s70
	;; [unrolled: 1-line block ×4, first 2 shown]
	s_mov_b64 s[4:5], s[62:63]
	s_mov_b64 s[62:63], s[94:95]
	s_mov_b32 s71, s91
	s_mov_b32 s74, s66
	s_mov_b64 s[66:67], s[88:89]
	s_mov_b64 s[88:89], s[86:87]
	;; [unrolled: 1-line block ×5, first 2 shown]
	s_lshl_b32 s1, s1, 4
	s_mov_b64 s[80:81], 0
	v_mov_b32_e32 v27, v47
	s_mov_b64 s[26:27], 0
	s_mov_b64 s[94:95], 0
	;; [unrolled: 1-line block ×4, first 2 shown]
	v_mov_b32_e32 v31, v12
.LBB127_98:                             ;   Parent Loop BB127_45 Depth=1
                                        ; =>  This Inner Loop Header: Depth=2
	ds_read_b128 v[2:5], v27
	v_add_co_u32_e32 v31, vcc, s61, v31
	v_addc_co_u32_e32 v32, vcc, 0, v32, vcc
	s_waitcnt lgkmcnt(0)
	v_cmp_lt_i32_e64 s[6:7], -1, v2
	v_cndmask_b32_e64 v6, -1, v50, s[6:7]
	v_cmp_lt_i32_e64 s[6:7], -1, v3
	v_cndmask_b32_e64 v7, -1, v50, s[6:7]
	;; [unrolled: 2-line block ×4, first 2 shown]
	v_xor_b32_e32 v7, v7, v3
	v_cmp_o_f32_e64 s[6:7], v3, v3
	v_xor_b32_e32 v3, v8, v4
	v_cmp_o_f32_e64 s[10:11], v4, v4
	;; [unrolled: 2-line block ×4, first 2 shown]
	v_cndmask_b32_e64 v2, -1, v5, s[14:15]
	v_cndmask_b32_e64 v5, -1, v7, s[6:7]
	v_and_b32_e32 v6, v2, v52
	v_bfe_u32 v2, v2, s60, 2
	v_cndmask_b32_e64 v3, -1, v3, s[10:11]
	v_and_b32_e32 v7, v5, v52
	v_bfe_u32 v5, v5, s60, 2
	v_cmp_eq_u32_e64 s[16:17], v6, v48
	v_cmp_eq_u32_e64 s[6:7], 0, v2
	v_cndmask_b32_e64 v4, -1, v4, s[12:13]
	v_and_b32_e32 v8, v3, v52
	v_bfe_u32 v3, v3, s60, 2
	v_cmp_eq_u32_e64 s[14:15], v7, v48
	v_cmp_eq_u32_e64 s[28:29], 0, v5
	s_and_b64 s[6:7], s[16:17], s[6:7]
	v_and_b32_e32 v9, v4, v52
	v_bfe_u32 v4, v4, s60, 2
	v_cmp_eq_u32_e64 s[12:13], v8, v48
	v_cmp_eq_u32_e64 s[30:31], 0, v3
	;; [unrolled: 1-line block ×5, first 2 shown]
	v_cndmask_b32_e64 v2, 0, 1, s[6:7]
	s_and_b64 s[6:7], s[14:15], s[28:29]
	v_cmp_eq_u32_e64 s[10:11], v9, v48
	v_cmp_eq_u32_e64 s[34:35], 0, v4
	;; [unrolled: 1-line block ×5, first 2 shown]
	v_cndmask_b32_e64 v3, 0, 1, s[6:7]
	s_and_b64 s[6:7], s[12:13], s[30:31]
	v_cmp_eq_u32_e64 s[42:43], 1, v4
	v_cmp_eq_u32_e64 s[50:51], 2, v4
	;; [unrolled: 1-line block ×3, first 2 shown]
	v_cndmask_b32_e64 v4, 0, 1, s[6:7]
	s_and_b64 s[6:7], s[10:11], s[34:35]
	v_cmp_eq_u32_e64 s[38:39], 1, v5
	v_cmp_eq_u32_e64 s[46:47], 2, v5
	;; [unrolled: 1-line block ×3, first 2 shown]
	v_cndmask_b32_e64 v5, 0, 1, s[6:7]
	v_cmp_ne_u32_e64 s[6:7], 0, v2
	v_cmp_ne_u32_e64 s[28:29], 0, v3
	v_cmp_ne_u32_e64 s[30:31], 0, v4
	v_cmp_ne_u32_e64 s[34:35], 0, v5
	s_bcnt1_i32_b64 s6, s[6:7]
	s_bcnt1_i32_b64 s7, s[28:29]
	s_bcnt1_i32_b64 s9, s[30:31]
	s_bcnt1_i32_b64 s28, s[34:35]
	s_add_u32 s6, s6, s84
	s_addc_u32 s29, 0, s85
	s_add_u32 s6, s6, s7
	s_addc_u32 s7, s29, 0
	s_add_u32 s6, s6, s9
	s_addc_u32 s7, s7, 0
	s_add_u32 s84, s6, s28
	s_addc_u32 s85, s7, 0
	s_and_b64 s[6:7], s[16:17], s[36:37]
	v_cndmask_b32_e64 v4, 0, 1, s[6:7]
	s_and_b64 s[6:7], s[14:15], s[38:39]
	v_cndmask_b32_e64 v5, 0, 1, s[6:7]
	s_and_b64 s[6:7], s[12:13], s[40:41]
	v_cndmask_b32_e64 v6, 0, 1, s[6:7]
	s_and_b64 s[6:7], s[10:11], s[42:43]
	v_cndmask_b32_e64 v7, 0, 1, s[6:7]
	v_cmp_ne_u32_e64 s[6:7], 0, v4
	v_cmp_ne_u32_e64 s[28:29], 0, v5
	v_cmp_ne_u32_e64 s[30:31], 0, v6
	v_cmp_ne_u32_e64 s[34:35], 0, v7
	s_bcnt1_i32_b64 s6, s[6:7]
	s_bcnt1_i32_b64 s7, s[28:29]
	s_bcnt1_i32_b64 s9, s[30:31]
	s_bcnt1_i32_b64 s28, s[34:35]
	s_add_u32 s6, s6, s76
	s_addc_u32 s29, 0, s77
	s_add_u32 s6, s6, s7
	s_addc_u32 s7, s29, 0
	s_add_u32 s6, s6, s9
	s_addc_u32 s7, s7, 0
	s_add_u32 s76, s6, s28
	s_addc_u32 s77, s7, 0
	s_and_b64 s[6:7], s[16:17], s[44:45]
	v_cndmask_b32_e64 v6, 0, 1, s[6:7]
	s_and_b64 s[6:7], s[14:15], s[46:47]
	v_cndmask_b32_e64 v7, 0, 1, s[6:7]
	s_and_b64 s[6:7], s[12:13], s[48:49]
	v_cndmask_b32_e64 v8, 0, 1, s[6:7]
	s_and_b64 s[6:7], s[10:11], s[50:51]
	;; [unrolled: 24-line block ×3, first 2 shown]
	v_cndmask_b32_e64 v34, 0, 1, s[6:7]
	v_cmp_ne_u32_e64 s[6:7], 0, v8
	v_cmp_ne_u32_e64 s[10:11], 0, v9
	;; [unrolled: 1-line block ×4, first 2 shown]
	s_bcnt1_i32_b64 s6, s[6:7]
	s_bcnt1_i32_b64 s7, s[10:11]
	;; [unrolled: 1-line block ×4, first 2 shown]
	s_add_u32 s6, s6, s26
	s_addc_u32 s11, 0, s27
	s_add_u32 s6, s6, s7
	s_addc_u32 s7, s11, 0
	;; [unrolled: 2-line block ×3, first 2 shown]
	v_cmp_le_u64_e32 vcc, s[2:3], v[31:32]
	s_add_u32 s26, s6, s10
	v_mov_b32_e32 v2, s84
	v_mov_b32_e32 v4, s76
	;; [unrolled: 1-line block ×3, first 2 shown]
	s_addc_u32 s27, s7, 0
	v_mov_b32_e32 v8, s26
	v_add_u32_e32 v27, s1, v27
	v_mov_b32_e32 v3, s85
	v_mov_b32_e32 v5, s77
	;; [unrolled: 1-line block ×3, first 2 shown]
	s_or_b64 s[80:81], vcc, s[80:81]
	v_mov_b32_e32 v9, s27
	s_andn2_b64 exec, exec, s[80:81]
	s_cbranch_execnz .LBB127_98
; %bb.99:                               ;   in Loop: Header=BB127_45 Depth=1
	s_or_b64 exec, exec, s[80:81]
	v_readlane_b32 s44, v57, 31
	s_mov_b64 s[80:81], s[64:65]
	s_mov_b64 s[64:65], s[86:87]
	s_mov_b64 s[84:85], s[90:91]
	s_mov_b64 s[86:87], s[88:89]
	s_mov_b64 s[88:89], s[66:67]
	s_mov_b32 s66, s74
	s_mov_b32 s91, s71
	s_mov_b64 s[94:95], s[62:63]
	s_mov_b64 s[62:63], s[4:5]
	s_mov_b32 s4, s70
	s_mov_b32 s67, s82
	;; [unrolled: 1-line block ×4, first 2 shown]
	s_mov_b64 s[50:51], s[58:59]
	s_mov_b64 s[48:49], s[78:79]
	v_readlane_b32 s45, v57, 32
	s_mov_b32 s5, s55
.LBB127_100:                            ;   in Loop: Header=BB127_45 Depth=1
	s_or_b64 exec, exec, s[92:93]
	v_mov_b32_e32 v27, s3
	v_add_co_u32_e32 v31, vcc, s2, v0
	s_and_b32 s74, s0, 0x7fffffff
	v_addc_co_u32_e32 v32, vcc, 0, v27, vcc
	v_cmp_gt_u64_e32 vcc, s[74:75], v[31:32]
	s_and_saveexec_b64 s[0:1], vcc
	s_cbranch_execz .LBB127_104
; %bb.101:                              ;   in Loop: Header=BB127_45 Depth=1
	v_lshl_add_u32 v27, s8, 4, v12
	s_mov_b64 s[2:3], 0
.LBB127_102:                            ;   Parent Loop BB127_45 Depth=1
                                        ; =>  This Inner Loop Header: Depth=2
	ds_read_b32 v33, v27
	v_add_co_u32_sdwa v31, vcc, v31, v16 dst_sel:DWORD dst_unused:UNUSED_PAD src0_sel:DWORD src1_sel:WORD_0
	v_addc_co_u32_e32 v32, vcc, 0, v32, vcc
	s_waitcnt lgkmcnt(0)
	v_cmp_lt_i32_e64 s[6:7], -1, v33
	v_cndmask_b32_e64 v34, -1, v50, s[6:7]
	v_xor_b32_e32 v34, v34, v33
	v_cmp_o_f32_e64 s[6:7], v33, v33
	v_cndmask_b32_e64 v33, -1, v34, s[6:7]
	v_and_b32_e32 v34, v33, v52
	v_bfe_u32 v33, v33, s60, 2
	v_cmp_eq_u32_e64 s[6:7], v34, v48
	v_cmp_eq_u32_e64 s[10:11], 0, v33
	;; [unrolled: 1-line block ×3, first 2 shown]
	s_and_b64 s[8:9], s[6:7], s[10:11]
	v_cmp_eq_u32_e64 s[14:15], 2, v33
	v_cmp_eq_u32_e64 s[16:17], 3, v33
	v_cndmask_b32_e64 v33, 0, 1, s[8:9]
	s_and_b64 s[8:9], s[6:7], s[12:13]
	v_cndmask_b32_e64 v34, 0, 1, s[8:9]
	s_and_b64 s[8:9], s[6:7], s[14:15]
	s_and_b64 s[6:7], s[6:7], s[16:17]
	v_cndmask_b32_e64 v35, 0, 1, s[8:9]
	v_cndmask_b32_e64 v36, 0, 1, s[6:7]
	v_cmp_le_u64_e32 vcc, s[74:75], v[31:32]
	v_cmp_ne_u32_e64 s[6:7], 0, v33
	v_cmp_ne_u32_e64 s[10:11], 0, v34
	;; [unrolled: 1-line block ×4, first 2 shown]
	s_bcnt1_i32_b64 s6, s[6:7]
	s_bcnt1_i32_b64 s7, s[10:11]
	;; [unrolled: 1-line block ×4, first 2 shown]
	s_or_b64 s[2:3], vcc, s[2:3]
	v_add_co_u32_e32 v2, vcc, s6, v2
	v_addc_co_u32_e32 v3, vcc, 0, v3, vcc
	v_add_co_u32_e32 v4, vcc, s7, v4
	v_addc_co_u32_e32 v5, vcc, 0, v5, vcc
	;; [unrolled: 2-line block ×3, first 2 shown]
	v_add_co_u32_e32 v8, vcc, s9, v8
	v_add_u32_e32 v27, s61, v27
	v_addc_co_u32_e32 v9, vcc, 0, v9, vcc
	s_andn2_b64 exec, exec, s[2:3]
	s_cbranch_execnz .LBB127_102
; %bb.103:                              ;   in Loop: Header=BB127_45 Depth=1
	s_or_b64 exec, exec, s[2:3]
.LBB127_104:                            ;   in Loop: Header=BB127_45 Depth=1
	s_or_b64 exec, exec, s[0:1]
	s_lshl_b32 s2, s5, 6
	s_and_saveexec_b64 s[0:1], s[80:81]
	s_cbranch_execnz .LBB127_75
	s_branch .LBB127_76
.LBB127_105:                            ;   in Loop: Header=BB127_45 Depth=1
                                        ; implicit-def: $sgpr2_sgpr3
	s_branch .LBB127_84
.LBB127_106:                            ;   in Loop: Header=BB127_45 Depth=1
	v_mov_b32_e32 v2, 0
	v_mov_b32_e32 v3, 0
	s_mov_b32 s3, 0
.LBB127_107:                            ;   in Loop: Header=BB127_45 Depth=1
	v_readlane_b32 s6, v57, 23
	v_readlane_b32 s7, v57, 24
	s_andn2_b64 vcc, exec, s[6:7]
	s_cbranch_vccnz .LBB127_110
; %bb.108:                              ;   in Loop: Header=BB127_45 Depth=1
	s_lshl_b32 s6, s5, 9
	s_lshl_b32 s3, s3, 5
	s_add_i32 s6, s6, s3
	v_add_u32_e32 v4, s6, v49
	v_readlane_b32 s3, v57, 22
.LBB127_109:                            ;   Parent Loop BB127_45 Depth=1
                                        ; =>  This Inner Loop Header: Depth=2
	ds_read_b64 v[5:6], v4
	s_add_i32 s3, s3, -1
	v_add_u32_e32 v4, 32, v4
	s_cmp_lg_u32 s3, 0
	s_waitcnt lgkmcnt(0)
	v_add_co_u32_e32 v2, vcc, v5, v2
	v_addc_co_u32_e32 v3, vcc, v6, v3, vcc
	s_cbranch_scc1 .LBB127_109
.LBB127_110:                            ;   in Loop: Header=BB127_45 Depth=1
	v_add_lshl_u32 v4, s2, v41, 3
	ds_write_b64 v4, v[2:3] offset:3072
.LBB127_111:                            ;   in Loop: Header=BB127_45 Depth=1
	s_or_b64 exec, exec, s[0:1]
	s_lshl_b32 s0, s2, 3
	v_mov_b32_e32 v2, s0
	s_waitcnt lgkmcnt(0)
	s_barrier
	ds_read_b128 v[6:9], v2 offset:3088
	ds_read_b128 v[2:5], v2 offset:3072
	v_cmp_eq_u64_e64 s[6:7], 1, v[29:30]
	s_lshl_b32 s76, 3, s60
	s_not_b32 s46, s76
	s_waitcnt lgkmcnt(1)
	v_readfirstlane_b32 s18, v6
	s_waitcnt lgkmcnt(0)
	v_cmp_eq_u64_e32 vcc, 1, v[2:3]
	v_readfirstlane_b32 s19, v7
	v_readfirstlane_b32 s10, v8
	;; [unrolled: 1-line block ×3, first 2 shown]
	s_and_b64 s[6:7], vcc, s[6:7]
	s_mov_b64 s[0:1], -1
	s_mov_b64 s[14:15], -1
                                        ; implicit-def: $sgpr8_sgpr9
                                        ; implicit-def: $sgpr2_sgpr3
	s_and_saveexec_b64 s[12:13], s[6:7]
	s_cbranch_execz .LBB127_145
; %bb.112:                              ;   in Loop: Header=BB127_45 Depth=1
	ds_read_b64 v[6:7], v17 offset:5120
	s_waitcnt lgkmcnt(0)
	s_barrier
	v_readfirstlane_b32 s16, v6
	v_readfirstlane_b32 s17, v7
	s_and_saveexec_b64 s[2:3], s[86:87]
; %bb.113:                              ;   in Loop: Header=BB127_45 Depth=1
	ds_write_b32 v42, v17
; %bb.114:                              ;   in Loop: Header=BB127_45 Depth=1
	s_or_b64 exec, exec, s[2:3]
	v_and_b32_e32 v48, s46, v48
	v_or_b32_e32 v52, s76, v52
	s_mov_b64 s[2:3], -1
	s_mov_b64 s[8:9], 0
	s_cmp_eq_u64 s[16:17], 0
	s_mov_b64 s[14:15], 0
	s_mov_b64 s[20:21], -1
	s_waitcnt lgkmcnt(0)
	s_barrier
                                        ; implicit-def: $vgpr28
	s_cbranch_scc1 .LBB127_129
; %bb.115:                              ;   in Loop: Header=BB127_45 Depth=1
	v_readlane_b32 s14, v57, 18
	s_add_u32 s24, s16, s14
	v_readlane_b32 s14, v57, 19
	s_addc_u32 s15, s17, s14
	s_mov_b32 s14, s75
	s_cmp_lg_u64 s[14:15], 0
	s_cbranch_scc0 .LBB127_172
; %bb.116:                              ;   in Loop: Header=BB127_45 Depth=1
	v_cvt_f32_u32_e32 v6, s33
	s_sub_u32 s14, 0, s33
	s_subb_u32 s22, 0, 0
	v_mac_f32_e32 v6, 0, v51
	v_rcp_f32_e32 v6, v6
	v_mul_f32_e32 v6, 0x5f7ffffc, v6
	v_mul_f32_e32 v7, 0x2f800000, v6
	v_trunc_f32_e32 v7, v7
	v_mac_f32_e32 v6, 0xcf800000, v7
	v_cvt_u32_f32_e32 v7, v7
	v_cvt_u32_f32_e32 v6, v6
	v_readfirstlane_b32 s23, v7
	v_readfirstlane_b32 s20, v6
	s_mul_i32 s21, s14, s23
	s_mul_hi_u32 s26, s14, s20
	s_mul_i32 s25, s22, s20
	s_add_i32 s21, s26, s21
	s_mul_i32 s27, s14, s20
	s_add_i32 s21, s21, s25
	s_mul_hi_u32 s26, s20, s27
	s_mul_i32 s28, s20, s21
	s_mul_hi_u32 s25, s20, s21
	s_add_u32 s26, s26, s28
	s_addc_u32 s25, 0, s25
	s_mul_hi_u32 s29, s23, s27
	s_mul_i32 s27, s23, s27
	s_add_u32 s26, s26, s27
	s_mul_hi_u32 s28, s23, s21
	s_addc_u32 s25, s25, s29
	s_addc_u32 s26, s28, 0
	s_mul_i32 s21, s23, s21
	s_add_u32 s21, s25, s21
	s_addc_u32 s25, 0, s26
	s_add_u32 s26, s20, s21
	s_cselect_b64 s[20:21], -1, 0
	s_cmp_lg_u64 s[20:21], 0
	s_addc_u32 s23, s23, s25
	s_mul_i32 s20, s14, s23
	s_mul_hi_u32 s21, s14, s26
	s_add_i32 s20, s21, s20
	s_mul_i32 s22, s22, s26
	s_add_i32 s20, s20, s22
	s_mul_i32 s14, s14, s26
	s_mul_hi_u32 s22, s23, s14
	s_mul_i32 s25, s23, s14
	s_mul_i32 s28, s26, s20
	s_mul_hi_u32 s14, s26, s14
	s_mul_hi_u32 s27, s26, s20
	s_add_u32 s14, s14, s28
	s_addc_u32 s27, 0, s27
	s_add_u32 s14, s14, s25
	s_mul_hi_u32 s21, s23, s20
	s_addc_u32 s14, s27, s22
	s_addc_u32 s21, s21, 0
	s_mul_i32 s20, s23, s20
	s_add_u32 s14, s14, s20
	s_addc_u32 s22, 0, s21
	s_add_u32 s14, s26, s14
	s_cselect_b64 s[20:21], -1, 0
	s_cmp_lg_u64 s[20:21], 0
	s_addc_u32 s20, s23, s22
	s_mul_i32 s22, s24, s20
	s_mul_hi_u32 s23, s24, s14
	s_mul_hi_u32 s21, s24, s20
	s_add_u32 s22, s23, s22
	s_addc_u32 s21, 0, s21
	s_mul_hi_u32 s25, s15, s14
	s_mul_i32 s14, s15, s14
	s_add_u32 s14, s22, s14
	s_mul_hi_u32 s23, s15, s20
	s_addc_u32 s14, s21, s25
	s_addc_u32 s21, s23, 0
	s_mul_i32 s20, s15, s20
	s_add_u32 s14, s14, s20
	s_addc_u32 s20, 0, s21
	s_mul_i32 s20, s33, s20
	s_mul_hi_u32 s21, s33, s14
	s_add_i32 s22, s21, s20
	s_mul_i32 s14, s33, s14
	s_sub_u32 s14, s24, s14
	s_cselect_b64 s[20:21], -1, 0
	s_cmp_lg_u64 s[20:21], 0
	s_subb_u32 s22, s15, s22
	s_sub_u32 s23, s14, s33
	s_cselect_b64 s[20:21], -1, 0
	s_cmp_lg_u64 s[20:21], 0
	s_subb_u32 s25, s22, 0
	s_sub_u32 s26, s23, s33
	s_cselect_b64 s[20:21], -1, 0
	s_cmp_lg_u64 s[20:21], 0
	s_subb_u32 s20, s25, 0
	s_cmp_ge_u32 s23, s33
	s_cselect_b32 s21, -1, 0
	s_cmp_eq_u32 s25, 0
	s_cselect_b32 s21, s21, -1
	s_cmp_lg_u32 s21, 0
	s_cselect_b32 s20, s20, s25
	s_cselect_b32 s23, s26, s23
	s_cmp_ge_u32 s14, s33
	s_cselect_b32 s21, -1, 0
	s_cmp_eq_u32 s22, 0
	s_cselect_b32 s21, s21, -1
	s_cmp_lg_u32 s21, 0
	s_cselect_b32 s21, s20, s22
	s_cselect_b32 s20, s23, s14
	s_cbranch_execnz .LBB127_118
.LBB127_117:                            ;   in Loop: Header=BB127_45 Depth=1
	v_cvt_f32_u32_e32 v6, s33
	s_sub_i32 s14, 0, s33
	v_rcp_iflag_f32_e32 v6, v6
	v_mul_f32_e32 v6, 0x4f7ffffe, v6
	v_cvt_u32_f32_e32 v6, v6
	v_readfirstlane_b32 s20, v6
	s_mul_i32 s14, s14, s20
	s_mul_hi_u32 s14, s20, s14
	s_add_i32 s20, s20, s14
	s_mul_hi_u32 s14, s24, s20
	s_mul_i32 s14, s14, s33
	s_sub_i32 s14, s24, s14
	s_sub_i32 s20, s14, s33
	s_cmp_ge_u32 s14, s33
	s_cselect_b32 s14, s20, s14
	s_sub_i32 s20, s14, s33
	s_cmp_ge_u32 s14, s33
	s_cselect_b32 s74, s20, s14
	s_mov_b64 s[20:21], s[74:75]
.LBB127_118:                            ;   in Loop: Header=BB127_45 Depth=1
	s_sub_u32 s24, s24, s20
	s_subb_u32 s25, s15, s21
	v_cmp_gt_u64_e32 vcc, s[24:25], v[0:1]
	s_mov_b64 s[20:21], 0
	s_mov_b64 s[14:15], 0
                                        ; implicit-def: $vgpr28
	s_and_saveexec_b64 s[22:23], vcc
	s_cbranch_execz .LBB127_128
; %bb.119:                              ;   in Loop: Header=BB127_45 Depth=1
	v_mov_b32_e32 v7, v1
	v_mov_b32_e32 v8, v12
	;; [unrolled: 1-line block ×3, first 2 shown]
                                        ; implicit-def: $sgpr26_sgpr27
	s_branch .LBB127_123
.LBB127_120:                            ;   in Loop: Header=BB127_123 Depth=2
	s_or_b64 exec, exec, s[28:29]
	s_waitcnt lgkmcnt(0)
	s_barrier
	ds_read_b64 v[27:28], v17 offset:3072
	s_waitcnt lgkmcnt(0)
	s_barrier
	v_cmp_neq_f32_e32 vcc, 0, v27
	s_cbranch_vccnz .LBB127_126
; %bb.121:                              ;   in Loop: Header=BB127_123 Depth=2
	v_add_co_u32_e32 v6, vcc, s33, v6
	v_addc_co_u32_e32 v7, vcc, 0, v7, vcc
	v_cmp_le_u64_e32 vcc, s[24:25], v[6:7]
	v_add_u32_e32 v8, s4, v8
	s_mov_b64 s[28:29], 0
	s_orn2_b64 s[30:31], vcc, exec
.LBB127_122:                            ;   in Loop: Header=BB127_123 Depth=2
	s_and_b64 s[30:31], exec, s[30:31]
	s_or_b64 s[14:15], s[30:31], s[14:15]
	s_andn2_b64 s[26:27], s[26:27], exec
	s_and_b64 s[28:29], s[28:29], exec
	s_or_b64 s[26:27], s[26:27], s[28:29]
	s_andn2_b64 exec, exec, s[14:15]
	s_cbranch_execz .LBB127_127
.LBB127_123:                            ;   Parent Loop BB127_45 Depth=1
                                        ; =>  This Inner Loop Header: Depth=2
	v_cmp_gt_u64_e32 vcc, s[16:17], v[6:7]
	s_and_saveexec_b64 s[28:29], vcc
	s_cbranch_execz .LBB127_120
; %bb.124:                              ;   in Loop: Header=BB127_123 Depth=2
	ds_read_b32 v27, v8
	s_waitcnt lgkmcnt(0)
	v_cmp_lt_i32_e32 vcc, -1, v27
	v_cndmask_b32_e32 v9, -1, v50, vcc
	v_xor_b32_e32 v9, v9, v27
	v_cmp_o_f32_e32 vcc, v27, v27
	v_cndmask_b32_e32 v9, -1, v9, vcc
	v_and_b32_e32 v9, v9, v52
	v_cmp_eq_u32_e32 vcc, v9, v48
	s_and_b64 exec, exec, vcc
	s_cbranch_execz .LBB127_120
; %bb.125:                              ;   in Loop: Header=BB127_123 Depth=2
	ds_write_b64 v17, v[26:27] offset:3072
	s_branch .LBB127_120
.LBB127_126:                            ;   in Loop: Header=BB127_123 Depth=2
	s_mov_b64 s[30:31], -1
                                        ; implicit-def: $vgpr6_vgpr7
                                        ; implicit-def: $vgpr8
	s_mov_b64 s[28:29], -1
	s_branch .LBB127_122
.LBB127_127:                            ;   in Loop: Header=BB127_45 Depth=1
	s_or_b64 exec, exec, s[14:15]
	s_and_b64 s[14:15], s[26:27], exec
.LBB127_128:                            ;   in Loop: Header=BB127_45 Depth=1
	s_or_b64 exec, exec, s[22:23]
.LBB127_129:                            ;   in Loop: Header=BB127_45 Depth=1
	s_and_b64 vcc, exec, s[20:21]
	s_cbranch_vccz .LBB127_144
; %bb.130:                              ;   in Loop: Header=BB127_45 Depth=1
	s_mov_b32 s90, s75
	s_cmp_lg_u64 s[90:91], 0
	s_cbranch_scc0 .LBB127_176
; %bb.131:                              ;   in Loop: Header=BB127_45 Depth=1
	v_cvt_f32_u32_e32 v6, s33
	s_sub_u32 s8, 0, s33
	s_subb_u32 s9, 0, 0
	v_mac_f32_e32 v6, 0, v51
	v_rcp_f32_e32 v6, v6
	v_mul_f32_e32 v6, 0x5f7ffffc, v6
	v_mul_f32_e32 v7, 0x2f800000, v6
	v_trunc_f32_e32 v7, v7
	v_mac_f32_e32 v6, 0xcf800000, v7
	v_cvt_u32_f32_e32 v7, v7
	v_cvt_u32_f32_e32 v6, v6
	v_readfirstlane_b32 s16, v7
	v_readfirstlane_b32 s2, v6
	s_mul_i32 s3, s8, s16
	s_mul_hi_u32 s20, s8, s2
	s_mul_i32 s17, s9, s2
	s_add_i32 s3, s20, s3
	s_mul_i32 s21, s8, s2
	s_add_i32 s3, s3, s17
	s_mul_hi_u32 s20, s2, s21
	s_mul_i32 s22, s2, s3
	s_mul_hi_u32 s17, s2, s3
	s_add_u32 s20, s20, s22
	s_addc_u32 s17, 0, s17
	s_mul_hi_u32 s23, s16, s21
	s_mul_i32 s21, s16, s21
	s_add_u32 s20, s20, s21
	s_mul_hi_u32 s22, s16, s3
	s_addc_u32 s17, s17, s23
	s_addc_u32 s20, s22, 0
	s_mul_i32 s3, s16, s3
	s_add_u32 s3, s17, s3
	s_addc_u32 s17, 0, s20
	s_add_u32 s20, s2, s3
	s_cselect_b64 s[2:3], -1, 0
	s_cmp_lg_u64 s[2:3], 0
	s_addc_u32 s16, s16, s17
	s_mul_i32 s2, s8, s16
	s_mul_hi_u32 s3, s8, s20
	s_add_i32 s2, s3, s2
	s_mul_i32 s9, s9, s20
	s_add_i32 s2, s2, s9
	s_mul_i32 s8, s8, s20
	s_mul_hi_u32 s9, s16, s8
	s_mul_i32 s17, s16, s8
	s_mul_i32 s22, s20, s2
	s_mul_hi_u32 s8, s20, s8
	s_mul_hi_u32 s21, s20, s2
	s_add_u32 s8, s8, s22
	s_addc_u32 s21, 0, s21
	s_add_u32 s8, s8, s17
	s_mul_hi_u32 s3, s16, s2
	s_addc_u32 s8, s21, s9
	s_addc_u32 s3, s3, 0
	s_mul_i32 s2, s16, s2
	s_add_u32 s2, s8, s2
	s_addc_u32 s8, 0, s3
	s_add_u32 s9, s20, s2
	s_cselect_b64 s[2:3], -1, 0
	s_cmp_lg_u64 s[2:3], 0
	s_addc_u32 s2, s16, s8
	s_mul_i32 s8, s66, s2
	s_mul_hi_u32 s16, s66, s9
	s_mul_hi_u32 s3, s66, s2
	s_add_u32 s8, s16, s8
	s_addc_u32 s3, 0, s3
	s_mul_hi_u32 s17, s91, s9
	s_mul_i32 s9, s91, s9
	s_add_u32 s8, s8, s9
	s_mul_hi_u32 s16, s91, s2
	s_addc_u32 s3, s3, s17
	s_addc_u32 s8, s16, 0
	s_mul_i32 s2, s91, s2
	s_add_u32 s2, s3, s2
	s_addc_u32 s3, 0, s8
	s_mul_i32 s3, s33, s3
	s_mul_hi_u32 s8, s33, s2
	s_add_i32 s8, s8, s3
	s_mul_i32 s2, s33, s2
	s_sub_u32 s9, s66, s2
	s_cselect_b64 s[2:3], -1, 0
	s_cmp_lg_u64 s[2:3], 0
	s_subb_u32 s8, s91, s8
	s_sub_u32 s16, s9, s33
	s_cselect_b64 s[2:3], -1, 0
	s_cmp_lg_u64 s[2:3], 0
	s_subb_u32 s17, s8, 0
	;; [unrolled: 4-line block ×3, first 2 shown]
	s_cmp_ge_u32 s16, s33
	s_cselect_b32 s3, -1, 0
	s_cmp_eq_u32 s17, 0
	s_cselect_b32 s3, s3, -1
	s_cmp_lg_u32 s3, 0
	s_cselect_b32 s2, s2, s17
	s_cselect_b32 s16, s20, s16
	s_cmp_ge_u32 s9, s33
	s_cselect_b32 s3, -1, 0
	s_cmp_eq_u32 s8, 0
	s_cselect_b32 s3, s3, -1
	s_cmp_lg_u32 s3, 0
	s_cselect_b32 s3, s2, s8
	s_cselect_b32 s2, s16, s9
	s_cbranch_execnz .LBB127_133
.LBB127_132:                            ;   in Loop: Header=BB127_45 Depth=1
	v_cvt_f32_u32_e32 v6, s33
	s_sub_i32 s2, 0, s33
	v_rcp_iflag_f32_e32 v6, v6
	v_mul_f32_e32 v6, 0x4f7ffffe, v6
	v_cvt_u32_f32_e32 v6, v6
	v_readfirstlane_b32 s3, v6
	s_mul_i32 s2, s2, s3
	s_mul_hi_u32 s2, s3, s2
	s_add_i32 s3, s3, s2
	s_mul_hi_u32 s2, s66, s3
	s_mul_i32 s2, s2, s33
	s_sub_i32 s2, s66, s2
	s_sub_i32 s3, s2, s33
	s_cmp_ge_u32 s2, s33
	s_cselect_b32 s2, s3, s2
	s_sub_i32 s3, s2, s33
	s_cmp_ge_u32 s2, s33
	s_cselect_b32 s74, s3, s2
	s_mov_b64 s[2:3], s[74:75]
.LBB127_133:                            ;   in Loop: Header=BB127_45 Depth=1
	s_sub_u32 s8, s66, s2
	s_subb_u32 s9, s91, s3
	v_cmp_gt_u64_e32 vcc, s[8:9], v[0:1]
                                        ; implicit-def: $vgpr28
	s_and_saveexec_b64 s[2:3], vcc
	s_cbranch_execz .LBB127_143
; %bb.134:                              ;   in Loop: Header=BB127_45 Depth=1
	v_mov_b32_e32 v6, v10
	v_mov_b32_e32 v9, v1
	s_mov_b64 s[16:17], 0
	v_mov_b32_e32 v7, v11
	v_mov_b32_e32 v8, v0
                                        ; implicit-def: $sgpr20_sgpr21
	s_branch .LBB127_138
.LBB127_135:                            ;   in Loop: Header=BB127_138 Depth=2
	s_or_b64 exec, exec, s[22:23]
	s_waitcnt lgkmcnt(0)
	s_barrier
	ds_read_b64 v[27:28], v17 offset:3072
	s_waitcnt lgkmcnt(0)
	s_barrier
	v_cmp_neq_f32_e32 vcc, 0, v27
	s_cbranch_vccnz .LBB127_141
; %bb.136:                              ;   in Loop: Header=BB127_138 Depth=2
	v_add_co_u32_e32 v8, vcc, s33, v8
	v_addc_co_u32_e32 v9, vcc, 0, v9, vcc
	v_mov_b32_e32 v16, s45
	v_add_co_u32_e32 v6, vcc, s44, v6
	v_addc_co_u32_e32 v7, vcc, v7, v16, vcc
	v_cmp_le_u64_e32 vcc, s[8:9], v[8:9]
	s_mov_b64 s[22:23], 0
	s_orn2_b64 s[24:25], vcc, exec
.LBB127_137:                            ;   in Loop: Header=BB127_138 Depth=2
	s_and_b64 s[24:25], exec, s[24:25]
	s_or_b64 s[16:17], s[24:25], s[16:17]
	s_andn2_b64 s[20:21], s[20:21], exec
	s_and_b64 s[22:23], s[22:23], exec
	s_or_b64 s[20:21], s[20:21], s[22:23]
	s_andn2_b64 exec, exec, s[16:17]
	s_cbranch_execz .LBB127_142
.LBB127_138:                            ;   Parent Loop BB127_45 Depth=1
                                        ; =>  This Inner Loop Header: Depth=2
	v_cmp_gt_u64_e32 vcc, s[52:53], v[8:9]
	s_and_saveexec_b64 s[22:23], vcc
	s_cbranch_execz .LBB127_135
; %bb.139:                              ;   in Loop: Header=BB127_138 Depth=2
	global_load_dword v27, v[6:7], off
	s_waitcnt vmcnt(0)
	v_cmp_lt_i32_e32 vcc, -1, v27
	v_cndmask_b32_e32 v16, -1, v50, vcc
	v_xor_b32_e32 v16, v16, v27
	v_cmp_o_f32_e32 vcc, v27, v27
	v_cndmask_b32_e32 v16, -1, v16, vcc
	v_and_b32_e32 v16, v16, v52
	v_cmp_eq_u32_e32 vcc, v16, v48
	s_and_b64 exec, exec, vcc
	s_cbranch_execz .LBB127_135
; %bb.140:                              ;   in Loop: Header=BB127_138 Depth=2
	ds_write_b64 v17, v[26:27] offset:3072
	s_branch .LBB127_135
.LBB127_141:                            ;   in Loop: Header=BB127_138 Depth=2
	s_mov_b64 s[24:25], -1
                                        ; implicit-def: $vgpr8_vgpr9
                                        ; implicit-def: $vgpr6_vgpr7
	s_mov_b64 s[22:23], -1
	s_branch .LBB127_137
.LBB127_142:                            ;   in Loop: Header=BB127_45 Depth=1
	s_or_b64 exec, exec, s[16:17]
	s_andn2_b64 s[8:9], s[14:15], exec
	s_and_b64 s[14:15], s[20:21], exec
	s_or_b64 s[14:15], s[8:9], s[14:15]
.LBB127_143:                            ;   in Loop: Header=BB127_45 Depth=1
	s_or_b64 exec, exec, s[2:3]
	s_mov_b64 s[2:3], 0
	s_mov_b64 s[8:9], -1
.LBB127_144:                            ;   in Loop: Header=BB127_45 Depth=1
	s_orn2_b64 s[14:15], s[14:15], exec
.LBB127_145:                            ;   in Loop: Header=BB127_45 Depth=1
	s_or_b64 exec, exec, s[12:13]
	v_readlane_b32 s12, v57, 33
	v_readlane_b32 s13, v57, 34
	s_andn2_b64 s[12:13], s[12:13], exec
	s_and_b64 s[8:9], s[8:9], exec
	s_or_b64 s[92:93], s[12:13], s[8:9]
	v_readlane_b32 s8, v57, 35
	v_readlane_b32 s78, v57, 37
	;; [unrolled: 1-line block ×4, first 2 shown]
	s_andn2_b64 s[8:9], s[8:9], exec
	s_and_b64 s[2:3], s[2:3], exec
	s_andn2_b64 s[78:79], s[78:79], exec
	s_or_b64 s[82:83], s[8:9], s[2:3]
                                        ; implicit-def: $vgpr6_vgpr7
	s_and_saveexec_b64 s[12:13], s[14:15]
	s_cbranch_execz .LBB127_44
; %bb.146:                              ;   in Loop: Header=BB127_45 Depth=1
	v_mov_b32_e32 v6, 1
	s_xor_b64 s[2:3], s[6:7], -1
	v_mov_b32_e32 v16, 1
	v_mov_b32_e32 v7, 0
	s_mov_b64 s[8:9], 0
	s_and_saveexec_b64 s[0:1], s[2:3]
	s_cbranch_execz .LBB127_155
; %bb.147:                              ;   in Loop: Header=BB127_45 Depth=1
	v_cmp_le_u64_e32 vcc, v[29:30], v[2:3]
	s_and_saveexec_b64 s[2:3], vcc
	s_xor_b64 s[2:3], exec, s[2:3]
	s_cbranch_execz .LBB127_152
; %bb.148:                              ;   in Loop: Header=BB127_45 Depth=1
	ds_read_b64 v[6:7], v17 offset:5120
	v_and_b32_e32 v48, s46, v48
	v_or_b32_e32 v52, s76, v52
	s_waitcnt lgkmcnt(0)
	v_cmp_ne_u64_e32 vcc, 0, v[6:7]
	s_cbranch_vccnz .LBB127_152
; %bb.149:                              ;   in Loop: Header=BB127_45 Depth=1
	s_mov_b64 s[6:7], exec
	v_readlane_b32 s8, v57, 14
	v_readlane_b32 s9, v57, 15
	s_and_b64 s[8:9], s[6:7], s[8:9]
	s_mov_b64 exec, s[8:9]
; %bb.150:                              ;   in Loop: Header=BB127_45 Depth=1
	ds_write_b64 v17, v[2:3] offset:5128
; %bb.151:                              ;   in Loop: Header=BB127_45 Depth=1
	s_or_b64 exec, exec, s[6:7]
	s_waitcnt lgkmcnt(0)
	s_barrier
.LBB127_152:                            ;   in Loop: Header=BB127_45 Depth=1
	s_or_saveexec_b64 s[2:3], s[2:3]
	s_mov_b64 s[6:7], 0
	v_mov_b32_e32 v16, 8
	s_xor_b64 exec, exec, s[2:3]
; %bb.153:                              ;   in Loop: Header=BB127_45 Depth=1
	v_sub_co_u32_e32 v29, vcc, v29, v2
	s_mov_b64 s[6:7], exec
	v_subb_co_u32_e32 v30, vcc, v30, v3, vcc
	v_mov_b32_e32 v16, 0
; %bb.154:                              ;   in Loop: Header=BB127_45 Depth=1
	s_or_b64 exec, exec, s[2:3]
	v_mov_b32_e32 v6, v29
	s_and_b64 s[8:9], s[6:7], exec
	v_mov_b32_e32 v7, v30
.LBB127_155:                            ;   in Loop: Header=BB127_45 Depth=1
	s_or_b64 exec, exec, s[0:1]
	s_mov_b64 s[14:15], -1
	s_mov_b64 s[2:3], -1
                                        ; implicit-def: $sgpr0_sgpr1
                                        ; implicit-def: $sgpr6_sgpr7
	s_and_saveexec_b64 s[16:17], s[8:9]
	s_xor_b64 s[16:17], exec, s[16:17]
	s_cbranch_execz .LBB127_306
; %bb.156:                              ;   in Loop: Header=BB127_45 Depth=1
	v_cmp_eq_u64_e32 vcc, 1, v[4:5]
	v_cmp_eq_u64_e64 s[6:7], 1, v[6:7]
                                        ; implicit-def: $sgpr0_sgpr1
	s_and_b64 s[22:23], vcc, s[6:7]
                                        ; implicit-def: $sgpr6_sgpr7
	s_and_saveexec_b64 s[20:21], s[22:23]
	s_cbranch_execz .LBB127_195
; %bb.157:                              ;   in Loop: Header=BB127_45 Depth=1
	ds_read_b64 v[2:3], v17 offset:5120
	s_waitcnt lgkmcnt(0)
	s_barrier
	v_readfirstlane_b32 s8, v2
	v_readfirstlane_b32 s9, v3
	s_and_saveexec_b64 s[0:1], s[86:87]
; %bb.158:                              ;   in Loop: Header=BB127_45 Depth=1
	ds_write_b32 v42, v17
; %bb.159:                              ;   in Loop: Header=BB127_45 Depth=1
	s_or_b64 exec, exec, s[0:1]
	v_and_b32_e32 v2, s46, v48
	v_lshl_or_b32 v48, 1, s60, v2
	v_or_b32_e32 v52, s76, v52
	s_mov_b64 s[0:1], -1
	s_mov_b64 s[6:7], 0
	s_cmp_eq_u64 s[8:9], 0
	s_mov_b64 s[2:3], 0
	s_mov_b64 s[24:25], -1
	s_waitcnt lgkmcnt(0)
	s_barrier
                                        ; implicit-def: $vgpr28
	s_cbranch_scc1 .LBB127_179
; %bb.160:                              ;   in Loop: Header=BB127_45 Depth=1
	v_readlane_b32 s2, v57, 18
	s_add_u32 s28, s8, s2
	v_readlane_b32 s2, v57, 19
	s_addc_u32 s3, s9, s2
	s_mov_b32 s2, s75
	s_cmp_lg_u64 s[2:3], 0
	s_cbranch_scc0 .LBB127_223
; %bb.161:                              ;   in Loop: Header=BB127_45 Depth=1
	v_cvt_f32_u32_e32 v2, s33
	s_sub_u32 s2, 0, s33
	s_subb_u32 s26, 0, 0
	v_mac_f32_e32 v2, 0, v51
	v_rcp_f32_e32 v2, v2
	v_mul_f32_e32 v2, 0x5f7ffffc, v2
	v_mul_f32_e32 v3, 0x2f800000, v2
	v_trunc_f32_e32 v3, v3
	v_mac_f32_e32 v2, 0xcf800000, v3
	v_cvt_u32_f32_e32 v3, v3
	v_cvt_u32_f32_e32 v2, v2
	v_readfirstlane_b32 s27, v3
	v_readfirstlane_b32 s24, v2
	s_mul_i32 s25, s2, s27
	s_mul_hi_u32 s30, s2, s24
	s_mul_i32 s29, s26, s24
	s_add_i32 s25, s30, s25
	s_mul_i32 s31, s2, s24
	s_add_i32 s25, s25, s29
	s_mul_hi_u32 s30, s24, s31
	s_mul_i32 s34, s24, s25
	s_mul_hi_u32 s29, s24, s25
	s_add_u32 s30, s30, s34
	s_addc_u32 s29, 0, s29
	s_mul_hi_u32 s35, s27, s31
	s_mul_i32 s31, s27, s31
	s_add_u32 s30, s30, s31
	s_mul_hi_u32 s34, s27, s25
	s_addc_u32 s29, s29, s35
	s_addc_u32 s30, s34, 0
	s_mul_i32 s25, s27, s25
	s_add_u32 s25, s29, s25
	s_addc_u32 s29, 0, s30
	s_add_u32 s30, s24, s25
	s_cselect_b64 s[24:25], -1, 0
	s_cmp_lg_u64 s[24:25], 0
	s_addc_u32 s27, s27, s29
	s_mul_i32 s24, s2, s27
	s_mul_hi_u32 s25, s2, s30
	s_add_i32 s24, s25, s24
	s_mul_i32 s26, s26, s30
	s_add_i32 s24, s24, s26
	s_mul_i32 s2, s2, s30
	s_mul_hi_u32 s26, s27, s2
	s_mul_i32 s29, s27, s2
	s_mul_i32 s34, s30, s24
	s_mul_hi_u32 s2, s30, s2
	s_mul_hi_u32 s31, s30, s24
	s_add_u32 s2, s2, s34
	s_addc_u32 s31, 0, s31
	s_add_u32 s2, s2, s29
	s_mul_hi_u32 s25, s27, s24
	s_addc_u32 s2, s31, s26
	s_addc_u32 s25, s25, 0
	s_mul_i32 s24, s27, s24
	s_add_u32 s2, s2, s24
	s_addc_u32 s26, 0, s25
	s_add_u32 s2, s30, s2
	s_cselect_b64 s[24:25], -1, 0
	s_cmp_lg_u64 s[24:25], 0
	s_addc_u32 s24, s27, s26
	s_mul_i32 s26, s28, s24
	s_mul_hi_u32 s27, s28, s2
	s_mul_hi_u32 s25, s28, s24
	s_add_u32 s26, s27, s26
	s_addc_u32 s25, 0, s25
	s_mul_hi_u32 s29, s3, s2
	s_mul_i32 s2, s3, s2
	s_add_u32 s2, s26, s2
	s_mul_hi_u32 s27, s3, s24
	s_addc_u32 s2, s25, s29
	s_addc_u32 s25, s27, 0
	s_mul_i32 s24, s3, s24
	s_add_u32 s2, s2, s24
	s_addc_u32 s24, 0, s25
	s_mul_i32 s24, s33, s24
	s_mul_hi_u32 s25, s33, s2
	s_add_i32 s26, s25, s24
	s_mul_i32 s2, s33, s2
	s_sub_u32 s2, s28, s2
	s_cselect_b64 s[24:25], -1, 0
	s_cmp_lg_u64 s[24:25], 0
	s_subb_u32 s26, s3, s26
	s_sub_u32 s27, s2, s33
	s_cselect_b64 s[24:25], -1, 0
	s_cmp_lg_u64 s[24:25], 0
	s_subb_u32 s29, s26, 0
	;; [unrolled: 4-line block ×3, first 2 shown]
	s_cmp_ge_u32 s27, s33
	s_cselect_b32 s25, -1, 0
	s_cmp_eq_u32 s29, 0
	s_cselect_b32 s25, s25, -1
	s_cmp_lg_u32 s25, 0
	s_cselect_b32 s24, s24, s29
	s_cselect_b32 s27, s30, s27
	s_cmp_ge_u32 s2, s33
	s_cselect_b32 s25, -1, 0
	s_cmp_eq_u32 s26, 0
	s_cselect_b32 s25, s25, -1
	s_cmp_lg_u32 s25, 0
	s_cselect_b32 s25, s24, s26
	s_cselect_b32 s24, s27, s2
	s_cbranch_execnz .LBB127_163
.LBB127_162:                            ;   in Loop: Header=BB127_45 Depth=1
	v_cvt_f32_u32_e32 v2, s33
	s_sub_i32 s2, 0, s33
	v_rcp_iflag_f32_e32 v2, v2
	v_mul_f32_e32 v2, 0x4f7ffffe, v2
	v_cvt_u32_f32_e32 v2, v2
	v_readfirstlane_b32 s24, v2
	s_mul_i32 s2, s2, s24
	s_mul_hi_u32 s2, s24, s2
	s_add_i32 s24, s24, s2
	s_mul_hi_u32 s2, s28, s24
	s_mul_i32 s2, s2, s33
	s_sub_i32 s2, s28, s2
	s_sub_i32 s24, s2, s33
	s_cmp_ge_u32 s2, s33
	s_cselect_b32 s2, s24, s2
	s_sub_i32 s24, s2, s33
	s_cmp_ge_u32 s2, s33
	s_cselect_b32 s74, s24, s2
	s_mov_b64 s[24:25], s[74:75]
.LBB127_163:                            ;   in Loop: Header=BB127_45 Depth=1
	s_sub_u32 s28, s28, s24
	s_subb_u32 s29, s3, s25
	v_cmp_gt_u64_e32 vcc, s[28:29], v[0:1]
	s_mov_b64 s[24:25], 0
	s_mov_b64 s[2:3], 0
                                        ; implicit-def: $vgpr28
	s_and_saveexec_b64 s[26:27], vcc
	s_cbranch_execz .LBB127_178
; %bb.164:                              ;   in Loop: Header=BB127_45 Depth=1
	v_mov_b32_e32 v3, v1
	v_mov_b32_e32 v8, v12
	;; [unrolled: 1-line block ×3, first 2 shown]
                                        ; implicit-def: $sgpr30_sgpr31
	s_branch .LBB127_168
.LBB127_165:                            ;   in Loop: Header=BB127_168 Depth=2
	s_or_b64 exec, exec, s[34:35]
	s_waitcnt lgkmcnt(0)
	s_barrier
	ds_read_b64 v[27:28], v17 offset:3072
	s_waitcnt lgkmcnt(0)
	s_barrier
	v_cmp_neq_f32_e32 vcc, 0, v27
	s_cbranch_vccnz .LBB127_171
; %bb.166:                              ;   in Loop: Header=BB127_168 Depth=2
	v_add_co_u32_e32 v2, vcc, s33, v2
	v_addc_co_u32_e32 v3, vcc, 0, v3, vcc
	v_cmp_le_u64_e32 vcc, s[28:29], v[2:3]
	v_add_u32_e32 v8, s4, v8
	s_mov_b64 s[34:35], 0
	s_orn2_b64 s[36:37], vcc, exec
.LBB127_167:                            ;   in Loop: Header=BB127_168 Depth=2
	s_and_b64 s[36:37], exec, s[36:37]
	s_or_b64 s[2:3], s[36:37], s[2:3]
	s_andn2_b64 s[30:31], s[30:31], exec
	s_and_b64 s[34:35], s[34:35], exec
	s_or_b64 s[30:31], s[30:31], s[34:35]
	s_andn2_b64 exec, exec, s[2:3]
	s_cbranch_execz .LBB127_177
.LBB127_168:                            ;   Parent Loop BB127_45 Depth=1
                                        ; =>  This Inner Loop Header: Depth=2
	v_cmp_gt_u64_e32 vcc, s[8:9], v[2:3]
	s_and_saveexec_b64 s[34:35], vcc
	s_cbranch_execz .LBB127_165
; %bb.169:                              ;   in Loop: Header=BB127_168 Depth=2
	ds_read_b32 v27, v8
	s_waitcnt lgkmcnt(0)
	v_cmp_lt_i32_e32 vcc, -1, v27
	v_cndmask_b32_e32 v9, -1, v50, vcc
	v_xor_b32_e32 v9, v9, v27
	v_cmp_o_f32_e32 vcc, v27, v27
	v_cndmask_b32_e32 v9, -1, v9, vcc
	v_and_b32_e32 v9, v9, v52
	v_cmp_eq_u32_e32 vcc, v9, v48
	s_and_b64 exec, exec, vcc
	s_cbranch_execz .LBB127_165
; %bb.170:                              ;   in Loop: Header=BB127_168 Depth=2
	ds_write_b64 v17, v[26:27] offset:3072
	s_branch .LBB127_165
.LBB127_171:                            ;   in Loop: Header=BB127_168 Depth=2
	s_mov_b64 s[36:37], -1
                                        ; implicit-def: $vgpr2_vgpr3
                                        ; implicit-def: $vgpr8
	s_mov_b64 s[34:35], -1
	s_branch .LBB127_167
.LBB127_172:                            ;   in Loop: Header=BB127_45 Depth=1
                                        ; implicit-def: $sgpr20_sgpr21
	s_branch .LBB127_117
.LBB127_173:                            ;   in Loop: Header=BB127_45 Depth=1
	s_or_b64 exec, exec, s[2:3]
	s_waitcnt lgkmcnt(0)
	s_barrier
	s_mov_b64 s[2:3], exec
	v_readlane_b32 s6, v57, 14
	v_readlane_b32 s7, v57, 15
	s_and_b64 s[6:7], s[2:3], s[6:7]
	s_mov_b64 exec, s[6:7]
	s_cbranch_execz .LBB127_175
; %bb.174:                              ;   in Loop: Header=BB127_45 Depth=1
	ds_read_b32 v2, v17 offset:5144
	s_waitcnt lgkmcnt(0)
	v_ashrrev_i32_e32 v3, 31, v2
	ds_write_b64 v17, v[2:3] offset:5120
.LBB127_175:                            ;   in Loop: Header=BB127_45 Depth=1
	s_or_b64 exec, exec, s[2:3]
	s_waitcnt lgkmcnt(0)
	s_barrier
	s_mov_b64 s[2:3], -1
	s_and_b64 vcc, exec, s[0:1]
	s_cbranch_vccnz .LBB127_61
	s_branch .LBB127_70
.LBB127_176:                            ;   in Loop: Header=BB127_45 Depth=1
                                        ; implicit-def: $sgpr2_sgpr3
	s_branch .LBB127_132
.LBB127_177:                            ;   in Loop: Header=BB127_45 Depth=1
	s_or_b64 exec, exec, s[2:3]
	s_and_b64 s[2:3], s[30:31], exec
.LBB127_178:                            ;   in Loop: Header=BB127_45 Depth=1
	s_or_b64 exec, exec, s[26:27]
.LBB127_179:                            ;   in Loop: Header=BB127_45 Depth=1
	s_and_b64 vcc, exec, s[24:25]
	s_cbranch_vccz .LBB127_194
; %bb.180:                              ;   in Loop: Header=BB127_45 Depth=1
	s_mov_b32 s90, s75
	s_cmp_lg_u64 s[90:91], 0
	s_cbranch_scc0 .LBB127_224
; %bb.181:                              ;   in Loop: Header=BB127_45 Depth=1
	v_cvt_f32_u32_e32 v2, s33
	s_sub_u32 s6, 0, s33
	s_subb_u32 s7, 0, 0
	v_mac_f32_e32 v2, 0, v51
	v_rcp_f32_e32 v2, v2
	v_mul_f32_e32 v2, 0x5f7ffffc, v2
	v_mul_f32_e32 v3, 0x2f800000, v2
	v_trunc_f32_e32 v3, v3
	v_mac_f32_e32 v2, 0xcf800000, v3
	v_cvt_u32_f32_e32 v3, v3
	v_cvt_u32_f32_e32 v2, v2
	v_readfirstlane_b32 s8, v3
	v_readfirstlane_b32 s0, v2
	s_mul_i32 s1, s6, s8
	s_mul_hi_u32 s24, s6, s0
	s_mul_i32 s9, s7, s0
	s_add_i32 s1, s24, s1
	s_mul_i32 s25, s6, s0
	s_add_i32 s1, s1, s9
	s_mul_hi_u32 s24, s0, s25
	s_mul_i32 s26, s0, s1
	s_mul_hi_u32 s9, s0, s1
	s_add_u32 s24, s24, s26
	s_addc_u32 s9, 0, s9
	s_mul_hi_u32 s27, s8, s25
	s_mul_i32 s25, s8, s25
	s_add_u32 s24, s24, s25
	s_mul_hi_u32 s26, s8, s1
	s_addc_u32 s9, s9, s27
	s_addc_u32 s24, s26, 0
	s_mul_i32 s1, s8, s1
	s_add_u32 s1, s9, s1
	s_addc_u32 s9, 0, s24
	s_add_u32 s24, s0, s1
	s_cselect_b64 s[0:1], -1, 0
	s_cmp_lg_u64 s[0:1], 0
	s_addc_u32 s8, s8, s9
	s_mul_i32 s0, s6, s8
	s_mul_hi_u32 s1, s6, s24
	s_add_i32 s0, s1, s0
	s_mul_i32 s7, s7, s24
	s_add_i32 s0, s0, s7
	s_mul_i32 s6, s6, s24
	s_mul_hi_u32 s7, s8, s6
	s_mul_i32 s9, s8, s6
	s_mul_i32 s26, s24, s0
	s_mul_hi_u32 s6, s24, s6
	s_mul_hi_u32 s25, s24, s0
	s_add_u32 s6, s6, s26
	s_addc_u32 s25, 0, s25
	s_add_u32 s6, s6, s9
	s_mul_hi_u32 s1, s8, s0
	s_addc_u32 s6, s25, s7
	s_addc_u32 s1, s1, 0
	s_mul_i32 s0, s8, s0
	s_add_u32 s0, s6, s0
	s_addc_u32 s6, 0, s1
	s_add_u32 s7, s24, s0
	s_cselect_b64 s[0:1], -1, 0
	s_cmp_lg_u64 s[0:1], 0
	s_addc_u32 s0, s8, s6
	s_mul_i32 s6, s66, s0
	s_mul_hi_u32 s8, s66, s7
	s_mul_hi_u32 s1, s66, s0
	s_add_u32 s6, s8, s6
	s_addc_u32 s1, 0, s1
	s_mul_hi_u32 s9, s91, s7
	s_mul_i32 s7, s91, s7
	s_add_u32 s6, s6, s7
	s_mul_hi_u32 s8, s91, s0
	s_addc_u32 s1, s1, s9
	s_addc_u32 s6, s8, 0
	s_mul_i32 s0, s91, s0
	s_add_u32 s0, s1, s0
	s_addc_u32 s1, 0, s6
	s_mul_i32 s1, s33, s1
	s_mul_hi_u32 s6, s33, s0
	s_add_i32 s6, s6, s1
	s_mul_i32 s0, s33, s0
	s_sub_u32 s7, s66, s0
	s_cselect_b64 s[0:1], -1, 0
	s_cmp_lg_u64 s[0:1], 0
	s_subb_u32 s6, s91, s6
	s_sub_u32 s8, s7, s33
	s_cselect_b64 s[0:1], -1, 0
	s_cmp_lg_u64 s[0:1], 0
	s_subb_u32 s9, s6, 0
	;; [unrolled: 4-line block ×3, first 2 shown]
	s_cmp_ge_u32 s8, s33
	s_cselect_b32 s1, -1, 0
	s_cmp_eq_u32 s9, 0
	s_cselect_b32 s1, s1, -1
	s_cmp_lg_u32 s1, 0
	s_cselect_b32 s0, s0, s9
	s_cselect_b32 s8, s24, s8
	s_cmp_ge_u32 s7, s33
	s_cselect_b32 s1, -1, 0
	s_cmp_eq_u32 s6, 0
	s_cselect_b32 s1, s1, -1
	s_cmp_lg_u32 s1, 0
	s_cselect_b32 s1, s0, s6
	s_cselect_b32 s0, s8, s7
	s_cbranch_execnz .LBB127_183
.LBB127_182:                            ;   in Loop: Header=BB127_45 Depth=1
	v_cvt_f32_u32_e32 v2, s33
	s_sub_i32 s0, 0, s33
	v_rcp_iflag_f32_e32 v2, v2
	v_mul_f32_e32 v2, 0x4f7ffffe, v2
	v_cvt_u32_f32_e32 v2, v2
	v_readfirstlane_b32 s1, v2
	s_mul_i32 s0, s0, s1
	s_mul_hi_u32 s0, s1, s0
	s_add_i32 s1, s1, s0
	s_mul_hi_u32 s0, s66, s1
	s_mul_i32 s0, s0, s33
	s_sub_i32 s0, s66, s0
	s_sub_i32 s1, s0, s33
	s_cmp_ge_u32 s0, s33
	s_cselect_b32 s0, s1, s0
	s_sub_i32 s1, s0, s33
	s_cmp_ge_u32 s0, s33
	s_cselect_b32 s74, s1, s0
	s_mov_b64 s[0:1], s[74:75]
.LBB127_183:                            ;   in Loop: Header=BB127_45 Depth=1
	s_sub_u32 s6, s66, s0
	s_subb_u32 s7, s91, s1
	v_cmp_gt_u64_e32 vcc, s[6:7], v[0:1]
                                        ; implicit-def: $vgpr28
	s_and_saveexec_b64 s[0:1], vcc
	s_cbranch_execz .LBB127_193
; %bb.184:                              ;   in Loop: Header=BB127_45 Depth=1
	v_mov_b32_e32 v2, v10
	v_mov_b32_e32 v9, v1
	s_mov_b64 s[8:9], 0
	v_mov_b32_e32 v3, v11
	v_mov_b32_e32 v8, v0
                                        ; implicit-def: $sgpr24_sgpr25
	s_branch .LBB127_188
.LBB127_185:                            ;   in Loop: Header=BB127_188 Depth=2
	s_or_b64 exec, exec, s[26:27]
	s_waitcnt lgkmcnt(0)
	s_barrier
	ds_read_b64 v[27:28], v17 offset:3072
	s_waitcnt lgkmcnt(0)
	s_barrier
	v_cmp_eq_f32_e32 vcc, 0, v27
	s_cbranch_vccz .LBB127_191
; %bb.186:                              ;   in Loop: Header=BB127_188 Depth=2
	v_add_co_u32_e32 v8, vcc, s33, v8
	v_addc_co_u32_e32 v9, vcc, 0, v9, vcc
	v_mov_b32_e32 v27, s45
	v_add_co_u32_e32 v2, vcc, s44, v2
	v_addc_co_u32_e32 v3, vcc, v3, v27, vcc
	v_cmp_le_u64_e32 vcc, s[6:7], v[8:9]
	s_mov_b64 s[26:27], 0
	s_orn2_b64 s[28:29], vcc, exec
.LBB127_187:                            ;   in Loop: Header=BB127_188 Depth=2
	s_and_b64 s[28:29], exec, s[28:29]
	s_or_b64 s[8:9], s[28:29], s[8:9]
	s_andn2_b64 s[24:25], s[24:25], exec
	s_and_b64 s[26:27], s[26:27], exec
	s_or_b64 s[24:25], s[24:25], s[26:27]
	s_andn2_b64 exec, exec, s[8:9]
	s_cbranch_execz .LBB127_192
.LBB127_188:                            ;   Parent Loop BB127_45 Depth=1
                                        ; =>  This Inner Loop Header: Depth=2
	v_cmp_gt_u64_e32 vcc, s[52:53], v[8:9]
	s_and_saveexec_b64 s[26:27], vcc
	s_cbranch_execz .LBB127_185
; %bb.189:                              ;   in Loop: Header=BB127_188 Depth=2
	global_load_dword v27, v[2:3], off
	s_waitcnt vmcnt(0)
	v_cmp_lt_i32_e32 vcc, -1, v27
	v_cndmask_b32_e32 v28, -1, v50, vcc
	v_xor_b32_e32 v28, v28, v27
	v_cmp_o_f32_e32 vcc, v27, v27
	v_cndmask_b32_e32 v28, -1, v28, vcc
	v_and_b32_e32 v28, v28, v52
	v_cmp_eq_u32_e32 vcc, v28, v48
	s_and_b64 exec, exec, vcc
	s_cbranch_execz .LBB127_185
; %bb.190:                              ;   in Loop: Header=BB127_188 Depth=2
	ds_write_b64 v17, v[26:27] offset:3072
	s_branch .LBB127_185
.LBB127_191:                            ;   in Loop: Header=BB127_188 Depth=2
	s_mov_b64 s[28:29], -1
                                        ; implicit-def: $vgpr8_vgpr9
                                        ; implicit-def: $vgpr2_vgpr3
	s_mov_b64 s[26:27], -1
	s_branch .LBB127_187
.LBB127_192:                            ;   in Loop: Header=BB127_45 Depth=1
	s_or_b64 exec, exec, s[8:9]
	s_andn2_b64 s[2:3], s[2:3], exec
	s_and_b64 s[6:7], s[24:25], exec
	s_or_b64 s[2:3], s[2:3], s[6:7]
.LBB127_193:                            ;   in Loop: Header=BB127_45 Depth=1
	s_or_b64 exec, exec, s[0:1]
	s_mov_b64 s[0:1], 0
	s_mov_b64 s[6:7], -1
.LBB127_194:                            ;   in Loop: Header=BB127_45 Depth=1
	s_orn2_b64 s[2:3], s[2:3], exec
.LBB127_195:                            ;   in Loop: Header=BB127_45 Depth=1
	s_or_b64 exec, exec, s[20:21]
	s_mov_b64 s[8:9], 0
	s_and_saveexec_b64 s[20:21], s[2:3]
	s_cbranch_execz .LBB127_305
; %bb.196:                              ;   in Loop: Header=BB127_45 Depth=1
	v_mov_b32_e32 v2, 1
	s_xor_b64 s[22:23], s[22:23], -1
	v_mov_b32_e32 v16, 1
	v_mov_b32_e32 v3, 0
	s_and_saveexec_b64 s[2:3], s[22:23]
	s_cbranch_execz .LBB127_206
; %bb.197:                              ;   in Loop: Header=BB127_45 Depth=1
	v_cmp_le_u64_e32 vcc, v[6:7], v[4:5]
	s_and_saveexec_b64 s[8:9], vcc
	s_xor_b64 s[8:9], exec, s[8:9]
	s_cbranch_execz .LBB127_203
; %bb.198:                              ;   in Loop: Header=BB127_45 Depth=1
	v_and_b32_e32 v2, s46, v48
	v_lshl_or_b32 v48, 1, s60, v2
	ds_read_b64 v[2:3], v17 offset:5120
	v_or_b32_e32 v52, s76, v52
	s_waitcnt lgkmcnt(0)
	v_cmp_ne_u64_e32 vcc, 0, v[2:3]
	s_cbranch_vccnz .LBB127_202
; %bb.199:                              ;   in Loop: Header=BB127_45 Depth=1
	s_mov_b64 s[22:23], exec
	v_readlane_b32 s24, v57, 14
	v_readlane_b32 s25, v57, 15
	s_and_b64 s[24:25], s[22:23], s[24:25]
	s_mov_b64 exec, s[24:25]
; %bb.200:                              ;   in Loop: Header=BB127_45 Depth=1
	ds_write_b64 v17, v[4:5] offset:5128
; %bb.201:                              ;   in Loop: Header=BB127_45 Depth=1
	s_or_b64 exec, exec, s[22:23]
	s_waitcnt lgkmcnt(0)
	s_barrier
.LBB127_202:                            ;   in Loop: Header=BB127_45 Depth=1
                                        ; implicit-def: $vgpr2_vgpr3_vgpr4_vgpr5
.LBB127_203:                            ;   in Loop: Header=BB127_45 Depth=1
	s_or_saveexec_b64 s[8:9], s[8:9]
	s_mov_b64 s[22:23], 0
	v_mov_b32_e32 v16, 8
	s_xor_b64 exec, exec, s[8:9]
; %bb.204:                              ;   in Loop: Header=BB127_45 Depth=1
	v_sub_co_u32_e32 v6, vcc, v6, v4
	v_subb_co_u32_e32 v7, vcc, v7, v5, vcc
	v_mov_b32_e32 v16, 0
	s_mov_b64 s[22:23], exec
; %bb.205:                              ;   in Loop: Header=BB127_45 Depth=1
	s_or_b64 exec, exec, s[8:9]
	v_mov_b32_e32 v2, v6
	s_and_b64 s[8:9], s[22:23], exec
	v_mov_b32_e32 v3, v7
.LBB127_206:                            ;   in Loop: Header=BB127_45 Depth=1
	s_or_b64 exec, exec, s[2:3]
	s_mov_b64 s[2:3], -1
                                        ; implicit-def: $sgpr24_sgpr25
                                        ; implicit-def: $sgpr28_sgpr29
	s_and_saveexec_b64 s[22:23], s[8:9]
	s_cbranch_execz .LBB127_304
; %bb.207:                              ;   in Loop: Header=BB127_45 Depth=1
	s_cmp_eq_u64 s[18:19], 1
	v_cmp_eq_u64_e32 vcc, 1, v[2:3]
	s_cselect_b64 s[2:3], -1, 0
	s_and_b64 s[34:35], s[2:3], vcc
	s_mov_b64 s[2:3], -1
                                        ; implicit-def: $sgpr28_sgpr29
                                        ; implicit-def: $sgpr24_sgpr25
	s_and_saveexec_b64 s[30:31], s[34:35]
	s_cbranch_execz .LBB127_243
; %bb.208:                              ;   in Loop: Header=BB127_45 Depth=1
	ds_read_b64 v[4:5], v17 offset:5120
	s_waitcnt lgkmcnt(0)
	s_barrier
	v_readfirstlane_b32 s8, v4
	v_readfirstlane_b32 s9, v5
	s_and_saveexec_b64 s[2:3], s[86:87]
; %bb.209:                              ;   in Loop: Header=BB127_45 Depth=1
	ds_write_b32 v42, v17
; %bb.210:                              ;   in Loop: Header=BB127_45 Depth=1
	s_or_b64 exec, exec, s[2:3]
	v_and_b32_e32 v4, s46, v48
	v_lshl_or_b32 v48, 2, s60, v4
	v_or_b32_e32 v52, s76, v52
	s_mov_b64 s[24:25], -1
	s_mov_b64 s[28:29], 0
	s_cmp_eq_u64 s[8:9], 0
	s_mov_b64 s[2:3], 0
	s_mov_b64 s[26:27], -1
	s_waitcnt lgkmcnt(0)
	s_barrier
                                        ; implicit-def: $vgpr28
	s_cbranch_scc1 .LBB127_227
; %bb.211:                              ;   in Loop: Header=BB127_45 Depth=1
	v_readlane_b32 s2, v57, 18
	s_add_u32 s38, s8, s2
	v_readlane_b32 s2, v57, 19
	s_addc_u32 s3, s9, s2
	s_mov_b32 s2, s75
	s_cmp_lg_u64 s[2:3], 0
	s_cbranch_scc0 .LBB127_270
; %bb.212:                              ;   in Loop: Header=BB127_45 Depth=1
	v_cvt_f32_u32_e32 v4, s33
	s_sub_u32 s2, 0, s33
	s_subb_u32 s36, 0, 0
	v_mac_f32_e32 v4, 0, v51
	v_rcp_f32_e32 v4, v4
	v_mul_f32_e32 v4, 0x5f7ffffc, v4
	v_mul_f32_e32 v5, 0x2f800000, v4
	v_trunc_f32_e32 v5, v5
	v_mac_f32_e32 v4, 0xcf800000, v5
	v_cvt_u32_f32_e32 v5, v5
	v_cvt_u32_f32_e32 v4, v4
	v_readfirstlane_b32 s37, v5
	v_readfirstlane_b32 s26, v4
	s_mul_i32 s27, s2, s37
	s_mul_hi_u32 s40, s2, s26
	s_mul_i32 s39, s36, s26
	s_add_i32 s27, s40, s27
	s_mul_i32 s41, s2, s26
	s_add_i32 s27, s27, s39
	s_mul_hi_u32 s40, s26, s41
	s_mul_i32 s42, s26, s27
	s_mul_hi_u32 s39, s26, s27
	s_add_u32 s40, s40, s42
	s_addc_u32 s39, 0, s39
	s_mul_hi_u32 s43, s37, s41
	s_mul_i32 s41, s37, s41
	s_add_u32 s40, s40, s41
	s_mul_hi_u32 s42, s37, s27
	s_addc_u32 s39, s39, s43
	s_addc_u32 s40, s42, 0
	s_mul_i32 s27, s37, s27
	s_add_u32 s27, s39, s27
	s_addc_u32 s39, 0, s40
	s_add_u32 s40, s26, s27
	s_cselect_b64 s[26:27], -1, 0
	s_cmp_lg_u64 s[26:27], 0
	s_addc_u32 s37, s37, s39
	s_mul_i32 s26, s2, s37
	s_mul_hi_u32 s27, s2, s40
	s_add_i32 s26, s27, s26
	s_mul_i32 s36, s36, s40
	s_add_i32 s26, s26, s36
	s_mul_i32 s2, s2, s40
	s_mul_hi_u32 s36, s37, s2
	s_mul_i32 s39, s37, s2
	s_mul_i32 s42, s40, s26
	s_mul_hi_u32 s2, s40, s2
	s_mul_hi_u32 s41, s40, s26
	s_add_u32 s2, s2, s42
	s_addc_u32 s41, 0, s41
	s_add_u32 s2, s2, s39
	s_mul_hi_u32 s27, s37, s26
	s_addc_u32 s2, s41, s36
	s_addc_u32 s27, s27, 0
	s_mul_i32 s26, s37, s26
	s_add_u32 s2, s2, s26
	s_addc_u32 s36, 0, s27
	s_add_u32 s2, s40, s2
	s_cselect_b64 s[26:27], -1, 0
	s_cmp_lg_u64 s[26:27], 0
	s_addc_u32 s26, s37, s36
	s_mul_i32 s36, s38, s26
	s_mul_hi_u32 s37, s38, s2
	s_mul_hi_u32 s27, s38, s26
	s_add_u32 s36, s37, s36
	s_addc_u32 s27, 0, s27
	s_mul_hi_u32 s39, s3, s2
	s_mul_i32 s2, s3, s2
	s_add_u32 s2, s36, s2
	s_mul_hi_u32 s37, s3, s26
	s_addc_u32 s2, s27, s39
	s_addc_u32 s27, s37, 0
	s_mul_i32 s26, s3, s26
	s_add_u32 s2, s2, s26
	s_addc_u32 s26, 0, s27
	s_mul_i32 s26, s33, s26
	s_mul_hi_u32 s27, s33, s2
	s_add_i32 s36, s27, s26
	s_mul_i32 s2, s33, s2
	s_sub_u32 s2, s38, s2
	s_cselect_b64 s[26:27], -1, 0
	s_cmp_lg_u64 s[26:27], 0
	s_subb_u32 s36, s3, s36
	s_sub_u32 s37, s2, s33
	s_cselect_b64 s[26:27], -1, 0
	s_cmp_lg_u64 s[26:27], 0
	s_subb_u32 s39, s36, 0
	;; [unrolled: 4-line block ×3, first 2 shown]
	s_cmp_ge_u32 s37, s33
	s_cselect_b32 s27, -1, 0
	s_cmp_eq_u32 s39, 0
	s_cselect_b32 s27, s27, -1
	s_cmp_lg_u32 s27, 0
	s_cselect_b32 s26, s26, s39
	s_cselect_b32 s37, s40, s37
	s_cmp_ge_u32 s2, s33
	s_cselect_b32 s27, -1, 0
	s_cmp_eq_u32 s36, 0
	s_cselect_b32 s27, s27, -1
	s_cmp_lg_u32 s27, 0
	s_cselect_b32 s27, s26, s36
	s_cselect_b32 s26, s37, s2
	s_cbranch_execnz .LBB127_214
.LBB127_213:                            ;   in Loop: Header=BB127_45 Depth=1
	v_cvt_f32_u32_e32 v4, s33
	s_sub_i32 s2, 0, s33
	v_rcp_iflag_f32_e32 v4, v4
	v_mul_f32_e32 v4, 0x4f7ffffe, v4
	v_cvt_u32_f32_e32 v4, v4
	v_readfirstlane_b32 s26, v4
	s_mul_i32 s2, s2, s26
	s_mul_hi_u32 s2, s26, s2
	s_add_i32 s26, s26, s2
	s_mul_hi_u32 s2, s38, s26
	s_mul_i32 s2, s2, s33
	s_sub_i32 s2, s38, s2
	s_sub_i32 s26, s2, s33
	s_cmp_ge_u32 s2, s33
	s_cselect_b32 s2, s26, s2
	s_sub_i32 s26, s2, s33
	s_cmp_ge_u32 s2, s33
	s_cselect_b32 s74, s26, s2
	s_mov_b64 s[26:27], s[74:75]
.LBB127_214:                            ;   in Loop: Header=BB127_45 Depth=1
	s_sub_u32 s38, s38, s26
	s_subb_u32 s39, s3, s27
	v_cmp_gt_u64_e32 vcc, s[38:39], v[0:1]
	s_mov_b64 s[26:27], 0
	s_mov_b64 s[2:3], 0
                                        ; implicit-def: $vgpr28
	s_and_saveexec_b64 s[36:37], vcc
	s_cbranch_execz .LBB127_226
; %bb.215:                              ;   in Loop: Header=BB127_45 Depth=1
	v_mov_b32_e32 v5, v1
	v_mov_b32_e32 v6, v12
	v_mov_b32_e32 v4, v0
                                        ; implicit-def: $sgpr40_sgpr41
	s_branch .LBB127_219
.LBB127_216:                            ;   in Loop: Header=BB127_219 Depth=2
	s_or_b64 exec, exec, s[42:43]
	s_waitcnt lgkmcnt(0)
	s_barrier
	ds_read_b64 v[27:28], v17 offset:3072
	s_waitcnt lgkmcnt(0)
	s_barrier
	v_cmp_neq_f32_e32 vcc, 0, v27
	s_cbranch_vccnz .LBB127_222
; %bb.217:                              ;   in Loop: Header=BB127_219 Depth=2
	v_add_co_u32_e32 v4, vcc, s33, v4
	v_addc_co_u32_e32 v5, vcc, 0, v5, vcc
	v_cmp_le_u64_e32 vcc, s[38:39], v[4:5]
	v_add_u32_e32 v6, s4, v6
	s_mov_b64 s[42:43], 0
	s_orn2_b64 s[44:45], vcc, exec
.LBB127_218:                            ;   in Loop: Header=BB127_219 Depth=2
	s_and_b64 s[44:45], exec, s[44:45]
	s_or_b64 s[2:3], s[44:45], s[2:3]
	s_andn2_b64 s[40:41], s[40:41], exec
	s_and_b64 s[42:43], s[42:43], exec
	s_or_b64 s[40:41], s[40:41], s[42:43]
	s_andn2_b64 exec, exec, s[2:3]
	s_cbranch_execz .LBB127_225
.LBB127_219:                            ;   Parent Loop BB127_45 Depth=1
                                        ; =>  This Inner Loop Header: Depth=2
	v_cmp_gt_u64_e32 vcc, s[8:9], v[4:5]
	s_and_saveexec_b64 s[42:43], vcc
	s_cbranch_execz .LBB127_216
; %bb.220:                              ;   in Loop: Header=BB127_219 Depth=2
	ds_read_b32 v27, v6
	s_waitcnt lgkmcnt(0)
	v_cmp_lt_i32_e32 vcc, -1, v27
	v_cndmask_b32_e32 v7, -1, v50, vcc
	v_xor_b32_e32 v7, v7, v27
	v_cmp_o_f32_e32 vcc, v27, v27
	v_cndmask_b32_e32 v7, -1, v7, vcc
	v_and_b32_e32 v7, v7, v52
	v_cmp_eq_u32_e32 vcc, v7, v48
	s_and_b64 exec, exec, vcc
	s_cbranch_execz .LBB127_216
; %bb.221:                              ;   in Loop: Header=BB127_219 Depth=2
	ds_write_b64 v17, v[26:27] offset:3072
	s_branch .LBB127_216
.LBB127_222:                            ;   in Loop: Header=BB127_219 Depth=2
	s_mov_b64 s[44:45], -1
                                        ; implicit-def: $vgpr4_vgpr5
                                        ; implicit-def: $vgpr6
	s_mov_b64 s[42:43], -1
	s_branch .LBB127_218
.LBB127_223:                            ;   in Loop: Header=BB127_45 Depth=1
                                        ; implicit-def: $sgpr24_sgpr25
	s_branch .LBB127_162
.LBB127_224:                            ;   in Loop: Header=BB127_45 Depth=1
                                        ; implicit-def: $sgpr0_sgpr1
	s_branch .LBB127_182
.LBB127_225:                            ;   in Loop: Header=BB127_45 Depth=1
	s_or_b64 exec, exec, s[2:3]
	v_readlane_b32 s44, v57, 31
	s_and_b64 s[2:3], s[40:41], exec
	v_readlane_b32 s45, v57, 32
.LBB127_226:                            ;   in Loop: Header=BB127_45 Depth=1
	s_or_b64 exec, exec, s[36:37]
.LBB127_227:                            ;   in Loop: Header=BB127_45 Depth=1
	s_and_b64 vcc, exec, s[26:27]
	s_cbranch_vccz .LBB127_242
; %bb.228:                              ;   in Loop: Header=BB127_45 Depth=1
	s_mov_b32 s90, s75
	s_cmp_lg_u64 s[90:91], 0
	s_cbranch_scc0 .LBB127_271
; %bb.229:                              ;   in Loop: Header=BB127_45 Depth=1
	v_cvt_f32_u32_e32 v4, s33
	s_sub_u32 s24, 0, s33
	s_subb_u32 s25, 0, 0
	v_mac_f32_e32 v4, 0, v51
	v_rcp_f32_e32 v4, v4
	v_mul_f32_e32 v4, 0x5f7ffffc, v4
	v_mul_f32_e32 v5, 0x2f800000, v4
	v_trunc_f32_e32 v5, v5
	v_mac_f32_e32 v4, 0xcf800000, v5
	v_cvt_u32_f32_e32 v5, v5
	v_cvt_u32_f32_e32 v4, v4
	v_readfirstlane_b32 s26, v5
	v_readfirstlane_b32 s8, v4
	s_mul_i32 s9, s24, s26
	s_mul_hi_u32 s28, s24, s8
	s_mul_i32 s27, s25, s8
	s_add_i32 s9, s28, s9
	s_mul_i32 s29, s24, s8
	s_add_i32 s9, s9, s27
	s_mul_hi_u32 s28, s8, s29
	s_mul_i32 s36, s8, s9
	s_mul_hi_u32 s27, s8, s9
	s_add_u32 s28, s28, s36
	s_addc_u32 s27, 0, s27
	s_mul_hi_u32 s37, s26, s29
	s_mul_i32 s29, s26, s29
	s_add_u32 s28, s28, s29
	s_mul_hi_u32 s36, s26, s9
	s_addc_u32 s27, s27, s37
	s_addc_u32 s28, s36, 0
	s_mul_i32 s9, s26, s9
	s_add_u32 s9, s27, s9
	s_addc_u32 s27, 0, s28
	s_add_u32 s28, s8, s9
	s_cselect_b64 s[8:9], -1, 0
	s_cmp_lg_u64 s[8:9], 0
	s_addc_u32 s26, s26, s27
	s_mul_i32 s8, s24, s26
	s_mul_hi_u32 s9, s24, s28
	s_add_i32 s8, s9, s8
	s_mul_i32 s25, s25, s28
	s_add_i32 s8, s8, s25
	s_mul_i32 s24, s24, s28
	s_mul_hi_u32 s25, s26, s24
	s_mul_i32 s27, s26, s24
	s_mul_i32 s36, s28, s8
	s_mul_hi_u32 s24, s28, s24
	s_mul_hi_u32 s29, s28, s8
	s_add_u32 s24, s24, s36
	s_addc_u32 s29, 0, s29
	s_add_u32 s24, s24, s27
	s_mul_hi_u32 s9, s26, s8
	s_addc_u32 s24, s29, s25
	s_addc_u32 s9, s9, 0
	s_mul_i32 s8, s26, s8
	s_add_u32 s8, s24, s8
	s_addc_u32 s24, 0, s9
	s_add_u32 s25, s28, s8
	s_cselect_b64 s[8:9], -1, 0
	s_cmp_lg_u64 s[8:9], 0
	s_addc_u32 s8, s26, s24
	s_mul_i32 s24, s66, s8
	s_mul_hi_u32 s26, s66, s25
	s_mul_hi_u32 s9, s66, s8
	s_add_u32 s24, s26, s24
	s_addc_u32 s9, 0, s9
	s_mul_hi_u32 s27, s91, s25
	s_mul_i32 s25, s91, s25
	s_add_u32 s24, s24, s25
	s_mul_hi_u32 s26, s91, s8
	s_addc_u32 s9, s9, s27
	s_addc_u32 s24, s26, 0
	s_mul_i32 s8, s91, s8
	s_add_u32 s8, s9, s8
	s_addc_u32 s9, 0, s24
	s_mul_i32 s9, s33, s9
	s_mul_hi_u32 s24, s33, s8
	s_add_i32 s24, s24, s9
	s_mul_i32 s8, s33, s8
	s_sub_u32 s25, s66, s8
	s_cselect_b64 s[8:9], -1, 0
	s_cmp_lg_u64 s[8:9], 0
	s_subb_u32 s24, s91, s24
	s_sub_u32 s26, s25, s33
	s_cselect_b64 s[8:9], -1, 0
	s_cmp_lg_u64 s[8:9], 0
	s_subb_u32 s27, s24, 0
	;; [unrolled: 4-line block ×3, first 2 shown]
	s_cmp_ge_u32 s26, s33
	s_cselect_b32 s9, -1, 0
	s_cmp_eq_u32 s27, 0
	s_cselect_b32 s9, s9, -1
	s_cmp_lg_u32 s9, 0
	s_cselect_b32 s8, s8, s27
	s_cselect_b32 s26, s28, s26
	s_cmp_ge_u32 s25, s33
	s_cselect_b32 s9, -1, 0
	s_cmp_eq_u32 s24, 0
	s_cselect_b32 s9, s9, -1
	s_cmp_lg_u32 s9, 0
	s_cselect_b32 s9, s8, s24
	s_cselect_b32 s8, s26, s25
	s_cbranch_execnz .LBB127_231
.LBB127_230:                            ;   in Loop: Header=BB127_45 Depth=1
	v_cvt_f32_u32_e32 v4, s33
	s_sub_i32 s8, 0, s33
	v_rcp_iflag_f32_e32 v4, v4
	v_mul_f32_e32 v4, 0x4f7ffffe, v4
	v_cvt_u32_f32_e32 v4, v4
	v_readfirstlane_b32 s9, v4
	s_mul_i32 s8, s8, s9
	s_mul_hi_u32 s8, s9, s8
	s_add_i32 s9, s9, s8
	s_mul_hi_u32 s8, s66, s9
	s_mul_i32 s8, s8, s33
	s_sub_i32 s8, s66, s8
	s_sub_i32 s9, s8, s33
	s_cmp_ge_u32 s8, s33
	s_cselect_b32 s8, s9, s8
	s_sub_i32 s9, s8, s33
	s_cmp_ge_u32 s8, s33
	s_cselect_b32 s74, s9, s8
	s_mov_b64 s[8:9], s[74:75]
.LBB127_231:                            ;   in Loop: Header=BB127_45 Depth=1
	s_sub_u32 s24, s66, s8
	s_subb_u32 s25, s91, s9
	v_cmp_gt_u64_e32 vcc, s[24:25], v[0:1]
                                        ; implicit-def: $vgpr28
	s_and_saveexec_b64 s[8:9], vcc
	s_cbranch_execz .LBB127_241
; %bb.232:                              ;   in Loop: Header=BB127_45 Depth=1
	v_mov_b32_e32 v4, v10
	v_mov_b32_e32 v7, v1
	s_mov_b64 s[26:27], 0
	v_mov_b32_e32 v5, v11
	v_mov_b32_e32 v6, v0
                                        ; implicit-def: $sgpr28_sgpr29
	s_branch .LBB127_236
.LBB127_233:                            ;   in Loop: Header=BB127_236 Depth=2
	s_or_b64 exec, exec, s[36:37]
	s_waitcnt lgkmcnt(0)
	s_barrier
	ds_read_b64 v[27:28], v17 offset:3072
	s_waitcnt lgkmcnt(0)
	s_barrier
	v_cmp_eq_f32_e32 vcc, 0, v27
	s_cbranch_vccz .LBB127_239
; %bb.234:                              ;   in Loop: Header=BB127_236 Depth=2
	v_add_co_u32_e32 v6, vcc, s33, v6
	v_addc_co_u32_e32 v7, vcc, 0, v7, vcc
	v_mov_b32_e32 v8, s45
	v_add_co_u32_e32 v4, vcc, s44, v4
	v_addc_co_u32_e32 v5, vcc, v5, v8, vcc
	v_cmp_le_u64_e32 vcc, s[24:25], v[6:7]
	s_mov_b64 s[36:37], 0
	s_orn2_b64 s[38:39], vcc, exec
.LBB127_235:                            ;   in Loop: Header=BB127_236 Depth=2
	s_and_b64 s[38:39], exec, s[38:39]
	s_or_b64 s[26:27], s[38:39], s[26:27]
	s_andn2_b64 s[28:29], s[28:29], exec
	s_and_b64 s[36:37], s[36:37], exec
	s_or_b64 s[28:29], s[28:29], s[36:37]
	s_andn2_b64 exec, exec, s[26:27]
	s_cbranch_execz .LBB127_240
.LBB127_236:                            ;   Parent Loop BB127_45 Depth=1
                                        ; =>  This Inner Loop Header: Depth=2
	v_cmp_gt_u64_e32 vcc, s[52:53], v[6:7]
	s_and_saveexec_b64 s[36:37], vcc
	s_cbranch_execz .LBB127_233
; %bb.237:                              ;   in Loop: Header=BB127_236 Depth=2
	global_load_dword v27, v[4:5], off
	s_waitcnt vmcnt(0)
	v_cmp_lt_i32_e32 vcc, -1, v27
	v_cndmask_b32_e32 v8, -1, v50, vcc
	v_xor_b32_e32 v8, v8, v27
	v_cmp_o_f32_e32 vcc, v27, v27
	v_cndmask_b32_e32 v8, -1, v8, vcc
	v_and_b32_e32 v8, v8, v52
	v_cmp_eq_u32_e32 vcc, v8, v48
	s_and_b64 exec, exec, vcc
	s_cbranch_execz .LBB127_233
; %bb.238:                              ;   in Loop: Header=BB127_236 Depth=2
	ds_write_b64 v17, v[26:27] offset:3072
	s_branch .LBB127_233
.LBB127_239:                            ;   in Loop: Header=BB127_236 Depth=2
	s_mov_b64 s[38:39], -1
                                        ; implicit-def: $vgpr6_vgpr7
                                        ; implicit-def: $vgpr4_vgpr5
	s_mov_b64 s[36:37], -1
	s_branch .LBB127_235
.LBB127_240:                            ;   in Loop: Header=BB127_45 Depth=1
	s_or_b64 exec, exec, s[26:27]
	s_andn2_b64 s[2:3], s[2:3], exec
	s_and_b64 s[24:25], s[28:29], exec
	s_or_b64 s[2:3], s[2:3], s[24:25]
.LBB127_241:                            ;   in Loop: Header=BB127_45 Depth=1
	s_or_b64 exec, exec, s[8:9]
	s_mov_b64 s[24:25], 0
	s_mov_b64 s[28:29], -1
.LBB127_242:                            ;   in Loop: Header=BB127_45 Depth=1
	s_orn2_b64 s[2:3], s[2:3], exec
.LBB127_243:                            ;   in Loop: Header=BB127_45 Depth=1
	s_or_b64 exec, exec, s[30:31]
	s_mov_b64 s[8:9], 0
	s_and_saveexec_b64 s[30:31], s[2:3]
	s_cbranch_execz .LBB127_303
; %bb.244:                              ;   in Loop: Header=BB127_45 Depth=1
	v_mov_b32_e32 v4, 1
	s_xor_b64 s[26:27], s[34:35], -1
	v_mov_b32_e32 v16, 1
	v_mov_b32_e32 v5, 0
	s_and_saveexec_b64 s[2:3], s[26:27]
	s_cbranch_execz .LBB127_253
; %bb.245:                              ;   in Loop: Header=BB127_45 Depth=1
	v_cmp_ge_u64_e32 vcc, s[18:19], v[2:3]
	s_and_saveexec_b64 s[8:9], vcc
	s_xor_b64 s[8:9], exec, s[8:9]
	s_cbranch_execz .LBB127_250
; %bb.246:                              ;   in Loop: Header=BB127_45 Depth=1
	v_and_b32_e32 v4, s46, v48
	v_lshl_or_b32 v48, 2, s60, v4
	ds_read_b64 v[4:5], v17 offset:5120
	v_or_b32_e32 v52, s76, v52
	s_waitcnt lgkmcnt(0)
	v_cmp_ne_u64_e32 vcc, 0, v[4:5]
	s_cbranch_vccnz .LBB127_250
; %bb.247:                              ;   in Loop: Header=BB127_45 Depth=1
	s_mov_b64 s[26:27], exec
	v_readlane_b32 s34, v57, 14
	v_readlane_b32 s35, v57, 15
	s_and_b64 s[34:35], s[26:27], s[34:35]
	s_mov_b64 exec, s[34:35]
; %bb.248:                              ;   in Loop: Header=BB127_45 Depth=1
	v_mov_b32_e32 v4, s18
	v_mov_b32_e32 v5, s19
	ds_write_b64 v17, v[4:5] offset:5128
; %bb.249:                              ;   in Loop: Header=BB127_45 Depth=1
	s_or_b64 exec, exec, s[26:27]
	s_waitcnt lgkmcnt(0)
	s_barrier
.LBB127_250:                            ;   in Loop: Header=BB127_45 Depth=1
	s_or_saveexec_b64 s[8:9], s[8:9]
	s_mov_b64 s[26:27], 0
	v_mov_b32_e32 v16, 8
	s_xor_b64 exec, exec, s[8:9]
; %bb.251:                              ;   in Loop: Header=BB127_45 Depth=1
	v_subrev_co_u32_e32 v2, vcc, s18, v2
	v_mov_b32_e32 v4, s19
	v_subb_co_u32_e32 v3, vcc, v3, v4, vcc
	v_mov_b32_e32 v16, 0
	s_mov_b64 s[26:27], exec
; %bb.252:                              ;   in Loop: Header=BB127_45 Depth=1
	s_or_b64 exec, exec, s[8:9]
	v_mov_b32_e32 v5, v3
	s_and_b64 s[8:9], s[26:27], exec
	v_mov_b32_e32 v4, v2
.LBB127_253:                            ;   in Loop: Header=BB127_45 Depth=1
	s_or_b64 exec, exec, s[2:3]
	s_mov_b64 s[2:3], -1
                                        ; implicit-def: $sgpr40_sgpr41
                                        ; implicit-def: $sgpr38_sgpr39
	s_and_saveexec_b64 s[18:19], s[8:9]
	s_cbranch_execz .LBB127_302
; %bb.254:                              ;   in Loop: Header=BB127_45 Depth=1
	s_cmp_eq_u64 s[10:11], 1
	v_cmp_eq_u64_e32 vcc, 1, v[4:5]
	s_cselect_b64 s[2:3], -1, 0
	s_and_b64 s[34:35], s[2:3], vcc
	s_mov_b64 s[8:9], -1
                                        ; implicit-def: $sgpr40_sgpr41
                                        ; implicit-def: $sgpr38_sgpr39
	s_and_saveexec_b64 s[36:37], s[34:35]
	s_cbranch_execz .LBB127_290
; %bb.255:                              ;   in Loop: Header=BB127_45 Depth=1
	ds_read_b64 v[2:3], v17 offset:5120
	s_waitcnt lgkmcnt(0)
	s_barrier
	v_readfirstlane_b32 s8, v2
	v_readfirstlane_b32 s9, v3
	s_and_saveexec_b64 s[2:3], s[86:87]
; %bb.256:                              ;   in Loop: Header=BB127_45 Depth=1
	ds_write_b32 v42, v17
; %bb.257:                              ;   in Loop: Header=BB127_45 Depth=1
	s_or_b64 exec, exec, s[2:3]
	v_or_b32_e32 v48, s76, v48
	v_or_b32_e32 v52, s76, v52
	s_mov_b64 s[38:39], -1
	s_mov_b64 s[40:41], 0
	s_cmp_eq_u64 s[8:9], 0
	s_mov_b64 s[2:3], 0
	s_mov_b64 s[26:27], -1
	s_waitcnt lgkmcnt(0)
	s_barrier
                                        ; implicit-def: $vgpr28
	s_cbranch_scc1 .LBB127_274
; %bb.258:                              ;   in Loop: Header=BB127_45 Depth=1
	v_readlane_b32 s2, v57, 18
	s_add_u32 s44, s8, s2
	v_readlane_b32 s2, v57, 19
	s_addc_u32 s3, s9, s2
	s_mov_b32 s2, s75
	s_mov_b64 s[58:59], s[48:49]
	s_cmp_lg_u64 s[2:3], 0
	s_cbranch_scc0 .LBB127_309
; %bb.259:                              ;   in Loop: Header=BB127_45 Depth=1
	v_cvt_f32_u32_e32 v2, s33
	s_sub_u32 s2, 0, s33
	s_subb_u32 s42, 0, 0
	v_mac_f32_e32 v2, 0, v51
	v_rcp_f32_e32 v2, v2
	v_mul_f32_e32 v2, 0x5f7ffffc, v2
	v_mul_f32_e32 v3, 0x2f800000, v2
	v_trunc_f32_e32 v3, v3
	v_mac_f32_e32 v2, 0xcf800000, v3
	v_cvt_u32_f32_e32 v3, v3
	v_cvt_u32_f32_e32 v2, v2
	v_readfirstlane_b32 s43, v3
	v_readfirstlane_b32 s26, v2
	s_mul_i32 s27, s2, s43
	s_mul_hi_u32 s46, s2, s26
	s_mul_i32 s45, s42, s26
	s_add_i32 s27, s46, s27
	s_mul_i32 s47, s2, s26
	s_add_i32 s27, s27, s45
	s_mul_hi_u32 s46, s26, s47
	s_mul_i32 s48, s26, s27
	s_mul_hi_u32 s45, s26, s27
	s_add_u32 s46, s46, s48
	s_addc_u32 s45, 0, s45
	s_mul_hi_u32 s49, s43, s47
	s_mul_i32 s47, s43, s47
	s_add_u32 s46, s46, s47
	s_mul_hi_u32 s48, s43, s27
	s_addc_u32 s45, s45, s49
	s_addc_u32 s46, s48, 0
	s_mul_i32 s27, s43, s27
	s_add_u32 s27, s45, s27
	s_addc_u32 s45, 0, s46
	s_add_u32 s46, s26, s27
	s_cselect_b64 s[26:27], -1, 0
	s_cmp_lg_u64 s[26:27], 0
	s_addc_u32 s43, s43, s45
	s_mul_i32 s26, s2, s43
	s_mul_hi_u32 s27, s2, s46
	s_add_i32 s26, s27, s26
	s_mul_i32 s42, s42, s46
	s_add_i32 s26, s26, s42
	s_mul_i32 s2, s2, s46
	s_mul_hi_u32 s42, s43, s2
	s_mul_i32 s45, s43, s2
	s_mul_i32 s48, s46, s26
	s_mul_hi_u32 s2, s46, s2
	s_mul_hi_u32 s47, s46, s26
	s_add_u32 s2, s2, s48
	s_addc_u32 s47, 0, s47
	s_add_u32 s2, s2, s45
	s_mul_hi_u32 s27, s43, s26
	s_addc_u32 s2, s47, s42
	s_addc_u32 s27, s27, 0
	s_mul_i32 s26, s43, s26
	s_add_u32 s2, s2, s26
	s_addc_u32 s42, 0, s27
	s_add_u32 s2, s46, s2
	s_cselect_b64 s[26:27], -1, 0
	s_cmp_lg_u64 s[26:27], 0
	s_addc_u32 s26, s43, s42
	s_mul_i32 s42, s44, s26
	s_mul_hi_u32 s43, s44, s2
	s_mul_hi_u32 s27, s44, s26
	s_add_u32 s42, s43, s42
	s_addc_u32 s27, 0, s27
	s_mul_hi_u32 s45, s3, s2
	s_mul_i32 s2, s3, s2
	s_add_u32 s2, s42, s2
	s_mul_hi_u32 s43, s3, s26
	s_addc_u32 s2, s27, s45
	s_addc_u32 s27, s43, 0
	s_mul_i32 s26, s3, s26
	s_add_u32 s2, s2, s26
	s_addc_u32 s26, 0, s27
	s_mul_i32 s26, s33, s26
	s_mul_hi_u32 s27, s33, s2
	s_add_i32 s42, s27, s26
	s_mul_i32 s2, s33, s2
	s_sub_u32 s2, s44, s2
	s_cselect_b64 s[26:27], -1, 0
	s_cmp_lg_u64 s[26:27], 0
	s_subb_u32 s42, s3, s42
	s_sub_u32 s43, s2, s33
	s_cselect_b64 s[26:27], -1, 0
	s_cmp_lg_u64 s[26:27], 0
	s_subb_u32 s45, s42, 0
	;; [unrolled: 4-line block ×3, first 2 shown]
	s_cmp_ge_u32 s43, s33
	s_cselect_b32 s27, -1, 0
	s_cmp_eq_u32 s45, 0
	s_cselect_b32 s27, s27, -1
	s_cmp_lg_u32 s27, 0
	s_cselect_b32 s26, s26, s45
	s_cselect_b32 s43, s46, s43
	s_cmp_ge_u32 s2, s33
	s_cselect_b32 s27, -1, 0
	s_cmp_eq_u32 s42, 0
	s_cselect_b32 s27, s27, -1
	s_cmp_lg_u32 s27, 0
	s_cselect_b32 s27, s26, s42
	s_cselect_b32 s26, s43, s2
	s_cbranch_execnz .LBB127_261
.LBB127_260:                            ;   in Loop: Header=BB127_45 Depth=1
	v_cvt_f32_u32_e32 v2, s33
	s_sub_i32 s2, 0, s33
	v_rcp_iflag_f32_e32 v2, v2
	v_mul_f32_e32 v2, 0x4f7ffffe, v2
	v_cvt_u32_f32_e32 v2, v2
	v_readfirstlane_b32 s26, v2
	s_mul_i32 s2, s2, s26
	s_mul_hi_u32 s2, s26, s2
	s_add_i32 s26, s26, s2
	s_mul_hi_u32 s2, s44, s26
	s_mul_i32 s2, s2, s33
	s_sub_i32 s2, s44, s2
	s_sub_i32 s26, s2, s33
	s_cmp_ge_u32 s2, s33
	s_cselect_b32 s2, s26, s2
	s_sub_i32 s26, s2, s33
	s_cmp_ge_u32 s2, s33
	s_cselect_b32 s74, s26, s2
	s_mov_b64 s[26:27], s[74:75]
.LBB127_261:                            ;   in Loop: Header=BB127_45 Depth=1
	s_sub_u32 s44, s44, s26
	s_subb_u32 s45, s3, s27
	v_cmp_gt_u64_e32 vcc, s[44:45], v[0:1]
	s_mov_b64 s[26:27], 0
	s_mov_b64 s[2:3], 0
                                        ; implicit-def: $vgpr28
	s_and_saveexec_b64 s[42:43], vcc
	s_cbranch_execz .LBB127_273
; %bb.262:                              ;   in Loop: Header=BB127_45 Depth=1
	v_mov_b32_e32 v3, v1
	s_mov_b64 s[54:55], s[50:51]
	v_mov_b32_e32 v6, v12
	v_mov_b32_e32 v2, v0
                                        ; implicit-def: $sgpr46_sgpr47
	s_branch .LBB127_266
.LBB127_263:                            ;   in Loop: Header=BB127_266 Depth=2
	s_or_b64 exec, exec, s[48:49]
	s_waitcnt lgkmcnt(0)
	s_barrier
	ds_read_b64 v[27:28], v17 offset:3072
	s_waitcnt lgkmcnt(0)
	s_barrier
	v_cmp_neq_f32_e32 vcc, 0, v27
	s_cbranch_vccnz .LBB127_269
; %bb.264:                              ;   in Loop: Header=BB127_266 Depth=2
	v_add_co_u32_e32 v2, vcc, s33, v2
	v_addc_co_u32_e32 v3, vcc, 0, v3, vcc
	v_cmp_le_u64_e32 vcc, s[44:45], v[2:3]
	v_add_u32_e32 v6, s4, v6
	s_mov_b64 s[48:49], 0
	s_orn2_b64 s[50:51], vcc, exec
.LBB127_265:                            ;   in Loop: Header=BB127_266 Depth=2
	s_and_b64 s[50:51], exec, s[50:51]
	s_or_b64 s[2:3], s[50:51], s[2:3]
	s_andn2_b64 s[46:47], s[46:47], exec
	s_and_b64 s[48:49], s[48:49], exec
	s_or_b64 s[46:47], s[46:47], s[48:49]
	s_andn2_b64 exec, exec, s[2:3]
	s_cbranch_execz .LBB127_272
.LBB127_266:                            ;   Parent Loop BB127_45 Depth=1
                                        ; =>  This Inner Loop Header: Depth=2
	v_cmp_gt_u64_e32 vcc, s[8:9], v[2:3]
	s_and_saveexec_b64 s[48:49], vcc
	s_cbranch_execz .LBB127_263
; %bb.267:                              ;   in Loop: Header=BB127_266 Depth=2
	ds_read_b32 v27, v6
	s_waitcnt lgkmcnt(0)
	v_cmp_lt_i32_e32 vcc, -1, v27
	v_cndmask_b32_e32 v7, -1, v50, vcc
	v_xor_b32_e32 v7, v7, v27
	v_cmp_o_f32_e32 vcc, v27, v27
	v_cndmask_b32_e32 v7, -1, v7, vcc
	v_and_b32_e32 v7, v7, v52
	v_cmp_eq_u32_e32 vcc, v7, v48
	s_and_b64 exec, exec, vcc
	s_cbranch_execz .LBB127_263
; %bb.268:                              ;   in Loop: Header=BB127_266 Depth=2
	ds_write_b64 v17, v[26:27] offset:3072
	s_branch .LBB127_263
.LBB127_269:                            ;   in Loop: Header=BB127_266 Depth=2
	s_mov_b64 s[50:51], -1
                                        ; implicit-def: $vgpr2_vgpr3
                                        ; implicit-def: $vgpr6
	s_mov_b64 s[48:49], -1
	s_branch .LBB127_265
.LBB127_270:                            ;   in Loop: Header=BB127_45 Depth=1
                                        ; implicit-def: $sgpr26_sgpr27
	s_branch .LBB127_213
.LBB127_271:                            ;   in Loop: Header=BB127_45 Depth=1
                                        ; implicit-def: $sgpr8_sgpr9
	s_branch .LBB127_230
.LBB127_272:                            ;   in Loop: Header=BB127_45 Depth=1
	s_or_b64 exec, exec, s[2:3]
	s_and_b64 s[2:3], s[46:47], exec
	s_mov_b64 s[50:51], s[54:55]
.LBB127_273:                            ;   in Loop: Header=BB127_45 Depth=1
	s_or_b64 exec, exec, s[42:43]
	v_readlane_b32 s44, v57, 31
	s_mov_b64 s[48:49], s[58:59]
	v_readlane_b32 s45, v57, 32
.LBB127_274:                            ;   in Loop: Header=BB127_45 Depth=1
	s_and_b64 vcc, exec, s[26:27]
	s_cbranch_vccz .LBB127_289
; %bb.275:                              ;   in Loop: Header=BB127_45 Depth=1
	s_mov_b32 s90, s75
	s_cmp_lg_u64 s[90:91], 0
	s_cbranch_scc0 .LBB127_310
; %bb.276:                              ;   in Loop: Header=BB127_45 Depth=1
	v_cvt_f32_u32_e32 v2, s33
	s_sub_u32 s26, 0, s33
	s_subb_u32 s27, 0, 0
	v_mac_f32_e32 v2, 0, v51
	v_rcp_f32_e32 v2, v2
	v_mul_f32_e32 v2, 0x5f7ffffc, v2
	v_mul_f32_e32 v3, 0x2f800000, v2
	v_trunc_f32_e32 v3, v3
	v_mac_f32_e32 v2, 0xcf800000, v3
	v_cvt_u32_f32_e32 v3, v3
	v_cvt_u32_f32_e32 v2, v2
	v_readfirstlane_b32 s38, v3
	v_readfirstlane_b32 s8, v2
	s_mul_i32 s9, s26, s38
	s_mul_hi_u32 s40, s26, s8
	s_mul_i32 s39, s27, s8
	s_add_i32 s9, s40, s9
	s_mul_i32 s41, s26, s8
	s_add_i32 s9, s9, s39
	s_mul_hi_u32 s40, s8, s41
	s_mul_i32 s42, s8, s9
	s_mul_hi_u32 s39, s8, s9
	s_add_u32 s40, s40, s42
	s_addc_u32 s39, 0, s39
	s_mul_hi_u32 s43, s38, s41
	s_mul_i32 s41, s38, s41
	s_add_u32 s40, s40, s41
	s_mul_hi_u32 s42, s38, s9
	s_addc_u32 s39, s39, s43
	s_addc_u32 s40, s42, 0
	s_mul_i32 s9, s38, s9
	s_add_u32 s9, s39, s9
	s_addc_u32 s39, 0, s40
	s_add_u32 s40, s8, s9
	s_cselect_b64 s[8:9], -1, 0
	s_cmp_lg_u64 s[8:9], 0
	s_addc_u32 s38, s38, s39
	s_mul_i32 s8, s26, s38
	s_mul_hi_u32 s9, s26, s40
	s_add_i32 s8, s9, s8
	s_mul_i32 s27, s27, s40
	s_add_i32 s8, s8, s27
	s_mul_i32 s26, s26, s40
	s_mul_hi_u32 s27, s38, s26
	s_mul_i32 s39, s38, s26
	s_mul_i32 s42, s40, s8
	s_mul_hi_u32 s26, s40, s26
	s_mul_hi_u32 s41, s40, s8
	s_add_u32 s26, s26, s42
	s_addc_u32 s41, 0, s41
	s_add_u32 s26, s26, s39
	s_mul_hi_u32 s9, s38, s8
	s_addc_u32 s26, s41, s27
	s_addc_u32 s9, s9, 0
	s_mul_i32 s8, s38, s8
	s_add_u32 s8, s26, s8
	s_addc_u32 s26, 0, s9
	s_add_u32 s27, s40, s8
	s_cselect_b64 s[8:9], -1, 0
	s_cmp_lg_u64 s[8:9], 0
	s_addc_u32 s8, s38, s26
	s_mul_i32 s26, s66, s8
	s_mul_hi_u32 s38, s66, s27
	s_mul_hi_u32 s9, s66, s8
	s_add_u32 s26, s38, s26
	s_addc_u32 s9, 0, s9
	s_mul_hi_u32 s39, s91, s27
	s_mul_i32 s27, s91, s27
	s_add_u32 s26, s26, s27
	s_mul_hi_u32 s38, s91, s8
	s_addc_u32 s9, s9, s39
	s_addc_u32 s26, s38, 0
	s_mul_i32 s8, s91, s8
	s_add_u32 s8, s9, s8
	s_addc_u32 s9, 0, s26
	s_mul_i32 s9, s33, s9
	s_mul_hi_u32 s26, s33, s8
	s_add_i32 s26, s26, s9
	s_mul_i32 s8, s33, s8
	s_sub_u32 s27, s66, s8
	s_cselect_b64 s[8:9], -1, 0
	s_cmp_lg_u64 s[8:9], 0
	s_subb_u32 s26, s91, s26
	s_sub_u32 s38, s27, s33
	s_cselect_b64 s[8:9], -1, 0
	s_cmp_lg_u64 s[8:9], 0
	s_subb_u32 s39, s26, 0
	s_sub_u32 s40, s38, s33
	s_cselect_b64 s[8:9], -1, 0
	s_cmp_lg_u64 s[8:9], 0
	s_subb_u32 s8, s39, 0
	s_cmp_ge_u32 s38, s33
	s_cselect_b32 s9, -1, 0
	s_cmp_eq_u32 s39, 0
	s_cselect_b32 s9, s9, -1
	s_cmp_lg_u32 s9, 0
	s_cselect_b32 s8, s8, s39
	s_cselect_b32 s38, s40, s38
	s_cmp_ge_u32 s27, s33
	s_cselect_b32 s9, -1, 0
	s_cmp_eq_u32 s26, 0
	s_cselect_b32 s9, s9, -1
	s_cmp_lg_u32 s9, 0
	s_cselect_b32 s9, s8, s26
	s_cselect_b32 s8, s38, s27
	s_cbranch_execnz .LBB127_278
.LBB127_277:                            ;   in Loop: Header=BB127_45 Depth=1
	v_cvt_f32_u32_e32 v2, s33
	s_sub_i32 s8, 0, s33
	v_rcp_iflag_f32_e32 v2, v2
	v_mul_f32_e32 v2, 0x4f7ffffe, v2
	v_cvt_u32_f32_e32 v2, v2
	v_readfirstlane_b32 s9, v2
	s_mul_i32 s8, s8, s9
	s_mul_hi_u32 s8, s9, s8
	s_add_i32 s9, s9, s8
	s_mul_hi_u32 s8, s66, s9
	s_mul_i32 s8, s8, s33
	s_sub_i32 s8, s66, s8
	s_sub_i32 s9, s8, s33
	s_cmp_ge_u32 s8, s33
	s_cselect_b32 s8, s9, s8
	s_sub_i32 s9, s8, s33
	s_cmp_ge_u32 s8, s33
	s_cselect_b32 s74, s9, s8
	s_mov_b64 s[8:9], s[74:75]
.LBB127_278:                            ;   in Loop: Header=BB127_45 Depth=1
	s_sub_u32 s26, s66, s8
	s_subb_u32 s27, s91, s9
	v_cmp_gt_u64_e32 vcc, s[26:27], v[0:1]
                                        ; implicit-def: $vgpr28
	s_and_saveexec_b64 s[8:9], vcc
	s_cbranch_execz .LBB127_288
; %bb.279:                              ;   in Loop: Header=BB127_45 Depth=1
	v_mov_b32_e32 v2, v10
	v_mov_b32_e32 v7, v1
	s_mov_b64 s[38:39], 0
	v_mov_b32_e32 v3, v11
	v_mov_b32_e32 v6, v0
                                        ; implicit-def: $sgpr40_sgpr41
	s_branch .LBB127_283
.LBB127_280:                            ;   in Loop: Header=BB127_283 Depth=2
	s_or_b64 exec, exec, s[42:43]
	s_waitcnt lgkmcnt(0)
	s_barrier
	ds_read_b64 v[27:28], v17 offset:3072
	s_waitcnt lgkmcnt(0)
	s_barrier
	v_cmp_eq_f32_e32 vcc, 0, v27
	s_cbranch_vccz .LBB127_286
; %bb.281:                              ;   in Loop: Header=BB127_283 Depth=2
	v_add_co_u32_e32 v6, vcc, s33, v6
	v_readlane_b32 s42, v57, 31
	v_addc_co_u32_e32 v7, vcc, 0, v7, vcc
	v_readlane_b32 s43, v57, 32
	v_mov_b32_e32 v8, s43
	v_add_co_u32_e32 v2, vcc, s42, v2
	v_addc_co_u32_e32 v3, vcc, v3, v8, vcc
	v_cmp_le_u64_e32 vcc, s[26:27], v[6:7]
	s_mov_b64 s[42:43], 0
	s_orn2_b64 s[44:45], vcc, exec
.LBB127_282:                            ;   in Loop: Header=BB127_283 Depth=2
	s_and_b64 s[44:45], exec, s[44:45]
	s_or_b64 s[38:39], s[44:45], s[38:39]
	s_andn2_b64 s[40:41], s[40:41], exec
	s_and_b64 s[42:43], s[42:43], exec
	s_or_b64 s[40:41], s[40:41], s[42:43]
	s_andn2_b64 exec, exec, s[38:39]
	s_cbranch_execz .LBB127_287
.LBB127_283:                            ;   Parent Loop BB127_45 Depth=1
                                        ; =>  This Inner Loop Header: Depth=2
	v_cmp_gt_u64_e32 vcc, s[52:53], v[6:7]
	s_and_saveexec_b64 s[42:43], vcc
	s_cbranch_execz .LBB127_280
; %bb.284:                              ;   in Loop: Header=BB127_283 Depth=2
	global_load_dword v27, v[2:3], off
	s_waitcnt vmcnt(0)
	v_cmp_lt_i32_e32 vcc, -1, v27
	v_cndmask_b32_e32 v8, -1, v50, vcc
	v_xor_b32_e32 v8, v8, v27
	v_cmp_o_f32_e32 vcc, v27, v27
	v_cndmask_b32_e32 v8, -1, v8, vcc
	v_and_b32_e32 v8, v8, v52
	v_cmp_eq_u32_e32 vcc, v8, v48
	s_and_b64 exec, exec, vcc
	s_cbranch_execz .LBB127_280
; %bb.285:                              ;   in Loop: Header=BB127_283 Depth=2
	ds_write_b64 v17, v[26:27] offset:3072
	s_branch .LBB127_280
.LBB127_286:                            ;   in Loop: Header=BB127_283 Depth=2
	s_mov_b64 s[44:45], -1
                                        ; implicit-def: $vgpr6_vgpr7
                                        ; implicit-def: $vgpr2_vgpr3
	s_mov_b64 s[42:43], -1
	s_branch .LBB127_282
.LBB127_287:                            ;   in Loop: Header=BB127_45 Depth=1
	s_or_b64 exec, exec, s[38:39]
	s_andn2_b64 s[2:3], s[2:3], exec
	s_and_b64 s[26:27], s[40:41], exec
	v_readlane_b32 s44, v57, 31
	s_or_b64 s[2:3], s[2:3], s[26:27]
	v_readlane_b32 s45, v57, 32
.LBB127_288:                            ;   in Loop: Header=BB127_45 Depth=1
	s_or_b64 exec, exec, s[8:9]
	s_mov_b64 s[38:39], 0
	s_mov_b64 s[40:41], -1
.LBB127_289:                            ;   in Loop: Header=BB127_45 Depth=1
	s_orn2_b64 s[8:9], s[2:3], exec
.LBB127_290:                            ;   in Loop: Header=BB127_45 Depth=1
	s_or_b64 exec, exec, s[36:37]
	s_mov_b64 s[26:27], 0
	s_and_saveexec_b64 s[2:3], s[8:9]
	s_cbranch_execz .LBB127_301
; %bb.291:                              ;   in Loop: Header=BB127_45 Depth=1
	v_mov_b32_e32 v2, 1
	s_xor_b64 s[26:27], s[34:35], -1
	v_mov_b32_e32 v3, 0
	v_mov_b32_e32 v16, 1
	s_and_saveexec_b64 s[8:9], s[26:27]
	s_cbranch_execz .LBB127_300
; %bb.292:                              ;   in Loop: Header=BB127_45 Depth=1
	v_cmp_ge_u64_e32 vcc, s[10:11], v[4:5]
	s_and_saveexec_b64 s[26:27], vcc
	s_xor_b64 s[26:27], exec, s[26:27]
	s_cbranch_execz .LBB127_297
; %bb.293:                              ;   in Loop: Header=BB127_45 Depth=1
	ds_read_b64 v[2:3], v17 offset:5120
	v_or_b32_e32 v48, s76, v48
	v_or_b32_e32 v52, s76, v52
	s_waitcnt lgkmcnt(0)
	v_cmp_ne_u64_e32 vcc, 0, v[2:3]
	s_cbranch_vccnz .LBB127_297
; %bb.294:                              ;   in Loop: Header=BB127_45 Depth=1
	s_mov_b64 s[34:35], exec
	v_readlane_b32 s36, v57, 14
	v_readlane_b32 s37, v57, 15
	s_and_b64 s[36:37], s[34:35], s[36:37]
	s_mov_b64 exec, s[36:37]
; %bb.295:                              ;   in Loop: Header=BB127_45 Depth=1
	v_mov_b32_e32 v2, s10
	v_mov_b32_e32 v3, s11
	ds_write_b64 v17, v[2:3] offset:5128
; %bb.296:                              ;   in Loop: Header=BB127_45 Depth=1
	s_or_b64 exec, exec, s[34:35]
	s_waitcnt lgkmcnt(0)
	s_barrier
.LBB127_297:                            ;   in Loop: Header=BB127_45 Depth=1
	s_andn2_saveexec_b64 s[26:27], s[26:27]
; %bb.298:                              ;   in Loop: Header=BB127_45 Depth=1
	v_mov_b32_e32 v2, s11
	v_subrev_co_u32_e32 v4, vcc, s10, v4
	v_subb_co_u32_e32 v5, vcc, v5, v2, vcc
; %bb.299:                              ;   in Loop: Header=BB127_45 Depth=1
	s_or_b64 exec, exec, s[26:27]
	v_mov_b32_e32 v2, v4
	v_mov_b32_e32 v16, 8
	;; [unrolled: 1-line block ×3, first 2 shown]
.LBB127_300:                            ;   in Loop: Header=BB127_45 Depth=1
	s_or_b64 exec, exec, s[8:9]
	v_mov_b32_e32 v5, v3
	s_mov_b64 s[26:27], exec
	v_mov_b32_e32 v4, v2
.LBB127_301:                            ;   in Loop: Header=BB127_45 Depth=1
	s_or_b64 exec, exec, s[2:3]
	s_orn2_b64 s[2:3], s[26:27], exec
.LBB127_302:                            ;   in Loop: Header=BB127_45 Depth=1
	s_or_b64 exec, exec, s[18:19]
	s_andn2_b64 s[8:9], s[28:29], exec
	s_and_b64 s[10:11], s[40:41], exec
	s_or_b64 s[28:29], s[8:9], s[10:11]
	s_andn2_b64 s[8:9], s[24:25], exec
	s_and_b64 s[10:11], s[38:39], exec
	v_mov_b32_e32 v2, v4
	s_or_b64 s[24:25], s[8:9], s[10:11]
	s_and_b64 s[8:9], s[2:3], exec
	v_mov_b32_e32 v3, v5
.LBB127_303:                            ;   in Loop: Header=BB127_45 Depth=1
	s_or_b64 exec, exec, s[30:31]
	s_orn2_b64 s[2:3], s[8:9], exec
.LBB127_304:                            ;   in Loop: Header=BB127_45 Depth=1
	s_or_b64 exec, exec, s[22:23]
	s_andn2_b64 s[6:7], s[6:7], exec
	s_and_b64 s[8:9], s[28:29], exec
	s_or_b64 s[6:7], s[6:7], s[8:9]
	s_andn2_b64 s[0:1], s[0:1], exec
	s_and_b64 s[8:9], s[24:25], exec
	v_mov_b32_e32 v7, v3
	s_or_b64 s[0:1], s[0:1], s[8:9]
	s_and_b64 s[8:9], s[2:3], exec
	v_mov_b32_e32 v6, v2
.LBB127_305:                            ;   in Loop: Header=BB127_45 Depth=1
	s_or_b64 exec, exec, s[20:21]
	s_orn2_b64 s[2:3], s[8:9], exec
.LBB127_306:                            ;   in Loop: Header=BB127_45 Depth=1
	s_or_b64 exec, exec, s[16:17]
	s_mov_b64 s[8:9], 0
	s_and_saveexec_b64 s[10:11], s[2:3]
	s_xor_b64 s[2:3], exec, s[10:11]
	s_cbranch_execz .LBB127_43
; %bb.307:                              ;   in Loop: Header=BB127_45 Depth=1
	v_and_b32_e32 v2, 7, v16
	v_cmp_eq_u32_e32 vcc, 0, v2
	s_mov_b64 s[10:11], -1
	s_mov_b64 s[8:9], -1
	s_and_saveexec_b64 s[14:15], vcc
	s_cbranch_execz .LBB127_42
; %bb.308:                              ;   in Loop: Header=BB127_45 Depth=1
	s_xor_b32 s5, s5, 1
	s_add_i32 s16, s60, -2
	s_cmp_eq_u32 s60, 0
	s_cselect_b64 s[10:11], -1, 0
	s_xor_b64 s[8:9], exec, -1
	s_orn2_b64 s[10:11], s[10:11], exec
	s_mov_b32 s60, s16
	s_branch .LBB127_42
.LBB127_309:                            ;   in Loop: Header=BB127_45 Depth=1
                                        ; implicit-def: $sgpr26_sgpr27
	s_branch .LBB127_260
.LBB127_310:                            ;   in Loop: Header=BB127_45 Depth=1
                                        ; implicit-def: $sgpr8_sgpr9
	s_branch .LBB127_277
.LBB127_311:
	s_or_b64 exec, exec, s[68:69]
	v_readlane_b32 s0, v57, 39
	v_readlane_b32 s1, v57, 40
	s_xor_b64 s[4:5], s[0:1], -1
	s_xor_b64 s[2:3], s[62:63], -1
	;; [unrolled: 1-line block ×3, first 2 shown]
	s_mov_b64 s[0:1], 0
	s_and_saveexec_b64 s[8:9], s[2:3]
	s_xor_b64 s[2:3], exec, s[8:9]
	s_cbranch_execnz .LBB127_316
; %bb.312:
	s_andn2_saveexec_b64 s[2:3], s[2:3]
	s_cbranch_execnz .LBB127_329
.LBB127_313:
	s_or_b64 exec, exec, s[2:3]
	s_and_saveexec_b64 s[2:3], s[0:1]
.LBB127_314:
	; divergent unreachable
.LBB127_315:
	s_endpgm
.LBB127_316:
	s_and_saveexec_b64 s[0:1], s[4:5]
	s_xor_b64 s[4:5], exec, s[0:1]
	s_cbranch_execz .LBB127_327
; %bb.317:
	s_and_saveexec_b64 s[0:1], s[6:7]
	s_xor_b64 s[0:1], exec, s[0:1]
; %bb.318:
	v_bfrev_b32_e32 v2, 1
	v_cmp_lt_i32_e32 vcc, -1, v48
	v_cndmask_b32_e64 v2, v2, -1, vcc
	v_xor_b32_e32 v28, v2, v48
; %bb.319:
	s_or_b64 exec, exec, s[0:1]
	v_readlane_b32 s6, v57, 2
	v_readlane_b32 s7, v57, 3
	;; [unrolled: 1-line block ×4, first 2 shown]
	s_mul_i32 s0, s8, s7
	s_mul_hi_u32 s1, s8, s6
	s_add_i32 s0, s1, s0
	s_mul_i32 s1, s9, s6
	s_add_i32 s1, s0, s1
	s_mul_i32 s0, s8, s6
	s_lshl_b64 s[0:1], s[0:1], 2
	v_readlane_b32 s6, v57, 8
	v_readlane_b32 s7, v57, 9
	s_add_u32 s6, s6, s0
	s_addc_u32 s7, s7, s1
	v_readlane_b32 s0, v57, 0
	v_readlane_b32 s1, v57, 1
	s_lshl_b64 s[0:1], s[0:1], 2
	s_add_u32 s0, s6, s0
	s_addc_u32 s1, s7, s1
	v_mov_b32_e32 v2, 0
	s_nop 0
	global_store_dword v2, v28, s[0:1]
	s_mov_b64 s[6:7], exec
	v_readlane_b32 s0, v57, 12
	v_readlane_b32 s1, v57, 13
	s_and_b64 s[0:1], s[6:7], s[0:1]
	s_mov_b64 exec, s[0:1]
	s_cbranch_execz .LBB127_326
; %bb.320:
	v_cmp_u_f32_e32 vcc, v28, v28
	s_mov_b64 s[8:9], 0
	s_xor_b64 s[12:13], vcc, -1
                                        ; implicit-def: $sgpr10_sgpr11
                                        ; implicit-def: $sgpr16_sgpr17
                                        ; implicit-def: $sgpr14_sgpr15
	s_branch .LBB127_322
.LBB127_321:                            ;   in Loop: Header=BB127_322 Depth=1
	s_or_b64 exec, exec, s[0:1]
	s_and_b64 s[0:1], exec, s[16:17]
	s_or_b64 s[8:9], s[0:1], s[8:9]
	s_andn2_b64 s[0:1], s[10:11], exec
	s_and_b64 s[10:11], s[14:15], exec
	s_or_b64 s[10:11], s[0:1], s[10:11]
	s_andn2_b64 exec, exec, s[8:9]
	s_cbranch_execz .LBB127_324
.LBB127_322:                            ; =>This Inner Loop Header: Depth=1
	global_load_dword v4, v[10:11], off
	v_mov_b32_e32 v3, v1
	v_mov_b32_e32 v2, v0
	s_or_b64 s[14:15], s[14:15], exec
	s_or_b64 s[16:17], s[16:17], exec
                                        ; implicit-def: $vgpr0_vgpr1
	s_waitcnt vmcnt(0)
	v_cmp_o_f32_e64 s[0:1], v4, v4
	v_cmp_neq_f32_e32 vcc, v4, v28
	s_or_b64 s[0:1], s[0:1], s[12:13]
	s_and_b64 s[18:19], vcc, s[0:1]
	s_and_saveexec_b64 s[0:1], s[18:19]
	s_cbranch_execz .LBB127_321
; %bb.323:                              ;   in Loop: Header=BB127_322 Depth=1
	v_add_co_u32_e32 v0, vcc, s33, v2
	v_addc_co_u32_e32 v1, vcc, 0, v3, vcc
	v_mov_b32_e32 v4, s45
	v_add_co_u32_e32 v10, vcc, s44, v10
	v_addc_co_u32_e32 v11, vcc, v11, v4, vcc
	v_cmp_le_u64_e32 vcc, s[52:53], v[0:1]
	s_andn2_b64 s[16:17], s[16:17], exec
	s_and_b64 s[18:19], vcc, exec
	s_andn2_b64 s[14:15], s[14:15], exec
	s_or_b64 s[16:17], s[16:17], s[18:19]
	s_branch .LBB127_321
.LBB127_324:
	s_or_b64 exec, exec, s[8:9]
	s_and_saveexec_b64 s[0:1], s[10:11]
	s_xor_b64 s[0:1], exec, s[0:1]
	s_cbranch_execz .LBB127_326
; %bb.325:
	v_readlane_b32 s8, v57, 6
	v_readlane_b32 s9, v57, 7
	s_mul_i32 s0, s8, s65
	s_mul_hi_u32 s1, s8, s64
	s_add_i32 s0, s1, s0
	s_mul_i32 s1, s9, s64
	s_add_i32 s1, s0, s1
	s_mul_i32 s0, s8, s64
	s_lshl_b64 s[0:1], s[0:1], 3
	v_readlane_b32 s8, v57, 10
	v_readlane_b32 s9, v57, 11
	s_add_u32 s8, s8, s0
	s_addc_u32 s9, s9, s1
	s_lshl_b64 s[0:1], s[48:49], 3
	s_add_u32 s0, s8, s0
	s_addc_u32 s1, s9, s1
	v_mov_b32_e32 v0, 0
	global_store_dwordx2 v0, v[2:3], s[0:1]
.LBB127_326:
	s_or_b64 exec, exec, s[6:7]
.LBB127_327:
	s_or_saveexec_b64 s[0:1], s[4:5]
	s_mov_b64 s[4:5], 0
	s_xor_b64 exec, exec, s[0:1]
	s_cbranch_execnz .LBB127_330
.LBB127_328:
	s_or_b64 exec, exec, s[0:1]
	s_and_b64 s[0:1], s[4:5], exec
	s_andn2_saveexec_b64 s[2:3], s[2:3]
	s_cbranch_execz .LBB127_313
.LBB127_329:
	s_or_b64 s[0:1], s[0:1], exec
	s_trap 2
	s_or_b64 exec, exec, s[2:3]
	s_and_saveexec_b64 s[2:3], s[0:1]
	s_cbranch_execnz .LBB127_314
	s_branch .LBB127_315
.LBB127_330:
	s_mov_b64 s[4:5], exec
	s_trap 2
	s_branch .LBB127_328
	.section	.rodata,"a",@progbits
	.p2align	6, 0x0
	.amdhsa_kernel _ZN2at6native12_GLOBAL__N_112gatherMedianIfmLin1EEEvNS_4cuda6detail10TensorInfoIT_T0_EENS5_IlS7_EENS5_IKS6_S7_EES7_S7_S7_b
		.amdhsa_group_segment_fixed_size 5152
		.amdhsa_private_segment_fixed_size 0
		.amdhsa_kernarg_size 1536
		.amdhsa_user_sgpr_count 6
		.amdhsa_user_sgpr_private_segment_buffer 1
		.amdhsa_user_sgpr_dispatch_ptr 0
		.amdhsa_user_sgpr_queue_ptr 0
		.amdhsa_user_sgpr_kernarg_segment_ptr 1
		.amdhsa_user_sgpr_dispatch_id 0
		.amdhsa_user_sgpr_flat_scratch_init 0
		.amdhsa_user_sgpr_private_segment_size 0
		.amdhsa_uses_dynamic_stack 0
		.amdhsa_system_sgpr_private_segment_wavefront_offset 0
		.amdhsa_system_sgpr_workgroup_id_x 1
		.amdhsa_system_sgpr_workgroup_id_y 1
		.amdhsa_system_sgpr_workgroup_id_z 1
		.amdhsa_system_sgpr_workgroup_info 0
		.amdhsa_system_vgpr_workitem_id 0
		.amdhsa_next_free_vgpr 58
		.amdhsa_next_free_sgpr 96
		.amdhsa_reserve_vcc 1
		.amdhsa_reserve_flat_scratch 0
		.amdhsa_float_round_mode_32 0
		.amdhsa_float_round_mode_16_64 0
		.amdhsa_float_denorm_mode_32 3
		.amdhsa_float_denorm_mode_16_64 3
		.amdhsa_dx10_clamp 1
		.amdhsa_ieee_mode 1
		.amdhsa_fp16_overflow 0
		.amdhsa_exception_fp_ieee_invalid_op 0
		.amdhsa_exception_fp_denorm_src 0
		.amdhsa_exception_fp_ieee_div_zero 0
		.amdhsa_exception_fp_ieee_overflow 0
		.amdhsa_exception_fp_ieee_underflow 0
		.amdhsa_exception_fp_ieee_inexact 0
		.amdhsa_exception_int_div_zero 0
	.end_amdhsa_kernel
	.section	.text._ZN2at6native12_GLOBAL__N_112gatherMedianIfmLin1EEEvNS_4cuda6detail10TensorInfoIT_T0_EENS5_IlS7_EENS5_IKS6_S7_EES7_S7_S7_b,"axG",@progbits,_ZN2at6native12_GLOBAL__N_112gatherMedianIfmLin1EEEvNS_4cuda6detail10TensorInfoIT_T0_EENS5_IlS7_EENS5_IKS6_S7_EES7_S7_S7_b,comdat
.Lfunc_end127:
	.size	_ZN2at6native12_GLOBAL__N_112gatherMedianIfmLin1EEEvNS_4cuda6detail10TensorInfoIT_T0_EENS5_IlS7_EENS5_IKS6_S7_EES7_S7_S7_b, .Lfunc_end127-_ZN2at6native12_GLOBAL__N_112gatherMedianIfmLin1EEEvNS_4cuda6detail10TensorInfoIT_T0_EENS5_IlS7_EENS5_IKS6_S7_EES7_S7_S7_b
                                        ; -- End function
	.set _ZN2at6native12_GLOBAL__N_112gatherMedianIfmLin1EEEvNS_4cuda6detail10TensorInfoIT_T0_EENS5_IlS7_EENS5_IKS6_S7_EES7_S7_S7_b.num_vgpr, 58
	.set _ZN2at6native12_GLOBAL__N_112gatherMedianIfmLin1EEEvNS_4cuda6detail10TensorInfoIT_T0_EENS5_IlS7_EENS5_IKS6_S7_EES7_S7_S7_b.num_agpr, 0
	.set _ZN2at6native12_GLOBAL__N_112gatherMedianIfmLin1EEEvNS_4cuda6detail10TensorInfoIT_T0_EENS5_IlS7_EENS5_IKS6_S7_EES7_S7_S7_b.numbered_sgpr, 96
	.set _ZN2at6native12_GLOBAL__N_112gatherMedianIfmLin1EEEvNS_4cuda6detail10TensorInfoIT_T0_EENS5_IlS7_EENS5_IKS6_S7_EES7_S7_S7_b.num_named_barrier, 0
	.set _ZN2at6native12_GLOBAL__N_112gatherMedianIfmLin1EEEvNS_4cuda6detail10TensorInfoIT_T0_EENS5_IlS7_EENS5_IKS6_S7_EES7_S7_S7_b.private_seg_size, 0
	.set _ZN2at6native12_GLOBAL__N_112gatherMedianIfmLin1EEEvNS_4cuda6detail10TensorInfoIT_T0_EENS5_IlS7_EENS5_IKS6_S7_EES7_S7_S7_b.uses_vcc, 1
	.set _ZN2at6native12_GLOBAL__N_112gatherMedianIfmLin1EEEvNS_4cuda6detail10TensorInfoIT_T0_EENS5_IlS7_EENS5_IKS6_S7_EES7_S7_S7_b.uses_flat_scratch, 0
	.set _ZN2at6native12_GLOBAL__N_112gatherMedianIfmLin1EEEvNS_4cuda6detail10TensorInfoIT_T0_EENS5_IlS7_EENS5_IKS6_S7_EES7_S7_S7_b.has_dyn_sized_stack, 0
	.set _ZN2at6native12_GLOBAL__N_112gatherMedianIfmLin1EEEvNS_4cuda6detail10TensorInfoIT_T0_EENS5_IlS7_EENS5_IKS6_S7_EES7_S7_S7_b.has_recursion, 0
	.set _ZN2at6native12_GLOBAL__N_112gatherMedianIfmLin1EEEvNS_4cuda6detail10TensorInfoIT_T0_EENS5_IlS7_EENS5_IKS6_S7_EES7_S7_S7_b.has_indirect_call, 0
	.section	.AMDGPU.csdata,"",@progbits
; Kernel info:
; codeLenInByte = 17884
; TotalNumSgprs: 100
; NumVgprs: 58
; ScratchSize: 0
; MemoryBound: 0
; FloatMode: 240
; IeeeMode: 1
; LDSByteSize: 5152 bytes/workgroup (compile time only)
; SGPRBlocks: 12
; VGPRBlocks: 14
; NumSGPRsForWavesPerEU: 100
; NumVGPRsForWavesPerEU: 58
; Occupancy: 4
; WaveLimiterHint : 1
; COMPUTE_PGM_RSRC2:SCRATCH_EN: 0
; COMPUTE_PGM_RSRC2:USER_SGPR: 6
; COMPUTE_PGM_RSRC2:TRAP_HANDLER: 0
; COMPUTE_PGM_RSRC2:TGID_X_EN: 1
; COMPUTE_PGM_RSRC2:TGID_Y_EN: 1
; COMPUTE_PGM_RSRC2:TGID_Z_EN: 1
; COMPUTE_PGM_RSRC2:TIDIG_COMP_CNT: 0
	.section	.text._ZN2at6native12_GLOBAL__N_112gatherMedianIN3c104HalfEjLi1EEEvNS_4cuda6detail10TensorInfoIT_T0_EENS7_IlS9_EENS7_IKS8_S9_EES9_S9_S9_b,"axG",@progbits,_ZN2at6native12_GLOBAL__N_112gatherMedianIN3c104HalfEjLi1EEEvNS_4cuda6detail10TensorInfoIT_T0_EENS7_IlS9_EENS7_IKS8_S9_EES9_S9_S9_b,comdat
	.globl	_ZN2at6native12_GLOBAL__N_112gatherMedianIN3c104HalfEjLi1EEEvNS_4cuda6detail10TensorInfoIT_T0_EENS7_IlS9_EENS7_IKS8_S9_EES9_S9_S9_b ; -- Begin function _ZN2at6native12_GLOBAL__N_112gatherMedianIN3c104HalfEjLi1EEEvNS_4cuda6detail10TensorInfoIT_T0_EENS7_IlS9_EENS7_IKS8_S9_EES9_S9_S9_b
	.p2align	8
	.type	_ZN2at6native12_GLOBAL__N_112gatherMedianIN3c104HalfEjLi1EEEvNS_4cuda6detail10TensorInfoIT_T0_EENS7_IlS9_EENS7_IKS8_S9_EES9_S9_S9_b,@function
_ZN2at6native12_GLOBAL__N_112gatherMedianIN3c104HalfEjLi1EEEvNS_4cuda6detail10TensorInfoIT_T0_EENS7_IlS9_EENS7_IKS8_S9_EES9_S9_S9_b: ; @_ZN2at6native12_GLOBAL__N_112gatherMedianIN3c104HalfEjLi1EEEvNS_4cuda6detail10TensorInfoIT_T0_EENS7_IlS9_EENS7_IKS8_S9_EES9_S9_S9_b
; %bb.0:
	s_load_dwordx2 s[12:13], s[4:5], 0x298
	s_load_dwordx4 s[36:39], s[4:5], 0x288
	s_add_u32 s10, s4, 0x298
	s_addc_u32 s11, s5, 0
	s_waitcnt lgkmcnt(0)
	s_mul_i32 s0, s13, s8
	s_add_i32 s0, s0, s7
	s_mul_i32 s0, s0, s12
	s_add_i32 s7, s0, s6
	s_cmp_ge_u32 s7, s37
	s_cbranch_scc1 .LBB128_268
; %bb.1:
	s_load_dword s2, s[4:5], 0x21c
	s_load_dwordx2 s[0:1], s[4:5], 0x1b0
	s_load_dwordx2 s[8:9], s[4:5], 0xd8
                                        ; implicit-def: $vgpr53 : SGPR spill to VGPR lane
	s_mov_b32 s3, 0
	v_mov_b32_e32 v3, 0
	s_waitcnt lgkmcnt(0)
	s_mul_i32 s2, s2, s7
	s_lshl_b64 s[2:3], s[2:3], 1
	v_writelane_b32 v53, s8, 0
	v_writelane_b32 v53, s9, 1
	s_load_dwordx2 s[8:9], s[4:5], 0x0
	s_add_u32 s37, s0, s2
	s_addc_u32 s13, s1, s3
	v_cmp_gt_u32_e64 s[0:1], s36, v0
	s_waitcnt lgkmcnt(0)
	v_writelane_b32 v53, s8, 2
	v_writelane_b32 v53, s9, 3
	s_mov_b64 s[2:3], exec
	v_writelane_b32 v53, s0, 4
	v_writelane_b32 v53, s1, 5
	s_and_b64 s[0:1], s[2:3], s[0:1]
	s_mov_b64 exec, s[0:1]
	s_cbranch_execz .LBB128_5
; %bb.2:
	s_load_dword s0, s[10:11], 0xc
	v_mul_lo_u32 v1, v0, s38
	v_mov_b32_e32 v2, 0
	s_mov_b64 s[8:9], 0
	v_mov_b32_e32 v4, s13
	s_waitcnt lgkmcnt(0)
	s_and_b32 s0, s0, 0xffff
	s_mul_i32 s1, s38, s0
	v_mov_b32_e32 v3, v2
	v_mov_b32_e32 v5, v0
.LBB128_3:                              ; =>This Inner Loop Header: Depth=1
	v_lshlrev_b64 v[6:7], 1, v[1:2]
	v_add_u32_e32 v5, s0, v5
	v_add_co_u32_e32 v6, vcc, s37, v6
	v_addc_co_u32_e32 v7, vcc, v4, v7, vcc
	global_load_ushort v6, v[6:7], off
	v_cmp_le_u32_e32 vcc, s36, v5
	s_or_b64 s[8:9], vcc, s[8:9]
	v_add_u32_e32 v1, s1, v1
	s_waitcnt vmcnt(0)
	v_cmp_u_f16_e32 vcc, v6, v6
	v_addc_co_u32_e32 v3, vcc, 0, v3, vcc
	s_andn2_b64 exec, exec, s[8:9]
	s_cbranch_execnz .LBB128_3
; %bb.4:
	s_or_b64 exec, exec, s[8:9]
.LBB128_5:
	s_or_b64 exec, exec, s[2:3]
	s_load_dword s0, s[4:5], 0x144
	v_cmp_eq_u32_e64 s[2:3], 0, v0
                                        ; kill: killed $sgpr4 killed $sgpr5
	s_waitcnt lgkmcnt(0)
	v_writelane_b32 v53, s0, 6
	s_load_dword s0, s[4:5], 0x6c
	s_waitcnt lgkmcnt(0)
	v_writelane_b32 v53, s0, 7
	s_and_saveexec_b64 s[4:5], s[2:3]
; %bb.6:
	v_mov_b32_e32 v1, 0
	v_mov_b32_e32 v2, v1
	ds_write_b64 v1, v[1:2] offset:4096
; %bb.7:
	v_writelane_b32 v53, s7, 8
	s_or_b64 exec, exec, s[4:5]
	v_cmp_ne_u32_e32 vcc, 0, v3
	s_waitcnt lgkmcnt(0)
	s_barrier
	s_and_saveexec_b64 s[4:5], vcc
	s_cbranch_execz .LBB128_12
; %bb.8:
	s_mov_b64 s[14:15], exec
	v_mov_b32_e32 v1, 0
	s_mov_b64 s[8:9], 0
.LBB128_9:                              ; =>This Inner Loop Header: Depth=1
	s_ff1_i32_b64 s0, s[14:15]
	v_readlane_b32 s7, v3, s0
	v_readlane_b32 s1, v1, s0
	s_add_u32 s8, s8, s7
	s_addc_u32 s9, s9, s1
	s_lshl_b64 s[0:1], 1, s0
	s_andn2_b64 s[14:15], s[14:15], s[0:1]
	s_cmp_lg_u64 s[14:15], 0
	s_cbranch_scc1 .LBB128_9
; %bb.10:
	v_mbcnt_lo_u32_b32 v1, exec_lo, 0
	v_mbcnt_hi_u32_b32 v1, exec_hi, v1
	v_cmp_eq_u32_e32 vcc, 0, v1
	s_and_saveexec_b64 s[0:1], vcc
	s_xor_b64 s[0:1], exec, s[0:1]
; %bb.11:
	v_mov_b32_e32 v1, s8
	v_mov_b32_e32 v3, 0
	;; [unrolled: 1-line block ×3, first 2 shown]
	ds_add_u64 v3, v[1:2] offset:4096
.LBB128_12:
	s_or_b64 exec, exec, s[4:5]
	v_mov_b32_e32 v1, 0
	s_waitcnt lgkmcnt(0)
	s_barrier
	ds_read_b64 v[1:2], v1 offset:4096
	s_bitcmp1_b32 s39, 0
	s_cselect_b64 s[8:9], -1, 0
	s_mov_b32 s7, s36
	s_waitcnt lgkmcnt(0)
	v_readfirstlane_b32 s4, v1
	v_readfirstlane_b32 s5, v2
	v_cmp_lt_i64_e64 s[0:1], s[4:5], 1
	s_or_b64 s[0:1], s[8:9], s[0:1]
	s_andn2_b64 vcc, exec, s[0:1]
	s_cbranch_vccnz .LBB128_14
; %bb.13:
	s_not_b64 s[0:1], s[4:5]
	s_add_u32 s0, s0, s36
	s_addc_u32 s1, s1, 0
	s_lshr_b32 s4, s1, 31
	s_add_u32 s0, s0, s4
	s_addc_u32 s1, s1, 0
	s_lshr_b64 s[0:1], s[0:1], 1
	s_add_i32 s7, s0, 1
.LBB128_14:
	s_and_saveexec_b64 s[4:5], s[2:3]
	s_cbranch_execz .LBB128_16
; %bb.15:
	v_mov_b32_e32 v1, 0
	v_mov_b32_e32 v2, s36
	ds_write_b32 v1, v1 offset:4112
	ds_write_b64 v1, v[1:2] offset:4104
.LBB128_16:
	s_or_b64 exec, exec, s[4:5]
	s_waitcnt lgkmcnt(0)
	s_barrier
	s_load_dword s0, s[10:11], 0xc
	v_mul_lo_u32 v5, s38, v0
	v_mov_b32_e32 v7, 0
	v_mbcnt_lo_u32_b32 v1, -1, 0
	v_mov_b32_e32 v6, v7
	s_waitcnt lgkmcnt(0)
	s_and_b32 s39, s0, 0xffff
	v_mbcnt_hi_u32_b32 v21, -1, v1
	v_lshlrev_b64 v[1:2], 1, v[5:6]
	v_cmp_gt_u32_e32 vcc, 64, v0
	v_cmp_gt_i32_e64 s[8:9], 4, v21
	s_add_i32 s15, s39, -1
	s_lshl_b32 s14, s39, 2
	s_bfe_u32 s0, s0, 0xa0006
	s_and_b64 s[42:43], vcc, s[8:9]
	s_add_i32 s1, s15, s36
	v_mov_b32_e32 v3, s13
	v_add_co_u32_e32 v8, vcc, s37, v1
	s_cmpk_gt_u32 s36, 0x600
	v_addc_co_u32_e32 v9, vcc, v3, v2, vcc
	v_lshlrev_b64 v[2:3], v21, -1
	s_cselect_b64 s[44:45], -1, 0
	s_cmp_gt_u32 s39, 63
	s_cselect_b64 s[46:47], -1, 0
	v_not_b32_e32 v26, v2
	v_lshrrev_b32_e32 v2, 2, v0
	s_cmp_lt_u32 s6, s12
	v_and_b32_e32 v2, 0xf0, v2
	s_cselect_b32 s6, 12, 18
	v_or_b32_e32 v27, 0xc00, v2
	s_add_u32 s8, s10, s6
	v_add_u32_e32 v2, 2, v0
	s_addc_u32 s9, s11, 0
	v_max_u32_e32 v2, s36, v2
	v_writelane_b32 v53, s8, 9
	v_xad_u32 v2, v0, -1, v2
	v_not_b32_e32 v25, v3
	v_writelane_b32 v53, s9, 10
	v_add_u32_e32 v3, -2, v2
	v_cmp_lt_u32_e64 s[8:9], 31, v2
	v_lshrrev_b32_e32 v4, 1, v3
	v_writelane_b32 v53, s8, 11
	v_add_u32_e32 v4, 1, v4
	v_writelane_b32 v53, s9, 12
	v_cmp_lt_u32_e64 s[8:9], 13, v3
	v_and_b32_e32 v12, 7, v4
	v_writelane_b32 v53, s8, 13
	v_writelane_b32 v53, s9, 14
	v_cmp_ne_u32_e64 s[8:9], 0, v12
	v_and_b32_e32 v28, -2, v2
	v_writelane_b32 v53, s8, 15
	v_writelane_b32 v53, s9, 16
	v_cmp_ne_u32_e64 s[8:9], v2, v28
	v_cvt_f32_u32_e32 v2, s14
	v_writelane_b32 v53, s8, 17
	s_add_i32 s6, s0, -1
	v_writelane_b32 v53, s9, 18
	v_rcp_iflag_f32_e32 v2, v2
	s_bfe_u32 s8, s39, 0x30006
	s_and_b32 s6, s6, 0xffff
	s_cmp_gt_u32 s6, 6
	v_mul_f32_e32 v2, 0x4f7ffffe, v2
	s_cselect_b64 s[10:11], -1, 0
	v_cvt_u32_f32_e32 v2, v2
	v_writelane_b32 v53, s10, 19
	v_writelane_b32 v53, s11, 20
	s_and_b32 s10, s0, 0x3f8
	s_cmp_lg_u32 s8, 0
	v_writelane_b32 v53, s8, 21
	s_cselect_b64 s[8:9], -1, 0
	s_sub_i32 s0, 0, s14
	v_readfirstlane_b32 s6, v2
	v_cvt_f32_u32_e32 v2, s39
	s_mul_i32 s0, s0, s6
	s_mul_hi_u32 s0, s6, s0
	s_add_i32 s11, s6, s0
	v_and_b32_e32 v30, -8, v4
	s_mul_hi_u32 s0, s36, s11
	v_rcp_iflag_f32_e32 v4, v2
	s_mul_i32 s0, s0, s14
	s_sub_i32 s0, s36, s0
	s_sub_i32 s6, s0, s14
	s_cmp_ge_u32 s0, s14
	v_mul_f32_e32 v4, 0x4f7ffffe, v4
	s_cselect_b32 s0, s6, s0
	v_cvt_u32_f32_e32 v4, v4
	s_sub_i32 s6, s0, s14
	s_cmp_ge_u32 s0, s14
	v_writelane_b32 v53, s8, 22
	s_cselect_b32 s6, s6, s0
	v_writelane_b32 v53, s9, 23
	s_sub_i32 s8, s36, s6
	s_sub_i32 s0, 0, s39
	v_readfirstlane_b32 s9, v4
	v_add_u32_e32 v31, s8, v0
	s_mul_i32 s0, s0, s9
	v_mul_lo_u32 v6, v31, s38
	s_mul_hi_u32 s0, s9, s0
	s_add_i32 s9, s9, s0
	s_mul_hi_u32 s0, s1, s9
	s_mul_i32 s0, s0, s39
	v_lshlrev_b64 v[2:3], 1, v[6:7]
	s_sub_i32 s0, s1, s0
	v_lshlrev_b32_e32 v20, 2, v0
	s_sub_i32 s20, s0, s39
	v_add_co_u32_e32 v10, vcc, s37, v2
	s_cmp_ge_u32 s0, s39
	v_mul_lo_u32 v2, s38, v20
	s_cselect_b32 s0, s20, s0
	s_sub_i32 s20, s0, s39
	s_cmp_ge_u32 s0, s39
	s_cselect_b32 s0, s20, s0
	v_add_u32_e32 v33, s38, v2
	v_or_b32_e32 v2, 2, v20
	s_sub_i32 s41, s1, s0
	v_mul_lo_u32 v34, s38, v2
	v_or_b32_e32 v2, 3, v20
	s_add_i32 s1, s39, s36
	v_mul_lo_u32 v35, s38, v2
	v_add_u32_e32 v2, s1, v0
	v_subrev_u32_e32 v2, s6, v2
	v_mul_lo_u32 v37, s38, v2
	v_lshlrev_b32_e32 v22, 1, v0
	v_lshlrev_b32_e32 v1, 2, v21
	v_mov_b32_e32 v6, s13
	s_mul_i32 s40, s38, s39
	s_mov_b32 s33, 0
	v_cmp_eq_u32_e64 s[4:5], 0, v21
	v_cmp_gt_u32_e64 s[24:25], 2, v0
	v_add_u32_e32 v23, 0xc00, v22
	v_and_b32_e32 v24, 0x100, v1
	v_add_u32_e32 v29, v0, v28
	s_mov_b32 s12, s38
	v_cmp_gt_u32_e64 s[16:17], s8, v20
	v_cmp_gt_u32_e64 s[18:19], s36, v31
	v_addc_co_u32_e32 v11, vcc, v6, v3, vcc
	v_cmp_gt_u32_e64 s[20:21], s41, v0
	v_lshlrev_b32_e32 v32, 2, v12
	s_lshl_b32 s0, s40, 2
	v_lshlrev_b32_e32 v36, 2, v5
	s_lshl_b32 s1, s39, 3
	s_lshl_b32 s48, s39, 1
	v_or_b32_e32 v39, 0xc00, v1
	s_mov_b64 s[54:55], 0
	s_mov_b32 s49, 0x5040100
	s_movk_i32 s50, 0x3c00
	v_lshlrev_b32_e32 v40, 3, v0
	v_mov_b32_e32 v45, 14
	v_mov_b32_e32 v48, s7
	;; [unrolled: 1-line block ×4, first 2 shown]
	v_mov_b32_e32 v43, -1
	v_mov_b32_e32 v44, 0x5040100
	v_mov_b32_e32 v47, 0
	;; [unrolled: 1-line block ×4, first 2 shown]
                                        ; implicit-def: $sgpr56_sgpr57
                                        ; implicit-def: $sgpr60_sgpr61
                                        ; implicit-def: $sgpr58_sgpr59
                                        ; implicit-def: $sgpr64_sgpr65
                                        ; implicit-def: $sgpr66_sgpr67
                                        ; implicit-def: $sgpr62_sgpr63
	s_branch .LBB128_20
.LBB128_17:                             ;   in Loop: Header=BB128_20 Depth=1
	s_or_b64 exec, exec, s[68:69]
	s_and_b64 s[70:71], s[34:35], exec
	s_andn2_b64 s[30:31], s[30:31], exec
	s_andn2_b64 s[28:29], s[28:29], exec
	s_orn2_b64 s[22:23], s[22:23], exec
.LBB128_18:                             ;   in Loop: Header=BB128_20 Depth=1
	s_or_b64 exec, exec, s[26:27]
	s_andn2_b64 s[26:27], s[62:63], exec
	s_and_b64 s[34:35], s[70:71], exec
	s_or_b64 s[62:63], s[26:27], s[34:35]
	s_andn2_b64 s[26:27], s[66:67], exec
	s_and_b64 s[30:31], s[30:31], exec
	s_or_b64 s[66:67], s[26:27], s[30:31]
	;; [unrolled: 3-line block ×3, first 2 shown]
	s_orn2_b64 s[22:23], s[22:23], exec
.LBB128_19:                             ;   in Loop: Header=BB128_20 Depth=1
	s_or_b64 exec, exec, s[6:7]
	s_and_b64 s[6:7], exec, s[22:23]
	s_or_b64 s[54:55], s[6:7], s[54:55]
	s_andn2_b64 s[6:7], s[58:59], exec
	s_and_b64 s[22:23], s[62:63], exec
	s_or_b64 s[58:59], s[6:7], s[22:23]
	s_andn2_b64 s[6:7], s[60:61], exec
	s_and_b64 s[22:23], s[66:67], exec
	;; [unrolled: 3-line block ×3, first 2 shown]
	s_or_b64 s[56:57], s[6:7], s[22:23]
	s_mov_b32 s33, s72
	v_mov_b32_e32 v48, v4
	s_andn2_b64 exec, exec, s[54:55]
	s_cbranch_execz .LBB128_264
.LBB128_20:                             ; =>This Loop Header: Depth=1
                                        ;     Child Loop BB128_25 Depth 2
                                        ;     Child Loop BB128_46 Depth 2
	;; [unrolled: 1-line block ×18, first 2 shown]
	ds_read_b64 v[1:2], v7 offset:4104
	s_waitcnt lgkmcnt(0)
	v_readfirstlane_b32 s34, v1
	s_cmp_lg_u32 s34, 0
	s_cbranch_scc1 .LBB128_65
; %bb.21:                               ;   in Loop: Header=BB128_20 Depth=1
	s_and_b64 vcc, exec, s[44:45]
	s_cbranch_vccz .LBB128_33
; %bb.22:                               ;   in Loop: Header=BB128_20 Depth=1
	s_movk_i32 s6, 0x601
	v_cmp_gt_u32_e32 vcc, s6, v2
	s_mov_b64 s[26:27], 0
	s_mov_b64 s[6:7], 0
	s_cbranch_vccz .LBB128_34
; %bb.23:                               ;   in Loop: Header=BB128_20 Depth=1
	v_readlane_b32 s6, v53, 9
	v_readlane_b32 s7, v53, 10
	s_nop 4
	global_load_ushort v1, v7, s[6:7]
	global_load_ushort v4, v[8:9], off
	s_mov_b64 s[28:29], 0
	v_mov_b32_e32 v3, v0
	s_waitcnt vmcnt(1)
	v_add_u32_e32 v2, v0, v1
	v_mul_lo_u32 v6, s38, v2
	v_mul_lo_u32 v2, s38, v1
	s_branch .LBB128_25
.LBB128_24:                             ;   in Loop: Header=BB128_25 Depth=2
	s_or_b64 exec, exec, s[6:7]
	v_add_u32_e32 v6, v6, v2
	v_mov_b32_e32 v4, v12
	s_andn2_b64 exec, exec, s[28:29]
	s_cbranch_execz .LBB128_40
.LBB128_25:                             ;   Parent Loop BB128_20 Depth=1
                                        ; =>  This Inner Loop Header: Depth=2
	v_add_u32_e32 v3, v3, v1
	v_cmp_gt_u32_e64 s[6:7], s36, v3
	v_cmp_le_u32_e32 vcc, s36, v3
	s_waitcnt lgkmcnt(0)
	v_mov_b32_e32 v13, 0
	v_mov_b32_e32 v12, 0
	s_and_saveexec_b64 s[22:23], s[6:7]
	s_cbranch_execz .LBB128_27
; %bb.26:                               ;   in Loop: Header=BB128_25 Depth=2
	v_lshlrev_b64 v[14:15], 1, v[6:7]
	v_mov_b32_e32 v12, s13
	v_add_co_u32_e64 v14, s[6:7], s37, v14
	v_addc_co_u32_e64 v15, s[6:7], v12, v15, s[6:7]
	global_load_ushort v12, v[14:15], off
.LBB128_27:                             ;   in Loop: Header=BB128_25 Depth=2
	s_or_b64 exec, exec, s[22:23]
	s_waitcnt vmcnt(0)
	v_cmp_lt_i16_e64 s[6:7], -1, v4
	v_cndmask_b32_e64 v14, v41, v42, s[6:7]
	v_xor_b32_sdwa v14, v14, v4 dst_sel:DWORD dst_unused:UNUSED_PAD src0_sel:DWORD src1_sel:WORD_0
	v_cmp_o_f16_e64 s[6:7], v4, v4
	v_cndmask_b32_e64 v14, v41, v14, s[6:7]
	v_and_b32_e32 v14, v14, v46
	v_cmp_eq_u32_e64 s[22:23], v14, v38
	s_cmp_lg_u64 s[22:23], 0
	s_cselect_b64 s[6:7], -1, 0
	s_and_b64 s[6:7], s[4:5], s[6:7]
	s_and_saveexec_b64 s[30:31], s[6:7]
	s_cbranch_execz .LBB128_31
; %bb.28:                               ;   in Loop: Header=BB128_25 Depth=2
	s_mov_b64 s[68:69], exec
	v_mbcnt_lo_u32_b32 v13, s68, 0
	v_mbcnt_hi_u32_b32 v13, s69, v13
	s_bcnt1_i32_b64 s51, s[22:23]
	v_cmp_eq_u32_e64 s[6:7], 0, v13
                                        ; implicit-def: $vgpr14
	s_and_saveexec_b64 s[34:35], s[6:7]
; %bb.29:                               ;   in Loop: Header=BB128_25 Depth=2
	s_bcnt1_i32_b64 s6, s[68:69]
	s_mul_i32 s6, s51, s6
	v_mov_b32_e32 v14, s6
	ds_add_rtn_u32 v14, v7, v14 offset:4112
; %bb.30:                               ;   in Loop: Header=BB128_25 Depth=2
	s_or_b64 exec, exec, s[34:35]
	s_waitcnt lgkmcnt(0)
	v_readfirstlane_b32 s6, v14
	v_mov_b32_e32 v14, s6
	v_mad_u32_u24 v13, s51, v13, v14
.LBB128_31:                             ;   in Loop: Header=BB128_25 Depth=2
	s_or_b64 exec, exec, s[30:31]
	ds_bpermute_b32 v13, v24, v13
	s_and_b64 s[6:7], exec, vcc
	s_or_b64 s[28:29], s[6:7], s[28:29]
	s_and_saveexec_b64 s[6:7], s[22:23]
	s_cbranch_execz .LBB128_24
; %bb.32:                               ;   in Loop: Header=BB128_25 Depth=2
	v_and_b32_e32 v15, s22, v26
	v_and_b32_e32 v14, s23, v25
	v_bcnt_u32_b32 v15, v15, 0
	v_bcnt_u32_b32 v14, v14, v15
	v_lshlrev_b32_e32 v14, 1, v14
	s_waitcnt lgkmcnt(0)
	v_lshl_add_u32 v13, v13, 1, v14
	ds_write_b16 v13, v4
	s_branch .LBB128_24
.LBB128_33:                             ;   in Loop: Header=BB128_20 Depth=1
	s_mov_b64 s[26:27], -1
	s_mov_b64 s[6:7], 0
.LBB128_34:                             ;   in Loop: Header=BB128_20 Depth=1
	s_and_b64 vcc, exec, s[26:27]
	s_cbranch_vccz .LBB128_63
.LBB128_35:                             ;   in Loop: Header=BB128_20 Depth=1
	s_mov_b64 s[22:23], exec
	v_readlane_b32 s6, v53, 4
	v_readlane_b32 s7, v53, 5
	s_and_b64 s[6:7], s[22:23], s[6:7]
	s_mov_b64 exec, s[6:7]
	s_cbranch_execz .LBB128_60
; %bb.36:                               ;   in Loop: Header=BB128_20 Depth=1
	v_readlane_b32 s6, v53, 9
	v_readlane_b32 s7, v53, 10
	s_nop 4
	global_load_ushort v1, v7, s[6:7]
	global_load_ushort v16, v[8:9], off
	s_waitcnt vmcnt(1)
	v_add_u32_e32 v12, v0, v1
	v_readfirstlane_b32 s34, v1
	v_cmp_gt_u32_e32 vcc, s36, v12
	v_mov_b32_e32 v1, v0
	s_and_saveexec_b64 s[26:27], vcc
	s_cbranch_execz .LBB128_59
; %bb.37:                               ;   in Loop: Header=BB128_20 Depth=1
	s_mov_b64 s[6:7], 0
	s_mul_i32 s35, s38, s34
                                        ; implicit-def: $vgpr1
                                        ; implicit-def: $vgpr2
                                        ; implicit-def: $vgpr3
	s_mov_b64 s[28:29], exec
	v_readlane_b32 s30, v53, 11
	v_readlane_b32 s31, v53, 12
	s_and_b64 s[30:31], s[28:29], s[30:31]
	s_xor_b64 s[28:29], s[30:31], s[28:29]
	s_mov_b64 exec, s[30:31]
	s_cbranch_execnz .LBB128_43
; %bb.38:                               ;   in Loop: Header=BB128_20 Depth=1
	s_andn2_saveexec_b64 s[28:29], s[28:29]
	s_cbranch_execnz .LBB128_54
.LBB128_39:                             ;   in Loop: Header=BB128_20 Depth=1
	s_or_b64 exec, exec, s[28:29]
	s_and_saveexec_b64 s[28:29], s[6:7]
	s_cbranch_execnz .LBB128_55
	s_branch .LBB128_58
.LBB128_40:                             ;   in Loop: Header=BB128_20 Depth=1
	s_or_b64 exec, exec, s[28:29]
	s_waitcnt lgkmcnt(0)
	s_barrier
	s_and_saveexec_b64 s[6:7], s[2:3]
	s_cbranch_execz .LBB128_42
; %bb.41:                               ;   in Loop: Header=BB128_20 Depth=1
	ds_read_b32 v1, v7 offset:4112
	s_waitcnt lgkmcnt(0)
	ds_write_b32 v7, v1 offset:4104
.LBB128_42:                             ;   in Loop: Header=BB128_20 Depth=1
	s_or_b64 exec, exec, s[6:7]
	s_waitcnt lgkmcnt(0)
	s_barrier
	s_mov_b64 s[6:7], -1
	s_and_b64 vcc, exec, s[26:27]
	s_cbranch_vccnz .LBB128_35
	s_branch .LBB128_63
.LBB128_43:                             ;   in Loop: Header=BB128_20 Depth=1
	v_cvt_f32_u32_e32 v1, s34
	s_sub_i32 s7, 0, s34
	v_add_u32_e32 v3, s34, v12
	v_max_u32_e32 v3, s36, v3
	v_rcp_iflag_f32_e32 v1, v1
	s_lshl_b32 s6, s34, 1
	v_sub_u32_e32 v3, v3, v0
	v_cmp_ne_u32_e32 vcc, s6, v3
	v_mul_f32_e32 v1, 0x4f7ffffe, v1
	v_cvt_u32_f32_e32 v1, v1
	v_cndmask_b32_e64 v4, 0, 1, vcc
	v_or_b32_e32 v4, s6, v4
	v_sub_u32_e32 v3, v3, v4
	v_mul_lo_u32 v2, s7, v1
	s_not_b32 s6, s35
	s_ashr_i32 s51, s6, 31
	s_abs_i32 s30, s35
	v_mul_hi_u32 v2, v1, v2
	s_cmp_eq_u32 s34, 1
	v_add_u32_e32 v1, v1, v2
	v_mul_hi_u32 v1, v3, v1
	v_mul_lo_u32 v2, s38, v12
	v_mul_lo_u32 v4, v1, s34
	v_add_u32_e32 v6, 1, v1
	v_xor_b32_e32 v2, s51, v2
	v_sub_u32_e32 v3, v3, v4
	v_cmp_le_u32_e64 s[6:7], s34, v3
	v_subrev_u32_e32 v4, s34, v3
	v_cndmask_b32_e64 v1, v1, v6, s[6:7]
	v_cndmask_b32_e64 v3, v3, v4, s[6:7]
	v_add_u32_e32 v4, 1, v1
	v_cmp_le_u32_e64 s[6:7], s34, v3
	v_cndmask_b32_e64 v1, v1, v4, s[6:7]
	v_addc_co_u32_e32 v1, vcc, 0, v1, vcc
	v_mul_hi_u32 v3, s30, v1
	v_mul_lo_u32 v1, s30, v1
	s_cselect_b64 s[30:31], -1, 0
	v_cmp_eq_u32_e32 vcc, 0, v3
	v_cmp_le_u32_e64 s[6:7], v1, v2
	s_and_b64 s[30:31], vcc, s[30:31]
	s_and_b64 s[52:53], s[30:31], s[6:7]
	s_mov_b64 s[30:31], -1
	v_mov_b32_e32 v2, v0
                                        ; implicit-def: $vgpr1
	s_and_saveexec_b64 s[6:7], s[52:53]
	s_cbranch_execz .LBB128_53
; %bb.44:                               ;   in Loop: Header=BB128_20 Depth=1
	v_add_u32_e32 v13, 1, v12
	v_mov_b32_e32 v15, v13
	s_waitcnt vmcnt(0)
	v_lshlrev_b32_e32 v17, 16, v16
	v_mov_b32_e32 v1, 0
	v_mov_b32_e32 v14, v12
                                        ; implicit-def: $vgpr16
	s_mov_b64 s[30:31], exec
	v_readlane_b32 s52, v53, 13
	v_readlane_b32 s53, v53, 14
	s_and_b64 s[52:53], s[30:31], s[52:53]
	s_mov_b64 exec, s[52:53]
	s_cbranch_execz .LBB128_48
; %bb.45:                               ;   in Loop: Header=BB128_20 Depth=1
	v_mov_b32_e32 v15, v13
	s_mov_b32 s51, 0
	s_mov_b64 s[68:69], 0
	v_mov_b32_e32 v49, v30
	v_mov_b32_e32 v50, v22
	;; [unrolled: 1-line block ×3, first 2 shown]
.LBB128_46:                             ;   Parent Loop BB128_20 Depth=1
                                        ; =>  This Inner Loop Header: Depth=2
	v_mul_lo_u32 v6, v14, s38
	v_mul_lo_u32 v1, v15, s12
	v_mov_b32_e32 v13, s13
	v_add_u32_e32 v49, -8, v49
	v_lshlrev_b64 v[2:3], 1, v[6:7]
	s_add_i32 s51, s51, 16
	v_add_co_u32_e32 v18, vcc, s37, v2
	v_mov_b32_e32 v2, v7
	v_lshlrev_b64 v[1:2], 1, v[1:2]
	v_addc_co_u32_e32 v19, vcc, v13, v3, vcc
	v_add_co_u32_e32 v1, vcc, s37, v1
	v_addc_co_u32_e32 v2, vcc, v13, v2, vcc
	global_load_ushort v3, v[18:19], off
	s_nop 0
	global_load_ushort v18, v[1:2], off
	v_add_u32_e32 v2, 2, v15
	v_mul_lo_u32 v2, v2, s12
	s_waitcnt vmcnt(1)
	v_alignbit_b32 v1, v3, v17, 16
	v_add_u32_e32 v3, 2, v14
	v_mul_lo_u32 v6, v3, s38
	v_lshlrev_b64 v[3:4], 1, v[6:7]
	v_add_co_u32_e32 v16, vcc, s37, v3
	v_mov_b32_e32 v3, v7
	v_lshlrev_b64 v[2:3], 1, v[2:3]
	v_addc_co_u32_e32 v17, vcc, v13, v4, vcc
	v_add_co_u32_e32 v2, vcc, s37, v2
	v_addc_co_u32_e32 v3, vcc, v13, v3, vcc
	global_load_ushort v4, v[16:17], off
	global_load_ushort v19, v[2:3], off
	v_add_u32_e32 v3, 4, v15
	v_mul_lo_u32 v3, v3, s12
	s_waitcnt vmcnt(1)
	v_perm_b32 v2, v4, v18, s49
	v_add_u32_e32 v4, 4, v14
	v_mul_lo_u32 v6, v4, s38
	v_mov_b32_e32 v4, v7
	v_lshlrev_b64 v[3:4], 1, v[3:4]
	v_lshlrev_b64 v[16:17], 1, v[6:7]
	v_add_co_u32_e32 v16, vcc, s37, v16
	v_addc_co_u32_e32 v17, vcc, v13, v17, vcc
	v_add_co_u32_e32 v3, vcc, s37, v3
	v_addc_co_u32_e32 v4, vcc, v13, v4, vcc
	global_load_ushort v6, v[16:17], off
	s_nop 0
	global_load_ushort v4, v[3:4], off
	v_add_u32_e32 v16, 6, v15
	v_mul_lo_u32 v16, v16, s12
	s_waitcnt vmcnt(1)
	v_perm_b32 v3, v6, v19, s49
	v_add_u32_e32 v6, 6, v14
	v_mul_lo_u32 v6, v6, s38
	v_lshlrev_b64 v[17:18], 1, v[6:7]
	v_add_co_u32_e32 v51, vcc, s37, v17
	v_mov_b32_e32 v17, v7
	v_lshlrev_b64 v[16:17], 1, v[16:17]
	v_addc_co_u32_e32 v52, vcc, v13, v18, vcc
	v_add_co_u32_e32 v16, vcc, s37, v16
	v_addc_co_u32_e32 v17, vcc, v13, v17, vcc
	global_load_ushort v6, v[51:52], off
	global_load_ushort v18, v[16:17], off
	s_waitcnt vmcnt(1)
	v_perm_b32 v4, v6, v4, s49
	ds_write_b128 v50, v[1:4]
	v_add_u32_e32 v2, 8, v14
	v_mul_lo_u32 v6, v2, s38
	v_add_u32_e32 v1, 8, v15
	v_mul_lo_u32 v1, v1, s12
	v_lshlrev_b64 v[2:3], 1, v[6:7]
	v_add_co_u32_e32 v16, vcc, s37, v2
	v_mov_b32_e32 v2, v7
	v_lshlrev_b64 v[1:2], 1, v[1:2]
	v_addc_co_u32_e32 v17, vcc, v13, v3, vcc
	v_add_co_u32_e32 v1, vcc, s37, v1
	v_addc_co_u32_e32 v2, vcc, v13, v2, vcc
	global_load_ushort v3, v[16:17], off
	global_load_ushort v19, v[1:2], off
	v_add_u32_e32 v2, 10, v15
	v_mul_lo_u32 v2, v2, s12
	s_waitcnt vmcnt(1)
	v_perm_b32 v1, v3, v18, s49
	v_add_u32_e32 v3, 10, v14
	v_mul_lo_u32 v6, v3, s38
	v_lshlrev_b64 v[3:4], 1, v[6:7]
	v_add_co_u32_e32 v16, vcc, s37, v3
	v_mov_b32_e32 v3, v7
	v_lshlrev_b64 v[2:3], 1, v[2:3]
	v_addc_co_u32_e32 v17, vcc, v13, v4, vcc
	v_add_co_u32_e32 v2, vcc, s37, v2
	v_addc_co_u32_e32 v3, vcc, v13, v3, vcc
	global_load_ushort v4, v[16:17], off
	global_load_ushort v18, v[2:3], off
	v_add_u32_e32 v3, 12, v15
	v_mul_lo_u32 v3, v3, s12
	s_waitcnt vmcnt(1)
	v_perm_b32 v2, v4, v19, s49
	v_add_u32_e32 v4, 12, v14
	v_mul_lo_u32 v6, v4, s38
	v_mov_b32_e32 v4, v7
	v_lshlrev_b64 v[3:4], 1, v[3:4]
	v_mov_b32_e32 v19, v7
	v_lshlrev_b64 v[16:17], 1, v[6:7]
	v_add_co_u32_e32 v16, vcc, s37, v16
	v_addc_co_u32_e32 v17, vcc, v13, v17, vcc
	v_add_co_u32_e32 v3, vcc, s37, v3
	v_addc_co_u32_e32 v4, vcc, v13, v4, vcc
	global_load_ushort v6, v[16:17], off
	s_nop 0
	global_load_ushort v4, v[3:4], off
	v_add_u32_e32 v16, 14, v15
	v_add_u32_e32 v15, 16, v15
	s_waitcnt vmcnt(1)
	v_perm_b32 v3, v6, v18, s49
	v_add_u32_e32 v6, 14, v14
	v_mul_lo_u32 v6, v6, s38
	v_mul_lo_u32 v18, v16, s12
	v_add_u32_e32 v14, 16, v14
	v_lshlrev_b64 v[16:17], 1, v[6:7]
	v_lshlrev_b64 v[18:19], 1, v[18:19]
	v_add_co_u32_e32 v16, vcc, s37, v16
	v_addc_co_u32_e32 v17, vcc, v13, v17, vcc
	v_add_co_u32_e32 v18, vcc, s37, v18
	v_addc_co_u32_e32 v19, vcc, v13, v19, vcc
	global_load_ushort v6, v[16:17], off
	s_nop 0
	global_load_ushort v16, v[18:19], off
	v_cmp_eq_u32_e32 vcc, 0, v49
	s_or_b64 s[68:69], vcc, s[68:69]
	s_waitcnt vmcnt(1)
	v_perm_b32 v4, v6, v4, s49
	s_waitcnt vmcnt(0)
	v_perm_b32 v17, v16, v6, s49
	ds_write_b128 v50, v[1:4] offset:16
	v_add_u32_e32 v50, 32, v50
	v_mov_b32_e32 v1, s51
	s_andn2_b64 exec, exec, s[68:69]
	s_cbranch_execnz .LBB128_46
; %bb.47:                               ;   in Loop: Header=BB128_20 Depth=1
	s_or_b64 exec, exec, s[68:69]
.LBB128_48:                             ;   in Loop: Header=BB128_20 Depth=1
	s_or_b64 exec, exec, s[30:31]
	s_mov_b64 s[30:31], exec
	v_readlane_b32 s52, v53, 15
	v_readlane_b32 s53, v53, 16
	s_and_b64 s[52:53], s[30:31], s[52:53]
	s_mov_b64 exec, s[52:53]
	s_cbranch_execz .LBB128_52
; %bb.49:                               ;   in Loop: Header=BB128_20 Depth=1
	v_lshl_add_u32 v1, v1, 1, v22
	s_mov_b64 s[68:69], 0
	v_mov_b32_e32 v2, v32
.LBB128_50:                             ;   Parent Loop BB128_20 Depth=1
                                        ; =>  This Inner Loop Header: Depth=2
	v_mul_lo_u32 v6, v14, s38
	v_mul_lo_u32 v3, v15, s12
	v_mov_b32_e32 v4, v7
	v_mov_b32_e32 v13, s13
	v_lshlrev_b64 v[18:19], 1, v[6:7]
	v_lshlrev_b64 v[3:4], 1, v[3:4]
	v_add_co_u32_e32 v18, vcc, s37, v18
	v_addc_co_u32_e32 v19, vcc, v13, v19, vcc
	v_add_co_u32_e32 v3, vcc, s37, v3
	v_addc_co_u32_e32 v4, vcc, v13, v4, vcc
	global_load_ushort v6, v[18:19], off
	global_load_ushort v16, v[3:4], off
	v_add_u32_e32 v2, -4, v2
	v_cmp_eq_u32_e32 vcc, 0, v2
	v_add_u32_e32 v15, 2, v15
	v_add_u32_e32 v14, 2, v14
	s_or_b64 s[68:69], vcc, s[68:69]
	s_waitcnt vmcnt(1)
	v_alignbit_b32 v4, v6, v17, 16
	s_waitcnt vmcnt(0)
	v_perm_b32 v3, v16, v6, s49
	ds_write_b32 v1, v4
	v_add_u32_e32 v1, 4, v1
	v_mov_b32_e32 v17, v3
	s_andn2_b64 exec, exec, s[68:69]
	s_cbranch_execnz .LBB128_50
; %bb.51:                               ;   in Loop: Header=BB128_20 Depth=1
	s_or_b64 exec, exec, s[68:69]
.LBB128_52:                             ;   in Loop: Header=BB128_20 Depth=1
	s_or_b64 exec, exec, s[30:31]
	v_readlane_b32 s30, v53, 17
	v_add_u32_e32 v12, v12, v28
	v_readlane_b32 s31, v53, 18
	v_add_u32_e32 v1, -1, v12
	s_orn2_b64 s[30:31], s[30:31], exec
	v_mov_b32_e32 v2, v29
.LBB128_53:                             ;   in Loop: Header=BB128_20 Depth=1
	s_or_b64 exec, exec, s[6:7]
	v_mov_b32_e32 v3, s35
	s_and_b64 s[6:7], s[30:31], exec
	s_andn2_saveexec_b64 s[28:29], s[28:29]
	s_cbranch_execz .LBB128_39
.LBB128_54:                             ;   in Loop: Header=BB128_20 Depth=1
	v_mov_b32_e32 v3, s35
	s_or_b64 s[6:7], s[6:7], exec
	v_mov_b32_e32 v2, v0
	s_or_b64 exec, exec, s[28:29]
	s_and_saveexec_b64 s[28:29], s[6:7]
	s_cbranch_execz .LBB128_58
.LBB128_55:                             ;   in Loop: Header=BB128_20 Depth=1
	v_mul_lo_u32 v6, s38, v12
	s_sub_i32 s30, 0, s34
	s_mov_b64 s[6:7], 0
.LBB128_56:                             ;   Parent Loop BB128_20 Depth=1
                                        ; =>  This Inner Loop Header: Depth=2
	v_lshlrev_b64 v[13:14], 1, v[6:7]
	v_mov_b32_e32 v4, s13
	v_add_co_u32_e32 v13, vcc, s37, v13
	v_addc_co_u32_e32 v14, vcc, v4, v14, vcc
	s_waitcnt vmcnt(0)
	v_mov_b32_e32 v1, v16
	global_load_ushort v16, v[13:14], off
	v_mov_b32_e32 v4, v12
	v_add_u32_e32 v12, s34, v4
	v_lshlrev_b32_e32 v2, 1, v2
	v_cmp_le_u32_e32 vcc, s36, v12
	v_add_u32_e32 v6, v6, v3
	ds_write_b16 v2, v1
	s_or_b64 s[6:7], vcc, s[6:7]
	v_mov_b32_e32 v2, v4
	s_andn2_b64 exec, exec, s[6:7]
	s_cbranch_execnz .LBB128_56
; %bb.57:                               ;   in Loop: Header=BB128_20 Depth=1
	s_or_b64 exec, exec, s[6:7]
	v_add_u32_e32 v1, s30, v12
.LBB128_58:                             ;   in Loop: Header=BB128_20 Depth=1
	s_or_b64 exec, exec, s[28:29]
.LBB128_59:                             ;   in Loop: Header=BB128_20 Depth=1
	s_or_b64 exec, exec, s[26:27]
	v_lshlrev_b32_e32 v1, 1, v1
	s_waitcnt vmcnt(0)
	ds_write_b16 v1, v16
.LBB128_60:                             ;   in Loop: Header=BB128_20 Depth=1
	s_or_b64 exec, exec, s[22:23]
	s_waitcnt lgkmcnt(0)
	s_barrier
	s_and_saveexec_b64 s[6:7], s[2:3]
; %bb.61:                               ;   in Loop: Header=BB128_20 Depth=1
	v_mov_b32_e32 v1, s36
	ds_write_b32 v7, v1 offset:4104
; %bb.62:                               ;   in Loop: Header=BB128_20 Depth=1
	s_or_b64 exec, exec, s[6:7]
	s_mov_b64 s[6:7], -1
	s_waitcnt lgkmcnt(0)
	s_barrier
.LBB128_63:                             ;   in Loop: Header=BB128_20 Depth=1
	s_mov_b32 s34, 0
	s_and_b64 vcc, exec, s[6:7]
	s_cbranch_vccz .LBB128_65
; %bb.64:                               ;   in Loop: Header=BB128_20 Depth=1
	ds_read_b32 v1, v7 offset:4104
	s_waitcnt lgkmcnt(0)
	v_readfirstlane_b32 s34, v1
.LBB128_65:                             ;   in Loop: Header=BB128_20 Depth=1
	s_cmp_lt_i32 s34, 1
	s_mov_b64 s[6:7], -1
                                        ; implicit-def: $vgpr1
	s_cbranch_scc1 .LBB128_75
; %bb.66:                               ;   in Loop: Header=BB128_20 Depth=1
	s_and_b64 vcc, exec, s[6:7]
	s_cbranch_vccnz .LBB128_86
.LBB128_67:                             ;   in Loop: Header=BB128_20 Depth=1
	s_lshl_b32 s22, s33, 6
	s_and_saveexec_b64 s[6:7], s[4:5]
.LBB128_68:                             ;   in Loop: Header=BB128_20 Depth=1
	v_lshl_add_u32 v6, s22, 2, v27
	ds_write_b128 v6, v[1:4]
.LBB128_69:                             ;   in Loop: Header=BB128_20 Depth=1
	s_or_b64 exec, exec, s[6:7]
	s_waitcnt lgkmcnt(0)
	s_barrier
	s_and_saveexec_b64 s[6:7], s[42:43]
	s_cbranch_execz .LBB128_100
; %bb.70:                               ;   in Loop: Header=BB128_20 Depth=1
	s_andn2_b64 vcc, exec, s[46:47]
	v_mov_b32_e32 v1, 0
	s_cbranch_vccnz .LBB128_99
; %bb.71:                               ;   in Loop: Header=BB128_20 Depth=1
	v_readlane_b32 s26, v53, 19
	v_readlane_b32 s27, v53, 20
	s_andn2_b64 vcc, exec, s[26:27]
	s_cbranch_vccnz .LBB128_95
; %bb.72:                               ;   in Loop: Header=BB128_20 Depth=1
	v_lshl_add_u32 v2, s33, 8, v39
	s_mov_b32 s23, 0
	v_mov_b32_e32 v1, 0
.LBB128_73:                             ;   Parent Loop BB128_20 Depth=1
                                        ; =>  This Inner Loop Header: Depth=2
	ds_read2_b32 v[3:4], v2 offset1:4
	ds_read2_b32 v[12:13], v2 offset0:8 offset1:12
	ds_read2_b32 v[14:15], v2 offset0:16 offset1:20
	;; [unrolled: 1-line block ×3, first 2 shown]
	s_add_i32 s23, s23, 8
	s_waitcnt lgkmcnt(3)
	v_add3_u32 v1, v3, v1, v4
	s_waitcnt lgkmcnt(2)
	v_add3_u32 v1, v12, v1, v13
	;; [unrolled: 2-line block ×3, first 2 shown]
	v_add_u32_e32 v2, 0x80, v2
	s_cmp_eq_u32 s10, s23
	s_waitcnt lgkmcnt(0)
	v_add3_u32 v1, v16, v1, v17
	s_cbranch_scc0 .LBB128_73
; %bb.74:                               ;   in Loop: Header=BB128_20 Depth=1
	s_mov_b32 s23, s10
	s_branch .LBB128_96
.LBB128_75:                             ;   in Loop: Header=BB128_20 Depth=1
	v_mov_b32_e32 v1, 0
	v_mov_b32_e32 v2, 0
	;; [unrolled: 1-line block ×4, first 2 shown]
	s_and_saveexec_b64 s[30:31], s[16:17]
	s_cbranch_execz .LBB128_79
; %bb.76:                               ;   in Loop: Header=BB128_20 Depth=1
	s_mov_b32 s35, 0
	s_mov_b64 s[68:69], 0
	s_mov_b32 s51, 0
	s_mov_b32 s70, 0
	;; [unrolled: 1-line block ×4, first 2 shown]
	v_mov_b32_e32 v12, v20
.LBB128_77:                             ;   Parent Loop BB128_20 Depth=1
                                        ; =>  This Inner Loop Header: Depth=2
	v_add_u32_e32 v6, s35, v36
	v_lshlrev_b64 v[1:2], 1, v[6:7]
	v_mov_b32_e32 v3, s13
	v_add_co_u32_e32 v1, vcc, s37, v1
	v_addc_co_u32_e32 v2, vcc, v3, v2, vcc
	v_add_u32_e32 v6, s35, v33
	global_load_ushort v4, v[1:2], off
	v_lshlrev_b64 v[1:2], 1, v[6:7]
	v_add_u32_e32 v6, s35, v34
	v_add_co_u32_e32 v1, vcc, s37, v1
	v_addc_co_u32_e32 v2, vcc, v3, v2, vcc
	global_load_ushort v13, v[1:2], off
	v_lshlrev_b64 v[1:2], 1, v[6:7]
	v_add_u32_e32 v6, s35, v35
	v_add_co_u32_e32 v1, vcc, s37, v1
	v_addc_co_u32_e32 v2, vcc, v3, v2, vcc
	;; [unrolled: 5-line block ×3, first 2 shown]
	global_load_ushort v1, v[1:2], off
	s_add_i32 s35, s35, s0
	s_waitcnt vmcnt(3)
	v_cmp_lt_i16_e32 vcc, -1, v4
	v_cndmask_b32_e32 v2, v41, v42, vcc
	v_cmp_o_f16_e32 vcc, v4, v4
	v_xor_b32_sdwa v2, v2, v4 dst_sel:DWORD dst_unused:UNUSED_PAD src0_sel:DWORD src1_sel:WORD_0
	v_cndmask_b32_e32 v2, v41, v2, vcc
	s_waitcnt vmcnt(2)
	v_cmp_lt_i16_e32 vcc, -1, v13
	v_cndmask_b32_e32 v3, v41, v42, vcc
	v_cmp_o_f16_e32 vcc, v13, v13
	v_xor_b32_sdwa v3, v3, v13 dst_sel:DWORD dst_unused:UNUSED_PAD src0_sel:DWORD src1_sel:WORD_0
	v_cndmask_b32_e32 v3, v41, v3, vcc
	;; [unrolled: 6-line block ×3, first 2 shown]
	s_waitcnt vmcnt(0)
	v_cmp_lt_i16_e32 vcc, -1, v1
	v_cndmask_b32_e32 v6, v41, v42, vcc
	v_cmp_o_f16_e32 vcc, v1, v1
	v_xor_b32_sdwa v1, v6, v1 dst_sel:DWORD dst_unused:UNUSED_PAD src0_sel:DWORD src1_sel:WORD_0
	v_and_b32_e32 v6, v2, v46
	v_bfe_u32 v2, v2, v45, 2
	v_cndmask_b32_e32 v1, v41, v1, vcc
	v_cmp_eq_u32_e32 vcc, v6, v38
	v_and_b32_e32 v6, v3, v46
	v_bfe_u32 v3, v3, v45, 2
	v_cmp_eq_u32_e64 s[28:29], 0, v2
	v_cmp_eq_u32_e64 s[6:7], v6, v38
	v_and_b32_e32 v6, v4, v46
	v_bfe_u32 v4, v4, v45, 2
	s_and_b64 s[52:53], vcc, s[28:29]
	v_cmp_eq_u32_e64 s[28:29], 0, v3
	v_cmp_eq_u32_e64 s[22:23], v6, v38
	v_and_b32_e32 v6, v1, v46
	v_bfe_u32 v1, v1, v45, 2
	s_and_b64 s[74:75], s[6:7], s[28:29]
	v_cmp_eq_u32_e64 s[28:29], 0, v4
	v_cmp_eq_u32_e64 s[26:27], v6, v38
	s_and_b64 s[76:77], s[22:23], s[28:29]
	v_cmp_eq_u32_e64 s[28:29], 0, v1
	v_cndmask_b32_e64 v6, 0, 1, s[52:53]
	s_and_b64 s[78:79], s[26:27], s[28:29]
	v_cmp_ne_u32_e64 s[28:29], 0, v6
	v_cndmask_b32_e64 v6, 0, 1, s[74:75]
	s_bcnt1_i32_b64 s52, s[28:29]
	v_cmp_ne_u32_e64 s[28:29], 0, v6
	v_cndmask_b32_e64 v6, 0, 1, s[76:77]
	s_bcnt1_i32_b64 s53, s[28:29]
	v_cmp_ne_u32_e64 s[28:29], 0, v6
	v_cndmask_b32_e64 v6, 0, 1, s[78:79]
	s_bcnt1_i32_b64 s73, s[28:29]
	v_cmp_ne_u32_e64 s[28:29], 0, v6
	s_bcnt1_i32_b64 s28, s[28:29]
	s_add_i32 s29, s72, s52
	s_add_i32 s29, s29, s53
	;; [unrolled: 1-line block ×4, first 2 shown]
	v_cmp_eq_u32_e64 s[28:29], 1, v2
	s_and_b64 s[52:53], vcc, s[28:29]
	v_cmp_eq_u32_e64 s[28:29], 1, v3
	s_and_b64 s[74:75], s[6:7], s[28:29]
	v_cmp_eq_u32_e64 s[28:29], 1, v4
	s_and_b64 s[76:77], s[22:23], s[28:29]
	v_cmp_eq_u32_e64 s[28:29], 1, v1
	v_cndmask_b32_e64 v6, 0, 1, s[52:53]
	s_and_b64 s[78:79], s[26:27], s[28:29]
	v_cmp_ne_u32_e64 s[28:29], 0, v6
	v_cndmask_b32_e64 v6, 0, 1, s[74:75]
	s_bcnt1_i32_b64 s52, s[28:29]
	v_cmp_ne_u32_e64 s[28:29], 0, v6
	v_cndmask_b32_e64 v6, 0, 1, s[76:77]
	s_bcnt1_i32_b64 s53, s[28:29]
	;; [unrolled: 3-line block ×3, first 2 shown]
	v_cmp_ne_u32_e64 s[28:29], 0, v6
	s_bcnt1_i32_b64 s28, s[28:29]
	s_add_i32 s29, s71, s52
	s_add_i32 s29, s29, s53
	;; [unrolled: 1-line block ×4, first 2 shown]
	v_cmp_eq_u32_e64 s[28:29], 2, v2
	s_and_b64 s[52:53], vcc, s[28:29]
	v_cmp_eq_u32_e64 s[28:29], 2, v3
	s_and_b64 s[74:75], s[6:7], s[28:29]
	v_cmp_eq_u32_e64 s[28:29], 2, v4
	s_and_b64 s[76:77], s[22:23], s[28:29]
	v_cmp_eq_u32_e64 s[28:29], 2, v1
	v_cndmask_b32_e64 v6, 0, 1, s[52:53]
	s_and_b64 s[78:79], s[26:27], s[28:29]
	v_cmp_ne_u32_e64 s[28:29], 0, v6
	v_cndmask_b32_e64 v6, 0, 1, s[74:75]
	s_bcnt1_i32_b64 s52, s[28:29]
	v_cmp_ne_u32_e64 s[28:29], 0, v6
	v_cndmask_b32_e64 v6, 0, 1, s[76:77]
	s_bcnt1_i32_b64 s53, s[28:29]
	;; [unrolled: 3-line block ×3, first 2 shown]
	v_cmp_ne_u32_e64 s[28:29], 0, v6
	s_bcnt1_i32_b64 s28, s[28:29]
	s_add_i32 s29, s70, s52
	s_add_i32 s29, s29, s53
	s_add_i32 s29, s29, s73
	s_add_i32 s70, s29, s28
	v_cmp_eq_u32_e64 s[28:29], 3, v2
	s_and_b64 s[28:29], vcc, s[28:29]
	v_cmp_eq_u32_e32 vcc, 3, v3
	s_and_b64 s[6:7], s[6:7], vcc
	v_cmp_eq_u32_e32 vcc, 3, v4
	s_and_b64 s[22:23], s[22:23], vcc
	v_cmp_eq_u32_e32 vcc, 3, v1
	v_cndmask_b32_e64 v1, 0, 1, s[28:29]
	s_and_b64 s[26:27], s[26:27], vcc
	v_cmp_ne_u32_e32 vcc, 0, v1
	v_cndmask_b32_e64 v1, 0, 1, s[6:7]
	s_bcnt1_i32_b64 s28, vcc
	v_cmp_ne_u32_e32 vcc, 0, v1
	v_cndmask_b32_e64 v1, 0, 1, s[22:23]
	s_bcnt1_i32_b64 s6, vcc
	v_cmp_ne_u32_e32 vcc, 0, v1
	v_cndmask_b32_e64 v1, 0, 1, s[26:27]
	s_add_i32 s23, s51, s28
	s_bcnt1_i32_b64 s7, vcc
	v_cmp_ne_u32_e32 vcc, 0, v1
	s_add_i32 s6, s23, s6
	s_bcnt1_i32_b64 s22, vcc
	s_add_i32 s6, s6, s7
	s_add_i32 s51, s6, s22
	v_cmp_le_u32_e32 vcc, s8, v12
	s_or_b64 s[68:69], vcc, s[68:69]
	v_mov_b32_e32 v1, s72
	v_mov_b32_e32 v2, s71
	;; [unrolled: 1-line block ×4, first 2 shown]
	s_andn2_b64 exec, exec, s[68:69]
	s_cbranch_execnz .LBB128_77
; %bb.78:                               ;   in Loop: Header=BB128_20 Depth=1
	s_or_b64 exec, exec, s[68:69]
.LBB128_79:                             ;   in Loop: Header=BB128_20 Depth=1
	s_or_b64 exec, exec, s[30:31]
	s_and_saveexec_b64 s[22:23], s[18:19]
	s_cbranch_execz .LBB128_85
; %bb.80:                               ;   in Loop: Header=BB128_20 Depth=1
	global_load_ushort v13, v[10:11], off
	s_mov_b64 s[26:27], 0
	v_mov_b32_e32 v6, v37
	v_mov_b32_e32 v12, v31
	s_branch .LBB128_82
.LBB128_81:                             ;   in Loop: Header=BB128_82 Depth=2
	s_or_b64 exec, exec, s[28:29]
	s_and_b64 s[6:7], exec, vcc
	s_waitcnt vmcnt(0)
	v_cmp_lt_i16_e32 vcc, -1, v13
	v_cndmask_b32_e32 v15, v41, v42, vcc
	v_xor_b32_sdwa v15, v15, v13 dst_sel:DWORD dst_unused:UNUSED_PAD src0_sel:DWORD src1_sel:WORD_0
	v_cmp_o_f16_e32 vcc, v13, v13
	v_cndmask_b32_e32 v13, v41, v15, vcc
	v_and_b32_e32 v15, v13, v46
	v_bfe_u32 v13, v13, v45, 2
	s_or_b64 s[26:27], s[6:7], s[26:27]
	v_cmp_eq_u32_e32 vcc, v15, v38
	v_cmp_eq_u32_e64 s[6:7], 0, v13
	s_and_b64 s[6:7], vcc, s[6:7]
	v_cndmask_b32_e64 v15, 0, 1, s[6:7]
	v_cmp_ne_u32_e64 s[6:7], 0, v15
	s_bcnt1_i32_b64 s6, s[6:7]
	v_add_u32_e32 v1, s6, v1
	v_cmp_eq_u32_e64 s[6:7], 1, v13
	s_and_b64 s[6:7], vcc, s[6:7]
	v_cndmask_b32_e64 v15, 0, 1, s[6:7]
	v_cmp_ne_u32_e64 s[6:7], 0, v15
	s_bcnt1_i32_b64 s6, s[6:7]
	v_add_u32_e32 v2, s6, v2
	;; [unrolled: 6-line block ×3, first 2 shown]
	v_cmp_eq_u32_e64 s[6:7], 3, v13
	s_and_b64 s[6:7], vcc, s[6:7]
	v_cndmask_b32_e64 v13, 0, 1, s[6:7]
	v_cmp_ne_u32_e32 vcc, 0, v13
	s_bcnt1_i32_b64 s6, vcc
	v_add_u32_e32 v4, s6, v4
	v_add_u32_e32 v6, s40, v6
	v_mov_b32_e32 v13, v14
	s_andn2_b64 exec, exec, s[26:27]
	s_cbranch_execz .LBB128_84
.LBB128_82:                             ;   Parent Loop BB128_20 Depth=1
                                        ; =>  This Inner Loop Header: Depth=2
	v_add_u32_e32 v12, s39, v12
	v_cmp_gt_u32_e64 s[6:7], s36, v12
	v_cmp_le_u32_e32 vcc, s36, v12
	v_mov_b32_e32 v14, 0
	s_and_saveexec_b64 s[28:29], s[6:7]
	s_cbranch_execz .LBB128_81
; %bb.83:                               ;   in Loop: Header=BB128_82 Depth=2
	v_lshlrev_b64 v[14:15], 1, v[6:7]
	v_mov_b32_e32 v16, s13
	v_add_co_u32_e64 v14, s[6:7], s37, v14
	v_addc_co_u32_e64 v15, s[6:7], v16, v15, s[6:7]
	global_load_ushort v14, v[14:15], off
	s_branch .LBB128_81
.LBB128_84:                             ;   in Loop: Header=BB128_20 Depth=1
	s_or_b64 exec, exec, s[26:27]
.LBB128_85:                             ;   in Loop: Header=BB128_20 Depth=1
	s_or_b64 exec, exec, s[22:23]
	s_branch .LBB128_67
.LBB128_86:                             ;   in Loop: Header=BB128_20 Depth=1
	s_mul_hi_u32 s6, s34, s11
	s_mul_i32 s6, s6, s14
	s_sub_i32 s6, s34, s6
	s_sub_i32 s7, s6, s14
	s_cmp_ge_u32 s6, s14
	s_cselect_b32 s6, s7, s6
	s_sub_i32 s7, s6, s14
	s_cmp_ge_u32 s6, s14
	s_cselect_b32 s6, s7, s6
	s_sub_i32 s35, s34, s6
	v_cmp_gt_u32_e32 vcc, s35, v20
	v_mov_b32_e32 v1, 0
	v_mov_b32_e32 v2, 0
	;; [unrolled: 1-line block ×4, first 2 shown]
	s_and_saveexec_b64 s[30:31], vcc
	s_cbranch_execz .LBB128_90
; %bb.87:                               ;   in Loop: Header=BB128_20 Depth=1
	s_mov_b32 s51, 0
	s_mov_b64 s[68:69], 0
	v_mov_b32_e32 v6, v40
	s_mov_b32 s70, 0
	s_mov_b32 s71, 0
	;; [unrolled: 1-line block ×3, first 2 shown]
	v_mov_b32_e32 v12, v20
.LBB128_88:                             ;   Parent Loop BB128_20 Depth=1
                                        ; =>  This Inner Loop Header: Depth=2
	ds_read_b64 v[1:2], v6
	v_add_u32_e32 v12, s14, v12
	v_add_u32_e32 v6, s1, v6
	s_waitcnt lgkmcnt(0)
	v_cmp_lt_i16_e32 vcc, -1, v1
	v_cndmask_b32_e32 v3, v41, v42, vcc
	v_cmp_o_f16_e32 vcc, v1, v1
	v_xor_b32_sdwa v3, v3, v1 dst_sel:DWORD dst_unused:UNUSED_PAD src0_sel:DWORD src1_sel:WORD_0
	v_cndmask_b32_e32 v3, v41, v3, vcc
	v_cmp_gt_i16_sdwa vcc, v1, v43 src0_sel:WORD_1 src1_sel:DWORD
	v_cndmask_b32_e32 v4, v41, v42, vcc
	v_cmp_o_f16_sdwa vcc, v1, v1 src0_sel:WORD_1 src1_sel:WORD_1
	v_xor_b32_sdwa v1, v4, v1 dst_sel:DWORD dst_unused:UNUSED_PAD src0_sel:DWORD src1_sel:WORD_1
	v_cndmask_b32_e32 v1, v41, v1, vcc
	v_cmp_lt_i16_e32 vcc, -1, v2
	v_cndmask_b32_e32 v4, v41, v42, vcc
	v_cmp_o_f16_e32 vcc, v2, v2
	v_xor_b32_sdwa v4, v4, v2 dst_sel:DWORD dst_unused:UNUSED_PAD src0_sel:DWORD src1_sel:WORD_0
	v_cndmask_b32_e32 v4, v41, v4, vcc
	v_cmp_gt_i16_sdwa vcc, v2, v43 src0_sel:WORD_1 src1_sel:DWORD
	v_cndmask_b32_e32 v13, v41, v42, vcc
	v_cmp_o_f16_sdwa vcc, v2, v2 src0_sel:WORD_1 src1_sel:WORD_1
	v_xor_b32_sdwa v2, v13, v2 dst_sel:DWORD dst_unused:UNUSED_PAD src0_sel:DWORD src1_sel:WORD_1
	v_and_b32_e32 v13, v3, v46
	v_bfe_u32 v3, v3, v45, 2
	v_cndmask_b32_e32 v2, v41, v2, vcc
	v_cmp_eq_u32_e32 vcc, v13, v38
	v_and_b32_e32 v13, v1, v46
	v_bfe_u32 v1, v1, v45, 2
	v_cmp_eq_u32_e64 s[28:29], 0, v3
	v_cmp_eq_u32_e64 s[6:7], v13, v38
	v_and_b32_e32 v13, v4, v46
	v_bfe_u32 v4, v4, v45, 2
	s_and_b64 s[52:53], vcc, s[28:29]
	v_cmp_eq_u32_e64 s[28:29], 0, v1
	v_cmp_eq_u32_e64 s[22:23], v13, v38
	v_and_b32_e32 v13, v2, v46
	v_bfe_u32 v2, v2, v45, 2
	s_and_b64 s[74:75], s[6:7], s[28:29]
	v_cmp_eq_u32_e64 s[28:29], 0, v4
	v_cmp_eq_u32_e64 s[26:27], v13, v38
	s_and_b64 s[76:77], s[22:23], s[28:29]
	v_cmp_eq_u32_e64 s[28:29], 0, v2
	v_cndmask_b32_e64 v13, 0, 1, s[52:53]
	s_and_b64 s[78:79], s[26:27], s[28:29]
	v_cmp_ne_u32_e64 s[28:29], 0, v13
	v_cndmask_b32_e64 v13, 0, 1, s[74:75]
	s_bcnt1_i32_b64 s52, s[28:29]
	v_cmp_ne_u32_e64 s[28:29], 0, v13
	v_cndmask_b32_e64 v13, 0, 1, s[76:77]
	s_bcnt1_i32_b64 s53, s[28:29]
	v_cmp_ne_u32_e64 s[28:29], 0, v13
	v_cndmask_b32_e64 v13, 0, 1, s[78:79]
	s_bcnt1_i32_b64 s73, s[28:29]
	v_cmp_ne_u32_e64 s[28:29], 0, v13
	s_bcnt1_i32_b64 s28, s[28:29]
	s_add_i32 s29, s72, s52
	s_add_i32 s29, s29, s53
	;; [unrolled: 1-line block ×4, first 2 shown]
	v_cmp_eq_u32_e64 s[28:29], 1, v3
	s_and_b64 s[52:53], vcc, s[28:29]
	v_cmp_eq_u32_e64 s[28:29], 1, v1
	s_and_b64 s[74:75], s[6:7], s[28:29]
	v_cmp_eq_u32_e64 s[28:29], 1, v4
	s_and_b64 s[76:77], s[22:23], s[28:29]
	v_cmp_eq_u32_e64 s[28:29], 1, v2
	v_cndmask_b32_e64 v13, 0, 1, s[52:53]
	s_and_b64 s[78:79], s[26:27], s[28:29]
	v_cmp_ne_u32_e64 s[28:29], 0, v13
	v_cndmask_b32_e64 v13, 0, 1, s[74:75]
	s_bcnt1_i32_b64 s52, s[28:29]
	v_cmp_ne_u32_e64 s[28:29], 0, v13
	v_cndmask_b32_e64 v13, 0, 1, s[76:77]
	s_bcnt1_i32_b64 s53, s[28:29]
	;; [unrolled: 3-line block ×3, first 2 shown]
	v_cmp_ne_u32_e64 s[28:29], 0, v13
	s_bcnt1_i32_b64 s28, s[28:29]
	s_add_i32 s29, s71, s52
	s_add_i32 s29, s29, s53
	;; [unrolled: 1-line block ×4, first 2 shown]
	v_cmp_eq_u32_e64 s[28:29], 2, v3
	s_and_b64 s[52:53], vcc, s[28:29]
	v_cmp_eq_u32_e64 s[28:29], 2, v1
	s_and_b64 s[74:75], s[6:7], s[28:29]
	v_cmp_eq_u32_e64 s[28:29], 2, v4
	s_and_b64 s[76:77], s[22:23], s[28:29]
	v_cmp_eq_u32_e64 s[28:29], 2, v2
	v_cndmask_b32_e64 v13, 0, 1, s[52:53]
	s_and_b64 s[78:79], s[26:27], s[28:29]
	v_cmp_ne_u32_e64 s[28:29], 0, v13
	v_cndmask_b32_e64 v13, 0, 1, s[74:75]
	s_bcnt1_i32_b64 s52, s[28:29]
	v_cmp_ne_u32_e64 s[28:29], 0, v13
	v_cndmask_b32_e64 v13, 0, 1, s[76:77]
	s_bcnt1_i32_b64 s53, s[28:29]
	;; [unrolled: 3-line block ×3, first 2 shown]
	v_cmp_ne_u32_e64 s[28:29], 0, v13
	s_bcnt1_i32_b64 s28, s[28:29]
	s_add_i32 s29, s70, s52
	s_add_i32 s29, s29, s53
	;; [unrolled: 1-line block ×4, first 2 shown]
	v_cmp_eq_u32_e64 s[28:29], 3, v3
	s_and_b64 s[28:29], vcc, s[28:29]
	v_cmp_eq_u32_e32 vcc, 3, v1
	s_and_b64 s[6:7], s[6:7], vcc
	v_cmp_eq_u32_e32 vcc, 3, v4
	s_and_b64 s[22:23], s[22:23], vcc
	v_cmp_eq_u32_e32 vcc, 3, v2
	v_cndmask_b32_e64 v1, 0, 1, s[28:29]
	s_and_b64 s[26:27], s[26:27], vcc
	v_cmp_ne_u32_e32 vcc, 0, v1
	v_cndmask_b32_e64 v1, 0, 1, s[6:7]
	s_bcnt1_i32_b64 s28, vcc
	v_cmp_ne_u32_e32 vcc, 0, v1
	v_cndmask_b32_e64 v1, 0, 1, s[22:23]
	s_bcnt1_i32_b64 s6, vcc
	v_cmp_ne_u32_e32 vcc, 0, v1
	v_cndmask_b32_e64 v1, 0, 1, s[26:27]
	s_add_i32 s23, s51, s28
	s_bcnt1_i32_b64 s7, vcc
	v_cmp_ne_u32_e32 vcc, 0, v1
	s_add_i32 s6, s23, s6
	s_bcnt1_i32_b64 s22, vcc
	s_add_i32 s6, s6, s7
	s_add_i32 s51, s6, s22
	v_cmp_le_u32_e32 vcc, s35, v12
	s_or_b64 s[68:69], vcc, s[68:69]
	v_mov_b32_e32 v1, s72
	v_mov_b32_e32 v2, s71
	v_mov_b32_e32 v3, s70
	v_mov_b32_e32 v4, s51
	s_andn2_b64 exec, exec, s[68:69]
	s_cbranch_execnz .LBB128_88
; %bb.89:                               ;   in Loop: Header=BB128_20 Depth=1
	s_or_b64 exec, exec, s[68:69]
.LBB128_90:                             ;   in Loop: Header=BB128_20 Depth=1
	s_or_b64 exec, exec, s[30:31]
	v_add_u32_e32 v6, s35, v0
	v_cmp_gt_u32_e32 vcc, s34, v6
	s_and_saveexec_b64 s[68:69], vcc
	s_cbranch_execz .LBB128_94
; %bb.91:                               ;   in Loop: Header=BB128_20 Depth=1
	v_lshlrev_b32_e32 v12, 1, v6
	s_mov_b64 s[70:71], 0
.LBB128_92:                             ;   Parent Loop BB128_20 Depth=1
                                        ; =>  This Inner Loop Header: Depth=2
	ds_read_u16 v13, v12
	v_add_u32_e32 v6, s39, v6
	v_cmp_le_u32_e32 vcc, s34, v6
	v_add_u32_e32 v12, s48, v12
	s_waitcnt lgkmcnt(0)
	v_cmp_lt_i16_e64 s[6:7], -1, v13
	v_cndmask_b32_e64 v14, v41, v42, s[6:7]
	v_xor_b32_sdwa v14, v14, v13 dst_sel:DWORD dst_unused:UNUSED_PAD src0_sel:DWORD src1_sel:WORD_0
	v_cmp_o_f16_e64 s[6:7], v13, v13
	v_cndmask_b32_e64 v13, v41, v14, s[6:7]
	v_and_b32_e32 v14, v13, v46
	v_bfe_u32 v13, v13, v45, 2
	v_cmp_eq_u32_e64 s[6:7], v14, v38
	v_cmp_eq_u32_e64 s[22:23], 0, v13
	;; [unrolled: 1-line block ×3, first 2 shown]
	s_and_b64 s[22:23], s[6:7], s[22:23]
	v_cmp_eq_u32_e64 s[28:29], 2, v13
	v_cmp_eq_u32_e64 s[30:31], 3, v13
	v_cndmask_b32_e64 v13, 0, 1, s[22:23]
	s_and_b64 s[22:23], s[6:7], s[26:27]
	v_cndmask_b32_e64 v14, 0, 1, s[22:23]
	s_and_b64 s[22:23], s[6:7], s[28:29]
	s_and_b64 s[6:7], s[6:7], s[30:31]
	v_cndmask_b32_e64 v15, 0, 1, s[22:23]
	v_cndmask_b32_e64 v16, 0, 1, s[6:7]
	v_cmp_ne_u32_e64 s[6:7], 0, v13
	v_cmp_ne_u32_e64 s[22:23], 0, v14
	;; [unrolled: 1-line block ×4, first 2 shown]
	s_bcnt1_i32_b64 s6, s[6:7]
	s_bcnt1_i32_b64 s7, s[22:23]
	;; [unrolled: 1-line block ×4, first 2 shown]
	v_add_u32_e32 v1, s6, v1
	v_add_u32_e32 v2, s7, v2
	;; [unrolled: 1-line block ×3, first 2 shown]
	s_or_b64 s[70:71], vcc, s[70:71]
	v_add_u32_e32 v4, s23, v4
	s_andn2_b64 exec, exec, s[70:71]
	s_cbranch_execnz .LBB128_92
; %bb.93:                               ;   in Loop: Header=BB128_20 Depth=1
	s_or_b64 exec, exec, s[70:71]
.LBB128_94:                             ;   in Loop: Header=BB128_20 Depth=1
	s_or_b64 exec, exec, s[68:69]
	s_lshl_b32 s22, s33, 6
	s_and_saveexec_b64 s[6:7], s[4:5]
	s_cbranch_execnz .LBB128_68
	s_branch .LBB128_69
.LBB128_95:                             ;   in Loop: Header=BB128_20 Depth=1
	v_mov_b32_e32 v1, 0
	s_mov_b32 s23, 0
.LBB128_96:                             ;   in Loop: Header=BB128_20 Depth=1
	v_readlane_b32 s26, v53, 22
	v_readlane_b32 s27, v53, 23
	s_andn2_b64 vcc, exec, s[26:27]
	s_cbranch_vccnz .LBB128_99
; %bb.97:                               ;   in Loop: Header=BB128_20 Depth=1
	s_lshl_b32 s26, s33, 8
	s_lshl_b32 s23, s23, 4
	s_add_i32 s26, s26, s23
	v_add_u32_e32 v2, s26, v39
	v_readlane_b32 s23, v53, 21
.LBB128_98:                             ;   Parent Loop BB128_20 Depth=1
                                        ; =>  This Inner Loop Header: Depth=2
	ds_read_b32 v3, v2
	s_add_i32 s23, s23, -1
	v_add_u32_e32 v2, 16, v2
	s_cmp_lg_u32 s23, 0
	s_waitcnt lgkmcnt(0)
	v_add_u32_e32 v1, v3, v1
	s_cbranch_scc1 .LBB128_98
.LBB128_99:                             ;   in Loop: Header=BB128_20 Depth=1
	v_add_lshl_u32 v2, s22, v21, 2
	ds_write_b32 v2, v1 offset:3072
.LBB128_100:                            ;   in Loop: Header=BB128_20 Depth=1
	s_or_b64 exec, exec, s[6:7]
	s_lshl_b32 s6, s22, 2
	v_mov_b32_e32 v1, s6
	s_waitcnt lgkmcnt(0)
	s_barrier
	ds_read_b128 v[1:4], v1 offset:3072
	v_cmp_eq_u32_e32 vcc, 1, v48
	s_mov_b64 s[22:23], -1
	s_mov_b64 s[68:69], -1
                                        ; implicit-def: $sgpr30_sgpr31
                                        ; implicit-def: $sgpr28_sgpr29
	s_waitcnt lgkmcnt(0)
	v_readfirstlane_b32 s78, v1
	s_cmp_eq_u32 s78, 1
	v_lshlrev_b32_e64 v1, v45, 3
	s_cselect_b64 s[6:7], -1, 0
	v_readfirstlane_b32 s82, v2
	v_readfirstlane_b32 s90, v3
	;; [unrolled: 1-line block ×3, first 2 shown]
	v_not_b32_e32 v3, v1
	s_and_b64 s[26:27], s[6:7], vcc
	s_and_saveexec_b64 s[6:7], s[26:27]
	s_cbranch_execz .LBB128_128
; %bb.101:                              ;   in Loop: Header=BB128_20 Depth=1
	ds_read_b32 v2, v7 offset:4104
	s_waitcnt lgkmcnt(0)
	s_barrier
	v_readfirstlane_b32 s52, v2
	s_and_saveexec_b64 s[28:29], s[24:25]
; %bb.102:                              ;   in Loop: Header=BB128_20 Depth=1
	ds_write_b16 v23, v7
; %bb.103:                              ;   in Loop: Header=BB128_20 Depth=1
	s_or_b64 exec, exec, s[28:29]
	v_and_b32_e32 v38, v38, v3
	v_or_b32_e32 v46, v46, v1
	s_mov_b64 s[28:29], -1
	s_mov_b64 s[30:31], 0
	s_cmp_eq_u32 s52, 0
	s_mov_b64 s[68:69], 0
	s_mov_b64 s[70:71], -1
	s_waitcnt lgkmcnt(0)
	s_barrier
                                        ; implicit-def: $vgpr47
	s_cbranch_scc1 .LBB128_115
; %bb.104:                              ;   in Loop: Header=BB128_20 Depth=1
	s_add_i32 s34, s52, s15
	s_mul_hi_u32 s35, s34, s9
	s_mul_i32 s35, s35, s39
	s_sub_i32 s35, s34, s35
	s_sub_i32 s53, s35, s39
	s_cmp_ge_u32 s35, s39
	s_cselect_b32 s35, s53, s35
	s_sub_i32 s53, s35, s39
	s_cmp_ge_u32 s35, s39
	s_cselect_b32 s35, s53, s35
	s_sub_i32 s53, s34, s35
	v_cmp_gt_u32_e32 vcc, s53, v0
	s_mov_b64 s[70:71], 0
                                        ; implicit-def: $vgpr47
	s_and_saveexec_b64 s[72:73], vcc
	s_cbranch_execz .LBB128_114
; %bb.105:                              ;   in Loop: Header=BB128_20 Depth=1
	v_mov_b32_e32 v2, v22
	v_mov_b32_e32 v4, v0
                                        ; implicit-def: $sgpr74_sgpr75
	s_branch .LBB128_109
.LBB128_106:                            ;   in Loop: Header=BB128_109 Depth=2
	s_or_b64 exec, exec, s[34:35]
	s_waitcnt lgkmcnt(0)
	s_barrier
	ds_read_b32 v6, v7 offset:3072
	s_waitcnt lgkmcnt(0)
	s_barrier
	v_cmp_neq_f16_e32 vcc, 0, v6
	s_cbranch_vccnz .LBB128_112
; %bb.107:                              ;   in Loop: Header=BB128_109 Depth=2
	v_add_u32_e32 v4, s39, v4
	v_cmp_le_u32_e32 vcc, s53, v4
	v_add_u32_e32 v2, s48, v2
	s_mov_b64 s[34:35], 0
	s_orn2_b64 s[76:77], vcc, exec
.LBB128_108:                            ;   in Loop: Header=BB128_109 Depth=2
	s_and_b64 s[76:77], exec, s[76:77]
	s_or_b64 s[68:69], s[76:77], s[68:69]
	s_andn2_b64 s[74:75], s[74:75], exec
	s_and_b64 s[34:35], s[34:35], exec
	s_or_b64 s[74:75], s[74:75], s[34:35]
	s_andn2_b64 exec, exec, s[68:69]
	s_cbranch_execz .LBB128_113
.LBB128_109:                            ;   Parent Loop BB128_20 Depth=1
                                        ; =>  This Inner Loop Header: Depth=2
	v_cmp_gt_u32_e32 vcc, s52, v4
	s_and_saveexec_b64 s[34:35], vcc
	s_cbranch_execz .LBB128_106
; %bb.110:                              ;   in Loop: Header=BB128_109 Depth=2
	ds_read_u16 v6, v2
	s_waitcnt lgkmcnt(0)
	v_cmp_lt_i16_e32 vcc, -1, v6
	v_cndmask_b32_e32 v12, v41, v42, vcc
	v_xor_b32_sdwa v12, v12, v6 dst_sel:DWORD dst_unused:UNUSED_PAD src0_sel:DWORD src1_sel:WORD_0
	v_cmp_o_f16_e32 vcc, v6, v6
	v_cndmask_b32_e32 v12, v41, v12, vcc
	v_and_b32_e32 v12, v12, v46
	v_cmp_eq_u32_e32 vcc, v12, v38
	s_and_b64 exec, exec, vcc
	s_cbranch_execz .LBB128_106
; %bb.111:                              ;   in Loop: Header=BB128_109 Depth=2
	v_perm_b32 v6, v6, s50, v44
	ds_write_b32 v7, v6 offset:3072
	s_branch .LBB128_106
.LBB128_112:                            ;   in Loop: Header=BB128_109 Depth=2
	s_mov_b64 s[76:77], -1
                                        ; implicit-def: $vgpr4
                                        ; implicit-def: $vgpr2
	s_mov_b64 s[34:35], -1
	s_branch .LBB128_108
.LBB128_113:                            ;   in Loop: Header=BB128_20 Depth=1
	s_or_b64 exec, exec, s[68:69]
	v_lshrrev_b32_e32 v47, 16, v6
	s_and_b64 s[68:69], s[74:75], exec
.LBB128_114:                            ;   in Loop: Header=BB128_20 Depth=1
	s_or_b64 exec, exec, s[72:73]
.LBB128_115:                            ;   in Loop: Header=BB128_20 Depth=1
	s_and_b64 vcc, exec, s[70:71]
	s_cbranch_vccz .LBB128_127
; %bb.116:                              ;   in Loop: Header=BB128_20 Depth=1
                                        ; implicit-def: $vgpr47
	s_and_saveexec_b64 s[28:29], s[20:21]
	s_cbranch_execz .LBB128_126
; %bb.117:                              ;   in Loop: Header=BB128_20 Depth=1
	s_mov_b64 s[30:31], 0
	v_mov_b32_e32 v6, v5
	v_mov_b32_e32 v2, v0
                                        ; implicit-def: $sgpr70_sgpr71
	s_branch .LBB128_121
.LBB128_118:                            ;   in Loop: Header=BB128_121 Depth=2
	s_or_b64 exec, exec, s[72:73]
	s_waitcnt lgkmcnt(0)
	s_barrier
	ds_read_b32 v4, v7 offset:3072
	s_waitcnt lgkmcnt(0)
	s_barrier
	v_cmp_neq_f16_e32 vcc, 0, v4
	s_cbranch_vccnz .LBB128_124
; %bb.119:                              ;   in Loop: Header=BB128_121 Depth=2
	v_add_u32_e32 v2, s39, v2
	v_cmp_le_u32_e32 vcc, s41, v2
	v_add_u32_e32 v6, s40, v6
	s_mov_b64 s[34:35], 0
	s_orn2_b64 s[72:73], vcc, exec
.LBB128_120:                            ;   in Loop: Header=BB128_121 Depth=2
	s_and_b64 s[52:53], exec, s[72:73]
	s_or_b64 s[30:31], s[52:53], s[30:31]
	s_andn2_b64 s[52:53], s[70:71], exec
	s_and_b64 s[34:35], s[34:35], exec
	s_or_b64 s[70:71], s[52:53], s[34:35]
	s_andn2_b64 exec, exec, s[30:31]
	s_cbranch_execz .LBB128_125
.LBB128_121:                            ;   Parent Loop BB128_20 Depth=1
                                        ; =>  This Inner Loop Header: Depth=2
	v_cmp_gt_u32_e32 vcc, s36, v2
	s_and_saveexec_b64 s[72:73], vcc
	s_cbranch_execz .LBB128_118
; %bb.122:                              ;   in Loop: Header=BB128_121 Depth=2
	v_lshlrev_b64 v[12:13], 1, v[6:7]
	v_mov_b32_e32 v4, s13
	v_add_co_u32_e32 v12, vcc, s37, v12
	v_addc_co_u32_e32 v13, vcc, v4, v13, vcc
	global_load_ushort v4, v[12:13], off
	s_waitcnt vmcnt(0)
	v_cmp_lt_i16_e32 vcc, -1, v4
	v_cndmask_b32_e32 v12, v41, v42, vcc
	v_xor_b32_sdwa v12, v12, v4 dst_sel:DWORD dst_unused:UNUSED_PAD src0_sel:DWORD src1_sel:WORD_0
	v_cmp_o_f16_e32 vcc, v4, v4
	v_cndmask_b32_e32 v12, v41, v12, vcc
	v_and_b32_e32 v12, v12, v46
	v_cmp_eq_u32_e32 vcc, v12, v38
	s_and_b64 exec, exec, vcc
	s_cbranch_execz .LBB128_118
; %bb.123:                              ;   in Loop: Header=BB128_121 Depth=2
	v_perm_b32 v4, v4, s50, v44
	ds_write_b32 v7, v4 offset:3072
	s_branch .LBB128_118
.LBB128_124:                            ;   in Loop: Header=BB128_121 Depth=2
	s_mov_b64 s[72:73], -1
                                        ; implicit-def: $vgpr2
	s_mov_b64 s[34:35], -1
	s_branch .LBB128_120
.LBB128_125:                            ;   in Loop: Header=BB128_20 Depth=1
	s_or_b64 exec, exec, s[30:31]
	s_andn2_b64 s[30:31], s[68:69], exec
	s_and_b64 s[34:35], s[70:71], exec
	v_lshrrev_b32_e32 v47, 16, v4
	s_or_b64 s[68:69], s[30:31], s[34:35]
.LBB128_126:                            ;   in Loop: Header=BB128_20 Depth=1
	s_or_b64 exec, exec, s[28:29]
	s_mov_b64 s[28:29], 0
	s_mov_b64 s[30:31], -1
.LBB128_127:                            ;   in Loop: Header=BB128_20 Depth=1
	s_orn2_b64 s[68:69], s[68:69], exec
.LBB128_128:                            ;   in Loop: Header=BB128_20 Depth=1
	s_or_b64 exec, exec, s[6:7]
	s_andn2_b64 s[6:7], s[66:67], exec
	s_and_b64 s[30:31], s[30:31], exec
	s_or_b64 s[66:67], s[6:7], s[30:31]
	s_andn2_b64 s[6:7], s[64:65], exec
	s_and_b64 s[28:29], s[28:29], exec
	v_readfirstlane_b32 s72, v0
	s_andn2_b64 s[62:63], s[62:63], exec
	s_or_b64 s[64:65], s[6:7], s[28:29]
                                        ; implicit-def: $vgpr4
	s_and_saveexec_b64 s[6:7], s[68:69]
	s_cbranch_execz .LBB128_19
; %bb.129:                              ;   in Loop: Header=BB128_20 Depth=1
	s_xor_b64 s[28:29], s[26:27], -1
	s_mov_b64 s[26:27], 0
	v_mov_b32_e32 v4, 1
	v_mov_b32_e32 v2, 1
	s_and_saveexec_b64 s[22:23], s[28:29]
	s_cbranch_execz .LBB128_138
; %bb.130:                              ;   in Loop: Header=BB128_20 Depth=1
	v_cmp_ge_u32_e32 vcc, s78, v48
	s_and_saveexec_b64 s[26:27], vcc
	s_xor_b64 s[26:27], exec, s[26:27]
	s_cbranch_execz .LBB128_135
; %bb.131:                              ;   in Loop: Header=BB128_20 Depth=1
	ds_read_b32 v2, v7 offset:4104
	v_and_b32_e32 v38, v38, v3
	v_or_b32_e32 v46, v46, v1
	s_waitcnt lgkmcnt(0)
	v_cmp_ne_u32_e32 vcc, 0, v2
	s_cbranch_vccnz .LBB128_135
; %bb.132:                              ;   in Loop: Header=BB128_20 Depth=1
	s_and_saveexec_b64 s[28:29], s[2:3]
; %bb.133:                              ;   in Loop: Header=BB128_20 Depth=1
	v_mov_b32_e32 v2, s78
	ds_write_b32 v7, v2 offset:4108
; %bb.134:                              ;   in Loop: Header=BB128_20 Depth=1
	s_or_b64 exec, exec, s[28:29]
	s_waitcnt lgkmcnt(0)
	s_barrier
.LBB128_135:                            ;   in Loop: Header=BB128_20 Depth=1
	s_or_saveexec_b64 s[26:27], s[26:27]
	s_mov_b64 s[28:29], 0
	v_mov_b32_e32 v2, 8
	s_xor_b64 exec, exec, s[26:27]
; %bb.136:                              ;   in Loop: Header=BB128_20 Depth=1
	s_mov_b64 s[28:29], exec
	v_subrev_u32_e32 v48, s78, v48
	v_mov_b32_e32 v2, 0
; %bb.137:                              ;   in Loop: Header=BB128_20 Depth=1
	s_or_b64 exec, exec, s[26:27]
	s_and_b64 s[26:27], s[28:29], exec
	v_mov_b32_e32 v4, v48
.LBB128_138:                            ;   in Loop: Header=BB128_20 Depth=1
	s_or_b64 exec, exec, s[22:23]
	s_mov_b64 s[22:23], -1
	s_mov_b64 s[68:69], -1
                                        ; implicit-def: $sgpr28_sgpr29
                                        ; implicit-def: $sgpr30_sgpr31
	s_and_saveexec_b64 s[34:35], s[26:27]
	s_xor_b64 s[26:27], exec, s[34:35]
	s_cbranch_execz .LBB128_261
; %bb.139:                              ;   in Loop: Header=BB128_20 Depth=1
	s_cmp_eq_u32 s82, 1
	s_cselect_b64 s[28:29], -1, 0
	v_cmp_eq_u32_e32 vcc, 1, v4
	s_and_b64 s[70:71], s[28:29], vcc
	s_mov_b64 s[72:73], -1
                                        ; implicit-def: $sgpr30_sgpr31
                                        ; implicit-def: $sgpr28_sgpr29
	s_and_saveexec_b64 s[68:69], s[70:71]
	s_cbranch_execz .LBB128_167
; %bb.140:                              ;   in Loop: Header=BB128_20 Depth=1
	ds_read_b32 v6, v7 offset:4104
	s_waitcnt lgkmcnt(0)
	s_barrier
	v_readfirstlane_b32 s83, v6
	s_and_saveexec_b64 s[28:29], s[24:25]
; %bb.141:                              ;   in Loop: Header=BB128_20 Depth=1
	ds_write_b16 v23, v7
; %bb.142:                              ;   in Loop: Header=BB128_20 Depth=1
	s_or_b64 exec, exec, s[28:29]
	v_and_b32_e32 v6, v38, v3
	v_lshl_or_b32 v38, 1, v45, v6
	v_or_b32_e32 v46, v46, v1
	s_mov_b64 s[28:29], -1
	s_mov_b64 s[30:31], 0
	s_cmp_eq_u32 s83, 0
	s_mov_b64 s[72:73], 0
	s_mov_b64 s[74:75], -1
	s_waitcnt lgkmcnt(0)
	s_barrier
                                        ; implicit-def: $vgpr47
	s_cbranch_scc1 .LBB128_154
; %bb.143:                              ;   in Loop: Header=BB128_20 Depth=1
	s_add_i32 s34, s83, s15
	s_mul_hi_u32 s35, s34, s9
	s_mul_i32 s35, s35, s39
	s_sub_i32 s35, s34, s35
	s_sub_i32 s52, s35, s39
	s_cmp_ge_u32 s35, s39
	s_cselect_b32 s35, s52, s35
	s_sub_i32 s52, s35, s39
	s_cmp_ge_u32 s35, s39
	s_cselect_b32 s35, s52, s35
	s_sub_i32 s52, s34, s35
	v_cmp_gt_u32_e32 vcc, s52, v0
	s_mov_b64 s[74:75], 0
                                        ; implicit-def: $vgpr47
	s_and_saveexec_b64 s[76:77], vcc
	s_cbranch_execz .LBB128_153
; %bb.144:                              ;   in Loop: Header=BB128_20 Depth=1
	v_mov_b32_e32 v6, v22
	v_mov_b32_e32 v12, v0
                                        ; implicit-def: $sgpr78_sgpr79
	s_branch .LBB128_148
.LBB128_145:                            ;   in Loop: Header=BB128_148 Depth=2
	s_or_b64 exec, exec, s[80:81]
	s_waitcnt lgkmcnt(0)
	s_barrier
	ds_read_b32 v13, v7 offset:3072
	s_waitcnt lgkmcnt(0)
	s_barrier
	v_cmp_neq_f16_e32 vcc, 0, v13
	s_cbranch_vccnz .LBB128_151
; %bb.146:                              ;   in Loop: Header=BB128_148 Depth=2
	v_add_u32_e32 v12, s39, v12
	v_cmp_le_u32_e32 vcc, s52, v12
	v_add_u32_e32 v6, s48, v6
	s_mov_b64 s[34:35], 0
	s_orn2_b64 s[80:81], vcc, exec
.LBB128_147:                            ;   in Loop: Header=BB128_148 Depth=2
	s_and_b64 s[80:81], exec, s[80:81]
	s_or_b64 s[72:73], s[80:81], s[72:73]
	s_andn2_b64 s[78:79], s[78:79], exec
	s_and_b64 s[34:35], s[34:35], exec
	s_or_b64 s[78:79], s[78:79], s[34:35]
	s_andn2_b64 exec, exec, s[72:73]
	s_cbranch_execz .LBB128_152
.LBB128_148:                            ;   Parent Loop BB128_20 Depth=1
                                        ; =>  This Inner Loop Header: Depth=2
	v_cmp_gt_u32_e32 vcc, s83, v12
	s_and_saveexec_b64 s[80:81], vcc
	s_cbranch_execz .LBB128_145
; %bb.149:                              ;   in Loop: Header=BB128_148 Depth=2
	ds_read_u16 v13, v6
	s_waitcnt lgkmcnt(0)
	v_cmp_lt_i16_e32 vcc, -1, v13
	v_cndmask_b32_e32 v14, v41, v42, vcc
	v_xor_b32_sdwa v14, v14, v13 dst_sel:DWORD dst_unused:UNUSED_PAD src0_sel:DWORD src1_sel:WORD_0
	v_cmp_o_f16_e32 vcc, v13, v13
	v_cndmask_b32_e32 v14, v41, v14, vcc
	v_and_b32_e32 v14, v14, v46
	v_cmp_eq_u32_e32 vcc, v14, v38
	s_and_b64 exec, exec, vcc
	s_cbranch_execz .LBB128_145
; %bb.150:                              ;   in Loop: Header=BB128_148 Depth=2
	v_perm_b32 v13, v13, s50, v44
	ds_write_b32 v7, v13 offset:3072
	s_branch .LBB128_145
.LBB128_151:                            ;   in Loop: Header=BB128_148 Depth=2
	s_mov_b64 s[80:81], -1
                                        ; implicit-def: $vgpr12
                                        ; implicit-def: $vgpr6
	s_mov_b64 s[34:35], -1
	s_branch .LBB128_147
.LBB128_152:                            ;   in Loop: Header=BB128_20 Depth=1
	s_or_b64 exec, exec, s[72:73]
	v_lshrrev_b32_e32 v47, 16, v13
	s_and_b64 s[72:73], s[78:79], exec
.LBB128_153:                            ;   in Loop: Header=BB128_20 Depth=1
	s_or_b64 exec, exec, s[76:77]
.LBB128_154:                            ;   in Loop: Header=BB128_20 Depth=1
	s_and_b64 vcc, exec, s[74:75]
	s_cbranch_vccz .LBB128_166
; %bb.155:                              ;   in Loop: Header=BB128_20 Depth=1
                                        ; implicit-def: $vgpr47
	s_and_saveexec_b64 s[28:29], s[20:21]
	s_cbranch_execz .LBB128_165
; %bb.156:                              ;   in Loop: Header=BB128_20 Depth=1
	s_mov_b64 s[30:31], 0
	v_mov_b32_e32 v6, v5
	v_mov_b32_e32 v12, v0
                                        ; implicit-def: $sgpr74_sgpr75
	s_branch .LBB128_160
.LBB128_157:                            ;   in Loop: Header=BB128_160 Depth=2
	s_or_b64 exec, exec, s[76:77]
	s_waitcnt lgkmcnt(0)
	s_barrier
	ds_read_b32 v13, v7 offset:3072
	s_waitcnt lgkmcnt(0)
	s_barrier
	v_cmp_eq_f16_e32 vcc, 0, v13
	s_cbranch_vccz .LBB128_163
; %bb.158:                              ;   in Loop: Header=BB128_160 Depth=2
	v_add_u32_e32 v12, s39, v12
	v_cmp_le_u32_e32 vcc, s41, v12
	v_add_u32_e32 v6, s40, v6
	s_mov_b64 s[34:35], 0
	s_orn2_b64 s[76:77], vcc, exec
.LBB128_159:                            ;   in Loop: Header=BB128_160 Depth=2
	s_and_b64 s[52:53], exec, s[76:77]
	s_or_b64 s[30:31], s[52:53], s[30:31]
	s_andn2_b64 s[52:53], s[74:75], exec
	s_and_b64 s[34:35], s[34:35], exec
	s_or_b64 s[74:75], s[52:53], s[34:35]
	s_andn2_b64 exec, exec, s[30:31]
	s_cbranch_execz .LBB128_164
.LBB128_160:                            ;   Parent Loop BB128_20 Depth=1
                                        ; =>  This Inner Loop Header: Depth=2
	v_cmp_gt_u32_e32 vcc, s36, v12
	s_and_saveexec_b64 s[76:77], vcc
	s_cbranch_execz .LBB128_157
; %bb.161:                              ;   in Loop: Header=BB128_160 Depth=2
	v_lshlrev_b64 v[13:14], 1, v[6:7]
	v_mov_b32_e32 v15, s13
	v_add_co_u32_e32 v13, vcc, s37, v13
	v_addc_co_u32_e32 v14, vcc, v15, v14, vcc
	global_load_ushort v13, v[13:14], off
	s_waitcnt vmcnt(0)
	v_cmp_lt_i16_e32 vcc, -1, v13
	v_cndmask_b32_e32 v14, v41, v42, vcc
	v_xor_b32_sdwa v14, v14, v13 dst_sel:DWORD dst_unused:UNUSED_PAD src0_sel:DWORD src1_sel:WORD_0
	v_cmp_o_f16_e32 vcc, v13, v13
	v_cndmask_b32_e32 v14, v41, v14, vcc
	v_and_b32_e32 v14, v14, v46
	v_cmp_eq_u32_e32 vcc, v14, v38
	s_and_b64 exec, exec, vcc
	s_cbranch_execz .LBB128_157
; %bb.162:                              ;   in Loop: Header=BB128_160 Depth=2
	v_perm_b32 v13, v13, s50, v44
	ds_write_b32 v7, v13 offset:3072
	s_branch .LBB128_157
.LBB128_163:                            ;   in Loop: Header=BB128_160 Depth=2
	s_mov_b64 s[76:77], -1
                                        ; implicit-def: $vgpr12
	s_mov_b64 s[34:35], -1
	s_branch .LBB128_159
.LBB128_164:                            ;   in Loop: Header=BB128_20 Depth=1
	s_or_b64 exec, exec, s[30:31]
	s_andn2_b64 s[30:31], s[72:73], exec
	s_and_b64 s[34:35], s[74:75], exec
	v_lshrrev_b32_e32 v47, 16, v13
	s_or_b64 s[72:73], s[30:31], s[34:35]
.LBB128_165:                            ;   in Loop: Header=BB128_20 Depth=1
	s_or_b64 exec, exec, s[28:29]
	s_mov_b64 s[28:29], 0
	s_mov_b64 s[30:31], -1
.LBB128_166:                            ;   in Loop: Header=BB128_20 Depth=1
	s_orn2_b64 s[72:73], s[72:73], exec
.LBB128_167:                            ;   in Loop: Header=BB128_20 Depth=1
	s_or_b64 exec, exec, s[68:69]
	s_mov_b64 s[74:75], 0
	s_and_saveexec_b64 s[68:69], s[72:73]
	s_cbranch_execz .LBB128_260
; %bb.168:                              ;   in Loop: Header=BB128_20 Depth=1
	s_xor_b64 s[34:35], s[70:71], -1
	s_mov_b64 s[78:79], 0
	v_mov_b32_e32 v12, 1
	v_mov_b32_e32 v2, 1
	s_and_saveexec_b64 s[70:71], s[34:35]
	s_cbranch_execz .LBB128_174
; %bb.169:                              ;   in Loop: Header=BB128_20 Depth=1
	v_cmp_ge_u32_e32 vcc, s82, v4
	s_and_saveexec_b64 s[34:35], vcc
	s_xor_b64 s[72:73], exec, s[34:35]
	s_cbranch_execz .LBB128_171
; %bb.170:                              ;   in Loop: Header=BB128_20 Depth=1
	ds_read_b32 v2, v7 offset:4104
	v_and_b32_e32 v6, v38, v3
	v_lshl_or_b32 v38, 1, v45, v6
	v_or_b32_e32 v46, v46, v1
	s_waitcnt lgkmcnt(0)
	v_cmp_ne_u32_e32 vcc, 0, v2
	s_cbranch_vccz .LBB128_188
.LBB128_171:                            ;   in Loop: Header=BB128_20 Depth=1
	s_or_saveexec_b64 s[72:73], s[72:73]
	v_mov_b32_e32 v2, 8
	s_xor_b64 exec, exec, s[72:73]
.LBB128_172:                            ;   in Loop: Header=BB128_20 Depth=1
	s_mov_b64 s[74:75], exec
	v_subrev_u32_e32 v4, s82, v4
	v_mov_b32_e32 v2, 0
.LBB128_173:                            ;   in Loop: Header=BB128_20 Depth=1
	s_or_b64 exec, exec, s[72:73]
	s_and_b64 s[78:79], s[74:75], exec
	v_mov_b32_e32 v12, v4
.LBB128_174:                            ;   in Loop: Header=BB128_20 Depth=1
	s_or_b64 exec, exec, s[70:71]
	s_mov_b64 s[76:77], -1
                                        ; implicit-def: $sgpr72_sgpr73
                                        ; implicit-def: $sgpr74_sgpr75
	s_and_saveexec_b64 s[70:71], s[78:79]
	s_cbranch_execz .LBB128_259
; %bb.175:                              ;   in Loop: Header=BB128_20 Depth=1
	s_cmp_eq_u32 s90, 1
	s_cselect_b64 s[34:35], -1, 0
	v_cmp_eq_u32_e32 vcc, 1, v12
	s_and_b64 s[78:79], s[34:35], vcc
	s_mov_b64 s[80:81], -1
                                        ; implicit-def: $sgpr74_sgpr75
                                        ; implicit-def: $sgpr72_sgpr73
	s_and_saveexec_b64 s[76:77], s[78:79]
	s_cbranch_execz .LBB128_206
; %bb.176:                              ;   in Loop: Header=BB128_20 Depth=1
	ds_read_b32 v4, v7 offset:4104
	s_waitcnt lgkmcnt(0)
	s_barrier
	v_readfirstlane_b32 s91, v4
	s_and_saveexec_b64 s[34:35], s[24:25]
; %bb.177:                              ;   in Loop: Header=BB128_20 Depth=1
	ds_write_b16 v23, v7
; %bb.178:                              ;   in Loop: Header=BB128_20 Depth=1
	s_or_b64 exec, exec, s[34:35]
	v_and_b32_e32 v4, v38, v3
	v_lshl_or_b32 v38, 2, v45, v4
	v_or_b32_e32 v46, v46, v1
	s_mov_b64 s[72:73], -1
	s_mov_b64 s[74:75], 0
	s_cmp_eq_u32 s91, 0
	s_mov_b64 s[80:81], 0
	s_mov_b64 s[82:83], -1
	s_waitcnt lgkmcnt(0)
	s_barrier
                                        ; implicit-def: $vgpr47
	s_cbranch_scc1 .LBB128_193
; %bb.179:                              ;   in Loop: Header=BB128_20 Depth=1
	s_add_i32 s34, s91, s15
	s_mul_hi_u32 s35, s34, s9
	s_mul_i32 s35, s35, s39
	s_sub_i32 s35, s34, s35
	s_sub_i32 s52, s35, s39
	s_cmp_ge_u32 s35, s39
	s_cselect_b32 s35, s52, s35
	s_sub_i32 s52, s35, s39
	s_cmp_ge_u32 s35, s39
	s_cselect_b32 s35, s52, s35
	s_sub_i32 s52, s34, s35
	v_cmp_gt_u32_e32 vcc, s52, v0
	s_mov_b64 s[82:83], 0
                                        ; implicit-def: $vgpr47
	s_and_saveexec_b64 s[84:85], vcc
	s_cbranch_execz .LBB128_192
; %bb.180:                              ;   in Loop: Header=BB128_20 Depth=1
	v_mov_b32_e32 v4, v22
	v_mov_b32_e32 v6, v0
                                        ; implicit-def: $sgpr86_sgpr87
	s_branch .LBB128_184
.LBB128_181:                            ;   in Loop: Header=BB128_184 Depth=2
	s_or_b64 exec, exec, s[88:89]
	s_waitcnt lgkmcnt(0)
	s_barrier
	ds_read_b32 v13, v7 offset:3072
	s_waitcnt lgkmcnt(0)
	s_barrier
	v_cmp_neq_f16_e32 vcc, 0, v13
	s_cbranch_vccnz .LBB128_187
; %bb.182:                              ;   in Loop: Header=BB128_184 Depth=2
	v_add_u32_e32 v6, s39, v6
	v_cmp_le_u32_e32 vcc, s52, v6
	v_add_u32_e32 v4, s48, v4
	s_mov_b64 s[34:35], 0
	s_orn2_b64 s[88:89], vcc, exec
.LBB128_183:                            ;   in Loop: Header=BB128_184 Depth=2
	s_and_b64 s[88:89], exec, s[88:89]
	s_or_b64 s[80:81], s[88:89], s[80:81]
	s_andn2_b64 s[86:87], s[86:87], exec
	s_and_b64 s[34:35], s[34:35], exec
	s_or_b64 s[86:87], s[86:87], s[34:35]
	s_andn2_b64 exec, exec, s[80:81]
	s_cbranch_execz .LBB128_191
.LBB128_184:                            ;   Parent Loop BB128_20 Depth=1
                                        ; =>  This Inner Loop Header: Depth=2
	v_cmp_gt_u32_e32 vcc, s91, v6
	s_and_saveexec_b64 s[88:89], vcc
	s_cbranch_execz .LBB128_181
; %bb.185:                              ;   in Loop: Header=BB128_184 Depth=2
	ds_read_u16 v13, v4
	s_waitcnt lgkmcnt(0)
	v_cmp_lt_i16_e32 vcc, -1, v13
	v_cndmask_b32_e32 v14, v41, v42, vcc
	v_xor_b32_sdwa v14, v14, v13 dst_sel:DWORD dst_unused:UNUSED_PAD src0_sel:DWORD src1_sel:WORD_0
	v_cmp_o_f16_e32 vcc, v13, v13
	v_cndmask_b32_e32 v14, v41, v14, vcc
	v_and_b32_e32 v14, v14, v46
	v_cmp_eq_u32_e32 vcc, v14, v38
	s_and_b64 exec, exec, vcc
	s_cbranch_execz .LBB128_181
; %bb.186:                              ;   in Loop: Header=BB128_184 Depth=2
	v_perm_b32 v13, v13, s50, v44
	ds_write_b32 v7, v13 offset:3072
	s_branch .LBB128_181
.LBB128_187:                            ;   in Loop: Header=BB128_184 Depth=2
	s_mov_b64 s[88:89], -1
                                        ; implicit-def: $vgpr6
                                        ; implicit-def: $vgpr4
	s_mov_b64 s[34:35], -1
	s_branch .LBB128_183
.LBB128_188:                            ;   in Loop: Header=BB128_20 Depth=1
	s_and_saveexec_b64 s[34:35], s[2:3]
; %bb.189:                              ;   in Loop: Header=BB128_20 Depth=1
	v_mov_b32_e32 v2, s82
	ds_write_b32 v7, v2 offset:4108
; %bb.190:                              ;   in Loop: Header=BB128_20 Depth=1
	s_or_b64 exec, exec, s[34:35]
	s_waitcnt lgkmcnt(0)
	s_barrier
	s_or_saveexec_b64 s[72:73], s[72:73]
	v_mov_b32_e32 v2, 8
	s_xor_b64 exec, exec, s[72:73]
	s_cbranch_execnz .LBB128_172
	s_branch .LBB128_173
.LBB128_191:                            ;   in Loop: Header=BB128_20 Depth=1
	s_or_b64 exec, exec, s[80:81]
	v_lshrrev_b32_e32 v47, 16, v13
	s_and_b64 s[80:81], s[86:87], exec
.LBB128_192:                            ;   in Loop: Header=BB128_20 Depth=1
	s_or_b64 exec, exec, s[84:85]
.LBB128_193:                            ;   in Loop: Header=BB128_20 Depth=1
	s_and_b64 vcc, exec, s[82:83]
	s_cbranch_vccz .LBB128_205
; %bb.194:                              ;   in Loop: Header=BB128_20 Depth=1
                                        ; implicit-def: $vgpr47
	s_and_saveexec_b64 s[72:73], s[20:21]
	s_cbranch_execz .LBB128_204
; %bb.195:                              ;   in Loop: Header=BB128_20 Depth=1
	s_mov_b64 s[74:75], 0
	v_mov_b32_e32 v6, v5
	v_mov_b32_e32 v4, v0
                                        ; implicit-def: $sgpr82_sgpr83
	s_branch .LBB128_199
.LBB128_196:                            ;   in Loop: Header=BB128_199 Depth=2
	s_or_b64 exec, exec, s[84:85]
	s_waitcnt lgkmcnt(0)
	s_barrier
	ds_read_b32 v13, v7 offset:3072
	s_waitcnt lgkmcnt(0)
	s_barrier
	v_cmp_eq_f16_e32 vcc, 0, v13
	s_cbranch_vccz .LBB128_202
; %bb.197:                              ;   in Loop: Header=BB128_199 Depth=2
	v_add_u32_e32 v4, s39, v4
	v_cmp_le_u32_e32 vcc, s41, v4
	v_add_u32_e32 v6, s40, v6
	s_mov_b64 s[34:35], 0
	s_orn2_b64 s[84:85], vcc, exec
.LBB128_198:                            ;   in Loop: Header=BB128_199 Depth=2
	s_and_b64 s[52:53], exec, s[84:85]
	s_or_b64 s[74:75], s[52:53], s[74:75]
	s_andn2_b64 s[52:53], s[82:83], exec
	s_and_b64 s[34:35], s[34:35], exec
	s_or_b64 s[82:83], s[52:53], s[34:35]
	s_andn2_b64 exec, exec, s[74:75]
	s_cbranch_execz .LBB128_203
.LBB128_199:                            ;   Parent Loop BB128_20 Depth=1
                                        ; =>  This Inner Loop Header: Depth=2
	v_cmp_gt_u32_e32 vcc, s36, v4
	s_and_saveexec_b64 s[84:85], vcc
	s_cbranch_execz .LBB128_196
; %bb.200:                              ;   in Loop: Header=BB128_199 Depth=2
	v_lshlrev_b64 v[13:14], 1, v[6:7]
	v_mov_b32_e32 v15, s13
	v_add_co_u32_e32 v13, vcc, s37, v13
	v_addc_co_u32_e32 v14, vcc, v15, v14, vcc
	global_load_ushort v13, v[13:14], off
	s_waitcnt vmcnt(0)
	v_cmp_lt_i16_e32 vcc, -1, v13
	v_cndmask_b32_e32 v14, v41, v42, vcc
	v_xor_b32_sdwa v14, v14, v13 dst_sel:DWORD dst_unused:UNUSED_PAD src0_sel:DWORD src1_sel:WORD_0
	v_cmp_o_f16_e32 vcc, v13, v13
	v_cndmask_b32_e32 v14, v41, v14, vcc
	v_and_b32_e32 v14, v14, v46
	v_cmp_eq_u32_e32 vcc, v14, v38
	s_and_b64 exec, exec, vcc
	s_cbranch_execz .LBB128_196
; %bb.201:                              ;   in Loop: Header=BB128_199 Depth=2
	v_perm_b32 v13, v13, s50, v44
	ds_write_b32 v7, v13 offset:3072
	s_branch .LBB128_196
.LBB128_202:                            ;   in Loop: Header=BB128_199 Depth=2
	s_mov_b64 s[84:85], -1
                                        ; implicit-def: $vgpr4
	s_mov_b64 s[34:35], -1
	s_branch .LBB128_198
.LBB128_203:                            ;   in Loop: Header=BB128_20 Depth=1
	s_or_b64 exec, exec, s[74:75]
	s_andn2_b64 s[34:35], s[80:81], exec
	s_and_b64 s[52:53], s[82:83], exec
	v_lshrrev_b32_e32 v47, 16, v13
	s_or_b64 s[80:81], s[34:35], s[52:53]
.LBB128_204:                            ;   in Loop: Header=BB128_20 Depth=1
	s_or_b64 exec, exec, s[72:73]
	s_mov_b64 s[72:73], 0
	s_mov_b64 s[74:75], -1
.LBB128_205:                            ;   in Loop: Header=BB128_20 Depth=1
	s_orn2_b64 s[80:81], s[80:81], exec
.LBB128_206:                            ;   in Loop: Header=BB128_20 Depth=1
	s_or_b64 exec, exec, s[76:77]
	s_mov_b64 s[82:83], 0
	s_and_saveexec_b64 s[76:77], s[80:81]
	s_cbranch_execz .LBB128_258
; %bb.207:                              ;   in Loop: Header=BB128_20 Depth=1
	s_xor_b64 s[34:35], s[78:79], -1
	s_mov_b64 s[86:87], 0
	v_mov_b32_e32 v4, 1
	v_mov_b32_e32 v2, 1
	s_and_saveexec_b64 s[78:79], s[34:35]
	s_cbranch_execz .LBB128_216
; %bb.208:                              ;   in Loop: Header=BB128_20 Depth=1
	v_cmp_ge_u32_e32 vcc, s90, v12
	s_and_saveexec_b64 s[34:35], vcc
	s_xor_b64 s[80:81], exec, s[34:35]
	s_cbranch_execz .LBB128_213
; %bb.209:                              ;   in Loop: Header=BB128_20 Depth=1
	v_and_b32_e32 v2, v38, v3
	v_lshl_or_b32 v38, 2, v45, v2
	ds_read_b32 v2, v7 offset:4104
	v_or_b32_e32 v46, v46, v1
	s_waitcnt lgkmcnt(0)
	v_cmp_ne_u32_e32 vcc, 0, v2
	s_cbranch_vccnz .LBB128_213
; %bb.210:                              ;   in Loop: Header=BB128_20 Depth=1
	s_and_saveexec_b64 s[34:35], s[2:3]
; %bb.211:                              ;   in Loop: Header=BB128_20 Depth=1
	v_mov_b32_e32 v2, s90
	ds_write_b32 v7, v2 offset:4108
; %bb.212:                              ;   in Loop: Header=BB128_20 Depth=1
	s_or_b64 exec, exec, s[34:35]
	s_waitcnt lgkmcnt(0)
	s_barrier
.LBB128_213:                            ;   in Loop: Header=BB128_20 Depth=1
	s_or_saveexec_b64 s[80:81], s[80:81]
	v_mov_b32_e32 v2, 8
	s_xor_b64 exec, exec, s[80:81]
; %bb.214:                              ;   in Loop: Header=BB128_20 Depth=1
	v_subrev_u32_e32 v12, s90, v12
	v_mov_b32_e32 v2, 0
	s_mov_b64 s[82:83], exec
; %bb.215:                              ;   in Loop: Header=BB128_20 Depth=1
	s_or_b64 exec, exec, s[80:81]
	s_and_b64 s[86:87], s[82:83], exec
	v_mov_b32_e32 v4, v12
.LBB128_216:                            ;   in Loop: Header=BB128_20 Depth=1
	s_or_b64 exec, exec, s[78:79]
	s_mov_b64 s[84:85], -1
                                        ; implicit-def: $sgpr82_sgpr83
                                        ; implicit-def: $sgpr80_sgpr81
	s_and_saveexec_b64 s[78:79], s[86:87]
	s_cbranch_execz .LBB128_257
; %bb.217:                              ;   in Loop: Header=BB128_20 Depth=1
	s_cmp_eq_u32 s51, 1
	s_cselect_b64 s[34:35], -1, 0
	v_cmp_eq_u32_e32 vcc, 1, v4
	s_and_b64 s[84:85], s[34:35], vcc
	s_mov_b64 s[88:89], -1
                                        ; implicit-def: $sgpr82_sgpr83
                                        ; implicit-def: $sgpr80_sgpr81
	s_and_saveexec_b64 s[86:87], s[84:85]
	s_cbranch_execz .LBB128_245
; %bb.218:                              ;   in Loop: Header=BB128_20 Depth=1
	ds_read_b32 v3, v7 offset:4104
	s_waitcnt lgkmcnt(0)
	s_barrier
	v_readfirstlane_b32 s52, v3
	s_and_saveexec_b64 s[34:35], s[24:25]
; %bb.219:                              ;   in Loop: Header=BB128_20 Depth=1
	ds_write_b16 v23, v7
; %bb.220:                              ;   in Loop: Header=BB128_20 Depth=1
	s_or_b64 exec, exec, s[34:35]
	v_or_b32_e32 v38, v38, v1
	v_or_b32_e32 v46, v46, v1
	s_mov_b64 s[80:81], -1
	s_mov_b64 s[82:83], 0
	s_cmp_eq_u32 s52, 0
	s_mov_b64 s[88:89], 0
	s_mov_b64 s[90:91], -1
	s_waitcnt lgkmcnt(0)
	s_barrier
                                        ; implicit-def: $vgpr47
	s_cbranch_scc1 .LBB128_232
; %bb.221:                              ;   in Loop: Header=BB128_20 Depth=1
	s_add_i32 s34, s52, s15
	s_mul_hi_u32 s35, s34, s9
	s_mul_i32 s35, s35, s39
	s_sub_i32 s35, s34, s35
	s_sub_i32 s53, s35, s39
	s_cmp_ge_u32 s35, s39
	s_cselect_b32 s35, s53, s35
	s_sub_i32 s53, s35, s39
	s_cmp_ge_u32 s35, s39
	s_cselect_b32 s35, s53, s35
	s_sub_i32 s53, s34, s35
	v_cmp_gt_u32_e32 vcc, s53, v0
	s_mov_b64 s[90:91], 0
                                        ; implicit-def: $vgpr47
	s_and_saveexec_b64 s[92:93], vcc
	s_cbranch_execz .LBB128_231
; %bb.222:                              ;   in Loop: Header=BB128_20 Depth=1
	v_mov_b32_e32 v3, v22
	v_mov_b32_e32 v6, v0
                                        ; implicit-def: $sgpr94_sgpr95
	s_branch .LBB128_226
.LBB128_223:                            ;   in Loop: Header=BB128_226 Depth=2
	s_or_b64 exec, exec, s[34:35]
	s_waitcnt lgkmcnt(0)
	s_barrier
	ds_read_b32 v12, v7 offset:3072
	s_waitcnt lgkmcnt(0)
	s_barrier
	v_cmp_neq_f16_e32 vcc, 0, v12
	s_cbranch_vccnz .LBB128_229
; %bb.224:                              ;   in Loop: Header=BB128_226 Depth=2
	v_add_u32_e32 v6, s39, v6
	v_cmp_le_u32_e32 vcc, s53, v6
	v_add_u32_e32 v3, s48, v3
	s_mov_b64 s[34:35], 0
	s_orn2_b64 vcc, vcc, exec
.LBB128_225:                            ;   in Loop: Header=BB128_226 Depth=2
	s_and_b64 vcc, exec, vcc
	s_or_b64 s[88:89], vcc, s[88:89]
	s_andn2_b64 s[94:95], s[94:95], exec
	s_and_b64 s[34:35], s[34:35], exec
	s_or_b64 s[94:95], s[94:95], s[34:35]
	s_andn2_b64 exec, exec, s[88:89]
	s_cbranch_execz .LBB128_230
.LBB128_226:                            ;   Parent Loop BB128_20 Depth=1
                                        ; =>  This Inner Loop Header: Depth=2
	v_cmp_gt_u32_e32 vcc, s52, v6
	s_and_saveexec_b64 s[34:35], vcc
	s_cbranch_execz .LBB128_223
; %bb.227:                              ;   in Loop: Header=BB128_226 Depth=2
	ds_read_u16 v12, v3
	s_waitcnt lgkmcnt(0)
	v_cmp_lt_i16_e32 vcc, -1, v12
	v_cndmask_b32_e32 v13, v41, v42, vcc
	v_xor_b32_sdwa v13, v13, v12 dst_sel:DWORD dst_unused:UNUSED_PAD src0_sel:DWORD src1_sel:WORD_0
	v_cmp_o_f16_e32 vcc, v12, v12
	v_cndmask_b32_e32 v13, v41, v13, vcc
	v_and_b32_e32 v13, v13, v46
	v_cmp_eq_u32_e32 vcc, v13, v38
	s_and_b64 exec, exec, vcc
	s_cbranch_execz .LBB128_223
; %bb.228:                              ;   in Loop: Header=BB128_226 Depth=2
	v_perm_b32 v12, v12, s50, v44
	ds_write_b32 v7, v12 offset:3072
	s_branch .LBB128_223
.LBB128_229:                            ;   in Loop: Header=BB128_226 Depth=2
	s_mov_b64 vcc, -1
                                        ; implicit-def: $vgpr6
                                        ; implicit-def: $vgpr3
	s_mov_b64 s[34:35], -1
	s_branch .LBB128_225
.LBB128_230:                            ;   in Loop: Header=BB128_20 Depth=1
	s_or_b64 exec, exec, s[88:89]
	v_lshrrev_b32_e32 v47, 16, v12
	s_and_b64 s[88:89], s[94:95], exec
.LBB128_231:                            ;   in Loop: Header=BB128_20 Depth=1
	s_or_b64 exec, exec, s[92:93]
.LBB128_232:                            ;   in Loop: Header=BB128_20 Depth=1
	s_and_b64 vcc, exec, s[90:91]
	s_cbranch_vccz .LBB128_244
; %bb.233:                              ;   in Loop: Header=BB128_20 Depth=1
                                        ; implicit-def: $vgpr47
	s_and_saveexec_b64 s[80:81], s[20:21]
	s_cbranch_execz .LBB128_243
; %bb.234:                              ;   in Loop: Header=BB128_20 Depth=1
	s_mov_b64 s[82:83], 0
	v_mov_b32_e32 v6, v5
	v_mov_b32_e32 v3, v0
                                        ; implicit-def: $sgpr90_sgpr91
	s_branch .LBB128_238
.LBB128_235:                            ;   in Loop: Header=BB128_238 Depth=2
	s_or_b64 exec, exec, s[92:93]
	s_waitcnt lgkmcnt(0)
	s_barrier
	ds_read_b32 v12, v7 offset:3072
	s_waitcnt lgkmcnt(0)
	s_barrier
	v_cmp_eq_f16_e32 vcc, 0, v12
	s_cbranch_vccz .LBB128_241
; %bb.236:                              ;   in Loop: Header=BB128_238 Depth=2
	v_add_u32_e32 v3, s39, v3
	v_cmp_le_u32_e32 vcc, s41, v3
	v_add_u32_e32 v6, s40, v6
	s_mov_b64 s[34:35], 0
	s_orn2_b64 s[92:93], vcc, exec
.LBB128_237:                            ;   in Loop: Header=BB128_238 Depth=2
	s_and_b64 s[52:53], exec, s[92:93]
	s_or_b64 s[82:83], s[52:53], s[82:83]
	s_andn2_b64 s[52:53], s[90:91], exec
	s_and_b64 s[34:35], s[34:35], exec
	s_or_b64 s[90:91], s[52:53], s[34:35]
	s_andn2_b64 exec, exec, s[82:83]
	s_cbranch_execz .LBB128_242
.LBB128_238:                            ;   Parent Loop BB128_20 Depth=1
                                        ; =>  This Inner Loop Header: Depth=2
	v_cmp_gt_u32_e32 vcc, s36, v3
	s_and_saveexec_b64 s[92:93], vcc
	s_cbranch_execz .LBB128_235
; %bb.239:                              ;   in Loop: Header=BB128_238 Depth=2
	v_lshlrev_b64 v[12:13], 1, v[6:7]
	v_mov_b32_e32 v14, s13
	v_add_co_u32_e32 v12, vcc, s37, v12
	v_addc_co_u32_e32 v13, vcc, v14, v13, vcc
	global_load_ushort v12, v[12:13], off
	s_waitcnt vmcnt(0)
	v_cmp_lt_i16_e32 vcc, -1, v12
	v_cndmask_b32_e32 v13, v41, v42, vcc
	v_xor_b32_sdwa v13, v13, v12 dst_sel:DWORD dst_unused:UNUSED_PAD src0_sel:DWORD src1_sel:WORD_0
	v_cmp_o_f16_e32 vcc, v12, v12
	v_cndmask_b32_e32 v13, v41, v13, vcc
	v_and_b32_e32 v13, v13, v46
	v_cmp_eq_u32_e32 vcc, v13, v38
	s_and_b64 exec, exec, vcc
	s_cbranch_execz .LBB128_235
; %bb.240:                              ;   in Loop: Header=BB128_238 Depth=2
	v_perm_b32 v12, v12, s50, v44
	ds_write_b32 v7, v12 offset:3072
	s_branch .LBB128_235
.LBB128_241:                            ;   in Loop: Header=BB128_238 Depth=2
	s_mov_b64 s[92:93], -1
                                        ; implicit-def: $vgpr3
	s_mov_b64 s[34:35], -1
	s_branch .LBB128_237
.LBB128_242:                            ;   in Loop: Header=BB128_20 Depth=1
	s_or_b64 exec, exec, s[82:83]
	s_andn2_b64 s[34:35], s[88:89], exec
	s_and_b64 s[52:53], s[90:91], exec
	v_lshrrev_b32_e32 v47, 16, v12
	s_or_b64 s[88:89], s[34:35], s[52:53]
.LBB128_243:                            ;   in Loop: Header=BB128_20 Depth=1
	s_or_b64 exec, exec, s[80:81]
	s_mov_b64 s[80:81], 0
	s_mov_b64 s[82:83], -1
.LBB128_244:                            ;   in Loop: Header=BB128_20 Depth=1
	s_orn2_b64 s[88:89], s[88:89], exec
.LBB128_245:                            ;   in Loop: Header=BB128_20 Depth=1
	s_or_b64 exec, exec, s[86:87]
	s_mov_b64 s[34:35], 0
	s_and_saveexec_b64 s[86:87], s[88:89]
	s_cbranch_execz .LBB128_256
; %bb.246:                              ;   in Loop: Header=BB128_20 Depth=1
	s_xor_b64 s[34:35], s[84:85], -1
	v_mov_b32_e32 v2, 1
	v_mov_b32_e32 v3, 1
	s_and_saveexec_b64 s[84:85], s[34:35]
	s_cbranch_execz .LBB128_255
; %bb.247:                              ;   in Loop: Header=BB128_20 Depth=1
	v_cmp_ge_u32_e32 vcc, s51, v4
	s_and_saveexec_b64 s[34:35], vcc
	s_xor_b64 s[88:89], exec, s[34:35]
	s_cbranch_execz .LBB128_252
; %bb.248:                              ;   in Loop: Header=BB128_20 Depth=1
	v_or_b32_e32 v38, v38, v1
	v_or_b32_e32 v46, v46, v1
	ds_read_b32 v1, v7 offset:4104
	s_waitcnt lgkmcnt(0)
	v_cmp_ne_u32_e32 vcc, 0, v1
	s_cbranch_vccnz .LBB128_252
; %bb.249:                              ;   in Loop: Header=BB128_20 Depth=1
	s_and_saveexec_b64 s[34:35], s[2:3]
; %bb.250:                              ;   in Loop: Header=BB128_20 Depth=1
	v_mov_b32_e32 v1, s51
	ds_write_b32 v7, v1 offset:4108
; %bb.251:                              ;   in Loop: Header=BB128_20 Depth=1
	s_or_b64 exec, exec, s[34:35]
	s_waitcnt lgkmcnt(0)
	s_barrier
.LBB128_252:                            ;   in Loop: Header=BB128_20 Depth=1
	s_andn2_saveexec_b64 s[34:35], s[88:89]
; %bb.253:                              ;   in Loop: Header=BB128_20 Depth=1
	v_subrev_u32_e32 v4, s51, v4
; %bb.254:                              ;   in Loop: Header=BB128_20 Depth=1
	s_or_b64 exec, exec, s[34:35]
	v_mov_b32_e32 v2, 8
	v_mov_b32_e32 v3, v4
.LBB128_255:                            ;   in Loop: Header=BB128_20 Depth=1
	s_or_b64 exec, exec, s[84:85]
	s_mov_b64 s[34:35], exec
	v_mov_b32_e32 v4, v3
.LBB128_256:                            ;   in Loop: Header=BB128_20 Depth=1
	s_or_b64 exec, exec, s[86:87]
	s_orn2_b64 s[84:85], s[34:35], exec
.LBB128_257:                            ;   in Loop: Header=BB128_20 Depth=1
	s_or_b64 exec, exec, s[78:79]
	s_andn2_b64 s[34:35], s[74:75], exec
	s_and_b64 s[52:53], s[82:83], exec
	s_or_b64 s[74:75], s[34:35], s[52:53]
	s_andn2_b64 s[34:35], s[72:73], exec
	s_and_b64 s[52:53], s[80:81], exec
	s_or_b64 s[72:73], s[34:35], s[52:53]
	s_and_b64 s[82:83], s[84:85], exec
	v_mov_b32_e32 v12, v4
.LBB128_258:                            ;   in Loop: Header=BB128_20 Depth=1
	s_or_b64 exec, exec, s[76:77]
	s_orn2_b64 s[76:77], s[82:83], exec
.LBB128_259:                            ;   in Loop: Header=BB128_20 Depth=1
	s_or_b64 exec, exec, s[70:71]
	s_andn2_b64 s[30:31], s[30:31], exec
	s_and_b64 s[34:35], s[74:75], exec
	s_or_b64 s[30:31], s[30:31], s[34:35]
	s_andn2_b64 s[28:29], s[28:29], exec
	s_and_b64 s[34:35], s[72:73], exec
	s_or_b64 s[28:29], s[28:29], s[34:35]
	s_and_b64 s[74:75], s[76:77], exec
	v_mov_b32_e32 v4, v12
.LBB128_260:                            ;   in Loop: Header=BB128_20 Depth=1
	s_or_b64 exec, exec, s[68:69]
	s_orn2_b64 s[68:69], s[74:75], exec
.LBB128_261:                            ;   in Loop: Header=BB128_20 Depth=1
	s_or_b64 exec, exec, s[26:27]
	s_mov_b64 s[70:71], 0
                                        ; implicit-def: $sgpr72
	s_and_saveexec_b64 s[26:27], s[68:69]
	s_xor_b64 s[26:27], exec, s[26:27]
	s_cbranch_execz .LBB128_18
; %bb.262:                              ;   in Loop: Header=BB128_20 Depth=1
	v_and_b32_e32 v1, 7, v2
	v_cmp_eq_u32_e32 vcc, 0, v1
	s_mov_b64 s[22:23], -1
	s_mov_b64 s[34:35], -1
                                        ; implicit-def: $sgpr72
	s_and_saveexec_b64 s[68:69], vcc
	s_cbranch_execz .LBB128_17
; %bb.263:                              ;   in Loop: Header=BB128_20 Depth=1
	v_add_u32_e32 v1, -2, v45
	v_cmp_eq_u32_e32 vcc, 0, v45
	s_xor_b32 s72, s33, 1
	s_xor_b64 s[34:35], exec, -1
	s_orn2_b64 s[22:23], vcc, exec
	v_mov_b32_e32 v45, v1
	s_branch .LBB128_17
.LBB128_264:
	s_or_b64 exec, exec, s[54:55]
	s_xor_b64 s[8:9], s[60:61], -1
	s_xor_b64 s[0:1], s[56:57], -1
	;; [unrolled: 1-line block ×3, first 2 shown]
	s_mov_b64 s[4:5], 0
	s_and_saveexec_b64 s[2:3], s[0:1]
	s_xor_b64 s[2:3], exec, s[2:3]
	s_cbranch_execnz .LBB128_269
; %bb.265:
	s_andn2_saveexec_b64 s[0:1], s[2:3]
	s_cbranch_execnz .LBB128_282
.LBB128_266:
	s_or_b64 exec, exec, s[0:1]
	s_and_saveexec_b64 s[0:1], s[4:5]
.LBB128_267:
	; divergent unreachable
.LBB128_268:
	s_endpgm
.LBB128_269:
	s_and_saveexec_b64 s[0:1], s[8:9]
	s_xor_b64 s[4:5], exec, s[0:1]
	s_cbranch_execz .LBB128_280
; %bb.270:
	s_and_saveexec_b64 s[0:1], s[6:7]
	s_xor_b64 s[6:7], exec, s[0:1]
; %bb.271:
	v_and_b32_e32 v1, 0x8000, v38
	v_mov_b32_e32 v2, 0x8000
	v_mov_b32_e32 v3, 0xffff
	v_cmp_eq_u32_e32 vcc, 0, v1
	v_cndmask_b32_e32 v1, v2, v3, vcc
	v_xor_b32_e32 v47, v1, v38
; %bb.272:
	s_or_b64 exec, exec, s[6:7]
	v_readlane_b32 s0, v53, 8
	v_readlane_b32 s1, v53, 7
	s_mul_i32 s0, s1, s0
	s_mov_b32 s1, 0
	s_lshl_b64 s[0:1], s[0:1], 1
	v_readlane_b32 s6, v53, 2
	v_readlane_b32 s7, v53, 3
	s_add_u32 s0, s6, s0
	s_addc_u32 s1, s7, s1
	v_mov_b32_e32 v6, 0
	global_store_short v6, v47, s[0:1]
	s_mov_b64 s[6:7], exec
	v_readlane_b32 s0, v53, 4
	v_readlane_b32 s1, v53, 5
	s_and_b64 s[0:1], s[6:7], s[0:1]
	s_mov_b64 exec, s[0:1]
	s_cbranch_execz .LBB128_279
; %bb.273:
	v_cmp_u_f16_e32 vcc, v47, v47
	s_mov_b64 s[8:9], 0
	v_mov_b32_e32 v2, s13
	s_xor_b64 s[12:13], vcc, -1
                                        ; implicit-def: $sgpr10_sgpr11
                                        ; implicit-def: $sgpr16_sgpr17
                                        ; implicit-def: $sgpr14_sgpr15
	s_branch .LBB128_275
.LBB128_274:                            ;   in Loop: Header=BB128_275 Depth=1
	s_or_b64 exec, exec, s[0:1]
	s_and_b64 s[0:1], exec, s[16:17]
	s_or_b64 s[8:9], s[0:1], s[8:9]
	s_andn2_b64 s[0:1], s[10:11], exec
	s_and_b64 s[10:11], s[14:15], exec
	s_or_b64 s[10:11], s[0:1], s[10:11]
	s_andn2_b64 exec, exec, s[8:9]
	s_cbranch_execz .LBB128_277
.LBB128_275:                            ; =>This Inner Loop Header: Depth=1
	v_lshlrev_b64 v[3:4], 1, v[5:6]
	v_mov_b32_e32 v1, v0
	v_add_co_u32_e32 v3, vcc, s37, v3
	v_addc_co_u32_e32 v4, vcc, v2, v4, vcc
	global_load_ushort v3, v[3:4], off
	s_or_b64 s[14:15], s[14:15], exec
	s_or_b64 s[16:17], s[16:17], exec
                                        ; implicit-def: $vgpr0
	s_waitcnt vmcnt(0)
	v_cmp_o_f16_e64 s[0:1], v3, v3
	v_cmp_neq_f16_e32 vcc, v3, v47
	s_or_b64 s[0:1], s[12:13], s[0:1]
	s_and_b64 s[18:19], vcc, s[0:1]
	s_and_saveexec_b64 s[0:1], s[18:19]
	s_cbranch_execz .LBB128_274
; %bb.276:                              ;   in Loop: Header=BB128_275 Depth=1
	v_add_u32_e32 v0, s39, v1
	v_cmp_le_u32_e32 vcc, s36, v0
	s_andn2_b64 s[16:17], s[16:17], exec
	s_and_b64 s[18:19], vcc, exec
	v_add_u32_e32 v5, s40, v5
	s_andn2_b64 s[14:15], s[14:15], exec
	s_or_b64 s[16:17], s[16:17], s[18:19]
	s_branch .LBB128_274
.LBB128_277:
	s_or_b64 exec, exec, s[8:9]
	s_and_saveexec_b64 s[0:1], s[10:11]
	s_xor_b64 s[0:1], exec, s[0:1]
	s_cbranch_execz .LBB128_279
; %bb.278:
	v_readlane_b32 s0, v53, 8
	v_readlane_b32 s1, v53, 6
	s_mul_i32 s0, s1, s0
	s_mov_b32 s1, 0
	s_lshl_b64 s[0:1], s[0:1], 3
	v_readlane_b32 s8, v53, 0
	v_readlane_b32 s9, v53, 1
	s_add_u32 s0, s8, s0
	s_addc_u32 s1, s9, s1
	v_mov_b32_e32 v2, 0
	global_store_dwordx2 v2, v[1:2], s[0:1]
.LBB128_279:
	s_or_b64 exec, exec, s[6:7]
.LBB128_280:
	s_or_saveexec_b64 s[0:1], s[4:5]
	s_mov_b64 s[4:5], 0
	s_xor_b64 exec, exec, s[0:1]
	s_cbranch_execnz .LBB128_283
.LBB128_281:
	s_or_b64 exec, exec, s[0:1]
	s_and_b64 s[4:5], s[4:5], exec
	s_andn2_saveexec_b64 s[0:1], s[2:3]
	s_cbranch_execz .LBB128_266
.LBB128_282:
	s_or_b64 s[4:5], s[4:5], exec
	s_trap 2
	s_or_b64 exec, exec, s[0:1]
	s_and_saveexec_b64 s[0:1], s[4:5]
	s_cbranch_execnz .LBB128_267
	s_branch .LBB128_268
.LBB128_283:
	s_mov_b64 s[4:5], exec
	s_trap 2
	s_branch .LBB128_281
	.section	.rodata,"a",@progbits
	.p2align	6, 0x0
	.amdhsa_kernel _ZN2at6native12_GLOBAL__N_112gatherMedianIN3c104HalfEjLi1EEEvNS_4cuda6detail10TensorInfoIT_T0_EENS7_IlS9_EENS7_IKS8_S9_EES9_S9_S9_b
		.amdhsa_group_segment_fixed_size 4120
		.amdhsa_private_segment_fixed_size 0
		.amdhsa_kernarg_size 920
		.amdhsa_user_sgpr_count 6
		.amdhsa_user_sgpr_private_segment_buffer 1
		.amdhsa_user_sgpr_dispatch_ptr 0
		.amdhsa_user_sgpr_queue_ptr 0
		.amdhsa_user_sgpr_kernarg_segment_ptr 1
		.amdhsa_user_sgpr_dispatch_id 0
		.amdhsa_user_sgpr_flat_scratch_init 0
		.amdhsa_user_sgpr_private_segment_size 0
		.amdhsa_uses_dynamic_stack 0
		.amdhsa_system_sgpr_private_segment_wavefront_offset 0
		.amdhsa_system_sgpr_workgroup_id_x 1
		.amdhsa_system_sgpr_workgroup_id_y 1
		.amdhsa_system_sgpr_workgroup_id_z 1
		.amdhsa_system_sgpr_workgroup_info 0
		.amdhsa_system_vgpr_workitem_id 0
		.amdhsa_next_free_vgpr 54
		.amdhsa_next_free_sgpr 96
		.amdhsa_reserve_vcc 1
		.amdhsa_reserve_flat_scratch 0
		.amdhsa_float_round_mode_32 0
		.amdhsa_float_round_mode_16_64 0
		.amdhsa_float_denorm_mode_32 3
		.amdhsa_float_denorm_mode_16_64 3
		.amdhsa_dx10_clamp 1
		.amdhsa_ieee_mode 1
		.amdhsa_fp16_overflow 0
		.amdhsa_exception_fp_ieee_invalid_op 0
		.amdhsa_exception_fp_denorm_src 0
		.amdhsa_exception_fp_ieee_div_zero 0
		.amdhsa_exception_fp_ieee_overflow 0
		.amdhsa_exception_fp_ieee_underflow 0
		.amdhsa_exception_fp_ieee_inexact 0
		.amdhsa_exception_int_div_zero 0
	.end_amdhsa_kernel
	.section	.text._ZN2at6native12_GLOBAL__N_112gatherMedianIN3c104HalfEjLi1EEEvNS_4cuda6detail10TensorInfoIT_T0_EENS7_IlS9_EENS7_IKS8_S9_EES9_S9_S9_b,"axG",@progbits,_ZN2at6native12_GLOBAL__N_112gatherMedianIN3c104HalfEjLi1EEEvNS_4cuda6detail10TensorInfoIT_T0_EENS7_IlS9_EENS7_IKS8_S9_EES9_S9_S9_b,comdat
.Lfunc_end128:
	.size	_ZN2at6native12_GLOBAL__N_112gatherMedianIN3c104HalfEjLi1EEEvNS_4cuda6detail10TensorInfoIT_T0_EENS7_IlS9_EENS7_IKS8_S9_EES9_S9_S9_b, .Lfunc_end128-_ZN2at6native12_GLOBAL__N_112gatherMedianIN3c104HalfEjLi1EEEvNS_4cuda6detail10TensorInfoIT_T0_EENS7_IlS9_EENS7_IKS8_S9_EES9_S9_S9_b
                                        ; -- End function
	.set _ZN2at6native12_GLOBAL__N_112gatherMedianIN3c104HalfEjLi1EEEvNS_4cuda6detail10TensorInfoIT_T0_EENS7_IlS9_EENS7_IKS8_S9_EES9_S9_S9_b.num_vgpr, 54
	.set _ZN2at6native12_GLOBAL__N_112gatherMedianIN3c104HalfEjLi1EEEvNS_4cuda6detail10TensorInfoIT_T0_EENS7_IlS9_EENS7_IKS8_S9_EES9_S9_S9_b.num_agpr, 0
	.set _ZN2at6native12_GLOBAL__N_112gatherMedianIN3c104HalfEjLi1EEEvNS_4cuda6detail10TensorInfoIT_T0_EENS7_IlS9_EENS7_IKS8_S9_EES9_S9_S9_b.numbered_sgpr, 96
	.set _ZN2at6native12_GLOBAL__N_112gatherMedianIN3c104HalfEjLi1EEEvNS_4cuda6detail10TensorInfoIT_T0_EENS7_IlS9_EENS7_IKS8_S9_EES9_S9_S9_b.num_named_barrier, 0
	.set _ZN2at6native12_GLOBAL__N_112gatherMedianIN3c104HalfEjLi1EEEvNS_4cuda6detail10TensorInfoIT_T0_EENS7_IlS9_EENS7_IKS8_S9_EES9_S9_S9_b.private_seg_size, 0
	.set _ZN2at6native12_GLOBAL__N_112gatherMedianIN3c104HalfEjLi1EEEvNS_4cuda6detail10TensorInfoIT_T0_EENS7_IlS9_EENS7_IKS8_S9_EES9_S9_S9_b.uses_vcc, 1
	.set _ZN2at6native12_GLOBAL__N_112gatherMedianIN3c104HalfEjLi1EEEvNS_4cuda6detail10TensorInfoIT_T0_EENS7_IlS9_EENS7_IKS8_S9_EES9_S9_S9_b.uses_flat_scratch, 0
	.set _ZN2at6native12_GLOBAL__N_112gatherMedianIN3c104HalfEjLi1EEEvNS_4cuda6detail10TensorInfoIT_T0_EENS7_IlS9_EENS7_IKS8_S9_EES9_S9_S9_b.has_dyn_sized_stack, 0
	.set _ZN2at6native12_GLOBAL__N_112gatherMedianIN3c104HalfEjLi1EEEvNS_4cuda6detail10TensorInfoIT_T0_EENS7_IlS9_EENS7_IKS8_S9_EES9_S9_S9_b.has_recursion, 0
	.set _ZN2at6native12_GLOBAL__N_112gatherMedianIN3c104HalfEjLi1EEEvNS_4cuda6detail10TensorInfoIT_T0_EENS7_IlS9_EENS7_IKS8_S9_EES9_S9_S9_b.has_indirect_call, 0
	.section	.AMDGPU.csdata,"",@progbits
; Kernel info:
; codeLenInByte = 10732
; TotalNumSgprs: 100
; NumVgprs: 54
; ScratchSize: 0
; MemoryBound: 0
; FloatMode: 240
; IeeeMode: 1
; LDSByteSize: 4120 bytes/workgroup (compile time only)
; SGPRBlocks: 12
; VGPRBlocks: 13
; NumSGPRsForWavesPerEU: 100
; NumVGPRsForWavesPerEU: 54
; Occupancy: 4
; WaveLimiterHint : 1
; COMPUTE_PGM_RSRC2:SCRATCH_EN: 0
; COMPUTE_PGM_RSRC2:USER_SGPR: 6
; COMPUTE_PGM_RSRC2:TRAP_HANDLER: 0
; COMPUTE_PGM_RSRC2:TGID_X_EN: 1
; COMPUTE_PGM_RSRC2:TGID_Y_EN: 1
; COMPUTE_PGM_RSRC2:TGID_Z_EN: 1
; COMPUTE_PGM_RSRC2:TIDIG_COMP_CNT: 0
	.section	.text._ZN2at6native12_GLOBAL__N_112gatherMedianIN3c104HalfEjLi2EEEvNS_4cuda6detail10TensorInfoIT_T0_EENS7_IlS9_EENS7_IKS8_S9_EES9_S9_S9_b,"axG",@progbits,_ZN2at6native12_GLOBAL__N_112gatherMedianIN3c104HalfEjLi2EEEvNS_4cuda6detail10TensorInfoIT_T0_EENS7_IlS9_EENS7_IKS8_S9_EES9_S9_S9_b,comdat
	.globl	_ZN2at6native12_GLOBAL__N_112gatherMedianIN3c104HalfEjLi2EEEvNS_4cuda6detail10TensorInfoIT_T0_EENS7_IlS9_EENS7_IKS8_S9_EES9_S9_S9_b ; -- Begin function _ZN2at6native12_GLOBAL__N_112gatherMedianIN3c104HalfEjLi2EEEvNS_4cuda6detail10TensorInfoIT_T0_EENS7_IlS9_EENS7_IKS8_S9_EES9_S9_S9_b
	.p2align	8
	.type	_ZN2at6native12_GLOBAL__N_112gatherMedianIN3c104HalfEjLi2EEEvNS_4cuda6detail10TensorInfoIT_T0_EENS7_IlS9_EENS7_IKS8_S9_EES9_S9_S9_b,@function
_ZN2at6native12_GLOBAL__N_112gatherMedianIN3c104HalfEjLi2EEEvNS_4cuda6detail10TensorInfoIT_T0_EENS7_IlS9_EENS7_IKS8_S9_EES9_S9_S9_b: ; @_ZN2at6native12_GLOBAL__N_112gatherMedianIN3c104HalfEjLi2EEEvNS_4cuda6detail10TensorInfoIT_T0_EENS7_IlS9_EENS7_IKS8_S9_EES9_S9_S9_b
; %bb.0:
	s_load_dwordx2 s[12:13], s[4:5], 0x298
	s_load_dwordx4 s[36:39], s[4:5], 0x288
	s_add_u32 s10, s4, 0x298
	s_addc_u32 s11, s5, 0
	s_waitcnt lgkmcnt(0)
	s_mul_i32 s0, s13, s8
	s_add_i32 s0, s0, s7
	s_mul_i32 s0, s0, s12
	s_add_i32 s14, s0, s6
	s_cmp_ge_u32 s14, s37
	s_cbranch_scc1 .LBB129_268
; %bb.1:
	s_load_dword s8, s[4:5], 0xc
	s_load_dword s9, s[4:5], 0xe4
	;; [unrolled: 1-line block ×3, first 2 shown]
	s_load_dwordx2 s[0:1], s[4:5], 0x1b0
	s_load_dwordx2 s[2:3], s[4:5], 0x144
                                        ; implicit-def: $vgpr53 : SGPR spill to VGPR lane
                                        ; kill: killed $sgpr4 killed $sgpr5
	v_mov_b32_e32 v3, 0
	s_waitcnt lgkmcnt(0)
	v_cvt_f32_u32_e32 v1, s8
	v_cvt_f32_u32_e32 v2, s9
	v_writelane_b32 v53, s2, 0
	v_writelane_b32 v53, s3, 1
	s_load_dwordx2 s[2:3], s[4:5], 0xd8
	v_rcp_iflag_f32_e32 v1, v1
	v_rcp_iflag_f32_e32 v2, v2
	s_waitcnt lgkmcnt(0)
	v_writelane_b32 v53, s2, 2
	v_writelane_b32 v53, s3, 3
	s_load_dwordx2 s[2:3], s[4:5], 0x6c
	v_mul_f32_e32 v1, 0x4f7ffffe, v1
	v_cvt_u32_f32_e32 v1, v1
	v_mul_f32_e32 v2, 0x4f7ffffe, v2
	v_cvt_u32_f32_e32 v2, v2
	s_waitcnt lgkmcnt(0)
	v_writelane_b32 v53, s2, 4
	v_writelane_b32 v53, s3, 5
	s_load_dwordx2 s[2:3], s[4:5], 0x0
	s_waitcnt lgkmcnt(0)
	v_writelane_b32 v53, s2, 6
	v_writelane_b32 v53, s3, 7
	s_load_dwordx2 s[2:3], s[4:5], 0x21c
	v_writelane_b32 v53, s8, 8
	s_sub_i32 s4, 0, s8
	v_readfirstlane_b32 s8, v1
	v_cvt_f32_u32_e32 v1, s7
	s_mul_i32 s4, s4, s8
	s_mul_hi_u32 s4, s8, s4
	s_add_i32 s8, s8, s4
	v_rcp_iflag_f32_e32 v1, v1
	s_mul_hi_u32 s4, s14, s8
	v_writelane_b32 v53, s4, 9
	s_sub_i32 s4, 0, s9
	v_readfirstlane_b32 s8, v2
	v_mul_f32_e32 v1, 0x4f7ffffe, v1
	s_mul_i32 s4, s4, s8
	v_cvt_u32_f32_e32 v1, v1
	s_mul_hi_u32 s4, s8, s4
	s_add_i32 s8, s8, s4
	v_writelane_b32 v53, s9, 10
	s_mul_hi_u32 s4, s14, s8
	v_writelane_b32 v53, s4, 11
	s_sub_i32 s4, 0, s7
	v_readfirstlane_b32 s8, v1
	s_mul_i32 s4, s4, s8
	s_mul_hi_u32 s4, s8, s4
	s_add_i32 s8, s8, s4
	s_mul_hi_u32 s4, s14, s8
	s_mul_i32 s8, s4, s7
	s_sub_i32 s8, s14, s8
	s_add_i32 s9, s4, 1
	s_sub_i32 s13, s8, s7
	s_cmp_ge_u32 s8, s7
	s_cselect_b32 s4, s9, s4
	s_cselect_b32 s8, s13, s8
	s_add_i32 s9, s4, 1
	s_cmp_ge_u32 s8, s7
	s_cselect_b32 s4, s9, s4
	s_mul_i32 s7, s4, s7
	s_sub_i32 s7, s14, s7
	s_waitcnt lgkmcnt(0)
	s_mul_i32 s7, s7, s3
	s_mul_i32 s2, s4, s2
	s_mov_b32 s5, 0
	s_add_i32 s4, s2, s7
	s_lshl_b64 s[2:3], s[4:5], 1
	s_add_u32 s42, s0, s2
	s_addc_u32 s44, s1, s3
	v_writelane_b32 v53, s14, 12
	v_cmp_gt_u32_e64 s[0:1], s36, v0
	s_mov_b64 s[2:3], exec
	v_writelane_b32 v53, s0, 13
	v_writelane_b32 v53, s1, 14
	s_and_b64 s[0:1], s[2:3], s[0:1]
	s_mov_b64 exec, s[0:1]
	s_cbranch_execz .LBB129_5
; %bb.2:
	s_load_dword s0, s[10:11], 0xc
	v_mul_lo_u32 v1, v0, s38
	v_mov_b32_e32 v2, 0
	s_mov_b64 s[4:5], 0
	v_mov_b32_e32 v4, s44
	s_waitcnt lgkmcnt(0)
	s_and_b32 s0, s0, 0xffff
	s_mul_i32 s1, s38, s0
	v_mov_b32_e32 v3, v2
	v_mov_b32_e32 v5, v0
.LBB129_3:                              ; =>This Inner Loop Header: Depth=1
	v_lshlrev_b64 v[6:7], 1, v[1:2]
	v_add_u32_e32 v5, s0, v5
	v_add_co_u32_e32 v6, vcc, s42, v6
	v_addc_co_u32_e32 v7, vcc, v4, v7, vcc
	global_load_ushort v6, v[6:7], off
	v_cmp_le_u32_e32 vcc, s36, v5
	s_or_b64 s[4:5], vcc, s[4:5]
	v_add_u32_e32 v1, s1, v1
	s_waitcnt vmcnt(0)
	v_cmp_u_f16_e32 vcc, v6, v6
	v_addc_co_u32_e32 v3, vcc, 0, v3, vcc
	s_andn2_b64 exec, exec, s[4:5]
	s_cbranch_execnz .LBB129_3
; %bb.4:
	s_or_b64 exec, exec, s[4:5]
.LBB129_5:
	s_or_b64 exec, exec, s[2:3]
	v_cmp_eq_u32_e64 s[2:3], 0, v0
	s_and_saveexec_b64 s[4:5], s[2:3]
; %bb.6:
	v_mov_b32_e32 v1, 0
	v_mov_b32_e32 v2, v1
	ds_write_b64 v1, v[1:2] offset:4096
; %bb.7:
	s_or_b64 exec, exec, s[4:5]
	v_cmp_ne_u32_e32 vcc, 0, v3
	s_waitcnt lgkmcnt(0)
	s_barrier
	s_and_saveexec_b64 s[4:5], vcc
	s_cbranch_execz .LBB129_12
; %bb.8:
	s_mov_b64 s[14:15], exec
	v_mov_b32_e32 v1, 0
	s_mov_b64 s[8:9], 0
.LBB129_9:                              ; =>This Inner Loop Header: Depth=1
	s_ff1_i32_b64 s0, s[14:15]
	v_readlane_b32 s7, v3, s0
	v_readlane_b32 s1, v1, s0
	s_add_u32 s8, s8, s7
	s_addc_u32 s9, s9, s1
	s_lshl_b64 s[0:1], 1, s0
	s_andn2_b64 s[14:15], s[14:15], s[0:1]
	s_cmp_lg_u64 s[14:15], 0
	s_cbranch_scc1 .LBB129_9
; %bb.10:
	v_mbcnt_lo_u32_b32 v1, exec_lo, 0
	v_mbcnt_hi_u32_b32 v1, exec_hi, v1
	v_cmp_eq_u32_e32 vcc, 0, v1
	s_and_saveexec_b64 s[0:1], vcc
	s_xor_b64 s[0:1], exec, s[0:1]
; %bb.11:
	v_mov_b32_e32 v1, s8
	v_mov_b32_e32 v3, 0
	;; [unrolled: 1-line block ×3, first 2 shown]
	ds_add_u64 v3, v[1:2] offset:4096
.LBB129_12:
	s_or_b64 exec, exec, s[4:5]
	v_mov_b32_e32 v1, 0
	s_waitcnt lgkmcnt(0)
	s_barrier
	ds_read_b64 v[1:2], v1 offset:4096
	s_bitcmp1_b32 s39, 0
	s_cselect_b64 s[8:9], -1, 0
	s_mov_b32 s7, s36
	s_waitcnt lgkmcnt(0)
	v_readfirstlane_b32 s4, v1
	v_readfirstlane_b32 s5, v2
	v_cmp_lt_i64_e64 s[0:1], s[4:5], 1
	s_or_b64 s[0:1], s[8:9], s[0:1]
	s_andn2_b64 vcc, exec, s[0:1]
	s_cbranch_vccnz .LBB129_14
; %bb.13:
	s_not_b64 s[0:1], s[4:5]
	s_add_u32 s0, s0, s36
	s_addc_u32 s1, s1, 0
	s_lshr_b32 s4, s1, 31
	s_add_u32 s0, s0, s4
	s_addc_u32 s1, s1, 0
	s_lshr_b64 s[0:1], s[0:1], 1
	s_add_i32 s7, s0, 1
.LBB129_14:
	s_and_saveexec_b64 s[4:5], s[2:3]
	s_cbranch_execz .LBB129_16
; %bb.15:
	v_mov_b32_e32 v1, 0
	v_mov_b32_e32 v2, s36
	ds_write_b32 v1, v1 offset:4112
	ds_write_b64 v1, v[1:2] offset:4104
.LBB129_16:
	s_or_b64 exec, exec, s[4:5]
	s_waitcnt lgkmcnt(0)
	s_barrier
	s_load_dword s0, s[10:11], 0xc
	v_mul_lo_u32 v5, s38, v0
	v_mov_b32_e32 v7, 0
	v_mbcnt_lo_u32_b32 v1, -1, 0
	v_mov_b32_e32 v6, v7
	s_waitcnt lgkmcnt(0)
	s_and_b32 s39, s0, 0xffff
	v_mbcnt_hi_u32_b32 v21, -1, v1
	v_lshlrev_b64 v[1:2], 1, v[5:6]
	v_cmp_gt_u32_e32 vcc, 64, v0
	v_cmp_gt_i32_e64 s[8:9], 4, v21
	s_add_i32 s15, s39, -1
	s_lshl_b32 s14, s39, 2
	s_bfe_u32 s0, s0, 0xa0006
	s_and_b64 s[46:47], vcc, s[8:9]
	s_add_i32 s1, s15, s36
	v_mov_b32_e32 v3, s44
	v_add_co_u32_e32 v8, vcc, s42, v1
	s_cmpk_gt_u32 s36, 0x600
	v_addc_co_u32_e32 v9, vcc, v3, v2, vcc
	v_lshlrev_b64 v[2:3], v21, -1
	s_cselect_b64 s[48:49], -1, 0
	s_cmp_gt_u32 s39, 63
	s_cselect_b64 s[50:51], -1, 0
	v_not_b32_e32 v26, v2
	v_lshrrev_b32_e32 v2, 2, v0
	s_cmp_lt_u32 s6, s12
	v_and_b32_e32 v2, 0xf0, v2
	s_cselect_b32 s6, 12, 18
	v_or_b32_e32 v27, 0xc00, v2
	s_add_u32 s8, s10, s6
	v_add_u32_e32 v2, 2, v0
	s_addc_u32 s9, s11, 0
	v_max_u32_e32 v2, s36, v2
	v_writelane_b32 v53, s8, 15
	v_xad_u32 v2, v0, -1, v2
	v_not_b32_e32 v25, v3
	v_writelane_b32 v53, s9, 16
	v_add_u32_e32 v3, -2, v2
	v_cmp_lt_u32_e64 s[8:9], 31, v2
	v_lshrrev_b32_e32 v4, 1, v3
	v_writelane_b32 v53, s8, 17
	v_add_u32_e32 v4, 1, v4
	v_writelane_b32 v53, s9, 18
	v_cmp_lt_u32_e64 s[8:9], 13, v3
	v_and_b32_e32 v12, 7, v4
	v_writelane_b32 v53, s8, 19
	v_writelane_b32 v53, s9, 20
	v_cmp_ne_u32_e64 s[8:9], 0, v12
	v_and_b32_e32 v28, -2, v2
	v_writelane_b32 v53, s8, 21
	v_writelane_b32 v53, s9, 22
	v_cmp_ne_u32_e64 s[8:9], v2, v28
	v_cvt_f32_u32_e32 v2, s14
	v_writelane_b32 v53, s8, 23
	s_add_i32 s6, s0, -1
	v_writelane_b32 v53, s9, 24
	v_rcp_iflag_f32_e32 v2, v2
	s_bfe_u32 s9, s39, 0x30006
	s_and_b32 s6, s6, 0xffff
	s_cmp_gt_u32 s6, 6
	v_mul_f32_e32 v2, 0x4f7ffffe, v2
	v_cvt_u32_f32_e32 v2, v2
	s_cselect_b64 s[10:11], -1, 0
	s_and_b32 s8, s0, 0x3f8
	v_writelane_b32 v53, s10, 25
	s_cmp_lg_u32 s9, 0
	v_writelane_b32 v53, s11, 26
	s_cselect_b64 s[10:11], -1, 0
	s_sub_i32 s0, 0, s14
	v_readfirstlane_b32 s6, v2
	s_mul_i32 s0, s0, s6
	v_cvt_f32_u32_e32 v2, s39
	s_mul_hi_u32 s0, s6, s0
	v_writelane_b32 v53, s9, 27
	s_add_i32 s9, s6, s0
	s_mul_hi_u32 s0, s36, s9
	v_and_b32_e32 v30, -8, v4
	s_mul_i32 s0, s0, s14
	v_rcp_iflag_f32_e32 v4, v2
	s_sub_i32 s0, s36, s0
	s_sub_i32 s6, s0, s14
	s_cmp_ge_u32 s0, s14
	s_cselect_b32 s0, s6, s0
	v_mul_f32_e32 v4, 0x4f7ffffe, v4
	s_sub_i32 s6, s0, s14
	v_cvt_u32_f32_e32 v4, v4
	s_cmp_ge_u32 s0, s14
	s_cselect_b32 s6, s6, s0
	v_writelane_b32 v53, s10, 28
	s_sub_i32 s43, s36, s6
	v_writelane_b32 v53, s11, 29
	v_add_u32_e32 v31, s43, v0
	s_sub_i32 s0, 0, s39
	v_readfirstlane_b32 s10, v4
	v_mul_lo_u32 v6, v31, s38
	s_mul_i32 s0, s0, s10
	s_mul_hi_u32 s0, s10, s0
	s_add_i32 s13, s10, s0
	s_mul_hi_u32 s0, s1, s13
	v_lshlrev_b64 v[2:3], 1, v[6:7]
	s_mul_i32 s0, s0, s39
	v_lshlrev_b32_e32 v20, 2, v0
	s_sub_i32 s0, s1, s0
	v_add_co_u32_e32 v10, vcc, s42, v2
	s_sub_i32 s10, s0, s39
	v_mul_lo_u32 v2, s38, v20
	s_cmp_ge_u32 s0, s39
	s_cselect_b32 s0, s10, s0
	s_sub_i32 s10, s0, s39
	s_cmp_ge_u32 s0, s39
	v_add_u32_e32 v33, s38, v2
	v_or_b32_e32 v2, 2, v20
	s_cselect_b32 s0, s10, s0
	v_mul_lo_u32 v34, s38, v2
	v_or_b32_e32 v2, 3, v20
	s_add_i32 s10, s39, s36
	v_mul_lo_u32 v35, s38, v2
	v_add_u32_e32 v2, s10, v0
	v_subrev_u32_e32 v2, s6, v2
	v_mul_lo_u32 v37, s38, v2
	v_lshlrev_b32_e32 v22, 1, v0
	v_lshlrev_b32_e32 v1, 2, v21
	v_mov_b32_e32 v6, s44
	s_sub_i32 s0, s1, s0
	s_mul_i32 s45, s38, s39
	s_mov_b32 s37, 0
	v_cmp_eq_u32_e64 s[4:5], 0, v21
	v_cmp_gt_u32_e64 s[24:25], 2, v0
	v_add_u32_e32 v23, 0xc00, v22
	v_and_b32_e32 v24, 0x100, v1
	v_add_u32_e32 v29, v0, v28
	s_mov_b32 s12, s38
	v_cmp_gt_u32_e64 s[16:17], s43, v20
	v_cmp_gt_u32_e64 s[18:19], s36, v31
	v_addc_co_u32_e32 v11, vcc, v6, v3, vcc
	v_cmp_gt_u32_e64 s[20:21], s0, v0
	v_lshlrev_b32_e32 v32, 2, v12
	s_lshl_b32 s1, s45, 2
	v_lshlrev_b32_e32 v36, 2, v5
	s_lshl_b32 s33, s39, 3
	s_lshl_b32 s52, s39, 1
	v_or_b32_e32 v39, 0xc00, v1
	s_mov_b64 s[58:59], 0
	s_mov_b32 s53, 0x5040100
	s_movk_i32 s54, 0x3c00
	v_lshlrev_b32_e32 v40, 3, v0
	v_mov_b32_e32 v45, 14
	v_mov_b32_e32 v48, s7
	;; [unrolled: 1-line block ×4, first 2 shown]
	v_mov_b32_e32 v43, -1
	v_mov_b32_e32 v44, 0x5040100
	v_mov_b32_e32 v47, 0
	;; [unrolled: 1-line block ×4, first 2 shown]
                                        ; implicit-def: $sgpr60_sgpr61
                                        ; implicit-def: $sgpr64_sgpr65
                                        ; implicit-def: $sgpr62_sgpr63
                                        ; implicit-def: $sgpr68_sgpr69
                                        ; implicit-def: $sgpr70_sgpr71
                                        ; implicit-def: $sgpr66_sgpr67
	s_branch .LBB129_20
.LBB129_17:                             ;   in Loop: Header=BB129_20 Depth=1
	s_or_b64 exec, exec, s[34:35]
	s_and_b64 s[40:41], s[10:11], exec
	s_andn2_b64 s[30:31], s[30:31], exec
	s_andn2_b64 s[28:29], s[28:29], exec
	s_orn2_b64 s[22:23], s[22:23], exec
.LBB129_18:                             ;   in Loop: Header=BB129_20 Depth=1
	s_or_b64 exec, exec, s[26:27]
	s_andn2_b64 s[10:11], s[66:67], exec
	s_and_b64 s[26:27], s[40:41], exec
	s_or_b64 s[66:67], s[10:11], s[26:27]
	s_andn2_b64 s[10:11], s[70:71], exec
	s_and_b64 s[26:27], s[30:31], exec
	s_or_b64 s[70:71], s[10:11], s[26:27]
	;; [unrolled: 3-line block ×3, first 2 shown]
	s_orn2_b64 s[22:23], s[22:23], exec
.LBB129_19:                             ;   in Loop: Header=BB129_20 Depth=1
	s_or_b64 exec, exec, s[6:7]
	s_and_b64 s[6:7], exec, s[22:23]
	s_or_b64 s[58:59], s[6:7], s[58:59]
	s_andn2_b64 s[6:7], s[62:63], exec
	s_and_b64 s[10:11], s[66:67], exec
	s_or_b64 s[62:63], s[6:7], s[10:11]
	s_andn2_b64 s[6:7], s[64:65], exec
	s_and_b64 s[10:11], s[70:71], exec
	;; [unrolled: 3-line block ×3, first 2 shown]
	s_or_b64 s[60:61], s[6:7], s[10:11]
	s_mov_b32 s37, s72
	v_mov_b32_e32 v48, v4
	s_andn2_b64 exec, exec, s[58:59]
	s_cbranch_execz .LBB129_264
.LBB129_20:                             ; =>This Loop Header: Depth=1
                                        ;     Child Loop BB129_25 Depth 2
                                        ;     Child Loop BB129_46 Depth 2
	;; [unrolled: 1-line block ×18, first 2 shown]
	ds_read_b64 v[1:2], v7 offset:4104
	s_waitcnt lgkmcnt(0)
	v_readfirstlane_b32 s40, v1
	s_cmp_lg_u32 s40, 0
	s_cbranch_scc1 .LBB129_65
; %bb.21:                               ;   in Loop: Header=BB129_20 Depth=1
	s_and_b64 vcc, exec, s[48:49]
	s_cbranch_vccz .LBB129_33
; %bb.22:                               ;   in Loop: Header=BB129_20 Depth=1
	s_movk_i32 s6, 0x601
	v_cmp_gt_u32_e32 vcc, s6, v2
	s_mov_b64 s[26:27], 0
	s_mov_b64 s[6:7], 0
	s_cbranch_vccz .LBB129_34
; %bb.23:                               ;   in Loop: Header=BB129_20 Depth=1
	v_readlane_b32 s6, v53, 15
	v_readlane_b32 s7, v53, 16
	s_nop 4
	global_load_ushort v1, v7, s[6:7]
	global_load_ushort v4, v[8:9], off
	s_mov_b64 s[28:29], 0
	v_mov_b32_e32 v3, v0
	s_waitcnt vmcnt(1)
	v_add_u32_e32 v2, v0, v1
	v_mul_lo_u32 v6, s38, v2
	v_mul_lo_u32 v2, s38, v1
	s_branch .LBB129_25
.LBB129_24:                             ;   in Loop: Header=BB129_25 Depth=2
	s_or_b64 exec, exec, s[6:7]
	v_add_u32_e32 v6, v6, v2
	v_mov_b32_e32 v4, v12
	s_andn2_b64 exec, exec, s[28:29]
	s_cbranch_execz .LBB129_40
.LBB129_25:                             ;   Parent Loop BB129_20 Depth=1
                                        ; =>  This Inner Loop Header: Depth=2
	v_add_u32_e32 v3, v3, v1
	v_cmp_gt_u32_e64 s[6:7], s36, v3
	v_cmp_le_u32_e32 vcc, s36, v3
	s_waitcnt lgkmcnt(0)
	v_mov_b32_e32 v13, 0
	v_mov_b32_e32 v12, 0
	s_and_saveexec_b64 s[10:11], s[6:7]
	s_cbranch_execz .LBB129_27
; %bb.26:                               ;   in Loop: Header=BB129_25 Depth=2
	v_lshlrev_b64 v[14:15], 1, v[6:7]
	v_mov_b32_e32 v12, s44
	v_add_co_u32_e64 v14, s[6:7], s42, v14
	v_addc_co_u32_e64 v15, s[6:7], v12, v15, s[6:7]
	global_load_ushort v12, v[14:15], off
.LBB129_27:                             ;   in Loop: Header=BB129_25 Depth=2
	s_or_b64 exec, exec, s[10:11]
	s_waitcnt vmcnt(0)
	v_cmp_lt_i16_e64 s[6:7], -1, v4
	v_cndmask_b32_e64 v14, v41, v42, s[6:7]
	v_xor_b32_sdwa v14, v14, v4 dst_sel:DWORD dst_unused:UNUSED_PAD src0_sel:DWORD src1_sel:WORD_0
	v_cmp_o_f16_e64 s[6:7], v4, v4
	v_cndmask_b32_e64 v14, v41, v14, s[6:7]
	v_and_b32_e32 v14, v14, v46
	v_cmp_eq_u32_e64 s[22:23], v14, v38
	s_cmp_lg_u64 s[22:23], 0
	s_cselect_b64 s[6:7], -1, 0
	s_and_b64 s[6:7], s[4:5], s[6:7]
	s_and_saveexec_b64 s[30:31], s[6:7]
	s_cbranch_execz .LBB129_31
; %bb.28:                               ;   in Loop: Header=BB129_25 Depth=2
	s_mov_b64 s[34:35], exec
	v_mbcnt_lo_u32_b32 v13, s34, 0
	v_mbcnt_hi_u32_b32 v13, s35, v13
	s_bcnt1_i32_b64 s40, s[22:23]
	v_cmp_eq_u32_e64 s[6:7], 0, v13
                                        ; implicit-def: $vgpr14
	s_and_saveexec_b64 s[10:11], s[6:7]
; %bb.29:                               ;   in Loop: Header=BB129_25 Depth=2
	s_bcnt1_i32_b64 s6, s[34:35]
	s_mul_i32 s6, s40, s6
	v_mov_b32_e32 v14, s6
	ds_add_rtn_u32 v14, v7, v14 offset:4112
; %bb.30:                               ;   in Loop: Header=BB129_25 Depth=2
	s_or_b64 exec, exec, s[10:11]
	s_waitcnt lgkmcnt(0)
	v_readfirstlane_b32 s6, v14
	v_mov_b32_e32 v14, s6
	v_mad_u32_u24 v13, s40, v13, v14
.LBB129_31:                             ;   in Loop: Header=BB129_25 Depth=2
	s_or_b64 exec, exec, s[30:31]
	ds_bpermute_b32 v13, v24, v13
	s_and_b64 s[6:7], exec, vcc
	s_or_b64 s[28:29], s[6:7], s[28:29]
	s_and_saveexec_b64 s[6:7], s[22:23]
	s_cbranch_execz .LBB129_24
; %bb.32:                               ;   in Loop: Header=BB129_25 Depth=2
	v_and_b32_e32 v15, s22, v26
	v_and_b32_e32 v14, s23, v25
	v_bcnt_u32_b32 v15, v15, 0
	v_bcnt_u32_b32 v14, v14, v15
	v_lshlrev_b32_e32 v14, 1, v14
	s_waitcnt lgkmcnt(0)
	v_lshl_add_u32 v13, v13, 1, v14
	ds_write_b16 v13, v4
	s_branch .LBB129_24
.LBB129_33:                             ;   in Loop: Header=BB129_20 Depth=1
	s_mov_b64 s[26:27], -1
	s_mov_b64 s[6:7], 0
.LBB129_34:                             ;   in Loop: Header=BB129_20 Depth=1
	s_and_b64 vcc, exec, s[26:27]
	s_cbranch_vccz .LBB129_63
.LBB129_35:                             ;   in Loop: Header=BB129_20 Depth=1
	s_mov_b64 s[22:23], exec
	v_readlane_b32 s6, v53, 13
	v_readlane_b32 s7, v53, 14
	s_and_b64 s[6:7], s[22:23], s[6:7]
	s_mov_b64 exec, s[6:7]
	s_cbranch_execz .LBB129_60
; %bb.36:                               ;   in Loop: Header=BB129_20 Depth=1
	v_readlane_b32 s6, v53, 15
	v_readlane_b32 s7, v53, 16
	s_nop 4
	global_load_ushort v1, v7, s[6:7]
	global_load_ushort v16, v[8:9], off
	s_waitcnt vmcnt(1)
	v_add_u32_e32 v12, v0, v1
	v_readfirstlane_b32 s10, v1
	v_cmp_gt_u32_e32 vcc, s36, v12
	v_mov_b32_e32 v1, v0
	s_and_saveexec_b64 s[26:27], vcc
	s_cbranch_execz .LBB129_59
; %bb.37:                               ;   in Loop: Header=BB129_20 Depth=1
	s_mov_b64 s[6:7], 0
	s_mul_i32 s11, s38, s10
                                        ; implicit-def: $vgpr1
                                        ; implicit-def: $vgpr2
                                        ; implicit-def: $vgpr3
	s_mov_b64 s[28:29], exec
	v_readlane_b32 s30, v53, 17
	v_readlane_b32 s31, v53, 18
	s_and_b64 s[30:31], s[28:29], s[30:31]
	s_xor_b64 s[28:29], s[30:31], s[28:29]
	s_mov_b64 exec, s[30:31]
	s_cbranch_execnz .LBB129_43
; %bb.38:                               ;   in Loop: Header=BB129_20 Depth=1
	s_andn2_saveexec_b64 s[28:29], s[28:29]
	s_cbranch_execnz .LBB129_54
.LBB129_39:                             ;   in Loop: Header=BB129_20 Depth=1
	s_or_b64 exec, exec, s[28:29]
	s_and_saveexec_b64 s[28:29], s[6:7]
	s_cbranch_execnz .LBB129_55
	s_branch .LBB129_58
.LBB129_40:                             ;   in Loop: Header=BB129_20 Depth=1
	s_or_b64 exec, exec, s[28:29]
	s_waitcnt lgkmcnt(0)
	s_barrier
	s_and_saveexec_b64 s[6:7], s[2:3]
	s_cbranch_execz .LBB129_42
; %bb.41:                               ;   in Loop: Header=BB129_20 Depth=1
	ds_read_b32 v1, v7 offset:4112
	s_waitcnt lgkmcnt(0)
	ds_write_b32 v7, v1 offset:4104
.LBB129_42:                             ;   in Loop: Header=BB129_20 Depth=1
	s_or_b64 exec, exec, s[6:7]
	s_waitcnt lgkmcnt(0)
	s_barrier
	s_mov_b64 s[6:7], -1
	s_and_b64 vcc, exec, s[26:27]
	s_cbranch_vccnz .LBB129_35
	s_branch .LBB129_63
.LBB129_43:                             ;   in Loop: Header=BB129_20 Depth=1
	v_cvt_f32_u32_e32 v1, s10
	s_sub_i32 s7, 0, s10
	v_add_u32_e32 v3, s10, v12
	v_max_u32_e32 v3, s36, v3
	v_rcp_iflag_f32_e32 v1, v1
	s_lshl_b32 s6, s10, 1
	v_sub_u32_e32 v3, v3, v0
	v_cmp_ne_u32_e32 vcc, s6, v3
	v_mul_f32_e32 v1, 0x4f7ffffe, v1
	v_cvt_u32_f32_e32 v1, v1
	v_cndmask_b32_e64 v4, 0, 1, vcc
	v_or_b32_e32 v4, s6, v4
	v_sub_u32_e32 v3, v3, v4
	v_mul_lo_u32 v2, s7, v1
	s_not_b32 s6, s11
	s_ashr_i32 s34, s6, 31
	s_abs_i32 s30, s11
	v_mul_hi_u32 v2, v1, v2
	s_cmp_eq_u32 s10, 1
	v_add_u32_e32 v1, v1, v2
	v_mul_hi_u32 v1, v3, v1
	v_mul_lo_u32 v2, s38, v12
	v_mul_lo_u32 v4, v1, s10
	v_add_u32_e32 v6, 1, v1
	v_xor_b32_e32 v2, s34, v2
	v_sub_u32_e32 v3, v3, v4
	v_cmp_le_u32_e64 s[6:7], s10, v3
	v_subrev_u32_e32 v4, s10, v3
	v_cndmask_b32_e64 v1, v1, v6, s[6:7]
	v_cndmask_b32_e64 v3, v3, v4, s[6:7]
	v_add_u32_e32 v4, 1, v1
	v_cmp_le_u32_e64 s[6:7], s10, v3
	v_cndmask_b32_e64 v1, v1, v4, s[6:7]
	v_addc_co_u32_e32 v1, vcc, 0, v1, vcc
	v_mul_hi_u32 v3, s30, v1
	v_mul_lo_u32 v1, s30, v1
	s_cselect_b64 s[30:31], -1, 0
	v_cmp_eq_u32_e32 vcc, 0, v3
	v_cmp_le_u32_e64 s[6:7], v1, v2
	s_and_b64 s[30:31], vcc, s[30:31]
	s_and_b64 s[34:35], s[30:31], s[6:7]
	s_mov_b64 s[30:31], -1
	v_mov_b32_e32 v2, v0
                                        ; implicit-def: $vgpr1
	s_and_saveexec_b64 s[6:7], s[34:35]
	s_cbranch_execz .LBB129_53
; %bb.44:                               ;   in Loop: Header=BB129_20 Depth=1
	v_add_u32_e32 v13, 1, v12
	v_mov_b32_e32 v15, v13
	s_waitcnt vmcnt(0)
	v_lshlrev_b32_e32 v17, 16, v16
	v_mov_b32_e32 v1, 0
	v_mov_b32_e32 v14, v12
                                        ; implicit-def: $vgpr16
	s_mov_b64 s[30:31], exec
	v_readlane_b32 s34, v53, 19
	v_readlane_b32 s35, v53, 20
	s_and_b64 s[34:35], s[30:31], s[34:35]
	s_mov_b64 exec, s[34:35]
	s_cbranch_execz .LBB129_48
; %bb.45:                               ;   in Loop: Header=BB129_20 Depth=1
	v_mov_b32_e32 v15, v13
	s_mov_b32 s34, 0
	s_mov_b64 s[72:73], 0
	v_mov_b32_e32 v49, v30
	v_mov_b32_e32 v50, v22
	;; [unrolled: 1-line block ×3, first 2 shown]
.LBB129_46:                             ;   Parent Loop BB129_20 Depth=1
                                        ; =>  This Inner Loop Header: Depth=2
	v_mul_lo_u32 v6, v14, s38
	v_mul_lo_u32 v1, v15, s12
	v_mov_b32_e32 v13, s44
	v_add_u32_e32 v49, -8, v49
	v_lshlrev_b64 v[2:3], 1, v[6:7]
	s_add_i32 s34, s34, 16
	v_add_co_u32_e32 v18, vcc, s42, v2
	v_mov_b32_e32 v2, v7
	v_lshlrev_b64 v[1:2], 1, v[1:2]
	v_addc_co_u32_e32 v19, vcc, v13, v3, vcc
	v_add_co_u32_e32 v1, vcc, s42, v1
	v_addc_co_u32_e32 v2, vcc, v13, v2, vcc
	global_load_ushort v3, v[18:19], off
	s_nop 0
	global_load_ushort v18, v[1:2], off
	v_add_u32_e32 v2, 2, v15
	v_mul_lo_u32 v2, v2, s12
	s_waitcnt vmcnt(1)
	v_alignbit_b32 v1, v3, v17, 16
	v_add_u32_e32 v3, 2, v14
	v_mul_lo_u32 v6, v3, s38
	v_lshlrev_b64 v[3:4], 1, v[6:7]
	v_add_co_u32_e32 v16, vcc, s42, v3
	v_mov_b32_e32 v3, v7
	v_lshlrev_b64 v[2:3], 1, v[2:3]
	v_addc_co_u32_e32 v17, vcc, v13, v4, vcc
	v_add_co_u32_e32 v2, vcc, s42, v2
	v_addc_co_u32_e32 v3, vcc, v13, v3, vcc
	global_load_ushort v4, v[16:17], off
	global_load_ushort v19, v[2:3], off
	v_add_u32_e32 v3, 4, v15
	v_mul_lo_u32 v3, v3, s12
	s_waitcnt vmcnt(1)
	v_perm_b32 v2, v4, v18, s53
	v_add_u32_e32 v4, 4, v14
	v_mul_lo_u32 v6, v4, s38
	v_mov_b32_e32 v4, v7
	v_lshlrev_b64 v[3:4], 1, v[3:4]
	v_lshlrev_b64 v[16:17], 1, v[6:7]
	v_add_co_u32_e32 v16, vcc, s42, v16
	v_addc_co_u32_e32 v17, vcc, v13, v17, vcc
	v_add_co_u32_e32 v3, vcc, s42, v3
	v_addc_co_u32_e32 v4, vcc, v13, v4, vcc
	global_load_ushort v6, v[16:17], off
	s_nop 0
	global_load_ushort v4, v[3:4], off
	v_add_u32_e32 v16, 6, v15
	v_mul_lo_u32 v16, v16, s12
	s_waitcnt vmcnt(1)
	v_perm_b32 v3, v6, v19, s53
	v_add_u32_e32 v6, 6, v14
	v_mul_lo_u32 v6, v6, s38
	v_lshlrev_b64 v[17:18], 1, v[6:7]
	v_add_co_u32_e32 v51, vcc, s42, v17
	v_mov_b32_e32 v17, v7
	v_lshlrev_b64 v[16:17], 1, v[16:17]
	v_addc_co_u32_e32 v52, vcc, v13, v18, vcc
	v_add_co_u32_e32 v16, vcc, s42, v16
	v_addc_co_u32_e32 v17, vcc, v13, v17, vcc
	global_load_ushort v6, v[51:52], off
	global_load_ushort v18, v[16:17], off
	s_waitcnt vmcnt(1)
	v_perm_b32 v4, v6, v4, s53
	ds_write_b128 v50, v[1:4]
	v_add_u32_e32 v2, 8, v14
	v_mul_lo_u32 v6, v2, s38
	v_add_u32_e32 v1, 8, v15
	v_mul_lo_u32 v1, v1, s12
	v_lshlrev_b64 v[2:3], 1, v[6:7]
	v_add_co_u32_e32 v16, vcc, s42, v2
	v_mov_b32_e32 v2, v7
	v_lshlrev_b64 v[1:2], 1, v[1:2]
	v_addc_co_u32_e32 v17, vcc, v13, v3, vcc
	v_add_co_u32_e32 v1, vcc, s42, v1
	v_addc_co_u32_e32 v2, vcc, v13, v2, vcc
	global_load_ushort v3, v[16:17], off
	global_load_ushort v19, v[1:2], off
	v_add_u32_e32 v2, 10, v15
	v_mul_lo_u32 v2, v2, s12
	s_waitcnt vmcnt(1)
	v_perm_b32 v1, v3, v18, s53
	v_add_u32_e32 v3, 10, v14
	v_mul_lo_u32 v6, v3, s38
	v_lshlrev_b64 v[3:4], 1, v[6:7]
	v_add_co_u32_e32 v16, vcc, s42, v3
	v_mov_b32_e32 v3, v7
	v_lshlrev_b64 v[2:3], 1, v[2:3]
	v_addc_co_u32_e32 v17, vcc, v13, v4, vcc
	v_add_co_u32_e32 v2, vcc, s42, v2
	v_addc_co_u32_e32 v3, vcc, v13, v3, vcc
	global_load_ushort v4, v[16:17], off
	global_load_ushort v18, v[2:3], off
	v_add_u32_e32 v3, 12, v15
	v_mul_lo_u32 v3, v3, s12
	s_waitcnt vmcnt(1)
	v_perm_b32 v2, v4, v19, s53
	v_add_u32_e32 v4, 12, v14
	v_mul_lo_u32 v6, v4, s38
	v_mov_b32_e32 v4, v7
	v_lshlrev_b64 v[3:4], 1, v[3:4]
	v_mov_b32_e32 v19, v7
	v_lshlrev_b64 v[16:17], 1, v[6:7]
	v_add_co_u32_e32 v16, vcc, s42, v16
	v_addc_co_u32_e32 v17, vcc, v13, v17, vcc
	v_add_co_u32_e32 v3, vcc, s42, v3
	v_addc_co_u32_e32 v4, vcc, v13, v4, vcc
	global_load_ushort v6, v[16:17], off
	s_nop 0
	global_load_ushort v4, v[3:4], off
	v_add_u32_e32 v16, 14, v15
	v_add_u32_e32 v15, 16, v15
	s_waitcnt vmcnt(1)
	v_perm_b32 v3, v6, v18, s53
	v_add_u32_e32 v6, 14, v14
	v_mul_lo_u32 v6, v6, s38
	v_mul_lo_u32 v18, v16, s12
	v_add_u32_e32 v14, 16, v14
	v_lshlrev_b64 v[16:17], 1, v[6:7]
	v_lshlrev_b64 v[18:19], 1, v[18:19]
	v_add_co_u32_e32 v16, vcc, s42, v16
	v_addc_co_u32_e32 v17, vcc, v13, v17, vcc
	v_add_co_u32_e32 v18, vcc, s42, v18
	v_addc_co_u32_e32 v19, vcc, v13, v19, vcc
	global_load_ushort v6, v[16:17], off
	s_nop 0
	global_load_ushort v16, v[18:19], off
	v_cmp_eq_u32_e32 vcc, 0, v49
	s_or_b64 s[72:73], vcc, s[72:73]
	s_waitcnt vmcnt(1)
	v_perm_b32 v4, v6, v4, s53
	s_waitcnt vmcnt(0)
	v_perm_b32 v17, v16, v6, s53
	ds_write_b128 v50, v[1:4] offset:16
	v_add_u32_e32 v50, 32, v50
	v_mov_b32_e32 v1, s34
	s_andn2_b64 exec, exec, s[72:73]
	s_cbranch_execnz .LBB129_46
; %bb.47:                               ;   in Loop: Header=BB129_20 Depth=1
	s_or_b64 exec, exec, s[72:73]
.LBB129_48:                             ;   in Loop: Header=BB129_20 Depth=1
	s_or_b64 exec, exec, s[30:31]
	s_mov_b64 s[30:31], exec
	v_readlane_b32 s34, v53, 21
	v_readlane_b32 s35, v53, 22
	s_and_b64 s[34:35], s[30:31], s[34:35]
	s_mov_b64 exec, s[34:35]
	s_cbranch_execz .LBB129_52
; %bb.49:                               ;   in Loop: Header=BB129_20 Depth=1
	v_lshl_add_u32 v1, v1, 1, v22
	s_mov_b64 s[34:35], 0
	v_mov_b32_e32 v2, v32
.LBB129_50:                             ;   Parent Loop BB129_20 Depth=1
                                        ; =>  This Inner Loop Header: Depth=2
	v_mul_lo_u32 v6, v14, s38
	v_mul_lo_u32 v3, v15, s12
	v_mov_b32_e32 v4, v7
	v_mov_b32_e32 v13, s44
	v_lshlrev_b64 v[18:19], 1, v[6:7]
	v_lshlrev_b64 v[3:4], 1, v[3:4]
	v_add_co_u32_e32 v18, vcc, s42, v18
	v_addc_co_u32_e32 v19, vcc, v13, v19, vcc
	v_add_co_u32_e32 v3, vcc, s42, v3
	v_addc_co_u32_e32 v4, vcc, v13, v4, vcc
	global_load_ushort v6, v[18:19], off
	global_load_ushort v16, v[3:4], off
	v_add_u32_e32 v2, -4, v2
	v_cmp_eq_u32_e32 vcc, 0, v2
	v_add_u32_e32 v15, 2, v15
	v_add_u32_e32 v14, 2, v14
	s_or_b64 s[34:35], vcc, s[34:35]
	s_waitcnt vmcnt(1)
	v_alignbit_b32 v4, v6, v17, 16
	s_waitcnt vmcnt(0)
	v_perm_b32 v3, v16, v6, s53
	ds_write_b32 v1, v4
	v_add_u32_e32 v1, 4, v1
	v_mov_b32_e32 v17, v3
	s_andn2_b64 exec, exec, s[34:35]
	s_cbranch_execnz .LBB129_50
; %bb.51:                               ;   in Loop: Header=BB129_20 Depth=1
	s_or_b64 exec, exec, s[34:35]
.LBB129_52:                             ;   in Loop: Header=BB129_20 Depth=1
	s_or_b64 exec, exec, s[30:31]
	v_readlane_b32 s30, v53, 23
	v_add_u32_e32 v12, v12, v28
	v_readlane_b32 s31, v53, 24
	v_add_u32_e32 v1, -1, v12
	s_orn2_b64 s[30:31], s[30:31], exec
	v_mov_b32_e32 v2, v29
.LBB129_53:                             ;   in Loop: Header=BB129_20 Depth=1
	s_or_b64 exec, exec, s[6:7]
	v_mov_b32_e32 v3, s11
	s_and_b64 s[6:7], s[30:31], exec
	s_andn2_saveexec_b64 s[28:29], s[28:29]
	s_cbranch_execz .LBB129_39
.LBB129_54:                             ;   in Loop: Header=BB129_20 Depth=1
	v_mov_b32_e32 v3, s11
	s_or_b64 s[6:7], s[6:7], exec
	v_mov_b32_e32 v2, v0
	s_or_b64 exec, exec, s[28:29]
	s_and_saveexec_b64 s[28:29], s[6:7]
	s_cbranch_execz .LBB129_58
.LBB129_55:                             ;   in Loop: Header=BB129_20 Depth=1
	v_mul_lo_u32 v6, s38, v12
	s_sub_i32 s11, 0, s10
	s_mov_b64 s[6:7], 0
.LBB129_56:                             ;   Parent Loop BB129_20 Depth=1
                                        ; =>  This Inner Loop Header: Depth=2
	v_lshlrev_b64 v[13:14], 1, v[6:7]
	v_mov_b32_e32 v4, s44
	v_add_co_u32_e32 v13, vcc, s42, v13
	v_addc_co_u32_e32 v14, vcc, v4, v14, vcc
	s_waitcnt vmcnt(0)
	v_mov_b32_e32 v1, v16
	global_load_ushort v16, v[13:14], off
	v_mov_b32_e32 v4, v12
	v_add_u32_e32 v12, s10, v4
	v_lshlrev_b32_e32 v2, 1, v2
	v_cmp_le_u32_e32 vcc, s36, v12
	v_add_u32_e32 v6, v6, v3
	ds_write_b16 v2, v1
	s_or_b64 s[6:7], vcc, s[6:7]
	v_mov_b32_e32 v2, v4
	s_andn2_b64 exec, exec, s[6:7]
	s_cbranch_execnz .LBB129_56
; %bb.57:                               ;   in Loop: Header=BB129_20 Depth=1
	s_or_b64 exec, exec, s[6:7]
	v_add_u32_e32 v1, s11, v12
.LBB129_58:                             ;   in Loop: Header=BB129_20 Depth=1
	s_or_b64 exec, exec, s[28:29]
.LBB129_59:                             ;   in Loop: Header=BB129_20 Depth=1
	s_or_b64 exec, exec, s[26:27]
	v_lshlrev_b32_e32 v1, 1, v1
	s_waitcnt vmcnt(0)
	ds_write_b16 v1, v16
.LBB129_60:                             ;   in Loop: Header=BB129_20 Depth=1
	s_or_b64 exec, exec, s[22:23]
	s_waitcnt lgkmcnt(0)
	s_barrier
	s_and_saveexec_b64 s[6:7], s[2:3]
; %bb.61:                               ;   in Loop: Header=BB129_20 Depth=1
	v_mov_b32_e32 v1, s36
	ds_write_b32 v7, v1 offset:4104
; %bb.62:                               ;   in Loop: Header=BB129_20 Depth=1
	s_or_b64 exec, exec, s[6:7]
	s_mov_b64 s[6:7], -1
	s_waitcnt lgkmcnt(0)
	s_barrier
.LBB129_63:                             ;   in Loop: Header=BB129_20 Depth=1
	s_mov_b32 s40, 0
	s_and_b64 vcc, exec, s[6:7]
	s_cbranch_vccz .LBB129_65
; %bb.64:                               ;   in Loop: Header=BB129_20 Depth=1
	ds_read_b32 v1, v7 offset:4104
	s_waitcnt lgkmcnt(0)
	v_readfirstlane_b32 s40, v1
.LBB129_65:                             ;   in Loop: Header=BB129_20 Depth=1
	s_cmp_lt_i32 s40, 1
	s_mov_b64 s[6:7], -1
                                        ; implicit-def: $vgpr1
	s_cbranch_scc1 .LBB129_75
; %bb.66:                               ;   in Loop: Header=BB129_20 Depth=1
	s_and_b64 vcc, exec, s[6:7]
	s_cbranch_vccnz .LBB129_86
.LBB129_67:                             ;   in Loop: Header=BB129_20 Depth=1
	s_lshl_b32 s10, s37, 6
	s_and_saveexec_b64 s[6:7], s[4:5]
.LBB129_68:                             ;   in Loop: Header=BB129_20 Depth=1
	v_lshl_add_u32 v6, s10, 2, v27
	ds_write_b128 v6, v[1:4]
.LBB129_69:                             ;   in Loop: Header=BB129_20 Depth=1
	s_or_b64 exec, exec, s[6:7]
	s_waitcnt lgkmcnt(0)
	s_barrier
	s_and_saveexec_b64 s[6:7], s[46:47]
	s_cbranch_execz .LBB129_100
; %bb.70:                               ;   in Loop: Header=BB129_20 Depth=1
	s_andn2_b64 vcc, exec, s[50:51]
	v_mov_b32_e32 v1, 0
	s_cbranch_vccnz .LBB129_99
; %bb.71:                               ;   in Loop: Header=BB129_20 Depth=1
	v_readlane_b32 s22, v53, 25
	v_readlane_b32 s23, v53, 26
	s_andn2_b64 vcc, exec, s[22:23]
	s_cbranch_vccnz .LBB129_95
; %bb.72:                               ;   in Loop: Header=BB129_20 Depth=1
	v_lshl_add_u32 v2, s37, 8, v39
	s_mov_b32 s11, 0
	v_mov_b32_e32 v1, 0
.LBB129_73:                             ;   Parent Loop BB129_20 Depth=1
                                        ; =>  This Inner Loop Header: Depth=2
	ds_read2_b32 v[3:4], v2 offset1:4
	ds_read2_b32 v[12:13], v2 offset0:8 offset1:12
	ds_read2_b32 v[14:15], v2 offset0:16 offset1:20
	;; [unrolled: 1-line block ×3, first 2 shown]
	s_add_i32 s11, s11, 8
	s_waitcnt lgkmcnt(3)
	v_add3_u32 v1, v3, v1, v4
	s_waitcnt lgkmcnt(2)
	v_add3_u32 v1, v12, v1, v13
	;; [unrolled: 2-line block ×3, first 2 shown]
	v_add_u32_e32 v2, 0x80, v2
	s_cmp_eq_u32 s8, s11
	s_waitcnt lgkmcnt(0)
	v_add3_u32 v1, v16, v1, v17
	s_cbranch_scc0 .LBB129_73
; %bb.74:                               ;   in Loop: Header=BB129_20 Depth=1
	s_mov_b32 s11, s8
	s_branch .LBB129_96
.LBB129_75:                             ;   in Loop: Header=BB129_20 Depth=1
	v_mov_b32_e32 v1, 0
	v_mov_b32_e32 v2, 0
	v_mov_b32_e32 v3, 0
	v_mov_b32_e32 v4, 0
	s_and_saveexec_b64 s[30:31], s[16:17]
	s_cbranch_execz .LBB129_79
; %bb.76:                               ;   in Loop: Header=BB129_20 Depth=1
	s_mov_b32 s10, 0
	s_mov_b64 s[72:73], 0
	s_mov_b32 s11, 0
	s_mov_b32 s34, 0
	;; [unrolled: 1-line block ×4, first 2 shown]
	v_mov_b32_e32 v12, v20
.LBB129_77:                             ;   Parent Loop BB129_20 Depth=1
                                        ; =>  This Inner Loop Header: Depth=2
	v_add_u32_e32 v6, s10, v36
	v_lshlrev_b64 v[1:2], 1, v[6:7]
	v_mov_b32_e32 v3, s44
	v_add_co_u32_e32 v1, vcc, s42, v1
	v_addc_co_u32_e32 v2, vcc, v3, v2, vcc
	v_add_u32_e32 v6, s10, v33
	global_load_ushort v4, v[1:2], off
	v_lshlrev_b64 v[1:2], 1, v[6:7]
	v_add_u32_e32 v6, s10, v34
	v_add_co_u32_e32 v1, vcc, s42, v1
	v_addc_co_u32_e32 v2, vcc, v3, v2, vcc
	global_load_ushort v13, v[1:2], off
	v_lshlrev_b64 v[1:2], 1, v[6:7]
	v_add_u32_e32 v6, s10, v35
	v_add_co_u32_e32 v1, vcc, s42, v1
	v_addc_co_u32_e32 v2, vcc, v3, v2, vcc
	;; [unrolled: 5-line block ×3, first 2 shown]
	global_load_ushort v1, v[1:2], off
	s_add_i32 s10, s10, s1
	s_waitcnt vmcnt(3)
	v_cmp_lt_i16_e32 vcc, -1, v4
	v_cndmask_b32_e32 v2, v41, v42, vcc
	v_cmp_o_f16_e32 vcc, v4, v4
	v_xor_b32_sdwa v2, v2, v4 dst_sel:DWORD dst_unused:UNUSED_PAD src0_sel:DWORD src1_sel:WORD_0
	v_cndmask_b32_e32 v2, v41, v2, vcc
	s_waitcnt vmcnt(2)
	v_cmp_lt_i16_e32 vcc, -1, v13
	v_cndmask_b32_e32 v3, v41, v42, vcc
	v_cmp_o_f16_e32 vcc, v13, v13
	v_xor_b32_sdwa v3, v3, v13 dst_sel:DWORD dst_unused:UNUSED_PAD src0_sel:DWORD src1_sel:WORD_0
	v_cndmask_b32_e32 v3, v41, v3, vcc
	s_waitcnt vmcnt(1)
	v_cmp_lt_i16_e32 vcc, -1, v14
	v_cndmask_b32_e32 v4, v41, v42, vcc
	v_cmp_o_f16_e32 vcc, v14, v14
	v_xor_b32_sdwa v4, v4, v14 dst_sel:DWORD dst_unused:UNUSED_PAD src0_sel:DWORD src1_sel:WORD_0
	v_cndmask_b32_e32 v4, v41, v4, vcc
	s_waitcnt vmcnt(0)
	v_cmp_lt_i16_e32 vcc, -1, v1
	v_cndmask_b32_e32 v6, v41, v42, vcc
	v_cmp_o_f16_e32 vcc, v1, v1
	v_xor_b32_sdwa v1, v6, v1 dst_sel:DWORD dst_unused:UNUSED_PAD src0_sel:DWORD src1_sel:WORD_0
	v_and_b32_e32 v6, v2, v46
	v_bfe_u32 v2, v2, v45, 2
	v_cndmask_b32_e32 v1, v41, v1, vcc
	v_cmp_eq_u32_e32 vcc, v6, v38
	v_and_b32_e32 v6, v3, v46
	v_bfe_u32 v3, v3, v45, 2
	v_cmp_eq_u32_e64 s[28:29], 0, v2
	v_cmp_eq_u32_e64 s[6:7], v6, v38
	v_and_b32_e32 v6, v4, v46
	v_bfe_u32 v4, v4, v45, 2
	s_and_b64 s[56:57], vcc, s[28:29]
	v_cmp_eq_u32_e64 s[28:29], 0, v3
	v_cmp_eq_u32_e64 s[22:23], v6, v38
	v_and_b32_e32 v6, v1, v46
	v_bfe_u32 v1, v1, v45, 2
	s_and_b64 s[74:75], s[6:7], s[28:29]
	v_cmp_eq_u32_e64 s[28:29], 0, v4
	v_cmp_eq_u32_e64 s[26:27], v6, v38
	s_and_b64 s[76:77], s[22:23], s[28:29]
	v_cmp_eq_u32_e64 s[28:29], 0, v1
	v_cndmask_b32_e64 v6, 0, 1, s[56:57]
	s_and_b64 s[78:79], s[26:27], s[28:29]
	v_cmp_ne_u32_e64 s[28:29], 0, v6
	v_cndmask_b32_e64 v6, 0, 1, s[74:75]
	s_bcnt1_i32_b64 s55, s[28:29]
	v_cmp_ne_u32_e64 s[28:29], 0, v6
	v_cndmask_b32_e64 v6, 0, 1, s[76:77]
	s_bcnt1_i32_b64 s56, s[28:29]
	;; [unrolled: 3-line block ×3, first 2 shown]
	v_cmp_ne_u32_e64 s[28:29], 0, v6
	s_bcnt1_i32_b64 s28, s[28:29]
	s_add_i32 s29, s41, s55
	s_add_i32 s29, s29, s56
	;; [unrolled: 1-line block ×4, first 2 shown]
	v_cmp_eq_u32_e64 s[28:29], 1, v2
	s_and_b64 s[56:57], vcc, s[28:29]
	v_cmp_eq_u32_e64 s[28:29], 1, v3
	s_and_b64 s[74:75], s[6:7], s[28:29]
	v_cmp_eq_u32_e64 s[28:29], 1, v4
	s_and_b64 s[76:77], s[22:23], s[28:29]
	v_cmp_eq_u32_e64 s[28:29], 1, v1
	v_cndmask_b32_e64 v6, 0, 1, s[56:57]
	s_and_b64 s[78:79], s[26:27], s[28:29]
	v_cmp_ne_u32_e64 s[28:29], 0, v6
	v_cndmask_b32_e64 v6, 0, 1, s[74:75]
	s_bcnt1_i32_b64 s55, s[28:29]
	v_cmp_ne_u32_e64 s[28:29], 0, v6
	v_cndmask_b32_e64 v6, 0, 1, s[76:77]
	s_bcnt1_i32_b64 s56, s[28:29]
	v_cmp_ne_u32_e64 s[28:29], 0, v6
	v_cndmask_b32_e64 v6, 0, 1, s[78:79]
	s_bcnt1_i32_b64 s57, s[28:29]
	v_cmp_ne_u32_e64 s[28:29], 0, v6
	s_bcnt1_i32_b64 s28, s[28:29]
	s_add_i32 s29, s35, s55
	s_add_i32 s29, s29, s56
	;; [unrolled: 1-line block ×4, first 2 shown]
	v_cmp_eq_u32_e64 s[28:29], 2, v2
	s_and_b64 s[56:57], vcc, s[28:29]
	v_cmp_eq_u32_e64 s[28:29], 2, v3
	s_and_b64 s[74:75], s[6:7], s[28:29]
	v_cmp_eq_u32_e64 s[28:29], 2, v4
	s_and_b64 s[76:77], s[22:23], s[28:29]
	v_cmp_eq_u32_e64 s[28:29], 2, v1
	v_cndmask_b32_e64 v6, 0, 1, s[56:57]
	s_and_b64 s[78:79], s[26:27], s[28:29]
	v_cmp_ne_u32_e64 s[28:29], 0, v6
	v_cndmask_b32_e64 v6, 0, 1, s[74:75]
	s_bcnt1_i32_b64 s55, s[28:29]
	v_cmp_ne_u32_e64 s[28:29], 0, v6
	v_cndmask_b32_e64 v6, 0, 1, s[76:77]
	s_bcnt1_i32_b64 s56, s[28:29]
	;; [unrolled: 3-line block ×3, first 2 shown]
	v_cmp_ne_u32_e64 s[28:29], 0, v6
	s_bcnt1_i32_b64 s28, s[28:29]
	s_add_i32 s29, s34, s55
	s_add_i32 s29, s29, s56
	;; [unrolled: 1-line block ×4, first 2 shown]
	v_cmp_eq_u32_e64 s[28:29], 3, v2
	s_and_b64 s[28:29], vcc, s[28:29]
	v_cmp_eq_u32_e32 vcc, 3, v3
	s_and_b64 s[6:7], s[6:7], vcc
	v_cmp_eq_u32_e32 vcc, 3, v4
	s_and_b64 s[22:23], s[22:23], vcc
	v_cmp_eq_u32_e32 vcc, 3, v1
	v_cndmask_b32_e64 v1, 0, 1, s[28:29]
	s_and_b64 s[26:27], s[26:27], vcc
	v_cmp_ne_u32_e32 vcc, 0, v1
	v_cndmask_b32_e64 v1, 0, 1, s[6:7]
	s_bcnt1_i32_b64 s28, vcc
	v_cmp_ne_u32_e32 vcc, 0, v1
	v_cndmask_b32_e64 v1, 0, 1, s[22:23]
	s_bcnt1_i32_b64 s6, vcc
	v_cmp_ne_u32_e32 vcc, 0, v1
	v_cndmask_b32_e64 v1, 0, 1, s[26:27]
	s_add_i32 s11, s11, s28
	s_bcnt1_i32_b64 s7, vcc
	v_cmp_ne_u32_e32 vcc, 0, v1
	s_add_i32 s6, s11, s6
	s_bcnt1_i32_b64 s22, vcc
	s_add_i32 s6, s6, s7
	s_add_i32 s11, s6, s22
	v_cmp_le_u32_e32 vcc, s43, v12
	s_or_b64 s[72:73], vcc, s[72:73]
	v_mov_b32_e32 v1, s41
	v_mov_b32_e32 v2, s35
	;; [unrolled: 1-line block ×4, first 2 shown]
	s_andn2_b64 exec, exec, s[72:73]
	s_cbranch_execnz .LBB129_77
; %bb.78:                               ;   in Loop: Header=BB129_20 Depth=1
	s_or_b64 exec, exec, s[72:73]
.LBB129_79:                             ;   in Loop: Header=BB129_20 Depth=1
	s_or_b64 exec, exec, s[30:31]
	s_and_saveexec_b64 s[22:23], s[18:19]
	s_cbranch_execz .LBB129_85
; %bb.80:                               ;   in Loop: Header=BB129_20 Depth=1
	global_load_ushort v13, v[10:11], off
	s_mov_b64 s[26:27], 0
	v_mov_b32_e32 v6, v37
	v_mov_b32_e32 v12, v31
	s_branch .LBB129_82
.LBB129_81:                             ;   in Loop: Header=BB129_82 Depth=2
	s_or_b64 exec, exec, s[10:11]
	s_and_b64 s[6:7], exec, vcc
	s_waitcnt vmcnt(0)
	v_cmp_lt_i16_e32 vcc, -1, v13
	v_cndmask_b32_e32 v15, v41, v42, vcc
	v_xor_b32_sdwa v15, v15, v13 dst_sel:DWORD dst_unused:UNUSED_PAD src0_sel:DWORD src1_sel:WORD_0
	v_cmp_o_f16_e32 vcc, v13, v13
	v_cndmask_b32_e32 v13, v41, v15, vcc
	v_and_b32_e32 v15, v13, v46
	v_bfe_u32 v13, v13, v45, 2
	s_or_b64 s[26:27], s[6:7], s[26:27]
	v_cmp_eq_u32_e32 vcc, v15, v38
	v_cmp_eq_u32_e64 s[6:7], 0, v13
	s_and_b64 s[6:7], vcc, s[6:7]
	v_cndmask_b32_e64 v15, 0, 1, s[6:7]
	v_cmp_ne_u32_e64 s[6:7], 0, v15
	s_bcnt1_i32_b64 s6, s[6:7]
	v_add_u32_e32 v1, s6, v1
	v_cmp_eq_u32_e64 s[6:7], 1, v13
	s_and_b64 s[6:7], vcc, s[6:7]
	v_cndmask_b32_e64 v15, 0, 1, s[6:7]
	v_cmp_ne_u32_e64 s[6:7], 0, v15
	s_bcnt1_i32_b64 s6, s[6:7]
	v_add_u32_e32 v2, s6, v2
	;; [unrolled: 6-line block ×3, first 2 shown]
	v_cmp_eq_u32_e64 s[6:7], 3, v13
	s_and_b64 s[6:7], vcc, s[6:7]
	v_cndmask_b32_e64 v13, 0, 1, s[6:7]
	v_cmp_ne_u32_e32 vcc, 0, v13
	s_bcnt1_i32_b64 s6, vcc
	v_add_u32_e32 v4, s6, v4
	v_add_u32_e32 v6, s45, v6
	v_mov_b32_e32 v13, v14
	s_andn2_b64 exec, exec, s[26:27]
	s_cbranch_execz .LBB129_84
.LBB129_82:                             ;   Parent Loop BB129_20 Depth=1
                                        ; =>  This Inner Loop Header: Depth=2
	v_add_u32_e32 v12, s39, v12
	v_cmp_gt_u32_e64 s[6:7], s36, v12
	v_cmp_le_u32_e32 vcc, s36, v12
	v_mov_b32_e32 v14, 0
	s_and_saveexec_b64 s[10:11], s[6:7]
	s_cbranch_execz .LBB129_81
; %bb.83:                               ;   in Loop: Header=BB129_82 Depth=2
	v_lshlrev_b64 v[14:15], 1, v[6:7]
	v_mov_b32_e32 v16, s44
	v_add_co_u32_e64 v14, s[6:7], s42, v14
	v_addc_co_u32_e64 v15, s[6:7], v16, v15, s[6:7]
	global_load_ushort v14, v[14:15], off
	s_branch .LBB129_81
.LBB129_84:                             ;   in Loop: Header=BB129_20 Depth=1
	s_or_b64 exec, exec, s[26:27]
.LBB129_85:                             ;   in Loop: Header=BB129_20 Depth=1
	s_or_b64 exec, exec, s[22:23]
	s_branch .LBB129_67
.LBB129_86:                             ;   in Loop: Header=BB129_20 Depth=1
	s_mul_hi_u32 s6, s40, s9
	s_mul_i32 s6, s6, s14
	s_sub_i32 s6, s40, s6
	s_sub_i32 s7, s6, s14
	s_cmp_ge_u32 s6, s14
	s_cselect_b32 s6, s7, s6
	s_sub_i32 s7, s6, s14
	s_cmp_ge_u32 s6, s14
	s_cselect_b32 s6, s7, s6
	s_sub_i32 s10, s40, s6
	v_cmp_gt_u32_e32 vcc, s10, v20
	v_mov_b32_e32 v1, 0
	v_mov_b32_e32 v2, 0
	v_mov_b32_e32 v3, 0
	v_mov_b32_e32 v4, 0
	s_and_saveexec_b64 s[30:31], vcc
	s_cbranch_execz .LBB129_90
; %bb.87:                               ;   in Loop: Header=BB129_20 Depth=1
	s_mov_b32 s11, 0
	s_mov_b64 s[72:73], 0
	v_mov_b32_e32 v6, v40
	s_mov_b32 s34, 0
	s_mov_b32 s35, 0
	;; [unrolled: 1-line block ×3, first 2 shown]
	v_mov_b32_e32 v12, v20
.LBB129_88:                             ;   Parent Loop BB129_20 Depth=1
                                        ; =>  This Inner Loop Header: Depth=2
	ds_read_b64 v[1:2], v6
	v_add_u32_e32 v12, s14, v12
	v_add_u32_e32 v6, s33, v6
	s_waitcnt lgkmcnt(0)
	v_cmp_lt_i16_e32 vcc, -1, v1
	v_cndmask_b32_e32 v3, v41, v42, vcc
	v_cmp_o_f16_e32 vcc, v1, v1
	v_xor_b32_sdwa v3, v3, v1 dst_sel:DWORD dst_unused:UNUSED_PAD src0_sel:DWORD src1_sel:WORD_0
	v_cndmask_b32_e32 v3, v41, v3, vcc
	v_cmp_gt_i16_sdwa vcc, v1, v43 src0_sel:WORD_1 src1_sel:DWORD
	v_cndmask_b32_e32 v4, v41, v42, vcc
	v_cmp_o_f16_sdwa vcc, v1, v1 src0_sel:WORD_1 src1_sel:WORD_1
	v_xor_b32_sdwa v1, v4, v1 dst_sel:DWORD dst_unused:UNUSED_PAD src0_sel:DWORD src1_sel:WORD_1
	v_cndmask_b32_e32 v1, v41, v1, vcc
	v_cmp_lt_i16_e32 vcc, -1, v2
	v_cndmask_b32_e32 v4, v41, v42, vcc
	v_cmp_o_f16_e32 vcc, v2, v2
	v_xor_b32_sdwa v4, v4, v2 dst_sel:DWORD dst_unused:UNUSED_PAD src0_sel:DWORD src1_sel:WORD_0
	v_cndmask_b32_e32 v4, v41, v4, vcc
	v_cmp_gt_i16_sdwa vcc, v2, v43 src0_sel:WORD_1 src1_sel:DWORD
	v_cndmask_b32_e32 v13, v41, v42, vcc
	v_cmp_o_f16_sdwa vcc, v2, v2 src0_sel:WORD_1 src1_sel:WORD_1
	v_xor_b32_sdwa v2, v13, v2 dst_sel:DWORD dst_unused:UNUSED_PAD src0_sel:DWORD src1_sel:WORD_1
	v_and_b32_e32 v13, v3, v46
	v_bfe_u32 v3, v3, v45, 2
	v_cndmask_b32_e32 v2, v41, v2, vcc
	v_cmp_eq_u32_e32 vcc, v13, v38
	v_and_b32_e32 v13, v1, v46
	v_bfe_u32 v1, v1, v45, 2
	v_cmp_eq_u32_e64 s[28:29], 0, v3
	v_cmp_eq_u32_e64 s[6:7], v13, v38
	v_and_b32_e32 v13, v4, v46
	v_bfe_u32 v4, v4, v45, 2
	s_and_b64 s[56:57], vcc, s[28:29]
	v_cmp_eq_u32_e64 s[28:29], 0, v1
	v_cmp_eq_u32_e64 s[22:23], v13, v38
	v_and_b32_e32 v13, v2, v46
	v_bfe_u32 v2, v2, v45, 2
	s_and_b64 s[74:75], s[6:7], s[28:29]
	v_cmp_eq_u32_e64 s[28:29], 0, v4
	v_cmp_eq_u32_e64 s[26:27], v13, v38
	s_and_b64 s[76:77], s[22:23], s[28:29]
	v_cmp_eq_u32_e64 s[28:29], 0, v2
	v_cndmask_b32_e64 v13, 0, 1, s[56:57]
	s_and_b64 s[78:79], s[26:27], s[28:29]
	v_cmp_ne_u32_e64 s[28:29], 0, v13
	v_cndmask_b32_e64 v13, 0, 1, s[74:75]
	s_bcnt1_i32_b64 s55, s[28:29]
	v_cmp_ne_u32_e64 s[28:29], 0, v13
	v_cndmask_b32_e64 v13, 0, 1, s[76:77]
	s_bcnt1_i32_b64 s56, s[28:29]
	;; [unrolled: 3-line block ×3, first 2 shown]
	v_cmp_ne_u32_e64 s[28:29], 0, v13
	s_bcnt1_i32_b64 s28, s[28:29]
	s_add_i32 s29, s41, s55
	s_add_i32 s29, s29, s56
	;; [unrolled: 1-line block ×4, first 2 shown]
	v_cmp_eq_u32_e64 s[28:29], 1, v3
	s_and_b64 s[56:57], vcc, s[28:29]
	v_cmp_eq_u32_e64 s[28:29], 1, v1
	s_and_b64 s[74:75], s[6:7], s[28:29]
	v_cmp_eq_u32_e64 s[28:29], 1, v4
	s_and_b64 s[76:77], s[22:23], s[28:29]
	v_cmp_eq_u32_e64 s[28:29], 1, v2
	v_cndmask_b32_e64 v13, 0, 1, s[56:57]
	s_and_b64 s[78:79], s[26:27], s[28:29]
	v_cmp_ne_u32_e64 s[28:29], 0, v13
	v_cndmask_b32_e64 v13, 0, 1, s[74:75]
	s_bcnt1_i32_b64 s55, s[28:29]
	v_cmp_ne_u32_e64 s[28:29], 0, v13
	v_cndmask_b32_e64 v13, 0, 1, s[76:77]
	s_bcnt1_i32_b64 s56, s[28:29]
	;; [unrolled: 3-line block ×3, first 2 shown]
	v_cmp_ne_u32_e64 s[28:29], 0, v13
	s_bcnt1_i32_b64 s28, s[28:29]
	s_add_i32 s29, s35, s55
	s_add_i32 s29, s29, s56
	;; [unrolled: 1-line block ×4, first 2 shown]
	v_cmp_eq_u32_e64 s[28:29], 2, v3
	s_and_b64 s[56:57], vcc, s[28:29]
	v_cmp_eq_u32_e64 s[28:29], 2, v1
	s_and_b64 s[74:75], s[6:7], s[28:29]
	v_cmp_eq_u32_e64 s[28:29], 2, v4
	s_and_b64 s[76:77], s[22:23], s[28:29]
	v_cmp_eq_u32_e64 s[28:29], 2, v2
	v_cndmask_b32_e64 v13, 0, 1, s[56:57]
	s_and_b64 s[78:79], s[26:27], s[28:29]
	v_cmp_ne_u32_e64 s[28:29], 0, v13
	v_cndmask_b32_e64 v13, 0, 1, s[74:75]
	s_bcnt1_i32_b64 s55, s[28:29]
	v_cmp_ne_u32_e64 s[28:29], 0, v13
	v_cndmask_b32_e64 v13, 0, 1, s[76:77]
	s_bcnt1_i32_b64 s56, s[28:29]
	;; [unrolled: 3-line block ×3, first 2 shown]
	v_cmp_ne_u32_e64 s[28:29], 0, v13
	s_bcnt1_i32_b64 s28, s[28:29]
	s_add_i32 s29, s34, s55
	s_add_i32 s29, s29, s56
	;; [unrolled: 1-line block ×4, first 2 shown]
	v_cmp_eq_u32_e64 s[28:29], 3, v3
	s_and_b64 s[28:29], vcc, s[28:29]
	v_cmp_eq_u32_e32 vcc, 3, v1
	s_and_b64 s[6:7], s[6:7], vcc
	v_cmp_eq_u32_e32 vcc, 3, v4
	s_and_b64 s[22:23], s[22:23], vcc
	v_cmp_eq_u32_e32 vcc, 3, v2
	v_cndmask_b32_e64 v1, 0, 1, s[28:29]
	s_and_b64 s[26:27], s[26:27], vcc
	v_cmp_ne_u32_e32 vcc, 0, v1
	v_cndmask_b32_e64 v1, 0, 1, s[6:7]
	s_bcnt1_i32_b64 s28, vcc
	v_cmp_ne_u32_e32 vcc, 0, v1
	v_cndmask_b32_e64 v1, 0, 1, s[22:23]
	s_bcnt1_i32_b64 s6, vcc
	v_cmp_ne_u32_e32 vcc, 0, v1
	v_cndmask_b32_e64 v1, 0, 1, s[26:27]
	s_add_i32 s11, s11, s28
	s_bcnt1_i32_b64 s7, vcc
	v_cmp_ne_u32_e32 vcc, 0, v1
	s_add_i32 s6, s11, s6
	s_bcnt1_i32_b64 s22, vcc
	s_add_i32 s6, s6, s7
	s_add_i32 s11, s6, s22
	v_cmp_le_u32_e32 vcc, s10, v12
	s_or_b64 s[72:73], vcc, s[72:73]
	v_mov_b32_e32 v1, s41
	v_mov_b32_e32 v2, s35
	;; [unrolled: 1-line block ×4, first 2 shown]
	s_andn2_b64 exec, exec, s[72:73]
	s_cbranch_execnz .LBB129_88
; %bb.89:                               ;   in Loop: Header=BB129_20 Depth=1
	s_or_b64 exec, exec, s[72:73]
.LBB129_90:                             ;   in Loop: Header=BB129_20 Depth=1
	s_or_b64 exec, exec, s[30:31]
	v_add_u32_e32 v6, s10, v0
	v_cmp_gt_u32_e32 vcc, s40, v6
	s_and_saveexec_b64 s[72:73], vcc
	s_cbranch_execz .LBB129_94
; %bb.91:                               ;   in Loop: Header=BB129_20 Depth=1
	v_lshlrev_b32_e32 v12, 1, v6
	s_mov_b64 s[34:35], 0
.LBB129_92:                             ;   Parent Loop BB129_20 Depth=1
                                        ; =>  This Inner Loop Header: Depth=2
	ds_read_u16 v13, v12
	v_add_u32_e32 v6, s39, v6
	v_cmp_le_u32_e32 vcc, s40, v6
	v_add_u32_e32 v12, s52, v12
	s_waitcnt lgkmcnt(0)
	v_cmp_lt_i16_e64 s[6:7], -1, v13
	v_cndmask_b32_e64 v14, v41, v42, s[6:7]
	v_xor_b32_sdwa v14, v14, v13 dst_sel:DWORD dst_unused:UNUSED_PAD src0_sel:DWORD src1_sel:WORD_0
	v_cmp_o_f16_e64 s[6:7], v13, v13
	v_cndmask_b32_e64 v13, v41, v14, s[6:7]
	v_and_b32_e32 v14, v13, v46
	v_bfe_u32 v13, v13, v45, 2
	v_cmp_eq_u32_e64 s[6:7], v14, v38
	v_cmp_eq_u32_e64 s[22:23], 0, v13
	;; [unrolled: 1-line block ×3, first 2 shown]
	s_and_b64 s[10:11], s[6:7], s[22:23]
	v_cmp_eq_u32_e64 s[28:29], 2, v13
	v_cmp_eq_u32_e64 s[30:31], 3, v13
	v_cndmask_b32_e64 v13, 0, 1, s[10:11]
	s_and_b64 s[10:11], s[6:7], s[26:27]
	v_cndmask_b32_e64 v14, 0, 1, s[10:11]
	s_and_b64 s[10:11], s[6:7], s[28:29]
	s_and_b64 s[6:7], s[6:7], s[30:31]
	v_cndmask_b32_e64 v15, 0, 1, s[10:11]
	v_cndmask_b32_e64 v16, 0, 1, s[6:7]
	v_cmp_ne_u32_e64 s[6:7], 0, v13
	v_cmp_ne_u32_e64 s[22:23], 0, v14
	v_cmp_ne_u32_e64 s[26:27], 0, v15
	v_cmp_ne_u32_e64 s[28:29], 0, v16
	s_bcnt1_i32_b64 s6, s[6:7]
	s_bcnt1_i32_b64 s7, s[22:23]
	;; [unrolled: 1-line block ×4, first 2 shown]
	v_add_u32_e32 v1, s6, v1
	v_add_u32_e32 v2, s7, v2
	;; [unrolled: 1-line block ×3, first 2 shown]
	s_or_b64 s[34:35], vcc, s[34:35]
	v_add_u32_e32 v4, s11, v4
	s_andn2_b64 exec, exec, s[34:35]
	s_cbranch_execnz .LBB129_92
; %bb.93:                               ;   in Loop: Header=BB129_20 Depth=1
	s_or_b64 exec, exec, s[34:35]
.LBB129_94:                             ;   in Loop: Header=BB129_20 Depth=1
	s_or_b64 exec, exec, s[72:73]
	s_lshl_b32 s10, s37, 6
	s_and_saveexec_b64 s[6:7], s[4:5]
	s_cbranch_execnz .LBB129_68
	s_branch .LBB129_69
.LBB129_95:                             ;   in Loop: Header=BB129_20 Depth=1
	v_mov_b32_e32 v1, 0
	s_mov_b32 s11, 0
.LBB129_96:                             ;   in Loop: Header=BB129_20 Depth=1
	v_readlane_b32 s22, v53, 28
	v_readlane_b32 s23, v53, 29
	s_andn2_b64 vcc, exec, s[22:23]
	s_cbranch_vccnz .LBB129_99
; %bb.97:                               ;   in Loop: Header=BB129_20 Depth=1
	s_lshl_b32 s22, s37, 8
	s_lshl_b32 s11, s11, 4
	s_add_i32 s22, s22, s11
	v_add_u32_e32 v2, s22, v39
	v_readlane_b32 s11, v53, 27
.LBB129_98:                             ;   Parent Loop BB129_20 Depth=1
                                        ; =>  This Inner Loop Header: Depth=2
	ds_read_b32 v3, v2
	s_add_i32 s11, s11, -1
	v_add_u32_e32 v2, 16, v2
	s_cmp_lg_u32 s11, 0
	s_waitcnt lgkmcnt(0)
	v_add_u32_e32 v1, v3, v1
	s_cbranch_scc1 .LBB129_98
.LBB129_99:                             ;   in Loop: Header=BB129_20 Depth=1
	v_add_lshl_u32 v2, s10, v21, 2
	ds_write_b32 v2, v1 offset:3072
.LBB129_100:                            ;   in Loop: Header=BB129_20 Depth=1
	s_or_b64 exec, exec, s[6:7]
	s_lshl_b32 s6, s10, 2
	v_mov_b32_e32 v1, s6
	s_waitcnt lgkmcnt(0)
	s_barrier
	ds_read_b128 v[1:4], v1 offset:3072
	v_cmp_eq_u32_e32 vcc, 1, v48
	s_mov_b64 s[22:23], -1
	s_mov_b64 s[34:35], -1
                                        ; implicit-def: $sgpr30_sgpr31
                                        ; implicit-def: $sgpr28_sgpr29
	s_waitcnt lgkmcnt(0)
	v_readfirstlane_b32 s78, v1
	s_cmp_eq_u32 s78, 1
	v_lshlrev_b32_e64 v1, v45, 3
	s_cselect_b64 s[6:7], -1, 0
	v_readfirstlane_b32 s82, v2
	v_readfirstlane_b32 s90, v3
	;; [unrolled: 1-line block ×3, first 2 shown]
	v_not_b32_e32 v3, v1
	s_and_b64 s[26:27], s[6:7], vcc
	s_and_saveexec_b64 s[6:7], s[26:27]
	s_cbranch_execz .LBB129_128
; %bb.101:                              ;   in Loop: Header=BB129_20 Depth=1
	ds_read_b32 v2, v7 offset:4104
	s_waitcnt lgkmcnt(0)
	s_barrier
	v_readfirstlane_b32 s56, v2
	s_and_saveexec_b64 s[10:11], s[24:25]
; %bb.102:                              ;   in Loop: Header=BB129_20 Depth=1
	ds_write_b16 v23, v7
; %bb.103:                              ;   in Loop: Header=BB129_20 Depth=1
	s_or_b64 exec, exec, s[10:11]
	v_and_b32_e32 v38, v38, v3
	v_or_b32_e32 v46, v46, v1
	s_mov_b64 s[28:29], -1
	s_mov_b64 s[30:31], 0
	s_cmp_eq_u32 s56, 0
	s_mov_b64 s[72:73], 0
	s_mov_b64 s[74:75], -1
	s_waitcnt lgkmcnt(0)
	s_barrier
                                        ; implicit-def: $vgpr47
	s_cbranch_scc1 .LBB129_115
; %bb.104:                              ;   in Loop: Header=BB129_20 Depth=1
	s_add_i32 s10, s56, s15
	s_mul_hi_u32 s11, s10, s13
	s_mul_i32 s11, s11, s39
	s_sub_i32 s11, s10, s11
	s_sub_i32 s34, s11, s39
	s_cmp_ge_u32 s11, s39
	s_cselect_b32 s11, s34, s11
	s_sub_i32 s34, s11, s39
	s_cmp_ge_u32 s11, s39
	s_cselect_b32 s11, s34, s11
	s_sub_i32 s57, s10, s11
	v_cmp_gt_u32_e32 vcc, s57, v0
	s_mov_b64 s[74:75], 0
                                        ; implicit-def: $vgpr47
	s_and_saveexec_b64 s[34:35], vcc
	s_cbranch_execz .LBB129_114
; %bb.105:                              ;   in Loop: Header=BB129_20 Depth=1
	v_mov_b32_e32 v2, v22
	v_mov_b32_e32 v4, v0
                                        ; implicit-def: $sgpr40_sgpr41
	s_branch .LBB129_109
.LBB129_106:                            ;   in Loop: Header=BB129_109 Depth=2
	s_or_b64 exec, exec, s[10:11]
	s_waitcnt lgkmcnt(0)
	s_barrier
	ds_read_b32 v6, v7 offset:3072
	s_waitcnt lgkmcnt(0)
	s_barrier
	v_cmp_neq_f16_e32 vcc, 0, v6
	s_cbranch_vccnz .LBB129_112
; %bb.107:                              ;   in Loop: Header=BB129_109 Depth=2
	v_add_u32_e32 v4, s39, v4
	v_cmp_le_u32_e32 vcc, s57, v4
	v_add_u32_e32 v2, s52, v2
	s_mov_b64 s[10:11], 0
	s_orn2_b64 s[76:77], vcc, exec
.LBB129_108:                            ;   in Loop: Header=BB129_109 Depth=2
	s_and_b64 s[76:77], exec, s[76:77]
	s_or_b64 s[72:73], s[76:77], s[72:73]
	s_andn2_b64 s[40:41], s[40:41], exec
	s_and_b64 s[10:11], s[10:11], exec
	s_or_b64 s[40:41], s[40:41], s[10:11]
	s_andn2_b64 exec, exec, s[72:73]
	s_cbranch_execz .LBB129_113
.LBB129_109:                            ;   Parent Loop BB129_20 Depth=1
                                        ; =>  This Inner Loop Header: Depth=2
	v_cmp_gt_u32_e32 vcc, s56, v4
	s_and_saveexec_b64 s[10:11], vcc
	s_cbranch_execz .LBB129_106
; %bb.110:                              ;   in Loop: Header=BB129_109 Depth=2
	ds_read_u16 v6, v2
	s_waitcnt lgkmcnt(0)
	v_cmp_lt_i16_e32 vcc, -1, v6
	v_cndmask_b32_e32 v12, v41, v42, vcc
	v_xor_b32_sdwa v12, v12, v6 dst_sel:DWORD dst_unused:UNUSED_PAD src0_sel:DWORD src1_sel:WORD_0
	v_cmp_o_f16_e32 vcc, v6, v6
	v_cndmask_b32_e32 v12, v41, v12, vcc
	v_and_b32_e32 v12, v12, v46
	v_cmp_eq_u32_e32 vcc, v12, v38
	s_and_b64 exec, exec, vcc
	s_cbranch_execz .LBB129_106
; %bb.111:                              ;   in Loop: Header=BB129_109 Depth=2
	v_perm_b32 v6, v6, s54, v44
	ds_write_b32 v7, v6 offset:3072
	s_branch .LBB129_106
.LBB129_112:                            ;   in Loop: Header=BB129_109 Depth=2
	s_mov_b64 s[76:77], -1
                                        ; implicit-def: $vgpr4
                                        ; implicit-def: $vgpr2
	s_mov_b64 s[10:11], -1
	s_branch .LBB129_108
.LBB129_113:                            ;   in Loop: Header=BB129_20 Depth=1
	s_or_b64 exec, exec, s[72:73]
	v_lshrrev_b32_e32 v47, 16, v6
	s_and_b64 s[72:73], s[40:41], exec
.LBB129_114:                            ;   in Loop: Header=BB129_20 Depth=1
	s_or_b64 exec, exec, s[34:35]
.LBB129_115:                            ;   in Loop: Header=BB129_20 Depth=1
	s_and_b64 vcc, exec, s[74:75]
	s_cbranch_vccz .LBB129_127
; %bb.116:                              ;   in Loop: Header=BB129_20 Depth=1
                                        ; implicit-def: $vgpr47
	s_and_saveexec_b64 s[28:29], s[20:21]
	s_cbranch_execz .LBB129_126
; %bb.117:                              ;   in Loop: Header=BB129_20 Depth=1
	s_mov_b64 s[30:31], 0
	v_mov_b32_e32 v6, v5
	v_mov_b32_e32 v2, v0
                                        ; implicit-def: $sgpr34_sgpr35
	s_branch .LBB129_121
.LBB129_118:                            ;   in Loop: Header=BB129_121 Depth=2
	s_or_b64 exec, exec, s[40:41]
	s_waitcnt lgkmcnt(0)
	s_barrier
	ds_read_b32 v4, v7 offset:3072
	s_waitcnt lgkmcnt(0)
	s_barrier
	v_cmp_neq_f16_e32 vcc, 0, v4
	s_cbranch_vccnz .LBB129_124
; %bb.119:                              ;   in Loop: Header=BB129_121 Depth=2
	v_add_u32_e32 v2, s39, v2
	v_cmp_le_u32_e32 vcc, s0, v2
	v_add_u32_e32 v6, s45, v6
	s_mov_b64 s[10:11], 0
	s_orn2_b64 s[40:41], vcc, exec
.LBB129_120:                            ;   in Loop: Header=BB129_121 Depth=2
	s_and_b64 s[40:41], exec, s[40:41]
	s_or_b64 s[30:31], s[40:41], s[30:31]
	s_andn2_b64 s[34:35], s[34:35], exec
	s_and_b64 s[10:11], s[10:11], exec
	s_or_b64 s[34:35], s[34:35], s[10:11]
	s_andn2_b64 exec, exec, s[30:31]
	s_cbranch_execz .LBB129_125
.LBB129_121:                            ;   Parent Loop BB129_20 Depth=1
                                        ; =>  This Inner Loop Header: Depth=2
	v_cmp_gt_u32_e32 vcc, s36, v2
	s_and_saveexec_b64 s[40:41], vcc
	s_cbranch_execz .LBB129_118
; %bb.122:                              ;   in Loop: Header=BB129_121 Depth=2
	v_lshlrev_b64 v[12:13], 1, v[6:7]
	v_mov_b32_e32 v4, s44
	v_add_co_u32_e32 v12, vcc, s42, v12
	v_addc_co_u32_e32 v13, vcc, v4, v13, vcc
	global_load_ushort v4, v[12:13], off
	s_waitcnt vmcnt(0)
	v_cmp_lt_i16_e32 vcc, -1, v4
	v_cndmask_b32_e32 v12, v41, v42, vcc
	v_xor_b32_sdwa v12, v12, v4 dst_sel:DWORD dst_unused:UNUSED_PAD src0_sel:DWORD src1_sel:WORD_0
	v_cmp_o_f16_e32 vcc, v4, v4
	v_cndmask_b32_e32 v12, v41, v12, vcc
	v_and_b32_e32 v12, v12, v46
	v_cmp_eq_u32_e32 vcc, v12, v38
	s_and_b64 exec, exec, vcc
	s_cbranch_execz .LBB129_118
; %bb.123:                              ;   in Loop: Header=BB129_121 Depth=2
	v_perm_b32 v4, v4, s54, v44
	ds_write_b32 v7, v4 offset:3072
	s_branch .LBB129_118
.LBB129_124:                            ;   in Loop: Header=BB129_121 Depth=2
	s_mov_b64 s[40:41], -1
                                        ; implicit-def: $vgpr2
	s_mov_b64 s[10:11], -1
	s_branch .LBB129_120
.LBB129_125:                            ;   in Loop: Header=BB129_20 Depth=1
	s_or_b64 exec, exec, s[30:31]
	s_andn2_b64 s[10:11], s[72:73], exec
	s_and_b64 s[30:31], s[34:35], exec
	v_lshrrev_b32_e32 v47, 16, v4
	s_or_b64 s[72:73], s[10:11], s[30:31]
.LBB129_126:                            ;   in Loop: Header=BB129_20 Depth=1
	s_or_b64 exec, exec, s[28:29]
	s_mov_b64 s[28:29], 0
	s_mov_b64 s[30:31], -1
.LBB129_127:                            ;   in Loop: Header=BB129_20 Depth=1
	s_orn2_b64 s[34:35], s[72:73], exec
.LBB129_128:                            ;   in Loop: Header=BB129_20 Depth=1
	s_or_b64 exec, exec, s[6:7]
	s_andn2_b64 s[6:7], s[70:71], exec
	s_and_b64 s[10:11], s[30:31], exec
	s_or_b64 s[70:71], s[6:7], s[10:11]
	s_andn2_b64 s[6:7], s[68:69], exec
	s_and_b64 s[10:11], s[28:29], exec
	v_readfirstlane_b32 s72, v0
	s_andn2_b64 s[66:67], s[66:67], exec
	s_or_b64 s[68:69], s[6:7], s[10:11]
                                        ; implicit-def: $vgpr4
	s_and_saveexec_b64 s[6:7], s[34:35]
	s_cbranch_execz .LBB129_19
; %bb.129:                              ;   in Loop: Header=BB129_20 Depth=1
	s_xor_b64 s[10:11], s[26:27], -1
	s_mov_b64 s[26:27], 0
	v_mov_b32_e32 v4, 1
	v_mov_b32_e32 v2, 1
	s_and_saveexec_b64 s[22:23], s[10:11]
	s_cbranch_execz .LBB129_138
; %bb.130:                              ;   in Loop: Header=BB129_20 Depth=1
	v_cmp_ge_u32_e32 vcc, s78, v48
	s_and_saveexec_b64 s[10:11], vcc
	s_xor_b64 s[26:27], exec, s[10:11]
	s_cbranch_execz .LBB129_135
; %bb.131:                              ;   in Loop: Header=BB129_20 Depth=1
	ds_read_b32 v2, v7 offset:4104
	v_and_b32_e32 v38, v38, v3
	v_or_b32_e32 v46, v46, v1
	s_waitcnt lgkmcnt(0)
	v_cmp_ne_u32_e32 vcc, 0, v2
	s_cbranch_vccnz .LBB129_135
; %bb.132:                              ;   in Loop: Header=BB129_20 Depth=1
	s_and_saveexec_b64 s[10:11], s[2:3]
; %bb.133:                              ;   in Loop: Header=BB129_20 Depth=1
	v_mov_b32_e32 v2, s78
	ds_write_b32 v7, v2 offset:4108
; %bb.134:                              ;   in Loop: Header=BB129_20 Depth=1
	s_or_b64 exec, exec, s[10:11]
	s_waitcnt lgkmcnt(0)
	s_barrier
.LBB129_135:                            ;   in Loop: Header=BB129_20 Depth=1
	s_or_saveexec_b64 s[26:27], s[26:27]
	s_mov_b64 s[28:29], 0
	v_mov_b32_e32 v2, 8
	s_xor_b64 exec, exec, s[26:27]
; %bb.136:                              ;   in Loop: Header=BB129_20 Depth=1
	s_mov_b64 s[28:29], exec
	v_subrev_u32_e32 v48, s78, v48
	v_mov_b32_e32 v2, 0
; %bb.137:                              ;   in Loop: Header=BB129_20 Depth=1
	s_or_b64 exec, exec, s[26:27]
	s_and_b64 s[26:27], s[28:29], exec
	v_mov_b32_e32 v4, v48
.LBB129_138:                            ;   in Loop: Header=BB129_20 Depth=1
	s_or_b64 exec, exec, s[22:23]
	s_mov_b64 s[22:23], -1
	s_mov_b64 s[34:35], -1
                                        ; implicit-def: $sgpr28_sgpr29
                                        ; implicit-def: $sgpr30_sgpr31
	s_and_saveexec_b64 s[10:11], s[26:27]
	s_xor_b64 s[26:27], exec, s[10:11]
	s_cbranch_execz .LBB129_261
; %bb.139:                              ;   in Loop: Header=BB129_20 Depth=1
	s_cmp_eq_u32 s82, 1
	s_cselect_b64 s[10:11], -1, 0
	v_cmp_eq_u32_e32 vcc, 1, v4
	s_and_b64 s[74:75], s[10:11], vcc
                                        ; implicit-def: $sgpr30_sgpr31
                                        ; implicit-def: $sgpr28_sgpr29
	s_and_saveexec_b64 s[72:73], s[74:75]
	s_cbranch_execz .LBB129_167
; %bb.140:                              ;   in Loop: Header=BB129_20 Depth=1
	ds_read_b32 v6, v7 offset:4104
	s_waitcnt lgkmcnt(0)
	s_barrier
	v_readfirstlane_b32 s83, v6
	s_and_saveexec_b64 s[10:11], s[24:25]
; %bb.141:                              ;   in Loop: Header=BB129_20 Depth=1
	ds_write_b16 v23, v7
; %bb.142:                              ;   in Loop: Header=BB129_20 Depth=1
	s_or_b64 exec, exec, s[10:11]
	v_and_b32_e32 v6, v38, v3
	v_lshl_or_b32 v38, 1, v45, v6
	v_or_b32_e32 v46, v46, v1
	s_mov_b64 s[28:29], -1
	s_mov_b64 s[30:31], 0
	s_cmp_eq_u32 s83, 0
	s_mov_b64 s[76:77], 0
	s_mov_b64 s[78:79], -1
	s_waitcnt lgkmcnt(0)
	s_barrier
                                        ; implicit-def: $vgpr47
	s_cbranch_scc1 .LBB129_154
; %bb.143:                              ;   in Loop: Header=BB129_20 Depth=1
	s_add_i32 s10, s83, s15
	s_mul_hi_u32 s11, s10, s13
	s_mul_i32 s11, s11, s39
	s_sub_i32 s11, s10, s11
	s_sub_i32 s34, s11, s39
	s_cmp_ge_u32 s11, s39
	s_cselect_b32 s11, s34, s11
	s_sub_i32 s34, s11, s39
	s_cmp_ge_u32 s11, s39
	s_cselect_b32 s11, s34, s11
	s_sub_i32 s56, s10, s11
	v_cmp_gt_u32_e32 vcc, s56, v0
	s_mov_b64 s[78:79], 0
                                        ; implicit-def: $vgpr47
	s_and_saveexec_b64 s[80:81], vcc
	s_cbranch_execz .LBB129_153
; %bb.144:                              ;   in Loop: Header=BB129_20 Depth=1
	s_mov_b64 s[34:35], 0
	v_mov_b32_e32 v6, v22
	v_mov_b32_e32 v12, v0
                                        ; implicit-def: $sgpr76_sgpr77
	s_branch .LBB129_148
.LBB129_145:                            ;   in Loop: Header=BB129_148 Depth=2
	s_or_b64 exec, exec, s[40:41]
	s_waitcnt lgkmcnt(0)
	s_barrier
	ds_read_b32 v13, v7 offset:3072
	s_waitcnt lgkmcnt(0)
	s_barrier
	v_cmp_neq_f16_e32 vcc, 0, v13
	s_cbranch_vccnz .LBB129_151
; %bb.146:                              ;   in Loop: Header=BB129_148 Depth=2
	v_add_u32_e32 v12, s39, v12
	v_cmp_le_u32_e32 vcc, s56, v12
	v_add_u32_e32 v6, s52, v6
	s_mov_b64 s[10:11], 0
	s_orn2_b64 s[40:41], vcc, exec
.LBB129_147:                            ;   in Loop: Header=BB129_148 Depth=2
	s_and_b64 s[40:41], exec, s[40:41]
	s_or_b64 s[34:35], s[40:41], s[34:35]
	s_andn2_b64 s[40:41], s[76:77], exec
	s_and_b64 s[10:11], s[10:11], exec
	s_or_b64 s[76:77], s[40:41], s[10:11]
	s_andn2_b64 exec, exec, s[34:35]
	s_cbranch_execz .LBB129_152
.LBB129_148:                            ;   Parent Loop BB129_20 Depth=1
                                        ; =>  This Inner Loop Header: Depth=2
	v_cmp_gt_u32_e32 vcc, s83, v12
	s_and_saveexec_b64 s[40:41], vcc
	s_cbranch_execz .LBB129_145
; %bb.149:                              ;   in Loop: Header=BB129_148 Depth=2
	ds_read_u16 v13, v6
	s_waitcnt lgkmcnt(0)
	v_cmp_lt_i16_e32 vcc, -1, v13
	v_cndmask_b32_e32 v14, v41, v42, vcc
	v_xor_b32_sdwa v14, v14, v13 dst_sel:DWORD dst_unused:UNUSED_PAD src0_sel:DWORD src1_sel:WORD_0
	v_cmp_o_f16_e32 vcc, v13, v13
	v_cndmask_b32_e32 v14, v41, v14, vcc
	v_and_b32_e32 v14, v14, v46
	v_cmp_eq_u32_e32 vcc, v14, v38
	s_and_b64 exec, exec, vcc
	s_cbranch_execz .LBB129_145
; %bb.150:                              ;   in Loop: Header=BB129_148 Depth=2
	v_perm_b32 v13, v13, s54, v44
	ds_write_b32 v7, v13 offset:3072
	s_branch .LBB129_145
.LBB129_151:                            ;   in Loop: Header=BB129_148 Depth=2
	s_mov_b64 s[40:41], -1
                                        ; implicit-def: $vgpr12
                                        ; implicit-def: $vgpr6
	s_mov_b64 s[10:11], -1
	s_branch .LBB129_147
.LBB129_152:                            ;   in Loop: Header=BB129_20 Depth=1
	s_or_b64 exec, exec, s[34:35]
	v_lshrrev_b32_e32 v47, 16, v13
	s_and_b64 s[76:77], s[76:77], exec
.LBB129_153:                            ;   in Loop: Header=BB129_20 Depth=1
	s_or_b64 exec, exec, s[80:81]
.LBB129_154:                            ;   in Loop: Header=BB129_20 Depth=1
	s_and_b64 vcc, exec, s[78:79]
	s_cbranch_vccz .LBB129_166
; %bb.155:                              ;   in Loop: Header=BB129_20 Depth=1
                                        ; implicit-def: $vgpr47
	s_and_saveexec_b64 s[28:29], s[20:21]
	s_cbranch_execz .LBB129_165
; %bb.156:                              ;   in Loop: Header=BB129_20 Depth=1
	s_mov_b64 s[30:31], 0
	v_mov_b32_e32 v6, v5
	v_mov_b32_e32 v12, v0
                                        ; implicit-def: $sgpr34_sgpr35
	s_branch .LBB129_160
.LBB129_157:                            ;   in Loop: Header=BB129_160 Depth=2
	s_or_b64 exec, exec, s[40:41]
	s_waitcnt lgkmcnt(0)
	s_barrier
	ds_read_b32 v13, v7 offset:3072
	s_waitcnt lgkmcnt(0)
	s_barrier
	v_cmp_eq_f16_e32 vcc, 0, v13
	s_cbranch_vccz .LBB129_163
; %bb.158:                              ;   in Loop: Header=BB129_160 Depth=2
	v_add_u32_e32 v12, s39, v12
	v_cmp_le_u32_e32 vcc, s0, v12
	v_add_u32_e32 v6, s45, v6
	s_mov_b64 s[10:11], 0
	s_orn2_b64 s[40:41], vcc, exec
.LBB129_159:                            ;   in Loop: Header=BB129_160 Depth=2
	s_and_b64 s[40:41], exec, s[40:41]
	s_or_b64 s[30:31], s[40:41], s[30:31]
	s_andn2_b64 s[34:35], s[34:35], exec
	s_and_b64 s[10:11], s[10:11], exec
	s_or_b64 s[34:35], s[34:35], s[10:11]
	s_andn2_b64 exec, exec, s[30:31]
	s_cbranch_execz .LBB129_164
.LBB129_160:                            ;   Parent Loop BB129_20 Depth=1
                                        ; =>  This Inner Loop Header: Depth=2
	v_cmp_gt_u32_e32 vcc, s36, v12
	s_and_saveexec_b64 s[40:41], vcc
	s_cbranch_execz .LBB129_157
; %bb.161:                              ;   in Loop: Header=BB129_160 Depth=2
	v_lshlrev_b64 v[13:14], 1, v[6:7]
	v_mov_b32_e32 v15, s44
	v_add_co_u32_e32 v13, vcc, s42, v13
	v_addc_co_u32_e32 v14, vcc, v15, v14, vcc
	global_load_ushort v13, v[13:14], off
	s_waitcnt vmcnt(0)
	v_cmp_lt_i16_e32 vcc, -1, v13
	v_cndmask_b32_e32 v14, v41, v42, vcc
	v_xor_b32_sdwa v14, v14, v13 dst_sel:DWORD dst_unused:UNUSED_PAD src0_sel:DWORD src1_sel:WORD_0
	v_cmp_o_f16_e32 vcc, v13, v13
	v_cndmask_b32_e32 v14, v41, v14, vcc
	v_and_b32_e32 v14, v14, v46
	v_cmp_eq_u32_e32 vcc, v14, v38
	s_and_b64 exec, exec, vcc
	s_cbranch_execz .LBB129_157
; %bb.162:                              ;   in Loop: Header=BB129_160 Depth=2
	v_perm_b32 v13, v13, s54, v44
	ds_write_b32 v7, v13 offset:3072
	s_branch .LBB129_157
.LBB129_163:                            ;   in Loop: Header=BB129_160 Depth=2
	s_mov_b64 s[40:41], -1
                                        ; implicit-def: $vgpr12
	s_mov_b64 s[10:11], -1
	s_branch .LBB129_159
.LBB129_164:                            ;   in Loop: Header=BB129_20 Depth=1
	s_or_b64 exec, exec, s[30:31]
	s_andn2_b64 s[10:11], s[76:77], exec
	s_and_b64 s[30:31], s[34:35], exec
	v_lshrrev_b32_e32 v47, 16, v13
	s_or_b64 s[76:77], s[10:11], s[30:31]
.LBB129_165:                            ;   in Loop: Header=BB129_20 Depth=1
	s_or_b64 exec, exec, s[28:29]
	s_mov_b64 s[28:29], 0
	s_mov_b64 s[30:31], -1
.LBB129_166:                            ;   in Loop: Header=BB129_20 Depth=1
	s_orn2_b64 s[34:35], s[76:77], exec
.LBB129_167:                            ;   in Loop: Header=BB129_20 Depth=1
	s_or_b64 exec, exec, s[72:73]
	s_mov_b64 s[40:41], 0
	s_and_saveexec_b64 s[72:73], s[34:35]
	s_cbranch_execz .LBB129_260
; %bb.168:                              ;   in Loop: Header=BB129_20 Depth=1
	s_xor_b64 s[10:11], s[74:75], -1
	v_mov_b32_e32 v12, 1
	v_mov_b32_e32 v2, 1
	s_and_saveexec_b64 s[74:75], s[10:11]
	s_cbranch_execz .LBB129_174
; %bb.169:                              ;   in Loop: Header=BB129_20 Depth=1
	v_cmp_ge_u32_e32 vcc, s82, v4
	s_and_saveexec_b64 s[10:11], vcc
	s_xor_b64 s[34:35], exec, s[10:11]
	s_cbranch_execz .LBB129_171
; %bb.170:                              ;   in Loop: Header=BB129_20 Depth=1
	v_and_b32_e32 v2, v38, v3
	v_lshl_or_b32 v38, 1, v45, v2
	ds_read_b32 v2, v7 offset:4104
	v_or_b32_e32 v46, v46, v1
	s_waitcnt lgkmcnt(0)
	v_cmp_ne_u32_e32 vcc, 0, v2
	s_cbranch_vccz .LBB129_188
.LBB129_171:                            ;   in Loop: Header=BB129_20 Depth=1
	s_or_saveexec_b64 s[34:35], s[34:35]
	v_mov_b32_e32 v2, 8
	s_xor_b64 exec, exec, s[34:35]
.LBB129_172:                            ;   in Loop: Header=BB129_20 Depth=1
	v_subrev_u32_e32 v4, s82, v4
	v_mov_b32_e32 v2, 0
	s_mov_b64 s[40:41], exec
.LBB129_173:                            ;   in Loop: Header=BB129_20 Depth=1
	s_or_b64 exec, exec, s[34:35]
	s_and_b64 s[40:41], s[40:41], exec
	v_mov_b32_e32 v12, v4
.LBB129_174:                            ;   in Loop: Header=BB129_20 Depth=1
	s_or_b64 exec, exec, s[74:75]
	s_mov_b64 s[34:35], -1
                                        ; implicit-def: $sgpr76_sgpr77
                                        ; implicit-def: $sgpr78_sgpr79
	s_and_saveexec_b64 s[74:75], s[40:41]
	s_cbranch_execz .LBB129_259
; %bb.175:                              ;   in Loop: Header=BB129_20 Depth=1
	s_cmp_eq_u32 s90, 1
	s_cselect_b64 s[10:11], -1, 0
	v_cmp_eq_u32_e32 vcc, 1, v12
	s_and_b64 s[82:83], s[10:11], vcc
                                        ; implicit-def: $sgpr78_sgpr79
                                        ; implicit-def: $sgpr76_sgpr77
	s_and_saveexec_b64 s[80:81], s[82:83]
	s_cbranch_execz .LBB129_206
; %bb.176:                              ;   in Loop: Header=BB129_20 Depth=1
	ds_read_b32 v4, v7 offset:4104
	s_waitcnt lgkmcnt(0)
	s_barrier
	v_readfirstlane_b32 s91, v4
	s_and_saveexec_b64 s[10:11], s[24:25]
; %bb.177:                              ;   in Loop: Header=BB129_20 Depth=1
	ds_write_b16 v23, v7
; %bb.178:                              ;   in Loop: Header=BB129_20 Depth=1
	s_or_b64 exec, exec, s[10:11]
	v_and_b32_e32 v4, v38, v3
	v_lshl_or_b32 v38, 2, v45, v4
	v_or_b32_e32 v46, v46, v1
	s_mov_b64 s[76:77], -1
	s_mov_b64 s[78:79], 0
	s_cmp_eq_u32 s91, 0
	s_mov_b64 s[84:85], 0
	s_mov_b64 s[86:87], -1
	s_waitcnt lgkmcnt(0)
	s_barrier
                                        ; implicit-def: $vgpr47
	s_cbranch_scc1 .LBB129_193
; %bb.179:                              ;   in Loop: Header=BB129_20 Depth=1
	s_add_i32 s10, s91, s15
	s_mul_hi_u32 s11, s10, s13
	s_mul_i32 s11, s11, s39
	s_sub_i32 s11, s10, s11
	s_sub_i32 s34, s11, s39
	s_cmp_ge_u32 s11, s39
	s_cselect_b32 s11, s34, s11
	s_sub_i32 s34, s11, s39
	s_cmp_ge_u32 s11, s39
	s_cselect_b32 s11, s34, s11
	s_sub_i32 s56, s10, s11
	v_cmp_gt_u32_e32 vcc, s56, v0
	s_mov_b64 s[86:87], 0
                                        ; implicit-def: $vgpr47
	s_and_saveexec_b64 s[88:89], vcc
	s_cbranch_execz .LBB129_192
; %bb.180:                              ;   in Loop: Header=BB129_20 Depth=1
	s_mov_b64 s[34:35], 0
	v_mov_b32_e32 v4, v22
	v_mov_b32_e32 v6, v0
                                        ; implicit-def: $sgpr84_sgpr85
	s_branch .LBB129_184
.LBB129_181:                            ;   in Loop: Header=BB129_184 Depth=2
	s_or_b64 exec, exec, s[40:41]
	s_waitcnt lgkmcnt(0)
	s_barrier
	ds_read_b32 v13, v7 offset:3072
	s_waitcnt lgkmcnt(0)
	s_barrier
	v_cmp_neq_f16_e32 vcc, 0, v13
	s_cbranch_vccnz .LBB129_187
; %bb.182:                              ;   in Loop: Header=BB129_184 Depth=2
	v_add_u32_e32 v6, s39, v6
	v_cmp_le_u32_e32 vcc, s56, v6
	v_add_u32_e32 v4, s52, v4
	s_mov_b64 s[10:11], 0
	s_orn2_b64 s[40:41], vcc, exec
.LBB129_183:                            ;   in Loop: Header=BB129_184 Depth=2
	s_and_b64 s[40:41], exec, s[40:41]
	s_or_b64 s[34:35], s[40:41], s[34:35]
	s_andn2_b64 s[40:41], s[84:85], exec
	s_and_b64 s[10:11], s[10:11], exec
	s_or_b64 s[84:85], s[40:41], s[10:11]
	s_andn2_b64 exec, exec, s[34:35]
	s_cbranch_execz .LBB129_191
.LBB129_184:                            ;   Parent Loop BB129_20 Depth=1
                                        ; =>  This Inner Loop Header: Depth=2
	v_cmp_gt_u32_e32 vcc, s91, v6
	s_and_saveexec_b64 s[40:41], vcc
	s_cbranch_execz .LBB129_181
; %bb.185:                              ;   in Loop: Header=BB129_184 Depth=2
	ds_read_u16 v13, v4
	s_waitcnt lgkmcnt(0)
	v_cmp_lt_i16_e32 vcc, -1, v13
	v_cndmask_b32_e32 v14, v41, v42, vcc
	v_xor_b32_sdwa v14, v14, v13 dst_sel:DWORD dst_unused:UNUSED_PAD src0_sel:DWORD src1_sel:WORD_0
	v_cmp_o_f16_e32 vcc, v13, v13
	v_cndmask_b32_e32 v14, v41, v14, vcc
	v_and_b32_e32 v14, v14, v46
	v_cmp_eq_u32_e32 vcc, v14, v38
	s_and_b64 exec, exec, vcc
	s_cbranch_execz .LBB129_181
; %bb.186:                              ;   in Loop: Header=BB129_184 Depth=2
	v_perm_b32 v13, v13, s54, v44
	ds_write_b32 v7, v13 offset:3072
	s_branch .LBB129_181
.LBB129_187:                            ;   in Loop: Header=BB129_184 Depth=2
	s_mov_b64 s[40:41], -1
                                        ; implicit-def: $vgpr6
                                        ; implicit-def: $vgpr4
	s_mov_b64 s[10:11], -1
	s_branch .LBB129_183
.LBB129_188:                            ;   in Loop: Header=BB129_20 Depth=1
	s_and_saveexec_b64 s[10:11], s[2:3]
; %bb.189:                              ;   in Loop: Header=BB129_20 Depth=1
	v_mov_b32_e32 v2, s82
	ds_write_b32 v7, v2 offset:4108
; %bb.190:                              ;   in Loop: Header=BB129_20 Depth=1
	s_or_b64 exec, exec, s[10:11]
	s_waitcnt lgkmcnt(0)
	s_barrier
	s_or_saveexec_b64 s[34:35], s[34:35]
	v_mov_b32_e32 v2, 8
	s_xor_b64 exec, exec, s[34:35]
	s_cbranch_execnz .LBB129_172
	s_branch .LBB129_173
.LBB129_191:                            ;   in Loop: Header=BB129_20 Depth=1
	s_or_b64 exec, exec, s[34:35]
	v_lshrrev_b32_e32 v47, 16, v13
	s_and_b64 s[84:85], s[84:85], exec
.LBB129_192:                            ;   in Loop: Header=BB129_20 Depth=1
	s_or_b64 exec, exec, s[88:89]
.LBB129_193:                            ;   in Loop: Header=BB129_20 Depth=1
	s_and_b64 vcc, exec, s[86:87]
	s_cbranch_vccz .LBB129_205
; %bb.194:                              ;   in Loop: Header=BB129_20 Depth=1
                                        ; implicit-def: $vgpr47
	s_and_saveexec_b64 s[76:77], s[20:21]
	s_cbranch_execz .LBB129_204
; %bb.195:                              ;   in Loop: Header=BB129_20 Depth=1
	s_mov_b64 s[34:35], 0
	v_mov_b32_e32 v6, v5
	v_mov_b32_e32 v4, v0
                                        ; implicit-def: $sgpr78_sgpr79
	s_branch .LBB129_199
.LBB129_196:                            ;   in Loop: Header=BB129_199 Depth=2
	s_or_b64 exec, exec, s[40:41]
	s_waitcnt lgkmcnt(0)
	s_barrier
	ds_read_b32 v13, v7 offset:3072
	s_waitcnt lgkmcnt(0)
	s_barrier
	v_cmp_eq_f16_e32 vcc, 0, v13
	s_cbranch_vccz .LBB129_202
; %bb.197:                              ;   in Loop: Header=BB129_199 Depth=2
	v_add_u32_e32 v4, s39, v4
	v_cmp_le_u32_e32 vcc, s0, v4
	v_add_u32_e32 v6, s45, v6
	s_mov_b64 s[10:11], 0
	s_orn2_b64 s[40:41], vcc, exec
.LBB129_198:                            ;   in Loop: Header=BB129_199 Depth=2
	s_and_b64 s[40:41], exec, s[40:41]
	s_or_b64 s[34:35], s[40:41], s[34:35]
	s_andn2_b64 s[40:41], s[78:79], exec
	s_and_b64 s[10:11], s[10:11], exec
	s_or_b64 s[78:79], s[40:41], s[10:11]
	s_andn2_b64 exec, exec, s[34:35]
	s_cbranch_execz .LBB129_203
.LBB129_199:                            ;   Parent Loop BB129_20 Depth=1
                                        ; =>  This Inner Loop Header: Depth=2
	v_cmp_gt_u32_e32 vcc, s36, v4
	s_and_saveexec_b64 s[40:41], vcc
	s_cbranch_execz .LBB129_196
; %bb.200:                              ;   in Loop: Header=BB129_199 Depth=2
	v_lshlrev_b64 v[13:14], 1, v[6:7]
	v_mov_b32_e32 v15, s44
	v_add_co_u32_e32 v13, vcc, s42, v13
	v_addc_co_u32_e32 v14, vcc, v15, v14, vcc
	global_load_ushort v13, v[13:14], off
	s_waitcnt vmcnt(0)
	v_cmp_lt_i16_e32 vcc, -1, v13
	v_cndmask_b32_e32 v14, v41, v42, vcc
	v_xor_b32_sdwa v14, v14, v13 dst_sel:DWORD dst_unused:UNUSED_PAD src0_sel:DWORD src1_sel:WORD_0
	v_cmp_o_f16_e32 vcc, v13, v13
	v_cndmask_b32_e32 v14, v41, v14, vcc
	v_and_b32_e32 v14, v14, v46
	v_cmp_eq_u32_e32 vcc, v14, v38
	s_and_b64 exec, exec, vcc
	s_cbranch_execz .LBB129_196
; %bb.201:                              ;   in Loop: Header=BB129_199 Depth=2
	v_perm_b32 v13, v13, s54, v44
	ds_write_b32 v7, v13 offset:3072
	s_branch .LBB129_196
.LBB129_202:                            ;   in Loop: Header=BB129_199 Depth=2
	s_mov_b64 s[40:41], -1
                                        ; implicit-def: $vgpr4
	s_mov_b64 s[10:11], -1
	s_branch .LBB129_198
.LBB129_203:                            ;   in Loop: Header=BB129_20 Depth=1
	s_or_b64 exec, exec, s[34:35]
	s_andn2_b64 s[10:11], s[84:85], exec
	s_and_b64 s[34:35], s[78:79], exec
	v_lshrrev_b32_e32 v47, 16, v13
	s_or_b64 s[84:85], s[10:11], s[34:35]
.LBB129_204:                            ;   in Loop: Header=BB129_20 Depth=1
	s_or_b64 exec, exec, s[76:77]
	s_mov_b64 s[76:77], 0
	s_mov_b64 s[78:79], -1
.LBB129_205:                            ;   in Loop: Header=BB129_20 Depth=1
	s_orn2_b64 s[34:35], s[84:85], exec
.LBB129_206:                            ;   in Loop: Header=BB129_20 Depth=1
	s_or_b64 exec, exec, s[80:81]
	s_mov_b64 s[40:41], 0
	s_and_saveexec_b64 s[80:81], s[34:35]
	s_cbranch_execz .LBB129_258
; %bb.207:                              ;   in Loop: Header=BB129_20 Depth=1
	s_xor_b64 s[10:11], s[82:83], -1
	v_mov_b32_e32 v4, 1
	v_mov_b32_e32 v2, 1
	s_and_saveexec_b64 s[82:83], s[10:11]
	s_cbranch_execz .LBB129_216
; %bb.208:                              ;   in Loop: Header=BB129_20 Depth=1
	v_cmp_ge_u32_e32 vcc, s90, v12
	s_and_saveexec_b64 s[10:11], vcc
	s_xor_b64 s[34:35], exec, s[10:11]
	s_cbranch_execz .LBB129_213
; %bb.209:                              ;   in Loop: Header=BB129_20 Depth=1
	v_and_b32_e32 v2, v38, v3
	v_lshl_or_b32 v38, 2, v45, v2
	ds_read_b32 v2, v7 offset:4104
	v_or_b32_e32 v46, v46, v1
	s_waitcnt lgkmcnt(0)
	v_cmp_ne_u32_e32 vcc, 0, v2
	s_cbranch_vccnz .LBB129_213
; %bb.210:                              ;   in Loop: Header=BB129_20 Depth=1
	s_and_saveexec_b64 s[10:11], s[2:3]
; %bb.211:                              ;   in Loop: Header=BB129_20 Depth=1
	v_mov_b32_e32 v2, s90
	ds_write_b32 v7, v2 offset:4108
; %bb.212:                              ;   in Loop: Header=BB129_20 Depth=1
	s_or_b64 exec, exec, s[10:11]
	s_waitcnt lgkmcnt(0)
	s_barrier
.LBB129_213:                            ;   in Loop: Header=BB129_20 Depth=1
	s_or_saveexec_b64 s[34:35], s[34:35]
	v_mov_b32_e32 v2, 8
	s_xor_b64 exec, exec, s[34:35]
; %bb.214:                              ;   in Loop: Header=BB129_20 Depth=1
	v_subrev_u32_e32 v12, s90, v12
	v_mov_b32_e32 v2, 0
	s_mov_b64 s[40:41], exec
; %bb.215:                              ;   in Loop: Header=BB129_20 Depth=1
	s_or_b64 exec, exec, s[34:35]
	s_and_b64 s[40:41], s[40:41], exec
	v_mov_b32_e32 v4, v12
.LBB129_216:                            ;   in Loop: Header=BB129_20 Depth=1
	s_or_b64 exec, exec, s[82:83]
	s_mov_b64 s[34:35], -1
                                        ; implicit-def: $sgpr86_sgpr87
                                        ; implicit-def: $sgpr84_sgpr85
	s_and_saveexec_b64 s[82:83], s[40:41]
	s_cbranch_execz .LBB129_257
; %bb.217:                              ;   in Loop: Header=BB129_20 Depth=1
	s_cmp_eq_u32 s55, 1
	s_cselect_b64 s[10:11], -1, 0
	v_cmp_eq_u32_e32 vcc, 1, v4
	s_and_b64 s[88:89], s[10:11], vcc
                                        ; implicit-def: $sgpr86_sgpr87
                                        ; implicit-def: $sgpr84_sgpr85
	s_and_saveexec_b64 s[90:91], s[88:89]
	s_cbranch_execz .LBB129_245
; %bb.218:                              ;   in Loop: Header=BB129_20 Depth=1
	ds_read_b32 v3, v7 offset:4104
	s_waitcnt lgkmcnt(0)
	s_barrier
	v_readfirstlane_b32 s56, v3
	s_and_saveexec_b64 s[10:11], s[24:25]
; %bb.219:                              ;   in Loop: Header=BB129_20 Depth=1
	ds_write_b16 v23, v7
; %bb.220:                              ;   in Loop: Header=BB129_20 Depth=1
	s_or_b64 exec, exec, s[10:11]
	v_or_b32_e32 v38, v38, v1
	v_or_b32_e32 v46, v46, v1
	s_mov_b64 s[84:85], -1
	s_mov_b64 s[86:87], 0
	s_cmp_eq_u32 s56, 0
	s_mov_b64 s[92:93], 0
	s_mov_b64 s[94:95], -1
	s_waitcnt lgkmcnt(0)
	s_barrier
                                        ; implicit-def: $vgpr47
	s_cbranch_scc1 .LBB129_232
; %bb.221:                              ;   in Loop: Header=BB129_20 Depth=1
	s_add_i32 s10, s56, s15
	s_mul_hi_u32 s11, s10, s13
	s_mul_i32 s11, s11, s39
	s_sub_i32 s11, s10, s11
	s_sub_i32 s34, s11, s39
	s_cmp_ge_u32 s11, s39
	s_cselect_b32 s11, s34, s11
	s_sub_i32 s34, s11, s39
	s_cmp_ge_u32 s11, s39
	s_cselect_b32 s11, s34, s11
	s_sub_i32 s57, s10, s11
	v_cmp_gt_u32_e32 vcc, s57, v0
	s_mov_b64 s[94:95], 0
                                        ; implicit-def: $vgpr47
	s_and_saveexec_b64 s[34:35], vcc
	s_cbranch_execz .LBB129_231
; %bb.222:                              ;   in Loop: Header=BB129_20 Depth=1
	v_mov_b32_e32 v3, v22
	v_mov_b32_e32 v6, v0
                                        ; implicit-def: $sgpr40_sgpr41
	s_branch .LBB129_226
.LBB129_223:                            ;   in Loop: Header=BB129_226 Depth=2
	s_or_b64 exec, exec, s[10:11]
	s_waitcnt lgkmcnt(0)
	s_barrier
	ds_read_b32 v12, v7 offset:3072
	s_waitcnt lgkmcnt(0)
	s_barrier
	v_cmp_neq_f16_e32 vcc, 0, v12
	s_cbranch_vccnz .LBB129_229
; %bb.224:                              ;   in Loop: Header=BB129_226 Depth=2
	v_add_u32_e32 v6, s39, v6
	v_cmp_le_u32_e32 vcc, s57, v6
	v_add_u32_e32 v3, s52, v3
	s_mov_b64 s[10:11], 0
	s_orn2_b64 vcc, vcc, exec
.LBB129_225:                            ;   in Loop: Header=BB129_226 Depth=2
	s_and_b64 vcc, exec, vcc
	s_or_b64 s[92:93], vcc, s[92:93]
	s_andn2_b64 s[40:41], s[40:41], exec
	s_and_b64 s[10:11], s[10:11], exec
	s_or_b64 s[40:41], s[40:41], s[10:11]
	s_andn2_b64 exec, exec, s[92:93]
	s_cbranch_execz .LBB129_230
.LBB129_226:                            ;   Parent Loop BB129_20 Depth=1
                                        ; =>  This Inner Loop Header: Depth=2
	v_cmp_gt_u32_e32 vcc, s56, v6
	s_and_saveexec_b64 s[10:11], vcc
	s_cbranch_execz .LBB129_223
; %bb.227:                              ;   in Loop: Header=BB129_226 Depth=2
	ds_read_u16 v12, v3
	s_waitcnt lgkmcnt(0)
	v_cmp_lt_i16_e32 vcc, -1, v12
	v_cndmask_b32_e32 v13, v41, v42, vcc
	v_xor_b32_sdwa v13, v13, v12 dst_sel:DWORD dst_unused:UNUSED_PAD src0_sel:DWORD src1_sel:WORD_0
	v_cmp_o_f16_e32 vcc, v12, v12
	v_cndmask_b32_e32 v13, v41, v13, vcc
	v_and_b32_e32 v13, v13, v46
	v_cmp_eq_u32_e32 vcc, v13, v38
	s_and_b64 exec, exec, vcc
	s_cbranch_execz .LBB129_223
; %bb.228:                              ;   in Loop: Header=BB129_226 Depth=2
	v_perm_b32 v12, v12, s54, v44
	ds_write_b32 v7, v12 offset:3072
	s_branch .LBB129_223
.LBB129_229:                            ;   in Loop: Header=BB129_226 Depth=2
	s_mov_b64 vcc, -1
                                        ; implicit-def: $vgpr6
                                        ; implicit-def: $vgpr3
	s_mov_b64 s[10:11], -1
	s_branch .LBB129_225
.LBB129_230:                            ;   in Loop: Header=BB129_20 Depth=1
	s_or_b64 exec, exec, s[92:93]
	v_lshrrev_b32_e32 v47, 16, v12
	s_and_b64 s[92:93], s[40:41], exec
.LBB129_231:                            ;   in Loop: Header=BB129_20 Depth=1
	s_or_b64 exec, exec, s[34:35]
.LBB129_232:                            ;   in Loop: Header=BB129_20 Depth=1
	s_and_b64 vcc, exec, s[94:95]
	s_cbranch_vccz .LBB129_244
; %bb.233:                              ;   in Loop: Header=BB129_20 Depth=1
                                        ; implicit-def: $vgpr47
	s_and_saveexec_b64 s[84:85], s[20:21]
	s_cbranch_execz .LBB129_243
; %bb.234:                              ;   in Loop: Header=BB129_20 Depth=1
	s_mov_b64 s[34:35], 0
	v_mov_b32_e32 v6, v5
	v_mov_b32_e32 v3, v0
                                        ; implicit-def: $sgpr86_sgpr87
	s_branch .LBB129_238
.LBB129_235:                            ;   in Loop: Header=BB129_238 Depth=2
	s_or_b64 exec, exec, s[40:41]
	s_waitcnt lgkmcnt(0)
	s_barrier
	ds_read_b32 v12, v7 offset:3072
	s_waitcnt lgkmcnt(0)
	s_barrier
	v_cmp_eq_f16_e32 vcc, 0, v12
	s_cbranch_vccz .LBB129_241
; %bb.236:                              ;   in Loop: Header=BB129_238 Depth=2
	v_add_u32_e32 v3, s39, v3
	v_cmp_le_u32_e32 vcc, s0, v3
	v_add_u32_e32 v6, s45, v6
	s_mov_b64 s[10:11], 0
	s_orn2_b64 s[40:41], vcc, exec
.LBB129_237:                            ;   in Loop: Header=BB129_238 Depth=2
	s_and_b64 s[40:41], exec, s[40:41]
	s_or_b64 s[34:35], s[40:41], s[34:35]
	s_andn2_b64 s[40:41], s[86:87], exec
	s_and_b64 s[10:11], s[10:11], exec
	s_or_b64 s[86:87], s[40:41], s[10:11]
	s_andn2_b64 exec, exec, s[34:35]
	s_cbranch_execz .LBB129_242
.LBB129_238:                            ;   Parent Loop BB129_20 Depth=1
                                        ; =>  This Inner Loop Header: Depth=2
	v_cmp_gt_u32_e32 vcc, s36, v3
	s_and_saveexec_b64 s[40:41], vcc
	s_cbranch_execz .LBB129_235
; %bb.239:                              ;   in Loop: Header=BB129_238 Depth=2
	v_lshlrev_b64 v[12:13], 1, v[6:7]
	v_mov_b32_e32 v14, s44
	v_add_co_u32_e32 v12, vcc, s42, v12
	v_addc_co_u32_e32 v13, vcc, v14, v13, vcc
	global_load_ushort v12, v[12:13], off
	s_waitcnt vmcnt(0)
	v_cmp_lt_i16_e32 vcc, -1, v12
	v_cndmask_b32_e32 v13, v41, v42, vcc
	v_xor_b32_sdwa v13, v13, v12 dst_sel:DWORD dst_unused:UNUSED_PAD src0_sel:DWORD src1_sel:WORD_0
	v_cmp_o_f16_e32 vcc, v12, v12
	v_cndmask_b32_e32 v13, v41, v13, vcc
	v_and_b32_e32 v13, v13, v46
	v_cmp_eq_u32_e32 vcc, v13, v38
	s_and_b64 exec, exec, vcc
	s_cbranch_execz .LBB129_235
; %bb.240:                              ;   in Loop: Header=BB129_238 Depth=2
	v_perm_b32 v12, v12, s54, v44
	ds_write_b32 v7, v12 offset:3072
	s_branch .LBB129_235
.LBB129_241:                            ;   in Loop: Header=BB129_238 Depth=2
	s_mov_b64 s[40:41], -1
                                        ; implicit-def: $vgpr3
	s_mov_b64 s[10:11], -1
	s_branch .LBB129_237
.LBB129_242:                            ;   in Loop: Header=BB129_20 Depth=1
	s_or_b64 exec, exec, s[34:35]
	s_andn2_b64 s[10:11], s[92:93], exec
	s_and_b64 s[34:35], s[86:87], exec
	v_lshrrev_b32_e32 v47, 16, v12
	s_or_b64 s[92:93], s[10:11], s[34:35]
.LBB129_243:                            ;   in Loop: Header=BB129_20 Depth=1
	s_or_b64 exec, exec, s[84:85]
	s_mov_b64 s[84:85], 0
	s_mov_b64 s[86:87], -1
.LBB129_244:                            ;   in Loop: Header=BB129_20 Depth=1
	s_orn2_b64 s[34:35], s[92:93], exec
.LBB129_245:                            ;   in Loop: Header=BB129_20 Depth=1
	s_or_b64 exec, exec, s[90:91]
	s_mov_b64 s[10:11], 0
	s_and_saveexec_b64 s[90:91], s[34:35]
	s_cbranch_execz .LBB129_256
; %bb.246:                              ;   in Loop: Header=BB129_20 Depth=1
	s_xor_b64 s[10:11], s[88:89], -1
	v_mov_b32_e32 v2, 1
	v_mov_b32_e32 v3, 1
	s_and_saveexec_b64 s[34:35], s[10:11]
	s_cbranch_execz .LBB129_255
; %bb.247:                              ;   in Loop: Header=BB129_20 Depth=1
	v_cmp_ge_u32_e32 vcc, s55, v4
	s_and_saveexec_b64 s[10:11], vcc
	s_xor_b64 s[40:41], exec, s[10:11]
	s_cbranch_execz .LBB129_252
; %bb.248:                              ;   in Loop: Header=BB129_20 Depth=1
	v_or_b32_e32 v38, v38, v1
	v_or_b32_e32 v46, v46, v1
	ds_read_b32 v1, v7 offset:4104
	s_waitcnt lgkmcnt(0)
	v_cmp_ne_u32_e32 vcc, 0, v1
	s_cbranch_vccnz .LBB129_252
; %bb.249:                              ;   in Loop: Header=BB129_20 Depth=1
	s_and_saveexec_b64 s[10:11], s[2:3]
; %bb.250:                              ;   in Loop: Header=BB129_20 Depth=1
	v_mov_b32_e32 v1, s55
	ds_write_b32 v7, v1 offset:4108
; %bb.251:                              ;   in Loop: Header=BB129_20 Depth=1
	s_or_b64 exec, exec, s[10:11]
	s_waitcnt lgkmcnt(0)
	s_barrier
.LBB129_252:                            ;   in Loop: Header=BB129_20 Depth=1
	s_andn2_saveexec_b64 s[10:11], s[40:41]
; %bb.253:                              ;   in Loop: Header=BB129_20 Depth=1
	v_subrev_u32_e32 v4, s55, v4
; %bb.254:                              ;   in Loop: Header=BB129_20 Depth=1
	s_or_b64 exec, exec, s[10:11]
	v_mov_b32_e32 v2, 8
	v_mov_b32_e32 v3, v4
.LBB129_255:                            ;   in Loop: Header=BB129_20 Depth=1
	s_or_b64 exec, exec, s[34:35]
	s_mov_b64 s[10:11], exec
	v_mov_b32_e32 v4, v3
.LBB129_256:                            ;   in Loop: Header=BB129_20 Depth=1
	s_or_b64 exec, exec, s[90:91]
	s_orn2_b64 s[34:35], s[10:11], exec
.LBB129_257:                            ;   in Loop: Header=BB129_20 Depth=1
	s_or_b64 exec, exec, s[82:83]
	s_andn2_b64 s[10:11], s[78:79], exec
	s_and_b64 s[40:41], s[86:87], exec
	s_or_b64 s[78:79], s[10:11], s[40:41]
	s_andn2_b64 s[10:11], s[76:77], exec
	s_and_b64 s[40:41], s[84:85], exec
	s_or_b64 s[76:77], s[10:11], s[40:41]
	s_and_b64 s[40:41], s[34:35], exec
	v_mov_b32_e32 v12, v4
.LBB129_258:                            ;   in Loop: Header=BB129_20 Depth=1
	s_or_b64 exec, exec, s[80:81]
	s_orn2_b64 s[34:35], s[40:41], exec
.LBB129_259:                            ;   in Loop: Header=BB129_20 Depth=1
	s_or_b64 exec, exec, s[74:75]
	s_andn2_b64 s[10:11], s[30:31], exec
	s_and_b64 s[30:31], s[78:79], exec
	s_or_b64 s[30:31], s[10:11], s[30:31]
	s_andn2_b64 s[10:11], s[28:29], exec
	s_and_b64 s[28:29], s[76:77], exec
	s_or_b64 s[28:29], s[10:11], s[28:29]
	s_and_b64 s[40:41], s[34:35], exec
	v_mov_b32_e32 v4, v12
.LBB129_260:                            ;   in Loop: Header=BB129_20 Depth=1
	s_or_b64 exec, exec, s[72:73]
	s_orn2_b64 s[34:35], s[40:41], exec
.LBB129_261:                            ;   in Loop: Header=BB129_20 Depth=1
	s_or_b64 exec, exec, s[26:27]
	s_mov_b64 s[40:41], 0
                                        ; implicit-def: $sgpr72
	s_and_saveexec_b64 s[10:11], s[34:35]
	s_xor_b64 s[26:27], exec, s[10:11]
	s_cbranch_execz .LBB129_18
; %bb.262:                              ;   in Loop: Header=BB129_20 Depth=1
	v_and_b32_e32 v1, 7, v2
	v_cmp_eq_u32_e32 vcc, 0, v1
	s_mov_b64 s[22:23], -1
	s_mov_b64 s[10:11], -1
                                        ; implicit-def: $sgpr72
	s_and_saveexec_b64 s[34:35], vcc
	s_cbranch_execz .LBB129_17
; %bb.263:                              ;   in Loop: Header=BB129_20 Depth=1
	v_add_u32_e32 v1, -2, v45
	v_cmp_eq_u32_e32 vcc, 0, v45
	s_xor_b32 s72, s37, 1
	s_xor_b64 s[10:11], exec, -1
	s_orn2_b64 s[22:23], vcc, exec
	v_mov_b32_e32 v45, v1
	s_branch .LBB129_17
.LBB129_264:
	s_or_b64 exec, exec, s[58:59]
	s_xor_b64 s[8:9], s[64:65], -1
	s_xor_b64 s[0:1], s[60:61], -1
	;; [unrolled: 1-line block ×3, first 2 shown]
	s_mov_b64 s[4:5], 0
	s_and_saveexec_b64 s[2:3], s[0:1]
	s_xor_b64 s[2:3], exec, s[2:3]
	s_cbranch_execnz .LBB129_269
; %bb.265:
	s_andn2_saveexec_b64 s[0:1], s[2:3]
	s_cbranch_execnz .LBB129_282
.LBB129_266:
	s_or_b64 exec, exec, s[0:1]
	s_and_saveexec_b64 s[0:1], s[4:5]
.LBB129_267:
	; divergent unreachable
.LBB129_268:
	s_endpgm
.LBB129_269:
	s_and_saveexec_b64 s[0:1], s[8:9]
	s_xor_b64 s[4:5], exec, s[0:1]
	s_cbranch_execz .LBB129_280
; %bb.270:
	s_and_saveexec_b64 s[0:1], s[6:7]
	s_xor_b64 s[6:7], exec, s[0:1]
; %bb.271:
	v_and_b32_e32 v1, 0x8000, v38
	v_mov_b32_e32 v2, 0x8000
	v_mov_b32_e32 v3, 0xffff
	v_cmp_eq_u32_e32 vcc, 0, v1
	v_cndmask_b32_e32 v1, v2, v3, vcc
	v_xor_b32_e32 v47, v1, v38
; %bb.272:
	s_or_b64 exec, exec, s[6:7]
	v_readlane_b32 s8, v53, 8
	v_readlane_b32 s9, v53, 9
	s_mul_i32 s0, s9, s8
	v_readlane_b32 s7, v53, 12
	s_sub_i32 s0, s7, s0
	s_add_i32 s1, s9, 1
	s_sub_i32 s6, s0, s8
	s_cmp_ge_u32 s0, s8
	s_cselect_b32 s1, s1, s9
	s_cselect_b32 s0, s6, s0
	s_add_i32 s6, s1, 1
	s_cmp_ge_u32 s0, s8
	s_cselect_b32 s0, s6, s1
	s_mul_i32 s1, s0, s8
	s_sub_i32 s1, s7, s1
	v_readlane_b32 s6, v53, 4
	v_readlane_b32 s7, v53, 5
	s_mul_i32 s1, s1, s7
	s_mul_i32 s0, s0, s6
	s_add_i32 s0, s0, s1
	s_mov_b32 s1, 0
	s_lshl_b64 s[0:1], s[0:1], 1
	v_readlane_b32 s6, v53, 6
	v_readlane_b32 s7, v53, 7
	s_add_u32 s0, s6, s0
	s_addc_u32 s1, s7, s1
	v_mov_b32_e32 v6, 0
	global_store_short v6, v47, s[0:1]
	s_mov_b64 s[6:7], exec
	v_readlane_b32 s0, v53, 13
	v_readlane_b32 s1, v53, 14
	s_and_b64 s[0:1], s[6:7], s[0:1]
	s_mov_b64 exec, s[0:1]
	s_cbranch_execz .LBB129_279
; %bb.273:
	v_cmp_u_f16_e32 vcc, v47, v47
	s_mov_b64 s[8:9], 0
	v_mov_b32_e32 v2, s44
	s_xor_b64 s[12:13], vcc, -1
                                        ; implicit-def: $sgpr10_sgpr11
                                        ; implicit-def: $sgpr16_sgpr17
                                        ; implicit-def: $sgpr14_sgpr15
	s_branch .LBB129_275
.LBB129_274:                            ;   in Loop: Header=BB129_275 Depth=1
	s_or_b64 exec, exec, s[0:1]
	s_and_b64 s[0:1], exec, s[16:17]
	s_or_b64 s[8:9], s[0:1], s[8:9]
	s_andn2_b64 s[0:1], s[10:11], exec
	s_and_b64 s[10:11], s[14:15], exec
	s_or_b64 s[10:11], s[0:1], s[10:11]
	s_andn2_b64 exec, exec, s[8:9]
	s_cbranch_execz .LBB129_277
.LBB129_275:                            ; =>This Inner Loop Header: Depth=1
	v_lshlrev_b64 v[3:4], 1, v[5:6]
	v_mov_b32_e32 v1, v0
	v_add_co_u32_e32 v3, vcc, s42, v3
	v_addc_co_u32_e32 v4, vcc, v2, v4, vcc
	global_load_ushort v3, v[3:4], off
	s_or_b64 s[14:15], s[14:15], exec
	s_or_b64 s[16:17], s[16:17], exec
                                        ; implicit-def: $vgpr0
	s_waitcnt vmcnt(0)
	v_cmp_o_f16_e64 s[0:1], v3, v3
	v_cmp_neq_f16_e32 vcc, v3, v47
	s_or_b64 s[0:1], s[12:13], s[0:1]
	s_and_b64 s[18:19], vcc, s[0:1]
	s_and_saveexec_b64 s[0:1], s[18:19]
	s_cbranch_execz .LBB129_274
; %bb.276:                              ;   in Loop: Header=BB129_275 Depth=1
	v_add_u32_e32 v0, s39, v1
	v_cmp_le_u32_e32 vcc, s36, v0
	s_andn2_b64 s[16:17], s[16:17], exec
	s_and_b64 s[18:19], vcc, exec
	v_add_u32_e32 v5, s45, v5
	s_andn2_b64 s[14:15], s[14:15], exec
	s_or_b64 s[16:17], s[16:17], s[18:19]
	s_branch .LBB129_274
.LBB129_277:
	s_or_b64 exec, exec, s[8:9]
	s_and_saveexec_b64 s[0:1], s[10:11]
	s_xor_b64 s[0:1], exec, s[0:1]
	s_cbranch_execz .LBB129_279
; %bb.278:
	v_readlane_b32 s10, v53, 10
	v_readlane_b32 s11, v53, 11
	s_mul_i32 s0, s11, s10
	v_readlane_b32 s9, v53, 12
	s_sub_i32 s0, s9, s0
	s_add_i32 s1, s11, 1
	s_sub_i32 s8, s0, s10
	s_cmp_ge_u32 s0, s10
	s_cselect_b32 s1, s1, s11
	s_cselect_b32 s0, s8, s0
	s_add_i32 s8, s1, 1
	s_cmp_ge_u32 s0, s10
	s_cselect_b32 s0, s8, s1
	s_mul_i32 s1, s0, s10
	s_sub_i32 s1, s9, s1
	v_readlane_b32 s8, v53, 0
	v_readlane_b32 s9, v53, 1
	s_mul_i32 s1, s1, s9
	s_mul_i32 s0, s0, s8
	s_add_i32 s0, s0, s1
	s_mov_b32 s1, 0
	s_lshl_b64 s[0:1], s[0:1], 3
	v_readlane_b32 s8, v53, 2
	v_readlane_b32 s9, v53, 3
	s_add_u32 s0, s8, s0
	s_addc_u32 s1, s9, s1
	v_mov_b32_e32 v2, 0
	global_store_dwordx2 v2, v[1:2], s[0:1]
.LBB129_279:
	s_or_b64 exec, exec, s[6:7]
.LBB129_280:
	s_or_saveexec_b64 s[0:1], s[4:5]
	s_mov_b64 s[4:5], 0
	s_xor_b64 exec, exec, s[0:1]
	s_cbranch_execnz .LBB129_283
.LBB129_281:
	s_or_b64 exec, exec, s[0:1]
	s_and_b64 s[4:5], s[4:5], exec
	s_andn2_saveexec_b64 s[0:1], s[2:3]
	s_cbranch_execz .LBB129_266
.LBB129_282:
	s_or_b64 s[4:5], s[4:5], exec
	s_trap 2
	s_or_b64 exec, exec, s[0:1]
	s_and_saveexec_b64 s[0:1], s[4:5]
	s_cbranch_execnz .LBB129_267
	s_branch .LBB129_268
.LBB129_283:
	s_mov_b64 s[4:5], exec
	s_trap 2
	s_branch .LBB129_281
	.section	.rodata,"a",@progbits
	.p2align	6, 0x0
	.amdhsa_kernel _ZN2at6native12_GLOBAL__N_112gatherMedianIN3c104HalfEjLi2EEEvNS_4cuda6detail10TensorInfoIT_T0_EENS7_IlS9_EENS7_IKS8_S9_EES9_S9_S9_b
		.amdhsa_group_segment_fixed_size 4120
		.amdhsa_private_segment_fixed_size 0
		.amdhsa_kernarg_size 920
		.amdhsa_user_sgpr_count 6
		.amdhsa_user_sgpr_private_segment_buffer 1
		.amdhsa_user_sgpr_dispatch_ptr 0
		.amdhsa_user_sgpr_queue_ptr 0
		.amdhsa_user_sgpr_kernarg_segment_ptr 1
		.amdhsa_user_sgpr_dispatch_id 0
		.amdhsa_user_sgpr_flat_scratch_init 0
		.amdhsa_user_sgpr_private_segment_size 0
		.amdhsa_uses_dynamic_stack 0
		.amdhsa_system_sgpr_private_segment_wavefront_offset 0
		.amdhsa_system_sgpr_workgroup_id_x 1
		.amdhsa_system_sgpr_workgroup_id_y 1
		.amdhsa_system_sgpr_workgroup_id_z 1
		.amdhsa_system_sgpr_workgroup_info 0
		.amdhsa_system_vgpr_workitem_id 0
		.amdhsa_next_free_vgpr 54
		.amdhsa_next_free_sgpr 96
		.amdhsa_reserve_vcc 1
		.amdhsa_reserve_flat_scratch 0
		.amdhsa_float_round_mode_32 0
		.amdhsa_float_round_mode_16_64 0
		.amdhsa_float_denorm_mode_32 3
		.amdhsa_float_denorm_mode_16_64 3
		.amdhsa_dx10_clamp 1
		.amdhsa_ieee_mode 1
		.amdhsa_fp16_overflow 0
		.amdhsa_exception_fp_ieee_invalid_op 0
		.amdhsa_exception_fp_denorm_src 0
		.amdhsa_exception_fp_ieee_div_zero 0
		.amdhsa_exception_fp_ieee_overflow 0
		.amdhsa_exception_fp_ieee_underflow 0
		.amdhsa_exception_fp_ieee_inexact 0
		.amdhsa_exception_int_div_zero 0
	.end_amdhsa_kernel
	.section	.text._ZN2at6native12_GLOBAL__N_112gatherMedianIN3c104HalfEjLi2EEEvNS_4cuda6detail10TensorInfoIT_T0_EENS7_IlS9_EENS7_IKS8_S9_EES9_S9_S9_b,"axG",@progbits,_ZN2at6native12_GLOBAL__N_112gatherMedianIN3c104HalfEjLi2EEEvNS_4cuda6detail10TensorInfoIT_T0_EENS7_IlS9_EENS7_IKS8_S9_EES9_S9_S9_b,comdat
.Lfunc_end129:
	.size	_ZN2at6native12_GLOBAL__N_112gatherMedianIN3c104HalfEjLi2EEEvNS_4cuda6detail10TensorInfoIT_T0_EENS7_IlS9_EENS7_IKS8_S9_EES9_S9_S9_b, .Lfunc_end129-_ZN2at6native12_GLOBAL__N_112gatherMedianIN3c104HalfEjLi2EEEvNS_4cuda6detail10TensorInfoIT_T0_EENS7_IlS9_EENS7_IKS8_S9_EES9_S9_S9_b
                                        ; -- End function
	.set _ZN2at6native12_GLOBAL__N_112gatherMedianIN3c104HalfEjLi2EEEvNS_4cuda6detail10TensorInfoIT_T0_EENS7_IlS9_EENS7_IKS8_S9_EES9_S9_S9_b.num_vgpr, 54
	.set _ZN2at6native12_GLOBAL__N_112gatherMedianIN3c104HalfEjLi2EEEvNS_4cuda6detail10TensorInfoIT_T0_EENS7_IlS9_EENS7_IKS8_S9_EES9_S9_S9_b.num_agpr, 0
	.set _ZN2at6native12_GLOBAL__N_112gatherMedianIN3c104HalfEjLi2EEEvNS_4cuda6detail10TensorInfoIT_T0_EENS7_IlS9_EENS7_IKS8_S9_EES9_S9_S9_b.numbered_sgpr, 96
	.set _ZN2at6native12_GLOBAL__N_112gatherMedianIN3c104HalfEjLi2EEEvNS_4cuda6detail10TensorInfoIT_T0_EENS7_IlS9_EENS7_IKS8_S9_EES9_S9_S9_b.num_named_barrier, 0
	.set _ZN2at6native12_GLOBAL__N_112gatherMedianIN3c104HalfEjLi2EEEvNS_4cuda6detail10TensorInfoIT_T0_EENS7_IlS9_EENS7_IKS8_S9_EES9_S9_S9_b.private_seg_size, 0
	.set _ZN2at6native12_GLOBAL__N_112gatherMedianIN3c104HalfEjLi2EEEvNS_4cuda6detail10TensorInfoIT_T0_EENS7_IlS9_EENS7_IKS8_S9_EES9_S9_S9_b.uses_vcc, 1
	.set _ZN2at6native12_GLOBAL__N_112gatherMedianIN3c104HalfEjLi2EEEvNS_4cuda6detail10TensorInfoIT_T0_EENS7_IlS9_EENS7_IKS8_S9_EES9_S9_S9_b.uses_flat_scratch, 0
	.set _ZN2at6native12_GLOBAL__N_112gatherMedianIN3c104HalfEjLi2EEEvNS_4cuda6detail10TensorInfoIT_T0_EENS7_IlS9_EENS7_IKS8_S9_EES9_S9_S9_b.has_dyn_sized_stack, 0
	.set _ZN2at6native12_GLOBAL__N_112gatherMedianIN3c104HalfEjLi2EEEvNS_4cuda6detail10TensorInfoIT_T0_EENS7_IlS9_EENS7_IKS8_S9_EES9_S9_S9_b.has_recursion, 0
	.set _ZN2at6native12_GLOBAL__N_112gatherMedianIN3c104HalfEjLi2EEEvNS_4cuda6detail10TensorInfoIT_T0_EENS7_IlS9_EENS7_IKS8_S9_EES9_S9_S9_b.has_indirect_call, 0
	.section	.AMDGPU.csdata,"",@progbits
; Kernel info:
; codeLenInByte = 11144
; TotalNumSgprs: 100
; NumVgprs: 54
; ScratchSize: 0
; MemoryBound: 0
; FloatMode: 240
; IeeeMode: 1
; LDSByteSize: 4120 bytes/workgroup (compile time only)
; SGPRBlocks: 12
; VGPRBlocks: 13
; NumSGPRsForWavesPerEU: 100
; NumVGPRsForWavesPerEU: 54
; Occupancy: 4
; WaveLimiterHint : 1
; COMPUTE_PGM_RSRC2:SCRATCH_EN: 0
; COMPUTE_PGM_RSRC2:USER_SGPR: 6
; COMPUTE_PGM_RSRC2:TRAP_HANDLER: 0
; COMPUTE_PGM_RSRC2:TGID_X_EN: 1
; COMPUTE_PGM_RSRC2:TGID_Y_EN: 1
; COMPUTE_PGM_RSRC2:TGID_Z_EN: 1
; COMPUTE_PGM_RSRC2:TIDIG_COMP_CNT: 0
	.section	.text._ZN2at6native12_GLOBAL__N_112gatherMedianIN3c104HalfEjLi3EEEvNS_4cuda6detail10TensorInfoIT_T0_EENS7_IlS9_EENS7_IKS8_S9_EES9_S9_S9_b,"axG",@progbits,_ZN2at6native12_GLOBAL__N_112gatherMedianIN3c104HalfEjLi3EEEvNS_4cuda6detail10TensorInfoIT_T0_EENS7_IlS9_EENS7_IKS8_S9_EES9_S9_S9_b,comdat
	.globl	_ZN2at6native12_GLOBAL__N_112gatherMedianIN3c104HalfEjLi3EEEvNS_4cuda6detail10TensorInfoIT_T0_EENS7_IlS9_EENS7_IKS8_S9_EES9_S9_S9_b ; -- Begin function _ZN2at6native12_GLOBAL__N_112gatherMedianIN3c104HalfEjLi3EEEvNS_4cuda6detail10TensorInfoIT_T0_EENS7_IlS9_EENS7_IKS8_S9_EES9_S9_S9_b
	.p2align	8
	.type	_ZN2at6native12_GLOBAL__N_112gatherMedianIN3c104HalfEjLi3EEEvNS_4cuda6detail10TensorInfoIT_T0_EENS7_IlS9_EENS7_IKS8_S9_EES9_S9_S9_b,@function
_ZN2at6native12_GLOBAL__N_112gatherMedianIN3c104HalfEjLi3EEEvNS_4cuda6detail10TensorInfoIT_T0_EENS7_IlS9_EENS7_IKS8_S9_EES9_S9_S9_b: ; @_ZN2at6native12_GLOBAL__N_112gatherMedianIN3c104HalfEjLi3EEEvNS_4cuda6detail10TensorInfoIT_T0_EENS7_IlS9_EENS7_IKS8_S9_EES9_S9_S9_b
; %bb.0:
	s_load_dwordx2 s[12:13], s[4:5], 0x298
	s_load_dwordx4 s[36:39], s[4:5], 0x288
	s_add_u32 s10, s4, 0x298
	s_addc_u32 s11, s5, 0
	s_waitcnt lgkmcnt(0)
	s_mul_i32 s0, s13, s8
	s_add_i32 s0, s0, s7
	s_mul_i32 s0, s0, s12
	s_add_i32 s16, s0, s6
	s_cmp_ge_u32 s16, s37
	s_cbranch_scc1 .LBB130_268
; %bb.1:
	s_load_dwordx2 s[24:25], s[4:5], 0xc
	s_load_dwordx2 s[0:1], s[4:5], 0x0
	;; [unrolled: 1-line block ×4, first 2 shown]
	s_load_dwordx4 s[20:23], s[4:5], 0x144
                                        ; implicit-def: $vgpr53 : SGPR spill to VGPR lane
	s_load_dwordx2 s[18:19], s[4:5], 0xd8
	s_load_dwordx4 s[28:31], s[4:5], 0x6c
	s_waitcnt lgkmcnt(0)
	v_cvt_f32_u32_e32 v1, s25
	v_writelane_b32 v53, s0, 0
	v_writelane_b32 v53, s1, 1
	v_writelane_b32 v53, s20, 2
	v_rcp_iflag_f32_e32 v1, v1
	v_cvt_f32_u32_e32 v2, s24
	v_writelane_b32 v53, s21, 3
	v_writelane_b32 v53, s22, 4
	v_mul_f32_e32 v1, 0x4f7ffffe, v1
	v_cvt_u32_f32_e32 v1, v1
	s_load_dwordx4 s[0:3], s[4:5], 0x21c
	v_writelane_b32 v53, s23, 5
	s_load_dwordx2 s[20:21], s[4:5], 0xe4
	v_rcp_iflag_f32_e32 v2, v2
                                        ; kill: killed $sgpr4 killed $sgpr5
	s_sub_i32 s4, 0, s25
	v_readfirstlane_b32 s5, v1
	s_mul_i32 s4, s4, s5
	s_mul_hi_u32 s4, s5, s4
	s_add_i32 s5, s5, s4
	v_mul_f32_e32 v1, 0x4f7ffffe, v2
	s_waitcnt lgkmcnt(0)
	v_cvt_f32_u32_e32 v2, s21
	s_mul_hi_u32 s4, s16, s5
	s_mul_i32 s5, s4, s25
	v_writelane_b32 v53, s18, 6
	s_sub_i32 s5, s16, s5
	v_writelane_b32 v53, s19, 7
	s_add_i32 s7, s4, 1
	s_sub_i32 s13, s5, s25
	v_cvt_u32_f32_e32 v1, v1
	v_rcp_iflag_f32_e32 v2, v2
	v_writelane_b32 v53, s28, 8
	s_cmp_ge_u32 s5, s25
	v_writelane_b32 v53, s29, 9
	s_cselect_b32 s4, s7, s4
	v_writelane_b32 v53, s30, 10
	s_cselect_b32 s5, s13, s5
	s_add_i32 s7, s4, 1
	v_writelane_b32 v53, s31, 11
	s_cmp_ge_u32 s5, s25
	v_readfirstlane_b32 s5, v1
	v_mul_f32_e32 v1, 0x4f7ffffe, v2
	s_cselect_b32 s7, s7, s4
	v_writelane_b32 v53, s24, 12
	s_sub_i32 s4, 0, s24
	v_cvt_u32_f32_e32 v1, v1
	s_mul_i32 s4, s4, s5
	s_mul_hi_u32 s4, s5, s4
	v_writelane_b32 v53, s25, 13
	s_add_i32 s5, s5, s4
	v_writelane_b32 v53, s7, 14
	s_mul_hi_u32 s4, s7, s5
	v_readfirstlane_b32 s5, v1
	v_cvt_f32_u32_e32 v1, s20
	v_writelane_b32 v53, s4, 15
	s_sub_i32 s4, 0, s21
	s_mul_i32 s4, s4, s5
	s_mul_hi_u32 s4, s5, s4
	s_add_i32 s5, s5, s4
	v_rcp_iflag_f32_e32 v1, v1
	s_mul_hi_u32 s4, s16, s5
	v_cvt_f32_u32_e32 v2, s15
	s_mul_i32 s5, s4, s21
	s_sub_i32 s5, s16, s5
	s_add_i32 s7, s4, 1
	s_sub_i32 s13, s5, s21
	v_mul_f32_e32 v1, 0x4f7ffffe, v1
	s_cmp_ge_u32 s5, s21
	v_cvt_u32_f32_e32 v1, v1
	v_rcp_iflag_f32_e32 v2, v2
	s_cselect_b32 s4, s7, s4
	s_cselect_b32 s5, s13, s5
	s_add_i32 s7, s4, 1
	s_cmp_ge_u32 s5, s21
	s_cselect_b32 s7, s7, s4
	v_writelane_b32 v53, s20, 16
	s_sub_i32 s4, 0, s20
	v_readfirstlane_b32 s5, v1
	v_mul_f32_e32 v1, 0x4f7ffffe, v2
	s_mul_i32 s4, s4, s5
	v_cvt_u32_f32_e32 v1, v1
	s_mul_hi_u32 s4, s5, s4
	v_writelane_b32 v53, s21, 17
	s_add_i32 s5, s5, s4
	v_writelane_b32 v53, s7, 18
	s_mul_hi_u32 s4, s7, s5
	v_writelane_b32 v53, s4, 19
	s_sub_i32 s4, 0, s15
	v_readfirstlane_b32 s5, v1
	s_mul_i32 s4, s4, s5
	s_mul_hi_u32 s4, s5, s4
	v_cvt_f32_u32_e32 v1, s14
	s_add_i32 s5, s5, s4
	s_mul_hi_u32 s4, s16, s5
	s_mul_i32 s5, s4, s15
	s_sub_i32 s5, s16, s5
	v_rcp_iflag_f32_e32 v1, v1
	s_add_i32 s7, s4, 1
	s_sub_i32 s13, s5, s15
	s_cmp_ge_u32 s5, s15
	s_cselect_b32 s4, s7, s4
	s_cselect_b32 s5, s13, s5
	s_add_i32 s7, s4, 1
	v_mul_f32_e32 v1, 0x4f7ffffe, v1
	s_cmp_ge_u32 s5, s15
	v_cvt_u32_f32_e32 v1, v1
	s_cselect_b32 s4, s7, s4
	s_mul_i32 s5, s4, s15
	s_sub_i32 s5, s16, s5
	s_mul_i32 s5, s5, s2
	s_sub_i32 s2, 0, s14
	v_readfirstlane_b32 s7, v1
	s_mul_i32 s2, s2, s7
	s_mul_hi_u32 s2, s7, s2
	s_add_i32 s7, s7, s2
	s_mul_hi_u32 s2, s4, s7
	s_mul_i32 s7, s2, s14
	s_sub_i32 s7, s4, s7
	s_add_i32 s13, s2, 1
	s_sub_i32 s15, s7, s14
	s_cmp_ge_u32 s7, s14
	s_cselect_b32 s2, s13, s2
	s_cselect_b32 s7, s15, s7
	s_add_i32 s13, s2, 1
	s_cmp_ge_u32 s7, s14
	s_cselect_b32 s2, s13, s2
	s_mul_i32 s7, s2, s14
	s_sub_i32 s4, s4, s7
	s_mul_i32 s1, s4, s1
	s_add_i32 s1, s1, s5
	s_mul_i32 s2, s2, s0
	s_mov_b32 s3, 0
	s_add_i32 s2, s1, s2
	s_lshl_b64 s[0:1], s[2:3], 1
	s_add_u32 s44, s8, s0
	s_addc_u32 s46, s9, s1
	v_mov_b32_e32 v3, 0
	v_writelane_b32 v53, s16, 20
	v_cmp_gt_u32_e64 s[0:1], s36, v0
	s_mov_b64 s[2:3], exec
	v_writelane_b32 v53, s0, 21
	v_writelane_b32 v53, s1, 22
	s_and_b64 s[0:1], s[2:3], s[0:1]
	s_mov_b64 exec, s[0:1]
	s_cbranch_execz .LBB130_5
; %bb.2:
	s_load_dword s0, s[10:11], 0xc
	v_mul_lo_u32 v1, v0, s38
	v_mov_b32_e32 v2, 0
	s_mov_b64 s[4:5], 0
	v_mov_b32_e32 v4, s46
	s_waitcnt lgkmcnt(0)
	s_and_b32 s0, s0, 0xffff
	s_mul_i32 s1, s38, s0
	v_mov_b32_e32 v3, v2
	v_mov_b32_e32 v5, v0
.LBB130_3:                              ; =>This Inner Loop Header: Depth=1
	v_lshlrev_b64 v[6:7], 1, v[1:2]
	v_add_u32_e32 v5, s0, v5
	v_add_co_u32_e32 v6, vcc, s44, v6
	v_addc_co_u32_e32 v7, vcc, v4, v7, vcc
	global_load_ushort v6, v[6:7], off
	v_cmp_le_u32_e32 vcc, s36, v5
	s_or_b64 s[4:5], vcc, s[4:5]
	v_add_u32_e32 v1, s1, v1
	s_waitcnt vmcnt(0)
	v_cmp_u_f16_e32 vcc, v6, v6
	v_addc_co_u32_e32 v3, vcc, 0, v3, vcc
	s_andn2_b64 exec, exec, s[4:5]
	s_cbranch_execnz .LBB130_3
; %bb.4:
	s_or_b64 exec, exec, s[4:5]
.LBB130_5:
	s_or_b64 exec, exec, s[2:3]
	v_cmp_eq_u32_e64 s[2:3], 0, v0
	s_and_saveexec_b64 s[4:5], s[2:3]
; %bb.6:
	v_mov_b32_e32 v1, 0
	v_mov_b32_e32 v2, v1
	ds_write_b64 v1, v[1:2] offset:4096
; %bb.7:
	s_or_b64 exec, exec, s[4:5]
	v_cmp_ne_u32_e32 vcc, 0, v3
	s_waitcnt lgkmcnt(0)
	s_barrier
	s_and_saveexec_b64 s[4:5], vcc
	s_cbranch_execz .LBB130_12
; %bb.8:
	s_mov_b64 s[14:15], exec
	v_mov_b32_e32 v1, 0
	s_mov_b64 s[8:9], 0
.LBB130_9:                              ; =>This Inner Loop Header: Depth=1
	s_ff1_i32_b64 s0, s[14:15]
	v_readlane_b32 s7, v3, s0
	v_readlane_b32 s1, v1, s0
	s_add_u32 s8, s8, s7
	s_addc_u32 s9, s9, s1
	s_lshl_b64 s[0:1], 1, s0
	s_andn2_b64 s[14:15], s[14:15], s[0:1]
	s_cmp_lg_u64 s[14:15], 0
	s_cbranch_scc1 .LBB130_9
; %bb.10:
	v_mbcnt_lo_u32_b32 v1, exec_lo, 0
	v_mbcnt_hi_u32_b32 v1, exec_hi, v1
	v_cmp_eq_u32_e32 vcc, 0, v1
	s_and_saveexec_b64 s[0:1], vcc
	s_xor_b64 s[0:1], exec, s[0:1]
; %bb.11:
	v_mov_b32_e32 v1, s8
	v_mov_b32_e32 v3, 0
	;; [unrolled: 1-line block ×3, first 2 shown]
	ds_add_u64 v3, v[1:2] offset:4096
.LBB130_12:
	s_or_b64 exec, exec, s[4:5]
	v_mov_b32_e32 v1, 0
	s_waitcnt lgkmcnt(0)
	s_barrier
	ds_read_b64 v[1:2], v1 offset:4096
	s_bitcmp1_b32 s39, 0
	s_cselect_b64 s[8:9], -1, 0
	s_mov_b32 s7, s36
	s_waitcnt lgkmcnt(0)
	v_readfirstlane_b32 s4, v1
	v_readfirstlane_b32 s5, v2
	v_cmp_lt_i64_e64 s[0:1], s[4:5], 1
	s_or_b64 s[0:1], s[8:9], s[0:1]
	s_andn2_b64 vcc, exec, s[0:1]
	s_cbranch_vccnz .LBB130_14
; %bb.13:
	s_not_b64 s[0:1], s[4:5]
	s_add_u32 s0, s0, s36
	s_addc_u32 s1, s1, 0
	s_lshr_b32 s4, s1, 31
	s_add_u32 s0, s0, s4
	s_addc_u32 s1, s1, 0
	s_lshr_b64 s[0:1], s[0:1], 1
	s_add_i32 s7, s0, 1
.LBB130_14:
	s_and_saveexec_b64 s[4:5], s[2:3]
	s_cbranch_execz .LBB130_16
; %bb.15:
	v_mov_b32_e32 v1, 0
	v_mov_b32_e32 v2, s36
	ds_write_b32 v1, v1 offset:4112
	ds_write_b64 v1, v[1:2] offset:4104
.LBB130_16:
	s_or_b64 exec, exec, s[4:5]
	s_waitcnt lgkmcnt(0)
	s_barrier
	s_load_dword s0, s[10:11], 0xc
	v_mul_lo_u32 v5, s38, v0
	v_mbcnt_lo_u32_b32 v1, -1, 0
	v_mov_b32_e32 v7, 0
	v_mbcnt_hi_u32_b32 v21, -1, v1
	v_mov_b32_e32 v6, v7
	s_waitcnt lgkmcnt(0)
	s_and_b32 s39, s0, 0xffff
	v_cmp_gt_u32_e32 vcc, 64, v0
	v_cmp_gt_i32_e64 s[8:9], 4, v21
	v_lshlrev_b64 v[1:2], 1, v[5:6]
	s_and_b64 s[52:53], vcc, s[8:9]
	s_add_i32 s8, s39, -1
	s_lshl_b32 s37, s39, 2
	s_bfe_u32 s0, s0, 0xa0006
	s_add_i32 s13, s8, s36
	v_mov_b32_e32 v3, s46
	v_add_co_u32_e32 v8, vcc, s44, v1
	s_cmpk_gt_u32 s36, 0x600
	v_addc_co_u32_e32 v9, vcc, v3, v2, vcc
	v_lshlrev_b64 v[2:3], v21, -1
	s_cselect_b64 s[54:55], -1, 0
	s_cmp_gt_u32 s39, 63
	s_cselect_b64 s[56:57], -1, 0
	v_not_b32_e32 v26, v2
	v_lshrrev_b32_e32 v2, 2, v0
	s_cmp_lt_u32 s6, s12
	v_and_b32_e32 v2, 0xf0, v2
	s_cselect_b32 s6, 12, 18
	v_or_b32_e32 v27, 0xc00, v2
	s_add_u32 s10, s10, s6
	v_add_u32_e32 v2, 2, v0
	s_addc_u32 s11, s11, 0
	v_max_u32_e32 v2, s36, v2
	v_writelane_b32 v53, s10, 23
	v_xad_u32 v2, v0, -1, v2
	v_not_b32_e32 v25, v3
	v_writelane_b32 v53, s11, 24
	v_add_u32_e32 v3, -2, v2
	v_cmp_lt_u32_e64 s[10:11], 31, v2
	v_lshrrev_b32_e32 v4, 1, v3
	v_writelane_b32 v53, s10, 25
	v_add_u32_e32 v4, 1, v4
	v_writelane_b32 v53, s11, 26
	v_cmp_lt_u32_e64 s[10:11], 13, v3
	v_and_b32_e32 v12, 7, v4
	v_writelane_b32 v53, s10, 27
	v_writelane_b32 v53, s11, 28
	v_cmp_ne_u32_e64 s[10:11], 0, v12
	v_and_b32_e32 v28, -2, v2
	v_writelane_b32 v53, s10, 29
	v_writelane_b32 v53, s11, 30
	v_cmp_ne_u32_e64 s[10:11], v2, v28
	v_cvt_f32_u32_e32 v2, s37
	v_writelane_b32 v53, s10, 31
	s_add_i32 s6, s0, -1
	v_writelane_b32 v53, s11, 32
	v_rcp_iflag_f32_e32 v2, v2
	s_bfe_u32 s10, s39, 0x30006
	s_and_b32 s6, s6, 0xffff
	s_cmp_gt_u32 s6, 6
	v_mul_f32_e32 v2, 0x4f7ffffe, v2
	v_cvt_u32_f32_e32 v2, v2
	s_cselect_b64 s[14:15], -1, 0
	v_writelane_b32 v53, s14, 33
	s_and_b32 s47, s0, 0x3f8
	v_writelane_b32 v53, s15, 34
	s_cmp_lg_u32 s10, 0
	v_writelane_b32 v53, s10, 35
	s_cselect_b64 s[10:11], -1, 0
	s_sub_i32 s0, 0, s37
	v_readfirstlane_b32 s6, v2
	v_cvt_f32_u32_e32 v2, s39
	s_mul_i32 s0, s0, s6
	s_mul_hi_u32 s0, s6, s0
	s_add_i32 s0, s6, s0
	v_and_b32_e32 v30, -8, v4
	s_mul_hi_u32 s6, s36, s0
	v_rcp_iflag_f32_e32 v4, v2
	s_mul_i32 s6, s6, s37
	v_writelane_b32 v53, s10, 36
	s_sub_i32 s6, s36, s6
	v_writelane_b32 v53, s11, 37
	s_sub_i32 s10, s6, s37
	s_cmp_ge_u32 s6, s37
	v_mul_f32_e32 v4, 0x4f7ffffe, v4
	s_cselect_b32 s6, s10, s6
	v_cvt_u32_f32_e32 v4, v4
	s_sub_i32 s10, s6, s37
	s_cmp_ge_u32 s6, s37
	s_cselect_b32 s6, s10, s6
	s_sub_i32 s34, s36, s6
	s_sub_i32 s10, 0, s39
	v_readfirstlane_b32 s11, v4
	v_add_u32_e32 v31, s34, v0
	s_mul_i32 s10, s10, s11
	v_mul_lo_u32 v6, v31, s38
	s_mul_hi_u32 s10, s11, s10
	s_add_i32 s35, s11, s10
	s_mul_hi_u32 s10, s13, s35
	s_mul_i32 s10, s10, s39
	v_lshlrev_b64 v[2:3], 1, v[6:7]
	s_sub_i32 s10, s13, s10
	v_lshlrev_b32_e32 v20, 2, v0
	s_sub_i32 s11, s10, s39
	v_add_co_u32_e32 v10, vcc, s44, v2
	s_cmp_ge_u32 s10, s39
	v_mul_lo_u32 v2, s38, v20
	s_cselect_b32 s10, s11, s10
	s_sub_i32 s11, s10, s39
	s_cmp_ge_u32 s10, s39
	s_cselect_b32 s10, s11, s10
	v_add_u32_e32 v33, s38, v2
	v_or_b32_e32 v2, 2, v20
	s_sub_i32 s58, s13, s10
	v_mul_lo_u32 v34, s38, v2
	v_or_b32_e32 v2, 3, v20
	s_add_i32 s10, s39, s36
	v_mul_lo_u32 v35, s38, v2
	v_add_u32_e32 v2, s10, v0
	v_subrev_u32_e32 v2, s6, v2
	v_mul_lo_u32 v37, s38, v2
	v_lshlrev_b32_e32 v22, 1, v0
	v_lshlrev_b32_e32 v1, 2, v21
	v_mov_b32_e32 v6, s46
	s_mul_i32 s45, s38, s39
	s_mov_b32 s1, 0
	v_cmp_eq_u32_e64 s[4:5], 0, v21
	v_cmp_gt_u32_e64 s[24:25], 2, v0
	v_add_u32_e32 v23, 0xc00, v22
	v_and_b32_e32 v24, 0x100, v1
	v_add_u32_e32 v29, v0, v28
	s_mov_b32 s9, s38
	v_cmp_gt_u32_e64 s[16:17], s34, v20
	v_cmp_gt_u32_e64 s[18:19], s36, v31
	v_addc_co_u32_e32 v11, vcc, v6, v3, vcc
	v_cmp_gt_u32_e64 s[20:21], s58, v0
	v_lshlrev_b32_e32 v32, 2, v12
	s_lshl_b32 s59, s45, 2
	v_lshlrev_b32_e32 v36, 2, v5
	s_lshl_b32 s60, s39, 3
	s_lshl_b32 s61, s39, 1
	v_or_b32_e32 v39, 0xc00, v1
	s_mov_b64 s[64:65], 0
	s_mov_b32 s62, 0x5040100
	s_movk_i32 s63, 0x3c00
	v_lshlrev_b32_e32 v40, 3, v0
	v_mov_b32_e32 v45, 14
	v_mov_b32_e32 v48, s7
	;; [unrolled: 1-line block ×4, first 2 shown]
	v_mov_b32_e32 v43, -1
	v_mov_b32_e32 v44, 0x5040100
	v_mov_b32_e32 v47, 0
	;; [unrolled: 1-line block ×4, first 2 shown]
                                        ; implicit-def: $sgpr66_sgpr67
                                        ; implicit-def: $sgpr70_sgpr71
                                        ; implicit-def: $sgpr68_sgpr69
                                        ; implicit-def: $sgpr74_sgpr75
                                        ; implicit-def: $sgpr76_sgpr77
                                        ; implicit-def: $sgpr72_sgpr73
	s_branch .LBB130_20
.LBB130_17:                             ;   in Loop: Header=BB130_20 Depth=1
	s_or_b64 exec, exec, s[22:23]
	s_and_b64 s[12:13], s[12:13], exec
	s_andn2_b64 s[78:79], s[78:79], exec
	s_andn2_b64 s[28:29], s[28:29], exec
	s_orn2_b64 s[22:23], s[14:15], exec
.LBB130_18:                             ;   in Loop: Header=BB130_20 Depth=1
	s_or_b64 exec, exec, s[10:11]
	s_andn2_b64 s[10:11], s[72:73], exec
	s_and_b64 s[12:13], s[12:13], exec
	s_or_b64 s[72:73], s[10:11], s[12:13]
	s_andn2_b64 s[10:11], s[76:77], exec
	s_and_b64 s[12:13], s[78:79], exec
	s_or_b64 s[76:77], s[10:11], s[12:13]
	;; [unrolled: 3-line block ×3, first 2 shown]
	s_orn2_b64 s[22:23], s[22:23], exec
.LBB130_19:                             ;   in Loop: Header=BB130_20 Depth=1
	s_or_b64 exec, exec, s[6:7]
	s_and_b64 s[6:7], exec, s[22:23]
	s_or_b64 s[64:65], s[6:7], s[64:65]
	s_andn2_b64 s[6:7], s[68:69], exec
	s_and_b64 s[10:11], s[72:73], exec
	s_or_b64 s[68:69], s[6:7], s[10:11]
	s_andn2_b64 s[6:7], s[70:71], exec
	s_and_b64 s[10:11], s[76:77], exec
	;; [unrolled: 3-line block ×3, first 2 shown]
	s_or_b64 s[66:67], s[6:7], s[10:11]
	s_mov_b32 s1, s40
	v_mov_b32_e32 v48, v4
	s_andn2_b64 exec, exec, s[64:65]
	s_cbranch_execz .LBB130_264
.LBB130_20:                             ; =>This Loop Header: Depth=1
                                        ;     Child Loop BB130_25 Depth 2
                                        ;     Child Loop BB130_46 Depth 2
	;; [unrolled: 1-line block ×18, first 2 shown]
	ds_read_b64 v[1:2], v7 offset:4104
	s_waitcnt lgkmcnt(0)
	v_readfirstlane_b32 s30, v1
	s_cmp_lg_u32 s30, 0
	s_cbranch_scc1 .LBB130_65
; %bb.21:                               ;   in Loop: Header=BB130_20 Depth=1
	s_and_b64 vcc, exec, s[54:55]
	s_cbranch_vccz .LBB130_33
; %bb.22:                               ;   in Loop: Header=BB130_20 Depth=1
	s_movk_i32 s6, 0x601
	v_cmp_gt_u32_e32 vcc, s6, v2
	s_mov_b64 s[26:27], 0
	s_mov_b64 s[6:7], 0
	s_cbranch_vccz .LBB130_34
; %bb.23:                               ;   in Loop: Header=BB130_20 Depth=1
	v_readlane_b32 s6, v53, 23
	v_readlane_b32 s7, v53, 24
	s_nop 4
	global_load_ushort v1, v7, s[6:7]
	global_load_ushort v4, v[8:9], off
	s_mov_b64 s[10:11], 0
	v_mov_b32_e32 v3, v0
	s_waitcnt vmcnt(1)
	v_add_u32_e32 v2, v0, v1
	v_mul_lo_u32 v6, s38, v2
	v_mul_lo_u32 v2, s38, v1
	s_branch .LBB130_25
.LBB130_24:                             ;   in Loop: Header=BB130_25 Depth=2
	s_or_b64 exec, exec, s[6:7]
	v_add_u32_e32 v6, v6, v2
	v_mov_b32_e32 v4, v12
	s_andn2_b64 exec, exec, s[10:11]
	s_cbranch_execz .LBB130_40
.LBB130_25:                             ;   Parent Loop BB130_20 Depth=1
                                        ; =>  This Inner Loop Header: Depth=2
	v_add_u32_e32 v3, v3, v1
	v_cmp_gt_u32_e64 s[6:7], s36, v3
	v_cmp_le_u32_e32 vcc, s36, v3
	s_waitcnt lgkmcnt(0)
	v_mov_b32_e32 v13, 0
	v_mov_b32_e32 v12, 0
	s_and_saveexec_b64 s[12:13], s[6:7]
	s_cbranch_execz .LBB130_27
; %bb.26:                               ;   in Loop: Header=BB130_25 Depth=2
	v_lshlrev_b64 v[14:15], 1, v[6:7]
	v_mov_b32_e32 v12, s46
	v_add_co_u32_e64 v14, s[6:7], s44, v14
	v_addc_co_u32_e64 v15, s[6:7], v12, v15, s[6:7]
	global_load_ushort v12, v[14:15], off
.LBB130_27:                             ;   in Loop: Header=BB130_25 Depth=2
	s_or_b64 exec, exec, s[12:13]
	s_waitcnt vmcnt(0)
	v_cmp_lt_i16_e64 s[6:7], -1, v4
	v_cndmask_b32_e64 v14, v41, v42, s[6:7]
	v_xor_b32_sdwa v14, v14, v4 dst_sel:DWORD dst_unused:UNUSED_PAD src0_sel:DWORD src1_sel:WORD_0
	v_cmp_o_f16_e64 s[6:7], v4, v4
	v_cndmask_b32_e64 v14, v41, v14, s[6:7]
	v_and_b32_e32 v14, v14, v46
	v_cmp_eq_u32_e64 s[22:23], v14, v38
	s_cmp_lg_u64 s[22:23], 0
	s_cselect_b64 s[6:7], -1, 0
	s_and_b64 s[6:7], s[4:5], s[6:7]
	s_and_saveexec_b64 s[12:13], s[6:7]
	s_cbranch_execz .LBB130_31
; %bb.28:                               ;   in Loop: Header=BB130_25 Depth=2
	s_mov_b64 s[28:29], exec
	v_mbcnt_lo_u32_b32 v13, s28, 0
	v_mbcnt_hi_u32_b32 v13, s29, v13
	s_bcnt1_i32_b64 s30, s[22:23]
	v_cmp_eq_u32_e64 s[6:7], 0, v13
                                        ; implicit-def: $vgpr14
	s_and_saveexec_b64 s[14:15], s[6:7]
; %bb.29:                               ;   in Loop: Header=BB130_25 Depth=2
	s_bcnt1_i32_b64 s6, s[28:29]
	s_mul_i32 s6, s30, s6
	v_mov_b32_e32 v14, s6
	ds_add_rtn_u32 v14, v7, v14 offset:4112
; %bb.30:                               ;   in Loop: Header=BB130_25 Depth=2
	s_or_b64 exec, exec, s[14:15]
	s_waitcnt lgkmcnt(0)
	v_readfirstlane_b32 s6, v14
	v_mov_b32_e32 v14, s6
	v_mad_u32_u24 v13, s30, v13, v14
.LBB130_31:                             ;   in Loop: Header=BB130_25 Depth=2
	s_or_b64 exec, exec, s[12:13]
	ds_bpermute_b32 v13, v24, v13
	s_and_b64 s[6:7], exec, vcc
	s_or_b64 s[10:11], s[6:7], s[10:11]
	s_and_saveexec_b64 s[6:7], s[22:23]
	s_cbranch_execz .LBB130_24
; %bb.32:                               ;   in Loop: Header=BB130_25 Depth=2
	v_and_b32_e32 v15, s22, v26
	v_and_b32_e32 v14, s23, v25
	v_bcnt_u32_b32 v15, v15, 0
	v_bcnt_u32_b32 v14, v14, v15
	v_lshlrev_b32_e32 v14, 1, v14
	s_waitcnt lgkmcnt(0)
	v_lshl_add_u32 v13, v13, 1, v14
	ds_write_b16 v13, v4
	s_branch .LBB130_24
.LBB130_33:                             ;   in Loop: Header=BB130_20 Depth=1
	s_mov_b64 s[26:27], -1
	s_mov_b64 s[6:7], 0
.LBB130_34:                             ;   in Loop: Header=BB130_20 Depth=1
	s_and_b64 vcc, exec, s[26:27]
	s_cbranch_vccz .LBB130_63
.LBB130_35:                             ;   in Loop: Header=BB130_20 Depth=1
	s_mov_b64 s[22:23], exec
	v_readlane_b32 s6, v53, 21
	v_readlane_b32 s7, v53, 22
	s_and_b64 s[6:7], s[22:23], s[6:7]
	s_mov_b64 exec, s[6:7]
	s_cbranch_execz .LBB130_60
; %bb.36:                               ;   in Loop: Header=BB130_20 Depth=1
	v_readlane_b32 s6, v53, 23
	v_readlane_b32 s7, v53, 24
	s_nop 4
	global_load_ushort v1, v7, s[6:7]
	global_load_ushort v16, v[8:9], off
	s_waitcnt vmcnt(1)
	v_add_u32_e32 v12, v0, v1
	v_readfirstlane_b32 s14, v1
	v_cmp_gt_u32_e32 vcc, s36, v12
	v_mov_b32_e32 v1, v0
	s_and_saveexec_b64 s[26:27], vcc
	s_cbranch_execz .LBB130_59
; %bb.37:                               ;   in Loop: Header=BB130_20 Depth=1
	s_mov_b64 s[10:11], 0
	s_mul_i32 s15, s38, s14
                                        ; implicit-def: $vgpr1
                                        ; implicit-def: $vgpr3
                                        ; implicit-def: $vgpr2
	s_mov_b64 s[6:7], exec
	v_readlane_b32 s12, v53, 25
	v_readlane_b32 s13, v53, 26
	s_and_b64 s[12:13], s[6:7], s[12:13]
	s_xor_b64 s[28:29], s[12:13], s[6:7]
	s_mov_b64 exec, s[12:13]
	s_cbranch_execnz .LBB130_43
; %bb.38:                               ;   in Loop: Header=BB130_20 Depth=1
	s_andn2_saveexec_b64 s[6:7], s[28:29]
	s_cbranch_execnz .LBB130_54
.LBB130_39:                             ;   in Loop: Header=BB130_20 Depth=1
	s_or_b64 exec, exec, s[6:7]
	s_and_saveexec_b64 s[6:7], s[10:11]
	s_cbranch_execnz .LBB130_55
	s_branch .LBB130_58
.LBB130_40:                             ;   in Loop: Header=BB130_20 Depth=1
	s_or_b64 exec, exec, s[10:11]
	s_waitcnt lgkmcnt(0)
	s_barrier
	s_and_saveexec_b64 s[6:7], s[2:3]
	s_cbranch_execz .LBB130_42
; %bb.41:                               ;   in Loop: Header=BB130_20 Depth=1
	ds_read_b32 v1, v7 offset:4112
	s_waitcnt lgkmcnt(0)
	ds_write_b32 v7, v1 offset:4104
.LBB130_42:                             ;   in Loop: Header=BB130_20 Depth=1
	s_or_b64 exec, exec, s[6:7]
	s_waitcnt lgkmcnt(0)
	s_barrier
	s_mov_b64 s[6:7], -1
	s_and_b64 vcc, exec, s[26:27]
	s_cbranch_vccnz .LBB130_35
	s_branch .LBB130_63
.LBB130_43:                             ;   in Loop: Header=BB130_20 Depth=1
	v_cvt_f32_u32_e32 v1, s14
	s_sub_i32 s7, 0, s14
	v_add_u32_e32 v2, s14, v12
	v_max_u32_e32 v2, s36, v2
	v_rcp_iflag_f32_e32 v1, v1
	s_lshl_b32 s6, s14, 1
	v_sub_u32_e32 v2, v2, v0
	v_cmp_ne_u32_e32 vcc, s6, v2
	v_mul_f32_e32 v1, 0x4f7ffffe, v1
	v_cvt_u32_f32_e32 v1, v1
	v_cndmask_b32_e64 v6, 0, 1, vcc
	v_or_b32_e32 v6, s6, v6
	v_sub_u32_e32 v2, v2, v6
	v_mul_lo_u32 v3, s7, v1
	s_not_b32 s6, s15
	s_ashr_i32 s30, s6, 31
	s_abs_i32 s12, s15
	v_mul_hi_u32 v3, v1, v3
	v_mul_lo_u32 v4, s38, v12
	s_cmp_eq_u32 s14, 1
	s_mov_b64 s[10:11], -1
	v_add_u32_e32 v1, v1, v3
	v_mul_hi_u32 v3, v2, v1
	v_xor_b32_e32 v4, s30, v4
                                        ; implicit-def: $vgpr1
	v_mul_lo_u32 v6, v3, s14
	v_add_u32_e32 v13, 1, v3
	v_sub_u32_e32 v2, v2, v6
	v_subrev_u32_e32 v6, s14, v2
	v_cmp_le_u32_e64 s[6:7], s14, v2
	v_cndmask_b32_e64 v3, v3, v13, s[6:7]
	v_cndmask_b32_e64 v2, v2, v6, s[6:7]
	v_add_u32_e32 v6, 1, v3
	v_cmp_le_u32_e64 s[6:7], s14, v2
	v_cndmask_b32_e64 v2, v3, v6, s[6:7]
	v_addc_co_u32_e32 v2, vcc, 0, v2, vcc
	v_mul_hi_u32 v3, s12, v2
	v_mul_lo_u32 v2, s12, v2
	s_cselect_b64 s[12:13], -1, 0
	v_cmp_eq_u32_e32 vcc, 0, v3
	v_cmp_le_u32_e64 s[6:7], v2, v4
	s_and_b64 s[12:13], vcc, s[12:13]
	s_and_b64 s[12:13], s[12:13], s[6:7]
	v_mov_b32_e32 v3, v0
	s_and_saveexec_b64 s[6:7], s[12:13]
	s_cbranch_execz .LBB130_53
; %bb.44:                               ;   in Loop: Header=BB130_20 Depth=1
	v_add_u32_e32 v13, 1, v12
	v_mov_b32_e32 v15, v13
	s_waitcnt vmcnt(0)
	v_lshlrev_b32_e32 v17, 16, v16
	v_mov_b32_e32 v1, 0
	v_mov_b32_e32 v14, v12
                                        ; implicit-def: $vgpr16
	s_mov_b64 s[78:79], exec
	v_readlane_b32 s10, v53, 27
	v_readlane_b32 s11, v53, 28
	s_and_b64 s[10:11], s[78:79], s[10:11]
	s_mov_b64 exec, s[10:11]
	s_cbranch_execz .LBB130_48
; %bb.45:                               ;   in Loop: Header=BB130_20 Depth=1
	v_mov_b32_e32 v15, v13
	s_mov_b32 s10, 0
	s_mov_b64 s[80:81], 0
	v_mov_b32_e32 v49, v30
	v_mov_b32_e32 v50, v22
	;; [unrolled: 1-line block ×3, first 2 shown]
.LBB130_46:                             ;   Parent Loop BB130_20 Depth=1
                                        ; =>  This Inner Loop Header: Depth=2
	v_mul_lo_u32 v6, v14, s38
	v_mul_lo_u32 v1, v15, s9
	v_mov_b32_e32 v13, s46
	v_add_u32_e32 v49, -8, v49
	v_lshlrev_b64 v[2:3], 1, v[6:7]
	s_add_i32 s10, s10, 16
	v_add_co_u32_e32 v18, vcc, s44, v2
	v_mov_b32_e32 v2, v7
	v_lshlrev_b64 v[1:2], 1, v[1:2]
	v_addc_co_u32_e32 v19, vcc, v13, v3, vcc
	v_add_co_u32_e32 v1, vcc, s44, v1
	v_addc_co_u32_e32 v2, vcc, v13, v2, vcc
	global_load_ushort v3, v[18:19], off
	s_nop 0
	global_load_ushort v18, v[1:2], off
	v_add_u32_e32 v2, 2, v15
	v_mul_lo_u32 v2, v2, s9
	s_waitcnt vmcnt(1)
	v_alignbit_b32 v1, v3, v17, 16
	v_add_u32_e32 v3, 2, v14
	v_mul_lo_u32 v6, v3, s38
	v_lshlrev_b64 v[3:4], 1, v[6:7]
	v_add_co_u32_e32 v16, vcc, s44, v3
	v_mov_b32_e32 v3, v7
	v_lshlrev_b64 v[2:3], 1, v[2:3]
	v_addc_co_u32_e32 v17, vcc, v13, v4, vcc
	v_add_co_u32_e32 v2, vcc, s44, v2
	v_addc_co_u32_e32 v3, vcc, v13, v3, vcc
	global_load_ushort v4, v[16:17], off
	global_load_ushort v19, v[2:3], off
	v_add_u32_e32 v3, 4, v15
	v_mul_lo_u32 v3, v3, s9
	s_waitcnt vmcnt(1)
	v_perm_b32 v2, v4, v18, s62
	v_add_u32_e32 v4, 4, v14
	v_mul_lo_u32 v6, v4, s38
	v_mov_b32_e32 v4, v7
	v_lshlrev_b64 v[3:4], 1, v[3:4]
	v_lshlrev_b64 v[16:17], 1, v[6:7]
	v_add_co_u32_e32 v16, vcc, s44, v16
	v_addc_co_u32_e32 v17, vcc, v13, v17, vcc
	v_add_co_u32_e32 v3, vcc, s44, v3
	v_addc_co_u32_e32 v4, vcc, v13, v4, vcc
	global_load_ushort v6, v[16:17], off
	s_nop 0
	global_load_ushort v4, v[3:4], off
	v_add_u32_e32 v16, 6, v15
	v_mul_lo_u32 v16, v16, s9
	s_waitcnt vmcnt(1)
	v_perm_b32 v3, v6, v19, s62
	v_add_u32_e32 v6, 6, v14
	v_mul_lo_u32 v6, v6, s38
	v_lshlrev_b64 v[17:18], 1, v[6:7]
	v_add_co_u32_e32 v51, vcc, s44, v17
	v_mov_b32_e32 v17, v7
	v_lshlrev_b64 v[16:17], 1, v[16:17]
	v_addc_co_u32_e32 v52, vcc, v13, v18, vcc
	v_add_co_u32_e32 v16, vcc, s44, v16
	v_addc_co_u32_e32 v17, vcc, v13, v17, vcc
	global_load_ushort v6, v[51:52], off
	global_load_ushort v18, v[16:17], off
	s_waitcnt vmcnt(1)
	v_perm_b32 v4, v6, v4, s62
	ds_write_b128 v50, v[1:4]
	v_add_u32_e32 v2, 8, v14
	v_mul_lo_u32 v6, v2, s38
	v_add_u32_e32 v1, 8, v15
	v_mul_lo_u32 v1, v1, s9
	v_lshlrev_b64 v[2:3], 1, v[6:7]
	v_add_co_u32_e32 v16, vcc, s44, v2
	v_mov_b32_e32 v2, v7
	v_lshlrev_b64 v[1:2], 1, v[1:2]
	v_addc_co_u32_e32 v17, vcc, v13, v3, vcc
	v_add_co_u32_e32 v1, vcc, s44, v1
	v_addc_co_u32_e32 v2, vcc, v13, v2, vcc
	global_load_ushort v3, v[16:17], off
	global_load_ushort v19, v[1:2], off
	v_add_u32_e32 v2, 10, v15
	v_mul_lo_u32 v2, v2, s9
	s_waitcnt vmcnt(1)
	v_perm_b32 v1, v3, v18, s62
	v_add_u32_e32 v3, 10, v14
	v_mul_lo_u32 v6, v3, s38
	v_lshlrev_b64 v[3:4], 1, v[6:7]
	v_add_co_u32_e32 v16, vcc, s44, v3
	v_mov_b32_e32 v3, v7
	v_lshlrev_b64 v[2:3], 1, v[2:3]
	v_addc_co_u32_e32 v17, vcc, v13, v4, vcc
	v_add_co_u32_e32 v2, vcc, s44, v2
	v_addc_co_u32_e32 v3, vcc, v13, v3, vcc
	global_load_ushort v4, v[16:17], off
	global_load_ushort v18, v[2:3], off
	v_add_u32_e32 v3, 12, v15
	v_mul_lo_u32 v3, v3, s9
	s_waitcnt vmcnt(1)
	v_perm_b32 v2, v4, v19, s62
	v_add_u32_e32 v4, 12, v14
	v_mul_lo_u32 v6, v4, s38
	v_mov_b32_e32 v4, v7
	v_lshlrev_b64 v[3:4], 1, v[3:4]
	v_mov_b32_e32 v19, v7
	v_lshlrev_b64 v[16:17], 1, v[6:7]
	v_add_co_u32_e32 v16, vcc, s44, v16
	v_addc_co_u32_e32 v17, vcc, v13, v17, vcc
	v_add_co_u32_e32 v3, vcc, s44, v3
	v_addc_co_u32_e32 v4, vcc, v13, v4, vcc
	global_load_ushort v6, v[16:17], off
	s_nop 0
	global_load_ushort v4, v[3:4], off
	v_add_u32_e32 v16, 14, v15
	v_add_u32_e32 v15, 16, v15
	s_waitcnt vmcnt(1)
	v_perm_b32 v3, v6, v18, s62
	v_add_u32_e32 v6, 14, v14
	v_mul_lo_u32 v6, v6, s38
	v_mul_lo_u32 v18, v16, s9
	v_add_u32_e32 v14, 16, v14
	v_lshlrev_b64 v[16:17], 1, v[6:7]
	v_lshlrev_b64 v[18:19], 1, v[18:19]
	v_add_co_u32_e32 v16, vcc, s44, v16
	v_addc_co_u32_e32 v17, vcc, v13, v17, vcc
	v_add_co_u32_e32 v18, vcc, s44, v18
	v_addc_co_u32_e32 v19, vcc, v13, v19, vcc
	global_load_ushort v6, v[16:17], off
	s_nop 0
	global_load_ushort v16, v[18:19], off
	v_cmp_eq_u32_e32 vcc, 0, v49
	s_or_b64 s[80:81], vcc, s[80:81]
	s_waitcnt vmcnt(1)
	v_perm_b32 v4, v6, v4, s62
	s_waitcnt vmcnt(0)
	v_perm_b32 v17, v16, v6, s62
	ds_write_b128 v50, v[1:4] offset:16
	v_add_u32_e32 v50, 32, v50
	v_mov_b32_e32 v1, s10
	s_andn2_b64 exec, exec, s[80:81]
	s_cbranch_execnz .LBB130_46
; %bb.47:                               ;   in Loop: Header=BB130_20 Depth=1
	s_or_b64 exec, exec, s[80:81]
.LBB130_48:                             ;   in Loop: Header=BB130_20 Depth=1
	s_or_b64 exec, exec, s[78:79]
	s_mov_b64 s[10:11], exec
	v_readlane_b32 s12, v53, 29
	v_readlane_b32 s13, v53, 30
	s_and_b64 s[12:13], s[10:11], s[12:13]
	s_mov_b64 exec, s[12:13]
	s_cbranch_execz .LBB130_52
; %bb.49:                               ;   in Loop: Header=BB130_20 Depth=1
	v_lshl_add_u32 v1, v1, 1, v22
	s_mov_b64 s[12:13], 0
	v_mov_b32_e32 v2, v32
.LBB130_50:                             ;   Parent Loop BB130_20 Depth=1
                                        ; =>  This Inner Loop Header: Depth=2
	v_mul_lo_u32 v6, v14, s38
	v_mul_lo_u32 v3, v15, s9
	v_mov_b32_e32 v4, v7
	v_mov_b32_e32 v13, s46
	v_lshlrev_b64 v[18:19], 1, v[6:7]
	v_lshlrev_b64 v[3:4], 1, v[3:4]
	v_add_co_u32_e32 v18, vcc, s44, v18
	v_addc_co_u32_e32 v19, vcc, v13, v19, vcc
	v_add_co_u32_e32 v3, vcc, s44, v3
	v_addc_co_u32_e32 v4, vcc, v13, v4, vcc
	global_load_ushort v6, v[18:19], off
	global_load_ushort v16, v[3:4], off
	v_add_u32_e32 v2, -4, v2
	v_cmp_eq_u32_e32 vcc, 0, v2
	v_add_u32_e32 v15, 2, v15
	v_add_u32_e32 v14, 2, v14
	s_or_b64 s[12:13], vcc, s[12:13]
	s_waitcnt vmcnt(1)
	v_alignbit_b32 v4, v6, v17, 16
	s_waitcnt vmcnt(0)
	v_perm_b32 v3, v16, v6, s62
	ds_write_b32 v1, v4
	v_add_u32_e32 v1, 4, v1
	v_mov_b32_e32 v17, v3
	s_andn2_b64 exec, exec, s[12:13]
	s_cbranch_execnz .LBB130_50
; %bb.51:                               ;   in Loop: Header=BB130_20 Depth=1
	s_or_b64 exec, exec, s[12:13]
.LBB130_52:                             ;   in Loop: Header=BB130_20 Depth=1
	s_or_b64 exec, exec, s[10:11]
	v_readlane_b32 s10, v53, 31
	v_add_u32_e32 v12, v12, v28
	v_readlane_b32 s11, v53, 32
	v_add_u32_e32 v1, -1, v12
	s_orn2_b64 s[10:11], s[10:11], exec
	v_mov_b32_e32 v3, v29
.LBB130_53:                             ;   in Loop: Header=BB130_20 Depth=1
	s_or_b64 exec, exec, s[6:7]
	v_mov_b32_e32 v2, s15
	s_and_b64 s[10:11], s[10:11], exec
	s_andn2_saveexec_b64 s[6:7], s[28:29]
	s_cbranch_execz .LBB130_39
.LBB130_54:                             ;   in Loop: Header=BB130_20 Depth=1
	v_mov_b32_e32 v2, s15
	s_or_b64 s[10:11], s[10:11], exec
	v_mov_b32_e32 v3, v0
	s_or_b64 exec, exec, s[6:7]
	s_and_saveexec_b64 s[6:7], s[10:11]
	s_cbranch_execz .LBB130_58
.LBB130_55:                             ;   in Loop: Header=BB130_20 Depth=1
	v_mul_lo_u32 v6, s38, v12
	s_sub_i32 s12, 0, s14
	s_mov_b64 s[10:11], 0
.LBB130_56:                             ;   Parent Loop BB130_20 Depth=1
                                        ; =>  This Inner Loop Header: Depth=2
	v_mov_b32_e32 v4, v12
	v_lshlrev_b64 v[12:13], 1, v[6:7]
	v_mov_b32_e32 v14, s46
	v_add_co_u32_e32 v12, vcc, s44, v12
	v_addc_co_u32_e32 v13, vcc, v14, v13, vcc
	s_waitcnt vmcnt(0)
	v_mov_b32_e32 v1, v16
	global_load_ushort v16, v[12:13], off
	v_add_u32_e32 v12, s14, v4
	v_lshlrev_b32_e32 v3, 1, v3
	v_cmp_le_u32_e32 vcc, s36, v12
	ds_write_b16 v3, v1
	v_add_u32_e32 v6, v6, v2
	s_or_b64 s[10:11], vcc, s[10:11]
	v_mov_b32_e32 v3, v4
	s_andn2_b64 exec, exec, s[10:11]
	s_cbranch_execnz .LBB130_56
; %bb.57:                               ;   in Loop: Header=BB130_20 Depth=1
	s_or_b64 exec, exec, s[10:11]
	v_add_u32_e32 v1, s12, v12
.LBB130_58:                             ;   in Loop: Header=BB130_20 Depth=1
	s_or_b64 exec, exec, s[6:7]
.LBB130_59:                             ;   in Loop: Header=BB130_20 Depth=1
	s_or_b64 exec, exec, s[26:27]
	v_lshlrev_b32_e32 v1, 1, v1
	s_waitcnt vmcnt(0)
	ds_write_b16 v1, v16
.LBB130_60:                             ;   in Loop: Header=BB130_20 Depth=1
	s_or_b64 exec, exec, s[22:23]
	s_waitcnt lgkmcnt(0)
	s_barrier
	s_and_saveexec_b64 s[6:7], s[2:3]
; %bb.61:                               ;   in Loop: Header=BB130_20 Depth=1
	v_mov_b32_e32 v1, s36
	ds_write_b32 v7, v1 offset:4104
; %bb.62:                               ;   in Loop: Header=BB130_20 Depth=1
	s_or_b64 exec, exec, s[6:7]
	s_mov_b64 s[6:7], -1
	s_waitcnt lgkmcnt(0)
	s_barrier
.LBB130_63:                             ;   in Loop: Header=BB130_20 Depth=1
	s_mov_b32 s30, 0
	s_and_b64 vcc, exec, s[6:7]
	s_cbranch_vccz .LBB130_65
; %bb.64:                               ;   in Loop: Header=BB130_20 Depth=1
	ds_read_b32 v1, v7 offset:4104
	s_waitcnt lgkmcnt(0)
	v_readfirstlane_b32 s30, v1
.LBB130_65:                             ;   in Loop: Header=BB130_20 Depth=1
	s_cmp_lt_i32 s30, 1
	s_mov_b64 s[6:7], -1
                                        ; implicit-def: $vgpr1
	s_cbranch_scc1 .LBB130_75
; %bb.66:                               ;   in Loop: Header=BB130_20 Depth=1
	s_and_b64 vcc, exec, s[6:7]
	s_cbranch_vccnz .LBB130_86
.LBB130_67:                             ;   in Loop: Header=BB130_20 Depth=1
	s_lshl_b32 s10, s1, 6
	s_and_saveexec_b64 s[6:7], s[4:5]
.LBB130_68:                             ;   in Loop: Header=BB130_20 Depth=1
	v_lshl_add_u32 v6, s10, 2, v27
	ds_write_b128 v6, v[1:4]
.LBB130_69:                             ;   in Loop: Header=BB130_20 Depth=1
	s_or_b64 exec, exec, s[6:7]
	s_waitcnt lgkmcnt(0)
	s_barrier
	s_and_saveexec_b64 s[6:7], s[52:53]
	s_cbranch_execz .LBB130_100
; %bb.70:                               ;   in Loop: Header=BB130_20 Depth=1
	s_andn2_b64 vcc, exec, s[56:57]
	v_mov_b32_e32 v1, 0
	s_cbranch_vccnz .LBB130_99
; %bb.71:                               ;   in Loop: Header=BB130_20 Depth=1
	v_readlane_b32 s12, v53, 33
	v_readlane_b32 s13, v53, 34
	s_andn2_b64 vcc, exec, s[12:13]
	s_cbranch_vccnz .LBB130_95
; %bb.72:                               ;   in Loop: Header=BB130_20 Depth=1
	v_lshl_add_u32 v2, s1, 8, v39
	s_mov_b32 s11, 0
	v_mov_b32_e32 v1, 0
.LBB130_73:                             ;   Parent Loop BB130_20 Depth=1
                                        ; =>  This Inner Loop Header: Depth=2
	ds_read2_b32 v[3:4], v2 offset1:4
	ds_read2_b32 v[12:13], v2 offset0:8 offset1:12
	ds_read2_b32 v[14:15], v2 offset0:16 offset1:20
	;; [unrolled: 1-line block ×3, first 2 shown]
	s_add_i32 s11, s11, 8
	s_waitcnt lgkmcnt(3)
	v_add3_u32 v1, v3, v1, v4
	s_waitcnt lgkmcnt(2)
	v_add3_u32 v1, v12, v1, v13
	;; [unrolled: 2-line block ×3, first 2 shown]
	v_add_u32_e32 v2, 0x80, v2
	s_cmp_eq_u32 s47, s11
	s_waitcnt lgkmcnt(0)
	v_add3_u32 v1, v16, v1, v17
	s_cbranch_scc0 .LBB130_73
; %bb.74:                               ;   in Loop: Header=BB130_20 Depth=1
	s_mov_b32 s11, s47
	s_branch .LBB130_96
.LBB130_75:                             ;   in Loop: Header=BB130_20 Depth=1
	v_mov_b32_e32 v1, 0
	v_mov_b32_e32 v2, 0
	;; [unrolled: 1-line block ×4, first 2 shown]
	s_and_saveexec_b64 s[78:79], s[16:17]
	s_cbranch_execz .LBB130_79
; %bb.76:                               ;   in Loop: Header=BB130_20 Depth=1
	s_mov_b32 s10, 0
	s_mov_b64 s[80:81], 0
	s_mov_b32 s11, 0
	s_mov_b32 s12, 0
	;; [unrolled: 1-line block ×4, first 2 shown]
	v_mov_b32_e32 v12, v20
.LBB130_77:                             ;   Parent Loop BB130_20 Depth=1
                                        ; =>  This Inner Loop Header: Depth=2
	v_add_u32_e32 v6, s10, v36
	v_lshlrev_b64 v[1:2], 1, v[6:7]
	v_mov_b32_e32 v3, s46
	v_add_co_u32_e32 v1, vcc, s44, v1
	v_addc_co_u32_e32 v2, vcc, v3, v2, vcc
	v_add_u32_e32 v6, s10, v33
	global_load_ushort v4, v[1:2], off
	v_lshlrev_b64 v[1:2], 1, v[6:7]
	v_add_u32_e32 v6, s10, v34
	v_add_co_u32_e32 v1, vcc, s44, v1
	v_addc_co_u32_e32 v2, vcc, v3, v2, vcc
	global_load_ushort v13, v[1:2], off
	v_lshlrev_b64 v[1:2], 1, v[6:7]
	v_add_u32_e32 v6, s10, v35
	v_add_co_u32_e32 v1, vcc, s44, v1
	v_addc_co_u32_e32 v2, vcc, v3, v2, vcc
	;; [unrolled: 5-line block ×3, first 2 shown]
	global_load_ushort v1, v[1:2], off
	s_add_i32 s10, s10, s59
	s_waitcnt vmcnt(3)
	v_cmp_lt_i16_e32 vcc, -1, v4
	v_cndmask_b32_e32 v2, v41, v42, vcc
	v_cmp_o_f16_e32 vcc, v4, v4
	v_xor_b32_sdwa v2, v2, v4 dst_sel:DWORD dst_unused:UNUSED_PAD src0_sel:DWORD src1_sel:WORD_0
	v_cndmask_b32_e32 v2, v41, v2, vcc
	s_waitcnt vmcnt(2)
	v_cmp_lt_i16_e32 vcc, -1, v13
	v_cndmask_b32_e32 v3, v41, v42, vcc
	v_cmp_o_f16_e32 vcc, v13, v13
	v_xor_b32_sdwa v3, v3, v13 dst_sel:DWORD dst_unused:UNUSED_PAD src0_sel:DWORD src1_sel:WORD_0
	v_cndmask_b32_e32 v3, v41, v3, vcc
	s_waitcnt vmcnt(1)
	v_cmp_lt_i16_e32 vcc, -1, v14
	v_cndmask_b32_e32 v4, v41, v42, vcc
	v_cmp_o_f16_e32 vcc, v14, v14
	v_xor_b32_sdwa v4, v4, v14 dst_sel:DWORD dst_unused:UNUSED_PAD src0_sel:DWORD src1_sel:WORD_0
	v_cndmask_b32_e32 v4, v41, v4, vcc
	s_waitcnt vmcnt(0)
	v_cmp_lt_i16_e32 vcc, -1, v1
	v_cndmask_b32_e32 v6, v41, v42, vcc
	v_cmp_o_f16_e32 vcc, v1, v1
	v_xor_b32_sdwa v1, v6, v1 dst_sel:DWORD dst_unused:UNUSED_PAD src0_sel:DWORD src1_sel:WORD_0
	v_and_b32_e32 v6, v2, v46
	v_bfe_u32 v2, v2, v45, 2
	v_cndmask_b32_e32 v1, v41, v1, vcc
	v_cmp_eq_u32_e32 vcc, v6, v38
	v_and_b32_e32 v6, v3, v46
	v_bfe_u32 v3, v3, v45, 2
	v_cmp_eq_u32_e64 s[28:29], 0, v2
	v_cmp_eq_u32_e64 s[6:7], v6, v38
	v_and_b32_e32 v6, v4, v46
	v_bfe_u32 v4, v4, v45, 2
	s_and_b64 s[40:41], vcc, s[28:29]
	v_cmp_eq_u32_e64 s[28:29], 0, v3
	v_cmp_eq_u32_e64 s[22:23], v6, v38
	v_and_b32_e32 v6, v1, v46
	v_bfe_u32 v1, v1, v45, 2
	s_and_b64 s[42:43], s[6:7], s[28:29]
	v_cmp_eq_u32_e64 s[28:29], 0, v4
	v_cmp_eq_u32_e64 s[26:27], v6, v38
	s_and_b64 s[48:49], s[22:23], s[28:29]
	v_cmp_eq_u32_e64 s[28:29], 0, v1
	v_cndmask_b32_e64 v6, 0, 1, s[40:41]
	s_and_b64 s[50:51], s[26:27], s[28:29]
	v_cmp_ne_u32_e64 s[28:29], 0, v6
	v_cndmask_b32_e64 v6, 0, 1, s[42:43]
	s_bcnt1_i32_b64 s15, s[28:29]
	v_cmp_ne_u32_e64 s[28:29], 0, v6
	v_cndmask_b32_e64 v6, 0, 1, s[48:49]
	s_bcnt1_i32_b64 s31, s[28:29]
	v_cmp_ne_u32_e64 s[28:29], 0, v6
	v_cndmask_b32_e64 v6, 0, 1, s[50:51]
	s_add_i32 s14, s14, s15
	s_bcnt1_i32_b64 s33, s[28:29]
	v_cmp_ne_u32_e64 s[28:29], 0, v6
	s_add_i32 s14, s14, s31
	s_bcnt1_i32_b64 s28, s[28:29]
	s_add_i32 s14, s14, s33
	s_add_i32 s14, s14, s28
	v_cmp_eq_u32_e64 s[28:29], 1, v2
	s_and_b64 s[40:41], vcc, s[28:29]
	v_cmp_eq_u32_e64 s[28:29], 1, v3
	s_and_b64 s[42:43], s[6:7], s[28:29]
	v_cmp_eq_u32_e64 s[28:29], 1, v4
	s_and_b64 s[48:49], s[22:23], s[28:29]
	v_cmp_eq_u32_e64 s[28:29], 1, v1
	v_cndmask_b32_e64 v6, 0, 1, s[40:41]
	s_and_b64 s[50:51], s[26:27], s[28:29]
	v_cmp_ne_u32_e64 s[28:29], 0, v6
	v_cndmask_b32_e64 v6, 0, 1, s[42:43]
	s_bcnt1_i32_b64 s15, s[28:29]
	v_cmp_ne_u32_e64 s[28:29], 0, v6
	v_cndmask_b32_e64 v6, 0, 1, s[48:49]
	s_bcnt1_i32_b64 s31, s[28:29]
	v_cmp_ne_u32_e64 s[28:29], 0, v6
	v_cndmask_b32_e64 v6, 0, 1, s[50:51]
	s_add_i32 s13, s13, s15
	s_bcnt1_i32_b64 s33, s[28:29]
	v_cmp_ne_u32_e64 s[28:29], 0, v6
	s_add_i32 s13, s13, s31
	s_bcnt1_i32_b64 s28, s[28:29]
	s_add_i32 s13, s13, s33
	s_add_i32 s13, s13, s28
	v_cmp_eq_u32_e64 s[28:29], 2, v2
	s_and_b64 s[40:41], vcc, s[28:29]
	v_cmp_eq_u32_e64 s[28:29], 2, v3
	s_and_b64 s[42:43], s[6:7], s[28:29]
	v_cmp_eq_u32_e64 s[28:29], 2, v4
	s_and_b64 s[48:49], s[22:23], s[28:29]
	v_cmp_eq_u32_e64 s[28:29], 2, v1
	v_cndmask_b32_e64 v6, 0, 1, s[40:41]
	s_and_b64 s[50:51], s[26:27], s[28:29]
	v_cmp_ne_u32_e64 s[28:29], 0, v6
	v_cndmask_b32_e64 v6, 0, 1, s[42:43]
	s_bcnt1_i32_b64 s15, s[28:29]
	v_cmp_ne_u32_e64 s[28:29], 0, v6
	v_cndmask_b32_e64 v6, 0, 1, s[48:49]
	s_bcnt1_i32_b64 s31, s[28:29]
	v_cmp_ne_u32_e64 s[28:29], 0, v6
	v_cndmask_b32_e64 v6, 0, 1, s[50:51]
	s_add_i32 s12, s12, s15
	s_bcnt1_i32_b64 s33, s[28:29]
	v_cmp_ne_u32_e64 s[28:29], 0, v6
	s_add_i32 s12, s12, s31
	s_bcnt1_i32_b64 s28, s[28:29]
	s_add_i32 s12, s12, s33
	s_add_i32 s12, s12, s28
	v_cmp_eq_u32_e64 s[28:29], 3, v2
	s_and_b64 s[28:29], vcc, s[28:29]
	v_cmp_eq_u32_e32 vcc, 3, v3
	s_and_b64 s[6:7], s[6:7], vcc
	v_cmp_eq_u32_e32 vcc, 3, v4
	s_and_b64 s[22:23], s[22:23], vcc
	v_cmp_eq_u32_e32 vcc, 3, v1
	v_cndmask_b32_e64 v1, 0, 1, s[28:29]
	s_and_b64 s[26:27], s[26:27], vcc
	v_cmp_ne_u32_e32 vcc, 0, v1
	v_cndmask_b32_e64 v1, 0, 1, s[6:7]
	s_bcnt1_i32_b64 s15, vcc
	v_cmp_ne_u32_e32 vcc, 0, v1
	v_cndmask_b32_e64 v1, 0, 1, s[22:23]
	s_bcnt1_i32_b64 s6, vcc
	v_cmp_ne_u32_e32 vcc, 0, v1
	v_cndmask_b32_e64 v1, 0, 1, s[26:27]
	s_add_i32 s11, s11, s15
	s_bcnt1_i32_b64 s7, vcc
	v_cmp_ne_u32_e32 vcc, 0, v1
	s_add_i32 s6, s11, s6
	s_bcnt1_i32_b64 s22, vcc
	s_add_i32 s6, s6, s7
	s_add_i32 s11, s6, s22
	v_cmp_le_u32_e32 vcc, s34, v12
	s_or_b64 s[80:81], vcc, s[80:81]
	v_mov_b32_e32 v1, s14
	v_mov_b32_e32 v2, s13
	;; [unrolled: 1-line block ×4, first 2 shown]
	s_andn2_b64 exec, exec, s[80:81]
	s_cbranch_execnz .LBB130_77
; %bb.78:                               ;   in Loop: Header=BB130_20 Depth=1
	s_or_b64 exec, exec, s[80:81]
.LBB130_79:                             ;   in Loop: Header=BB130_20 Depth=1
	s_or_b64 exec, exec, s[78:79]
	s_and_saveexec_b64 s[10:11], s[18:19]
	s_cbranch_execz .LBB130_85
; %bb.80:                               ;   in Loop: Header=BB130_20 Depth=1
	global_load_ushort v13, v[10:11], off
	s_mov_b64 s[12:13], 0
	v_mov_b32_e32 v6, v37
	v_mov_b32_e32 v12, v31
	s_branch .LBB130_82
.LBB130_81:                             ;   in Loop: Header=BB130_82 Depth=2
	s_or_b64 exec, exec, s[14:15]
	s_and_b64 s[6:7], exec, vcc
	s_waitcnt vmcnt(0)
	v_cmp_lt_i16_e32 vcc, -1, v13
	v_cndmask_b32_e32 v15, v41, v42, vcc
	v_xor_b32_sdwa v15, v15, v13 dst_sel:DWORD dst_unused:UNUSED_PAD src0_sel:DWORD src1_sel:WORD_0
	v_cmp_o_f16_e32 vcc, v13, v13
	v_cndmask_b32_e32 v13, v41, v15, vcc
	v_and_b32_e32 v15, v13, v46
	v_bfe_u32 v13, v13, v45, 2
	s_or_b64 s[12:13], s[6:7], s[12:13]
	v_cmp_eq_u32_e32 vcc, v15, v38
	v_cmp_eq_u32_e64 s[6:7], 0, v13
	s_and_b64 s[6:7], vcc, s[6:7]
	v_cndmask_b32_e64 v15, 0, 1, s[6:7]
	v_cmp_ne_u32_e64 s[6:7], 0, v15
	s_bcnt1_i32_b64 s6, s[6:7]
	v_add_u32_e32 v1, s6, v1
	v_cmp_eq_u32_e64 s[6:7], 1, v13
	s_and_b64 s[6:7], vcc, s[6:7]
	v_cndmask_b32_e64 v15, 0, 1, s[6:7]
	v_cmp_ne_u32_e64 s[6:7], 0, v15
	s_bcnt1_i32_b64 s6, s[6:7]
	v_add_u32_e32 v2, s6, v2
	v_cmp_eq_u32_e64 s[6:7], 2, v13
	s_and_b64 s[6:7], vcc, s[6:7]
	v_cndmask_b32_e64 v15, 0, 1, s[6:7]
	v_cmp_ne_u32_e64 s[6:7], 0, v15
	s_bcnt1_i32_b64 s6, s[6:7]
	v_add_u32_e32 v3, s6, v3
	v_cmp_eq_u32_e64 s[6:7], 3, v13
	s_and_b64 s[6:7], vcc, s[6:7]
	v_cndmask_b32_e64 v13, 0, 1, s[6:7]
	v_cmp_ne_u32_e32 vcc, 0, v13
	s_bcnt1_i32_b64 s6, vcc
	v_add_u32_e32 v4, s6, v4
	v_add_u32_e32 v6, s45, v6
	v_mov_b32_e32 v13, v14
	s_andn2_b64 exec, exec, s[12:13]
	s_cbranch_execz .LBB130_84
.LBB130_82:                             ;   Parent Loop BB130_20 Depth=1
                                        ; =>  This Inner Loop Header: Depth=2
	v_add_u32_e32 v12, s39, v12
	v_cmp_gt_u32_e64 s[6:7], s36, v12
	v_cmp_le_u32_e32 vcc, s36, v12
	v_mov_b32_e32 v14, 0
	s_and_saveexec_b64 s[14:15], s[6:7]
	s_cbranch_execz .LBB130_81
; %bb.83:                               ;   in Loop: Header=BB130_82 Depth=2
	v_lshlrev_b64 v[14:15], 1, v[6:7]
	v_mov_b32_e32 v16, s46
	v_add_co_u32_e64 v14, s[6:7], s44, v14
	v_addc_co_u32_e64 v15, s[6:7], v16, v15, s[6:7]
	global_load_ushort v14, v[14:15], off
	s_branch .LBB130_81
.LBB130_84:                             ;   in Loop: Header=BB130_20 Depth=1
	s_or_b64 exec, exec, s[12:13]
.LBB130_85:                             ;   in Loop: Header=BB130_20 Depth=1
	s_or_b64 exec, exec, s[10:11]
	s_branch .LBB130_67
.LBB130_86:                             ;   in Loop: Header=BB130_20 Depth=1
	s_mul_hi_u32 s6, s30, s0
	s_mul_i32 s6, s6, s37
	s_sub_i32 s6, s30, s6
	s_sub_i32 s7, s6, s37
	s_cmp_ge_u32 s6, s37
	s_cselect_b32 s6, s7, s6
	s_sub_i32 s7, s6, s37
	s_cmp_ge_u32 s6, s37
	s_cselect_b32 s6, s7, s6
	s_sub_i32 s10, s30, s6
	v_cmp_gt_u32_e32 vcc, s10, v20
	v_mov_b32_e32 v1, 0
	v_mov_b32_e32 v2, 0
	;; [unrolled: 1-line block ×4, first 2 shown]
	s_and_saveexec_b64 s[78:79], vcc
	s_cbranch_execz .LBB130_90
; %bb.87:                               ;   in Loop: Header=BB130_20 Depth=1
	s_mov_b32 s11, 0
	s_mov_b64 s[80:81], 0
	v_mov_b32_e32 v6, v40
	s_mov_b32 s12, 0
	s_mov_b32 s13, 0
	;; [unrolled: 1-line block ×3, first 2 shown]
	v_mov_b32_e32 v12, v20
.LBB130_88:                             ;   Parent Loop BB130_20 Depth=1
                                        ; =>  This Inner Loop Header: Depth=2
	ds_read_b64 v[1:2], v6
	v_add_u32_e32 v12, s37, v12
	v_add_u32_e32 v6, s60, v6
	s_waitcnt lgkmcnt(0)
	v_cmp_lt_i16_e32 vcc, -1, v1
	v_cndmask_b32_e32 v3, v41, v42, vcc
	v_cmp_o_f16_e32 vcc, v1, v1
	v_xor_b32_sdwa v3, v3, v1 dst_sel:DWORD dst_unused:UNUSED_PAD src0_sel:DWORD src1_sel:WORD_0
	v_cndmask_b32_e32 v3, v41, v3, vcc
	v_cmp_gt_i16_sdwa vcc, v1, v43 src0_sel:WORD_1 src1_sel:DWORD
	v_cndmask_b32_e32 v4, v41, v42, vcc
	v_cmp_o_f16_sdwa vcc, v1, v1 src0_sel:WORD_1 src1_sel:WORD_1
	v_xor_b32_sdwa v1, v4, v1 dst_sel:DWORD dst_unused:UNUSED_PAD src0_sel:DWORD src1_sel:WORD_1
	v_cndmask_b32_e32 v1, v41, v1, vcc
	v_cmp_lt_i16_e32 vcc, -1, v2
	v_cndmask_b32_e32 v4, v41, v42, vcc
	v_cmp_o_f16_e32 vcc, v2, v2
	v_xor_b32_sdwa v4, v4, v2 dst_sel:DWORD dst_unused:UNUSED_PAD src0_sel:DWORD src1_sel:WORD_0
	v_cndmask_b32_e32 v4, v41, v4, vcc
	v_cmp_gt_i16_sdwa vcc, v2, v43 src0_sel:WORD_1 src1_sel:DWORD
	v_cndmask_b32_e32 v13, v41, v42, vcc
	v_cmp_o_f16_sdwa vcc, v2, v2 src0_sel:WORD_1 src1_sel:WORD_1
	v_xor_b32_sdwa v2, v13, v2 dst_sel:DWORD dst_unused:UNUSED_PAD src0_sel:DWORD src1_sel:WORD_1
	v_and_b32_e32 v13, v3, v46
	v_bfe_u32 v3, v3, v45, 2
	v_cndmask_b32_e32 v2, v41, v2, vcc
	v_cmp_eq_u32_e32 vcc, v13, v38
	v_and_b32_e32 v13, v1, v46
	v_bfe_u32 v1, v1, v45, 2
	v_cmp_eq_u32_e64 s[28:29], 0, v3
	v_cmp_eq_u32_e64 s[6:7], v13, v38
	v_and_b32_e32 v13, v4, v46
	v_bfe_u32 v4, v4, v45, 2
	s_and_b64 s[40:41], vcc, s[28:29]
	v_cmp_eq_u32_e64 s[28:29], 0, v1
	v_cmp_eq_u32_e64 s[22:23], v13, v38
	v_and_b32_e32 v13, v2, v46
	v_bfe_u32 v2, v2, v45, 2
	s_and_b64 s[42:43], s[6:7], s[28:29]
	v_cmp_eq_u32_e64 s[28:29], 0, v4
	v_cmp_eq_u32_e64 s[26:27], v13, v38
	s_and_b64 s[48:49], s[22:23], s[28:29]
	v_cmp_eq_u32_e64 s[28:29], 0, v2
	v_cndmask_b32_e64 v13, 0, 1, s[40:41]
	s_and_b64 s[50:51], s[26:27], s[28:29]
	v_cmp_ne_u32_e64 s[28:29], 0, v13
	v_cndmask_b32_e64 v13, 0, 1, s[42:43]
	s_bcnt1_i32_b64 s15, s[28:29]
	v_cmp_ne_u32_e64 s[28:29], 0, v13
	v_cndmask_b32_e64 v13, 0, 1, s[48:49]
	s_bcnt1_i32_b64 s31, s[28:29]
	v_cmp_ne_u32_e64 s[28:29], 0, v13
	v_cndmask_b32_e64 v13, 0, 1, s[50:51]
	s_add_i32 s14, s14, s15
	s_bcnt1_i32_b64 s33, s[28:29]
	v_cmp_ne_u32_e64 s[28:29], 0, v13
	s_add_i32 s14, s14, s31
	s_bcnt1_i32_b64 s28, s[28:29]
	s_add_i32 s14, s14, s33
	s_add_i32 s14, s14, s28
	v_cmp_eq_u32_e64 s[28:29], 1, v3
	s_and_b64 s[40:41], vcc, s[28:29]
	v_cmp_eq_u32_e64 s[28:29], 1, v1
	s_and_b64 s[42:43], s[6:7], s[28:29]
	v_cmp_eq_u32_e64 s[28:29], 1, v4
	s_and_b64 s[48:49], s[22:23], s[28:29]
	v_cmp_eq_u32_e64 s[28:29], 1, v2
	v_cndmask_b32_e64 v13, 0, 1, s[40:41]
	s_and_b64 s[50:51], s[26:27], s[28:29]
	v_cmp_ne_u32_e64 s[28:29], 0, v13
	v_cndmask_b32_e64 v13, 0, 1, s[42:43]
	s_bcnt1_i32_b64 s15, s[28:29]
	v_cmp_ne_u32_e64 s[28:29], 0, v13
	v_cndmask_b32_e64 v13, 0, 1, s[48:49]
	s_bcnt1_i32_b64 s31, s[28:29]
	v_cmp_ne_u32_e64 s[28:29], 0, v13
	v_cndmask_b32_e64 v13, 0, 1, s[50:51]
	s_add_i32 s13, s13, s15
	s_bcnt1_i32_b64 s33, s[28:29]
	v_cmp_ne_u32_e64 s[28:29], 0, v13
	s_add_i32 s13, s13, s31
	s_bcnt1_i32_b64 s28, s[28:29]
	s_add_i32 s13, s13, s33
	s_add_i32 s13, s13, s28
	v_cmp_eq_u32_e64 s[28:29], 2, v3
	s_and_b64 s[40:41], vcc, s[28:29]
	v_cmp_eq_u32_e64 s[28:29], 2, v1
	s_and_b64 s[42:43], s[6:7], s[28:29]
	v_cmp_eq_u32_e64 s[28:29], 2, v4
	s_and_b64 s[48:49], s[22:23], s[28:29]
	v_cmp_eq_u32_e64 s[28:29], 2, v2
	v_cndmask_b32_e64 v13, 0, 1, s[40:41]
	s_and_b64 s[50:51], s[26:27], s[28:29]
	v_cmp_ne_u32_e64 s[28:29], 0, v13
	v_cndmask_b32_e64 v13, 0, 1, s[42:43]
	s_bcnt1_i32_b64 s15, s[28:29]
	v_cmp_ne_u32_e64 s[28:29], 0, v13
	v_cndmask_b32_e64 v13, 0, 1, s[48:49]
	s_bcnt1_i32_b64 s31, s[28:29]
	v_cmp_ne_u32_e64 s[28:29], 0, v13
	v_cndmask_b32_e64 v13, 0, 1, s[50:51]
	s_add_i32 s12, s12, s15
	s_bcnt1_i32_b64 s33, s[28:29]
	v_cmp_ne_u32_e64 s[28:29], 0, v13
	s_add_i32 s12, s12, s31
	s_bcnt1_i32_b64 s28, s[28:29]
	s_add_i32 s12, s12, s33
	s_add_i32 s12, s12, s28
	v_cmp_eq_u32_e64 s[28:29], 3, v3
	s_and_b64 s[28:29], vcc, s[28:29]
	v_cmp_eq_u32_e32 vcc, 3, v1
	s_and_b64 s[6:7], s[6:7], vcc
	v_cmp_eq_u32_e32 vcc, 3, v4
	s_and_b64 s[22:23], s[22:23], vcc
	v_cmp_eq_u32_e32 vcc, 3, v2
	v_cndmask_b32_e64 v1, 0, 1, s[28:29]
	s_and_b64 s[26:27], s[26:27], vcc
	v_cmp_ne_u32_e32 vcc, 0, v1
	v_cndmask_b32_e64 v1, 0, 1, s[6:7]
	s_bcnt1_i32_b64 s15, vcc
	v_cmp_ne_u32_e32 vcc, 0, v1
	v_cndmask_b32_e64 v1, 0, 1, s[22:23]
	s_bcnt1_i32_b64 s6, vcc
	v_cmp_ne_u32_e32 vcc, 0, v1
	v_cndmask_b32_e64 v1, 0, 1, s[26:27]
	s_add_i32 s11, s11, s15
	s_bcnt1_i32_b64 s7, vcc
	v_cmp_ne_u32_e32 vcc, 0, v1
	s_add_i32 s6, s11, s6
	s_bcnt1_i32_b64 s22, vcc
	s_add_i32 s6, s6, s7
	s_add_i32 s11, s6, s22
	v_cmp_le_u32_e32 vcc, s10, v12
	s_or_b64 s[80:81], vcc, s[80:81]
	v_mov_b32_e32 v1, s14
	v_mov_b32_e32 v2, s13
	v_mov_b32_e32 v3, s12
	v_mov_b32_e32 v4, s11
	s_andn2_b64 exec, exec, s[80:81]
	s_cbranch_execnz .LBB130_88
; %bb.89:                               ;   in Loop: Header=BB130_20 Depth=1
	s_or_b64 exec, exec, s[80:81]
.LBB130_90:                             ;   in Loop: Header=BB130_20 Depth=1
	s_or_b64 exec, exec, s[78:79]
	v_add_u32_e32 v6, s10, v0
	v_cmp_gt_u32_e32 vcc, s30, v6
	s_and_saveexec_b64 s[22:23], vcc
	s_cbranch_execz .LBB130_94
; %bb.91:                               ;   in Loop: Header=BB130_20 Depth=1
	v_lshlrev_b32_e32 v12, 1, v6
	s_mov_b64 s[26:27], 0
.LBB130_92:                             ;   Parent Loop BB130_20 Depth=1
                                        ; =>  This Inner Loop Header: Depth=2
	ds_read_u16 v13, v12
	v_add_u32_e32 v6, s39, v6
	v_add_u32_e32 v12, s61, v12
	s_waitcnt lgkmcnt(0)
	v_cmp_lt_i16_e32 vcc, -1, v13
	v_cndmask_b32_e32 v14, v41, v42, vcc
	v_cmp_o_f16_e32 vcc, v13, v13
	v_xor_b32_sdwa v13, v14, v13 dst_sel:DWORD dst_unused:UNUSED_PAD src0_sel:DWORD src1_sel:WORD_0
	v_cndmask_b32_e32 v13, v41, v13, vcc
	v_and_b32_e32 v14, v13, v46
	v_bfe_u32 v13, v13, v45, 2
	v_cmp_eq_u32_e32 vcc, v14, v38
	v_cmp_eq_u32_e64 s[6:7], 0, v13
	s_and_b64 s[6:7], vcc, s[6:7]
	v_cndmask_b32_e64 v14, 0, 1, s[6:7]
	v_cmp_ne_u32_e64 s[6:7], 0, v14
	s_bcnt1_i32_b64 s6, s[6:7]
	v_add_u32_e32 v1, s6, v1
	v_cmp_eq_u32_e64 s[6:7], 1, v13
	s_and_b64 s[6:7], vcc, s[6:7]
	v_cndmask_b32_e64 v14, 0, 1, s[6:7]
	v_cmp_ne_u32_e64 s[6:7], 0, v14
	s_bcnt1_i32_b64 s6, s[6:7]
	v_add_u32_e32 v2, s6, v2
	;; [unrolled: 6-line block ×3, first 2 shown]
	v_cmp_eq_u32_e64 s[6:7], 3, v13
	s_and_b64 s[6:7], vcc, s[6:7]
	v_cndmask_b32_e64 v13, 0, 1, s[6:7]
	v_cmp_ne_u32_e32 vcc, 0, v13
	s_bcnt1_i32_b64 s6, vcc
	v_cmp_le_u32_e32 vcc, s30, v6
	v_add_u32_e32 v4, s6, v4
	s_or_b64 s[26:27], vcc, s[26:27]
	s_andn2_b64 exec, exec, s[26:27]
	s_cbranch_execnz .LBB130_92
; %bb.93:                               ;   in Loop: Header=BB130_20 Depth=1
	s_or_b64 exec, exec, s[26:27]
.LBB130_94:                             ;   in Loop: Header=BB130_20 Depth=1
	s_or_b64 exec, exec, s[22:23]
	s_lshl_b32 s10, s1, 6
	s_and_saveexec_b64 s[6:7], s[4:5]
	s_cbranch_execnz .LBB130_68
	s_branch .LBB130_69
.LBB130_95:                             ;   in Loop: Header=BB130_20 Depth=1
	v_mov_b32_e32 v1, 0
	s_mov_b32 s11, 0
.LBB130_96:                             ;   in Loop: Header=BB130_20 Depth=1
	v_readlane_b32 s12, v53, 36
	v_readlane_b32 s13, v53, 37
	s_andn2_b64 vcc, exec, s[12:13]
	s_cbranch_vccnz .LBB130_99
; %bb.97:                               ;   in Loop: Header=BB130_20 Depth=1
	s_lshl_b32 s12, s1, 8
	s_lshl_b32 s11, s11, 4
	s_add_i32 s12, s12, s11
	v_add_u32_e32 v2, s12, v39
	v_readlane_b32 s11, v53, 35
.LBB130_98:                             ;   Parent Loop BB130_20 Depth=1
                                        ; =>  This Inner Loop Header: Depth=2
	ds_read_b32 v3, v2
	s_add_i32 s11, s11, -1
	v_add_u32_e32 v2, 16, v2
	s_cmp_lg_u32 s11, 0
	s_waitcnt lgkmcnt(0)
	v_add_u32_e32 v1, v3, v1
	s_cbranch_scc1 .LBB130_98
.LBB130_99:                             ;   in Loop: Header=BB130_20 Depth=1
	v_add_lshl_u32 v2, s10, v21, 2
	ds_write_b32 v2, v1 offset:3072
.LBB130_100:                            ;   in Loop: Header=BB130_20 Depth=1
	s_or_b64 exec, exec, s[6:7]
	s_lshl_b32 s6, s10, 2
	v_mov_b32_e32 v1, s6
	s_waitcnt lgkmcnt(0)
	s_barrier
	ds_read_b128 v[1:4], v1 offset:3072
	v_cmp_eq_u32_e32 vcc, 1, v48
	s_mov_b64 s[22:23], -1
	s_mov_b64 s[10:11], -1
                                        ; implicit-def: $sgpr30_sgpr31
                                        ; implicit-def: $sgpr28_sgpr29
	s_waitcnt lgkmcnt(0)
	v_readfirstlane_b32 s78, v1
	s_cmp_eq_u32 s78, 1
	v_lshlrev_b32_e64 v1, v45, 3
	s_cselect_b64 s[6:7], -1, 0
	v_readfirstlane_b32 s84, v2
	v_readfirstlane_b32 s51, v3
	;; [unrolled: 1-line block ×3, first 2 shown]
	v_not_b32_e32 v3, v1
	s_and_b64 s[26:27], s[6:7], vcc
	s_and_saveexec_b64 s[6:7], s[26:27]
	s_cbranch_execz .LBB130_128
; %bb.101:                              ;   in Loop: Header=BB130_20 Depth=1
	ds_read_b32 v2, v7 offset:4104
	s_waitcnt lgkmcnt(0)
	s_barrier
	v_readfirstlane_b32 s79, v2
	s_and_saveexec_b64 s[10:11], s[24:25]
; %bb.102:                              ;   in Loop: Header=BB130_20 Depth=1
	ds_write_b16 v23, v7
; %bb.103:                              ;   in Loop: Header=BB130_20 Depth=1
	s_or_b64 exec, exec, s[10:11]
	v_and_b32_e32 v38, v38, v3
	v_or_b32_e32 v46, v46, v1
	s_mov_b64 s[28:29], -1
	s_mov_b64 s[30:31], 0
	s_cmp_eq_u32 s79, 0
	s_mov_b64 s[40:41], 0
	s_mov_b64 s[42:43], -1
	s_waitcnt lgkmcnt(0)
	s_barrier
                                        ; implicit-def: $vgpr47
	s_cbranch_scc1 .LBB130_115
; %bb.104:                              ;   in Loop: Header=BB130_20 Depth=1
	s_add_i32 s10, s79, s8
	s_mul_hi_u32 s11, s10, s35
	s_mul_i32 s11, s11, s39
	s_sub_i32 s11, s10, s11
	s_sub_i32 s12, s11, s39
	s_cmp_ge_u32 s11, s39
	s_cselect_b32 s11, s12, s11
	s_sub_i32 s12, s11, s39
	s_cmp_ge_u32 s11, s39
	s_cselect_b32 s11, s12, s11
	s_sub_i32 s33, s10, s11
	v_cmp_gt_u32_e32 vcc, s33, v0
	s_mov_b64 s[42:43], 0
                                        ; implicit-def: $vgpr47
	s_and_saveexec_b64 s[10:11], vcc
	s_cbranch_execz .LBB130_114
; %bb.105:                              ;   in Loop: Header=BB130_20 Depth=1
	s_mov_b64 s[12:13], 0
	v_mov_b32_e32 v2, v22
	v_mov_b32_e32 v4, v0
                                        ; implicit-def: $sgpr14_sgpr15
	s_branch .LBB130_109
.LBB130_106:                            ;   in Loop: Header=BB130_109 Depth=2
	s_or_b64 exec, exec, s[40:41]
	s_waitcnt lgkmcnt(0)
	s_barrier
	ds_read_b32 v6, v7 offset:3072
	s_waitcnt lgkmcnt(0)
	s_barrier
	v_cmp_neq_f16_e32 vcc, 0, v6
	s_cbranch_vccnz .LBB130_112
; %bb.107:                              ;   in Loop: Header=BB130_109 Depth=2
	v_add_u32_e32 v4, s39, v4
	v_cmp_le_u32_e32 vcc, s33, v4
	v_add_u32_e32 v2, s61, v2
	s_mov_b64 s[40:41], 0
	s_orn2_b64 s[48:49], vcc, exec
.LBB130_108:                            ;   in Loop: Header=BB130_109 Depth=2
	s_and_b64 s[48:49], exec, s[48:49]
	s_or_b64 s[12:13], s[48:49], s[12:13]
	s_andn2_b64 s[14:15], s[14:15], exec
	s_and_b64 s[40:41], s[40:41], exec
	s_or_b64 s[14:15], s[14:15], s[40:41]
	s_andn2_b64 exec, exec, s[12:13]
	s_cbranch_execz .LBB130_113
.LBB130_109:                            ;   Parent Loop BB130_20 Depth=1
                                        ; =>  This Inner Loop Header: Depth=2
	v_cmp_gt_u32_e32 vcc, s79, v4
	s_and_saveexec_b64 s[40:41], vcc
	s_cbranch_execz .LBB130_106
; %bb.110:                              ;   in Loop: Header=BB130_109 Depth=2
	ds_read_u16 v6, v2
	s_waitcnt lgkmcnt(0)
	v_cmp_lt_i16_e32 vcc, -1, v6
	v_cndmask_b32_e32 v12, v41, v42, vcc
	v_xor_b32_sdwa v12, v12, v6 dst_sel:DWORD dst_unused:UNUSED_PAD src0_sel:DWORD src1_sel:WORD_0
	v_cmp_o_f16_e32 vcc, v6, v6
	v_cndmask_b32_e32 v12, v41, v12, vcc
	v_and_b32_e32 v12, v12, v46
	v_cmp_eq_u32_e32 vcc, v12, v38
	s_and_b64 exec, exec, vcc
	s_cbranch_execz .LBB130_106
; %bb.111:                              ;   in Loop: Header=BB130_109 Depth=2
	v_perm_b32 v6, v6, s63, v44
	ds_write_b32 v7, v6 offset:3072
	s_branch .LBB130_106
.LBB130_112:                            ;   in Loop: Header=BB130_109 Depth=2
	s_mov_b64 s[48:49], -1
                                        ; implicit-def: $vgpr4
                                        ; implicit-def: $vgpr2
	s_mov_b64 s[40:41], -1
	s_branch .LBB130_108
.LBB130_113:                            ;   in Loop: Header=BB130_20 Depth=1
	s_or_b64 exec, exec, s[12:13]
	v_lshrrev_b32_e32 v47, 16, v6
	s_and_b64 s[40:41], s[14:15], exec
.LBB130_114:                            ;   in Loop: Header=BB130_20 Depth=1
	s_or_b64 exec, exec, s[10:11]
.LBB130_115:                            ;   in Loop: Header=BB130_20 Depth=1
	s_and_b64 vcc, exec, s[42:43]
	s_cbranch_vccz .LBB130_127
; %bb.116:                              ;   in Loop: Header=BB130_20 Depth=1
                                        ; implicit-def: $vgpr47
	s_and_saveexec_b64 s[10:11], s[20:21]
	s_cbranch_execz .LBB130_126
; %bb.117:                              ;   in Loop: Header=BB130_20 Depth=1
	s_mov_b64 s[12:13], 0
	v_mov_b32_e32 v6, v5
	v_mov_b32_e32 v2, v0
                                        ; implicit-def: $sgpr28_sgpr29
	s_branch .LBB130_121
.LBB130_118:                            ;   in Loop: Header=BB130_121 Depth=2
	s_or_b64 exec, exec, s[14:15]
	s_waitcnt lgkmcnt(0)
	s_barrier
	ds_read_b32 v4, v7 offset:3072
	s_waitcnt lgkmcnt(0)
	s_barrier
	v_cmp_neq_f16_e32 vcc, 0, v4
	s_cbranch_vccnz .LBB130_124
; %bb.119:                              ;   in Loop: Header=BB130_121 Depth=2
	v_add_u32_e32 v2, s39, v2
	v_cmp_le_u32_e32 vcc, s58, v2
	v_add_u32_e32 v6, s45, v6
	s_mov_b64 s[14:15], 0
	s_orn2_b64 s[30:31], vcc, exec
.LBB130_120:                            ;   in Loop: Header=BB130_121 Depth=2
	s_and_b64 s[30:31], exec, s[30:31]
	s_or_b64 s[12:13], s[30:31], s[12:13]
	s_andn2_b64 s[28:29], s[28:29], exec
	s_and_b64 s[14:15], s[14:15], exec
	s_or_b64 s[28:29], s[28:29], s[14:15]
	s_andn2_b64 exec, exec, s[12:13]
	s_cbranch_execz .LBB130_125
.LBB130_121:                            ;   Parent Loop BB130_20 Depth=1
                                        ; =>  This Inner Loop Header: Depth=2
	v_cmp_gt_u32_e32 vcc, s36, v2
	s_and_saveexec_b64 s[14:15], vcc
	s_cbranch_execz .LBB130_118
; %bb.122:                              ;   in Loop: Header=BB130_121 Depth=2
	v_lshlrev_b64 v[12:13], 1, v[6:7]
	v_mov_b32_e32 v4, s46
	v_add_co_u32_e32 v12, vcc, s44, v12
	v_addc_co_u32_e32 v13, vcc, v4, v13, vcc
	global_load_ushort v4, v[12:13], off
	s_waitcnt vmcnt(0)
	v_cmp_lt_i16_e32 vcc, -1, v4
	v_cndmask_b32_e32 v12, v41, v42, vcc
	v_xor_b32_sdwa v12, v12, v4 dst_sel:DWORD dst_unused:UNUSED_PAD src0_sel:DWORD src1_sel:WORD_0
	v_cmp_o_f16_e32 vcc, v4, v4
	v_cndmask_b32_e32 v12, v41, v12, vcc
	v_and_b32_e32 v12, v12, v46
	v_cmp_eq_u32_e32 vcc, v12, v38
	s_and_b64 exec, exec, vcc
	s_cbranch_execz .LBB130_118
; %bb.123:                              ;   in Loop: Header=BB130_121 Depth=2
	v_perm_b32 v4, v4, s63, v44
	ds_write_b32 v7, v4 offset:3072
	s_branch .LBB130_118
.LBB130_124:                            ;   in Loop: Header=BB130_121 Depth=2
	s_mov_b64 s[30:31], -1
                                        ; implicit-def: $vgpr2
	s_mov_b64 s[14:15], -1
	s_branch .LBB130_120
.LBB130_125:                            ;   in Loop: Header=BB130_20 Depth=1
	s_or_b64 exec, exec, s[12:13]
	s_andn2_b64 s[12:13], s[40:41], exec
	s_and_b64 s[14:15], s[28:29], exec
	v_lshrrev_b32_e32 v47, 16, v4
	s_or_b64 s[40:41], s[12:13], s[14:15]
.LBB130_126:                            ;   in Loop: Header=BB130_20 Depth=1
	s_or_b64 exec, exec, s[10:11]
	s_mov_b64 s[28:29], 0
	s_mov_b64 s[30:31], -1
.LBB130_127:                            ;   in Loop: Header=BB130_20 Depth=1
	s_orn2_b64 s[10:11], s[40:41], exec
.LBB130_128:                            ;   in Loop: Header=BB130_20 Depth=1
	s_or_b64 exec, exec, s[6:7]
	s_andn2_b64 s[6:7], s[76:77], exec
	s_and_b64 s[12:13], s[30:31], exec
	s_or_b64 s[76:77], s[6:7], s[12:13]
	s_andn2_b64 s[6:7], s[74:75], exec
	s_and_b64 s[12:13], s[28:29], exec
	v_readfirstlane_b32 s40, v0
	s_andn2_b64 s[72:73], s[72:73], exec
	s_or_b64 s[74:75], s[6:7], s[12:13]
                                        ; implicit-def: $vgpr4
	s_and_saveexec_b64 s[6:7], s[10:11]
	s_cbranch_execz .LBB130_19
; %bb.129:                              ;   in Loop: Header=BB130_20 Depth=1
	s_xor_b64 s[14:15], s[26:27], -1
	s_mov_b64 s[12:13], 0
	v_mov_b32_e32 v4, 1
	v_mov_b32_e32 v2, 1
	s_and_saveexec_b64 s[10:11], s[14:15]
	s_cbranch_execz .LBB130_138
; %bb.130:                              ;   in Loop: Header=BB130_20 Depth=1
	v_cmp_ge_u32_e32 vcc, s78, v48
	s_and_saveexec_b64 s[12:13], vcc
	s_xor_b64 s[12:13], exec, s[12:13]
	s_cbranch_execz .LBB130_135
; %bb.131:                              ;   in Loop: Header=BB130_20 Depth=1
	ds_read_b32 v2, v7 offset:4104
	v_and_b32_e32 v38, v38, v3
	v_or_b32_e32 v46, v46, v1
	s_waitcnt lgkmcnt(0)
	v_cmp_ne_u32_e32 vcc, 0, v2
	s_cbranch_vccnz .LBB130_135
; %bb.132:                              ;   in Loop: Header=BB130_20 Depth=1
	s_and_saveexec_b64 s[14:15], s[2:3]
; %bb.133:                              ;   in Loop: Header=BB130_20 Depth=1
	v_mov_b32_e32 v2, s78
	ds_write_b32 v7, v2 offset:4108
; %bb.134:                              ;   in Loop: Header=BB130_20 Depth=1
	s_or_b64 exec, exec, s[14:15]
	s_waitcnt lgkmcnt(0)
	s_barrier
.LBB130_135:                            ;   in Loop: Header=BB130_20 Depth=1
	s_or_saveexec_b64 s[12:13], s[12:13]
	s_mov_b64 s[14:15], 0
	v_mov_b32_e32 v2, 8
	s_xor_b64 exec, exec, s[12:13]
; %bb.136:                              ;   in Loop: Header=BB130_20 Depth=1
	s_mov_b64 s[14:15], exec
	v_subrev_u32_e32 v48, s78, v48
	v_mov_b32_e32 v2, 0
; %bb.137:                              ;   in Loop: Header=BB130_20 Depth=1
	s_or_b64 exec, exec, s[12:13]
	s_and_b64 s[12:13], s[14:15], exec
	v_mov_b32_e32 v4, v48
.LBB130_138:                            ;   in Loop: Header=BB130_20 Depth=1
	s_or_b64 exec, exec, s[10:11]
	s_mov_b64 s[22:23], -1
	s_mov_b64 s[10:11], -1
                                        ; implicit-def: $sgpr28_sgpr29
                                        ; implicit-def: $sgpr78_sgpr79
	s_and_saveexec_b64 s[14:15], s[12:13]
	s_xor_b64 s[26:27], exec, s[14:15]
	s_cbranch_execz .LBB130_261
; %bb.139:                              ;   in Loop: Header=BB130_20 Depth=1
	s_cmp_eq_u32 s84, 1
	s_cselect_b64 s[10:11], -1, 0
	v_cmp_eq_u32_e32 vcc, 1, v4
	s_and_b64 s[82:83], s[10:11], vcc
	s_mov_b64 s[10:11], -1
                                        ; implicit-def: $sgpr78_sgpr79
                                        ; implicit-def: $sgpr28_sgpr29
	s_and_saveexec_b64 s[30:31], s[82:83]
	s_cbranch_execz .LBB130_167
; %bb.140:                              ;   in Loop: Header=BB130_20 Depth=1
	ds_read_b32 v6, v7 offset:4104
	s_waitcnt lgkmcnt(0)
	s_barrier
	v_readfirstlane_b32 s80, v6
	s_and_saveexec_b64 s[10:11], s[24:25]
; %bb.141:                              ;   in Loop: Header=BB130_20 Depth=1
	ds_write_b16 v23, v7
; %bb.142:                              ;   in Loop: Header=BB130_20 Depth=1
	s_or_b64 exec, exec, s[10:11]
	v_and_b32_e32 v6, v38, v3
	v_lshl_or_b32 v38, 1, v45, v6
	v_or_b32_e32 v46, v46, v1
	s_mov_b64 s[28:29], -1
	s_mov_b64 s[78:79], 0
	s_cmp_eq_u32 s80, 0
	s_mov_b64 s[40:41], 0
	s_mov_b64 s[42:43], -1
	s_waitcnt lgkmcnt(0)
	s_barrier
                                        ; implicit-def: $vgpr47
	s_cbranch_scc1 .LBB130_154
; %bb.143:                              ;   in Loop: Header=BB130_20 Depth=1
	s_add_i32 s10, s80, s8
	s_mul_hi_u32 s11, s10, s35
	s_mul_i32 s11, s11, s39
	s_sub_i32 s11, s10, s11
	s_sub_i32 s12, s11, s39
	s_cmp_ge_u32 s11, s39
	s_cselect_b32 s11, s12, s11
	s_sub_i32 s12, s11, s39
	s_cmp_ge_u32 s11, s39
	s_cselect_b32 s11, s12, s11
	s_sub_i32 s81, s10, s11
	v_cmp_gt_u32_e32 vcc, s81, v0
	s_mov_b64 s[42:43], 0
                                        ; implicit-def: $vgpr47
	s_and_saveexec_b64 s[10:11], vcc
	s_cbranch_execz .LBB130_153
; %bb.144:                              ;   in Loop: Header=BB130_20 Depth=1
	s_mov_b64 s[12:13], 0
	v_mov_b32_e32 v6, v22
	v_mov_b32_e32 v12, v0
                                        ; implicit-def: $sgpr40_sgpr41
	s_branch .LBB130_148
.LBB130_145:                            ;   in Loop: Header=BB130_148 Depth=2
	s_or_b64 exec, exec, s[14:15]
	s_waitcnt lgkmcnt(0)
	s_barrier
	ds_read_b32 v13, v7 offset:3072
	s_waitcnt lgkmcnt(0)
	s_barrier
	v_cmp_neq_f16_e32 vcc, 0, v13
	s_cbranch_vccnz .LBB130_151
; %bb.146:                              ;   in Loop: Header=BB130_148 Depth=2
	v_add_u32_e32 v12, s39, v12
	v_cmp_le_u32_e32 vcc, s81, v12
	v_add_u32_e32 v6, s61, v6
	s_mov_b64 s[14:15], 0
	s_orn2_b64 s[48:49], vcc, exec
.LBB130_147:                            ;   in Loop: Header=BB130_148 Depth=2
	s_and_b64 s[48:49], exec, s[48:49]
	s_or_b64 s[12:13], s[48:49], s[12:13]
	s_andn2_b64 s[40:41], s[40:41], exec
	s_and_b64 s[14:15], s[14:15], exec
	s_or_b64 s[40:41], s[40:41], s[14:15]
	s_andn2_b64 exec, exec, s[12:13]
	s_cbranch_execz .LBB130_152
.LBB130_148:                            ;   Parent Loop BB130_20 Depth=1
                                        ; =>  This Inner Loop Header: Depth=2
	v_cmp_gt_u32_e32 vcc, s80, v12
	s_and_saveexec_b64 s[14:15], vcc
	s_cbranch_execz .LBB130_145
; %bb.149:                              ;   in Loop: Header=BB130_148 Depth=2
	ds_read_u16 v13, v6
	s_waitcnt lgkmcnt(0)
	v_cmp_lt_i16_e32 vcc, -1, v13
	v_cndmask_b32_e32 v14, v41, v42, vcc
	v_xor_b32_sdwa v14, v14, v13 dst_sel:DWORD dst_unused:UNUSED_PAD src0_sel:DWORD src1_sel:WORD_0
	v_cmp_o_f16_e32 vcc, v13, v13
	v_cndmask_b32_e32 v14, v41, v14, vcc
	v_and_b32_e32 v14, v14, v46
	v_cmp_eq_u32_e32 vcc, v14, v38
	s_and_b64 exec, exec, vcc
	s_cbranch_execz .LBB130_145
; %bb.150:                              ;   in Loop: Header=BB130_148 Depth=2
	v_perm_b32 v13, v13, s63, v44
	ds_write_b32 v7, v13 offset:3072
	s_branch .LBB130_145
.LBB130_151:                            ;   in Loop: Header=BB130_148 Depth=2
	s_mov_b64 s[48:49], -1
                                        ; implicit-def: $vgpr12
                                        ; implicit-def: $vgpr6
	s_mov_b64 s[14:15], -1
	s_branch .LBB130_147
.LBB130_152:                            ;   in Loop: Header=BB130_20 Depth=1
	s_or_b64 exec, exec, s[12:13]
	v_lshrrev_b32_e32 v47, 16, v13
	s_and_b64 s[40:41], s[40:41], exec
.LBB130_153:                            ;   in Loop: Header=BB130_20 Depth=1
	s_or_b64 exec, exec, s[10:11]
.LBB130_154:                            ;   in Loop: Header=BB130_20 Depth=1
	s_and_b64 vcc, exec, s[42:43]
	s_cbranch_vccz .LBB130_166
; %bb.155:                              ;   in Loop: Header=BB130_20 Depth=1
                                        ; implicit-def: $vgpr47
	s_and_saveexec_b64 s[10:11], s[20:21]
	s_cbranch_execz .LBB130_165
; %bb.156:                              ;   in Loop: Header=BB130_20 Depth=1
	s_mov_b64 s[12:13], 0
	v_mov_b32_e32 v6, v5
	v_mov_b32_e32 v12, v0
                                        ; implicit-def: $sgpr28_sgpr29
	s_branch .LBB130_160
.LBB130_157:                            ;   in Loop: Header=BB130_160 Depth=2
	s_or_b64 exec, exec, s[14:15]
	s_waitcnt lgkmcnt(0)
	s_barrier
	ds_read_b32 v13, v7 offset:3072
	s_waitcnt lgkmcnt(0)
	s_barrier
	v_cmp_eq_f16_e32 vcc, 0, v13
	s_cbranch_vccz .LBB130_163
; %bb.158:                              ;   in Loop: Header=BB130_160 Depth=2
	v_add_u32_e32 v12, s39, v12
	v_cmp_le_u32_e32 vcc, s58, v12
	v_add_u32_e32 v6, s45, v6
	s_mov_b64 s[14:15], 0
	s_orn2_b64 s[42:43], vcc, exec
.LBB130_159:                            ;   in Loop: Header=BB130_160 Depth=2
	s_and_b64 s[42:43], exec, s[42:43]
	s_or_b64 s[12:13], s[42:43], s[12:13]
	s_andn2_b64 s[28:29], s[28:29], exec
	s_and_b64 s[14:15], s[14:15], exec
	s_or_b64 s[28:29], s[28:29], s[14:15]
	s_andn2_b64 exec, exec, s[12:13]
	s_cbranch_execz .LBB130_164
.LBB130_160:                            ;   Parent Loop BB130_20 Depth=1
                                        ; =>  This Inner Loop Header: Depth=2
	v_cmp_gt_u32_e32 vcc, s36, v12
	s_and_saveexec_b64 s[14:15], vcc
	s_cbranch_execz .LBB130_157
; %bb.161:                              ;   in Loop: Header=BB130_160 Depth=2
	v_lshlrev_b64 v[13:14], 1, v[6:7]
	v_mov_b32_e32 v15, s46
	v_add_co_u32_e32 v13, vcc, s44, v13
	v_addc_co_u32_e32 v14, vcc, v15, v14, vcc
	global_load_ushort v13, v[13:14], off
	s_waitcnt vmcnt(0)
	v_cmp_lt_i16_e32 vcc, -1, v13
	v_cndmask_b32_e32 v14, v41, v42, vcc
	v_xor_b32_sdwa v14, v14, v13 dst_sel:DWORD dst_unused:UNUSED_PAD src0_sel:DWORD src1_sel:WORD_0
	v_cmp_o_f16_e32 vcc, v13, v13
	v_cndmask_b32_e32 v14, v41, v14, vcc
	v_and_b32_e32 v14, v14, v46
	v_cmp_eq_u32_e32 vcc, v14, v38
	s_and_b64 exec, exec, vcc
	s_cbranch_execz .LBB130_157
; %bb.162:                              ;   in Loop: Header=BB130_160 Depth=2
	v_perm_b32 v13, v13, s63, v44
	ds_write_b32 v7, v13 offset:3072
	s_branch .LBB130_157
.LBB130_163:                            ;   in Loop: Header=BB130_160 Depth=2
	s_mov_b64 s[42:43], -1
                                        ; implicit-def: $vgpr12
	s_mov_b64 s[14:15], -1
	s_branch .LBB130_159
.LBB130_164:                            ;   in Loop: Header=BB130_20 Depth=1
	s_or_b64 exec, exec, s[12:13]
	s_andn2_b64 s[12:13], s[40:41], exec
	s_and_b64 s[14:15], s[28:29], exec
	v_lshrrev_b32_e32 v47, 16, v13
	s_or_b64 s[40:41], s[12:13], s[14:15]
.LBB130_165:                            ;   in Loop: Header=BB130_20 Depth=1
	s_or_b64 exec, exec, s[10:11]
	s_mov_b64 s[28:29], 0
	s_mov_b64 s[78:79], -1
.LBB130_166:                            ;   in Loop: Header=BB130_20 Depth=1
	s_orn2_b64 s[10:11], s[40:41], exec
.LBB130_167:                            ;   in Loop: Header=BB130_20 Depth=1
	s_or_b64 exec, exec, s[30:31]
	s_mov_b64 s[12:13], 0
	s_and_saveexec_b64 s[80:81], s[10:11]
	s_cbranch_execz .LBB130_260
; %bb.168:                              ;   in Loop: Header=BB130_20 Depth=1
	s_xor_b64 s[10:11], s[82:83], -1
	v_mov_b32_e32 v12, 1
	v_mov_b32_e32 v2, 1
	s_and_saveexec_b64 s[30:31], s[10:11]
	s_cbranch_execz .LBB130_177
; %bb.169:                              ;   in Loop: Header=BB130_20 Depth=1
	v_cmp_ge_u32_e32 vcc, s84, v4
	s_and_saveexec_b64 s[10:11], vcc
	s_xor_b64 s[10:11], exec, s[10:11]
	s_cbranch_execz .LBB130_174
; %bb.170:                              ;   in Loop: Header=BB130_20 Depth=1
	v_and_b32_e32 v2, v38, v3
	v_lshl_or_b32 v38, 1, v45, v2
	ds_read_b32 v2, v7 offset:4104
	v_or_b32_e32 v46, v46, v1
	s_waitcnt lgkmcnt(0)
	v_cmp_ne_u32_e32 vcc, 0, v2
	s_cbranch_vccnz .LBB130_174
; %bb.171:                              ;   in Loop: Header=BB130_20 Depth=1
	s_and_saveexec_b64 s[12:13], s[2:3]
; %bb.172:                              ;   in Loop: Header=BB130_20 Depth=1
	v_mov_b32_e32 v2, s84
	ds_write_b32 v7, v2 offset:4108
; %bb.173:                              ;   in Loop: Header=BB130_20 Depth=1
	s_or_b64 exec, exec, s[12:13]
	s_waitcnt lgkmcnt(0)
	s_barrier
.LBB130_174:                            ;   in Loop: Header=BB130_20 Depth=1
	s_or_saveexec_b64 s[10:11], s[10:11]
	s_mov_b64 s[12:13], 0
	v_mov_b32_e32 v2, 8
	s_xor_b64 exec, exec, s[10:11]
; %bb.175:                              ;   in Loop: Header=BB130_20 Depth=1
	v_subrev_u32_e32 v4, s84, v4
	v_mov_b32_e32 v2, 0
	s_mov_b64 s[12:13], exec
; %bb.176:                              ;   in Loop: Header=BB130_20 Depth=1
	s_or_b64 exec, exec, s[10:11]
	s_and_b64 s[12:13], s[12:13], exec
	v_mov_b32_e32 v12, v4
.LBB130_177:                            ;   in Loop: Header=BB130_20 Depth=1
	s_or_b64 exec, exec, s[30:31]
	s_mov_b64 s[10:11], -1
                                        ; implicit-def: $sgpr84_sgpr85
                                        ; implicit-def: $sgpr86_sgpr87
	s_and_saveexec_b64 s[82:83], s[12:13]
	s_cbranch_execz .LBB130_259
; %bb.178:                              ;   in Loop: Header=BB130_20 Depth=1
	s_cmp_eq_u32 s51, 1
	s_cselect_b64 s[10:11], -1, 0
	v_cmp_eq_u32_e32 vcc, 1, v12
	s_and_b64 s[90:91], s[10:11], vcc
	s_mov_b64 s[10:11], -1
                                        ; implicit-def: $sgpr86_sgpr87
                                        ; implicit-def: $sgpr84_sgpr85
	s_and_saveexec_b64 s[30:31], s[90:91]
	s_cbranch_execz .LBB130_206
; %bb.179:                              ;   in Loop: Header=BB130_20 Depth=1
	ds_read_b32 v4, v7 offset:4104
	s_waitcnt lgkmcnt(0)
	s_barrier
	v_readfirstlane_b32 s88, v4
	s_and_saveexec_b64 s[10:11], s[24:25]
; %bb.180:                              ;   in Loop: Header=BB130_20 Depth=1
	ds_write_b16 v23, v7
; %bb.181:                              ;   in Loop: Header=BB130_20 Depth=1
	s_or_b64 exec, exec, s[10:11]
	v_and_b32_e32 v4, v38, v3
	v_lshl_or_b32 v38, 2, v45, v4
	v_or_b32_e32 v46, v46, v1
	s_mov_b64 s[84:85], -1
	s_mov_b64 s[86:87], 0
	s_cmp_eq_u32 s88, 0
	s_mov_b64 s[40:41], 0
	s_mov_b64 s[42:43], -1
	s_waitcnt lgkmcnt(0)
	s_barrier
                                        ; implicit-def: $vgpr47
	s_cbranch_scc1 .LBB130_193
; %bb.182:                              ;   in Loop: Header=BB130_20 Depth=1
	s_add_i32 s10, s88, s8
	s_mul_hi_u32 s11, s10, s35
	s_mul_i32 s11, s11, s39
	s_sub_i32 s11, s10, s11
	s_sub_i32 s12, s11, s39
	s_cmp_ge_u32 s11, s39
	s_cselect_b32 s11, s12, s11
	s_sub_i32 s12, s11, s39
	s_cmp_ge_u32 s11, s39
	s_cselect_b32 s11, s12, s11
	s_sub_i32 s89, s10, s11
	v_cmp_gt_u32_e32 vcc, s89, v0
	s_mov_b64 s[42:43], 0
                                        ; implicit-def: $vgpr47
	s_and_saveexec_b64 s[10:11], vcc
	s_cbranch_execz .LBB130_192
; %bb.183:                              ;   in Loop: Header=BB130_20 Depth=1
	s_mov_b64 s[12:13], 0
	v_mov_b32_e32 v4, v22
	v_mov_b32_e32 v6, v0
                                        ; implicit-def: $sgpr40_sgpr41
	s_branch .LBB130_187
.LBB130_184:                            ;   in Loop: Header=BB130_187 Depth=2
	s_or_b64 exec, exec, s[14:15]
	s_waitcnt lgkmcnt(0)
	s_barrier
	ds_read_b32 v13, v7 offset:3072
	s_waitcnt lgkmcnt(0)
	s_barrier
	v_cmp_neq_f16_e32 vcc, 0, v13
	s_cbranch_vccnz .LBB130_190
; %bb.185:                              ;   in Loop: Header=BB130_187 Depth=2
	v_add_u32_e32 v6, s39, v6
	v_cmp_le_u32_e32 vcc, s89, v6
	v_add_u32_e32 v4, s61, v4
	s_mov_b64 s[14:15], 0
	s_orn2_b64 s[48:49], vcc, exec
.LBB130_186:                            ;   in Loop: Header=BB130_187 Depth=2
	s_and_b64 s[48:49], exec, s[48:49]
	s_or_b64 s[12:13], s[48:49], s[12:13]
	s_andn2_b64 s[40:41], s[40:41], exec
	s_and_b64 s[14:15], s[14:15], exec
	s_or_b64 s[40:41], s[40:41], s[14:15]
	s_andn2_b64 exec, exec, s[12:13]
	s_cbranch_execz .LBB130_191
.LBB130_187:                            ;   Parent Loop BB130_20 Depth=1
                                        ; =>  This Inner Loop Header: Depth=2
	v_cmp_gt_u32_e32 vcc, s88, v6
	s_and_saveexec_b64 s[14:15], vcc
	s_cbranch_execz .LBB130_184
; %bb.188:                              ;   in Loop: Header=BB130_187 Depth=2
	ds_read_u16 v13, v4
	s_waitcnt lgkmcnt(0)
	v_cmp_lt_i16_e32 vcc, -1, v13
	v_cndmask_b32_e32 v14, v41, v42, vcc
	v_xor_b32_sdwa v14, v14, v13 dst_sel:DWORD dst_unused:UNUSED_PAD src0_sel:DWORD src1_sel:WORD_0
	v_cmp_o_f16_e32 vcc, v13, v13
	v_cndmask_b32_e32 v14, v41, v14, vcc
	v_and_b32_e32 v14, v14, v46
	v_cmp_eq_u32_e32 vcc, v14, v38
	s_and_b64 exec, exec, vcc
	s_cbranch_execz .LBB130_184
; %bb.189:                              ;   in Loop: Header=BB130_187 Depth=2
	v_perm_b32 v13, v13, s63, v44
	ds_write_b32 v7, v13 offset:3072
	s_branch .LBB130_184
.LBB130_190:                            ;   in Loop: Header=BB130_187 Depth=2
	s_mov_b64 s[48:49], -1
                                        ; implicit-def: $vgpr6
                                        ; implicit-def: $vgpr4
	s_mov_b64 s[14:15], -1
	s_branch .LBB130_186
.LBB130_191:                            ;   in Loop: Header=BB130_20 Depth=1
	s_or_b64 exec, exec, s[12:13]
	v_lshrrev_b32_e32 v47, 16, v13
	s_and_b64 s[40:41], s[40:41], exec
.LBB130_192:                            ;   in Loop: Header=BB130_20 Depth=1
	s_or_b64 exec, exec, s[10:11]
.LBB130_193:                            ;   in Loop: Header=BB130_20 Depth=1
	s_and_b64 vcc, exec, s[42:43]
	s_cbranch_vccz .LBB130_205
; %bb.194:                              ;   in Loop: Header=BB130_20 Depth=1
                                        ; implicit-def: $vgpr47
	s_and_saveexec_b64 s[10:11], s[20:21]
	s_cbranch_execz .LBB130_204
; %bb.195:                              ;   in Loop: Header=BB130_20 Depth=1
	s_mov_b64 s[12:13], 0
	v_mov_b32_e32 v6, v5
	v_mov_b32_e32 v4, v0
                                        ; implicit-def: $sgpr42_sgpr43
	s_branch .LBB130_199
.LBB130_196:                            ;   in Loop: Header=BB130_199 Depth=2
	s_or_b64 exec, exec, s[14:15]
	s_waitcnt lgkmcnt(0)
	s_barrier
	ds_read_b32 v13, v7 offset:3072
	s_waitcnt lgkmcnt(0)
	s_barrier
	v_cmp_eq_f16_e32 vcc, 0, v13
	s_cbranch_vccz .LBB130_202
; %bb.197:                              ;   in Loop: Header=BB130_199 Depth=2
	v_add_u32_e32 v4, s39, v4
	v_cmp_le_u32_e32 vcc, s58, v4
	v_add_u32_e32 v6, s45, v6
	s_mov_b64 s[14:15], 0
	s_orn2_b64 s[48:49], vcc, exec
.LBB130_198:                            ;   in Loop: Header=BB130_199 Depth=2
	s_and_b64 s[48:49], exec, s[48:49]
	s_or_b64 s[12:13], s[48:49], s[12:13]
	s_andn2_b64 s[42:43], s[42:43], exec
	s_and_b64 s[14:15], s[14:15], exec
	s_or_b64 s[42:43], s[42:43], s[14:15]
	s_andn2_b64 exec, exec, s[12:13]
	s_cbranch_execz .LBB130_203
.LBB130_199:                            ;   Parent Loop BB130_20 Depth=1
                                        ; =>  This Inner Loop Header: Depth=2
	v_cmp_gt_u32_e32 vcc, s36, v4
	s_and_saveexec_b64 s[14:15], vcc
	s_cbranch_execz .LBB130_196
; %bb.200:                              ;   in Loop: Header=BB130_199 Depth=2
	v_lshlrev_b64 v[13:14], 1, v[6:7]
	v_mov_b32_e32 v15, s46
	v_add_co_u32_e32 v13, vcc, s44, v13
	v_addc_co_u32_e32 v14, vcc, v15, v14, vcc
	global_load_ushort v13, v[13:14], off
	s_waitcnt vmcnt(0)
	v_cmp_lt_i16_e32 vcc, -1, v13
	v_cndmask_b32_e32 v14, v41, v42, vcc
	v_xor_b32_sdwa v14, v14, v13 dst_sel:DWORD dst_unused:UNUSED_PAD src0_sel:DWORD src1_sel:WORD_0
	v_cmp_o_f16_e32 vcc, v13, v13
	v_cndmask_b32_e32 v14, v41, v14, vcc
	v_and_b32_e32 v14, v14, v46
	v_cmp_eq_u32_e32 vcc, v14, v38
	s_and_b64 exec, exec, vcc
	s_cbranch_execz .LBB130_196
; %bb.201:                              ;   in Loop: Header=BB130_199 Depth=2
	v_perm_b32 v13, v13, s63, v44
	ds_write_b32 v7, v13 offset:3072
	s_branch .LBB130_196
.LBB130_202:                            ;   in Loop: Header=BB130_199 Depth=2
	s_mov_b64 s[48:49], -1
                                        ; implicit-def: $vgpr4
	s_mov_b64 s[14:15], -1
	s_branch .LBB130_198
.LBB130_203:                            ;   in Loop: Header=BB130_20 Depth=1
	s_or_b64 exec, exec, s[12:13]
	s_andn2_b64 s[12:13], s[40:41], exec
	s_and_b64 s[14:15], s[42:43], exec
	v_lshrrev_b32_e32 v47, 16, v13
	s_or_b64 s[40:41], s[12:13], s[14:15]
.LBB130_204:                            ;   in Loop: Header=BB130_20 Depth=1
	s_or_b64 exec, exec, s[10:11]
	s_mov_b64 s[84:85], 0
	s_mov_b64 s[86:87], -1
.LBB130_205:                            ;   in Loop: Header=BB130_20 Depth=1
	s_orn2_b64 s[10:11], s[40:41], exec
.LBB130_206:                            ;   in Loop: Header=BB130_20 Depth=1
	s_or_b64 exec, exec, s[30:31]
	s_mov_b64 s[12:13], 0
	s_and_saveexec_b64 s[88:89], s[10:11]
	s_cbranch_execz .LBB130_258
; %bb.207:                              ;   in Loop: Header=BB130_20 Depth=1
	s_xor_b64 s[10:11], s[90:91], -1
	v_mov_b32_e32 v4, 1
	v_mov_b32_e32 v2, 1
	s_and_saveexec_b64 s[30:31], s[10:11]
	s_cbranch_execz .LBB130_216
; %bb.208:                              ;   in Loop: Header=BB130_20 Depth=1
	v_cmp_ge_u32_e32 vcc, s51, v12
	s_and_saveexec_b64 s[10:11], vcc
	s_xor_b64 s[10:11], exec, s[10:11]
	s_cbranch_execz .LBB130_213
; %bb.209:                              ;   in Loop: Header=BB130_20 Depth=1
	v_and_b32_e32 v2, v38, v3
	v_lshl_or_b32 v38, 2, v45, v2
	ds_read_b32 v2, v7 offset:4104
	v_or_b32_e32 v46, v46, v1
	s_waitcnt lgkmcnt(0)
	v_cmp_ne_u32_e32 vcc, 0, v2
	s_cbranch_vccnz .LBB130_213
; %bb.210:                              ;   in Loop: Header=BB130_20 Depth=1
	s_and_saveexec_b64 s[12:13], s[2:3]
; %bb.211:                              ;   in Loop: Header=BB130_20 Depth=1
	v_mov_b32_e32 v2, s51
	ds_write_b32 v7, v2 offset:4108
; %bb.212:                              ;   in Loop: Header=BB130_20 Depth=1
	s_or_b64 exec, exec, s[12:13]
	s_waitcnt lgkmcnt(0)
	s_barrier
.LBB130_213:                            ;   in Loop: Header=BB130_20 Depth=1
	s_or_saveexec_b64 s[10:11], s[10:11]
	s_mov_b64 s[12:13], 0
	v_mov_b32_e32 v2, 8
	s_xor_b64 exec, exec, s[10:11]
; %bb.214:                              ;   in Loop: Header=BB130_20 Depth=1
	v_subrev_u32_e32 v12, s51, v12
	v_mov_b32_e32 v2, 0
	s_mov_b64 s[12:13], exec
; %bb.215:                              ;   in Loop: Header=BB130_20 Depth=1
	s_or_b64 exec, exec, s[10:11]
	s_and_b64 s[12:13], s[12:13], exec
	v_mov_b32_e32 v4, v12
.LBB130_216:                            ;   in Loop: Header=BB130_20 Depth=1
	s_or_b64 exec, exec, s[30:31]
	s_mov_b64 s[10:11], -1
                                        ; implicit-def: $sgpr94_sgpr95
                                        ; implicit-def: $sgpr92_sgpr93
	s_and_saveexec_b64 s[90:91], s[12:13]
	s_cbranch_execz .LBB130_257
; %bb.217:                              ;   in Loop: Header=BB130_20 Depth=1
	s_cmp_eq_u32 s50, 1
	s_cselect_b64 s[10:11], -1, 0
	v_cmp_eq_u32_e32 vcc, 1, v4
	s_and_b64 s[30:31], s[10:11], vcc
	s_mov_b64 s[10:11], -1
                                        ; implicit-def: $sgpr94_sgpr95
                                        ; implicit-def: $sgpr92_sgpr93
	s_and_saveexec_b64 s[40:41], s[30:31]
	s_cbranch_execz .LBB130_245
; %bb.218:                              ;   in Loop: Header=BB130_20 Depth=1
	ds_read_b32 v3, v7 offset:4104
	s_waitcnt lgkmcnt(0)
	s_barrier
	v_readfirstlane_b32 s51, v3
	s_and_saveexec_b64 s[10:11], s[24:25]
; %bb.219:                              ;   in Loop: Header=BB130_20 Depth=1
	ds_write_b16 v23, v7
; %bb.220:                              ;   in Loop: Header=BB130_20 Depth=1
	s_or_b64 exec, exec, s[10:11]
	v_or_b32_e32 v38, v38, v1
	v_or_b32_e32 v46, v46, v1
	s_mov_b64 s[92:93], -1
	s_mov_b64 s[94:95], 0
	s_cmp_eq_u32 s51, 0
	s_mov_b64 s[42:43], 0
	s_mov_b64 s[10:11], -1
	s_waitcnt lgkmcnt(0)
	s_barrier
                                        ; implicit-def: $vgpr47
	s_cbranch_scc1 .LBB130_232
; %bb.221:                              ;   in Loop: Header=BB130_20 Depth=1
	s_add_i32 s10, s51, s8
	s_mul_hi_u32 s11, s10, s35
	s_mul_i32 s11, s11, s39
	s_sub_i32 s11, s10, s11
	s_sub_i32 s12, s11, s39
	s_cmp_ge_u32 s11, s39
	s_cselect_b32 s11, s12, s11
	s_sub_i32 s12, s11, s39
	s_cmp_ge_u32 s11, s39
	s_cselect_b32 s11, s12, s11
	s_sub_i32 s33, s10, s11
	v_cmp_gt_u32_e32 vcc, s33, v0
	s_mov_b64 s[10:11], 0
                                        ; implicit-def: $vgpr47
	s_and_saveexec_b64 s[12:13], vcc
	s_cbranch_execz .LBB130_231
; %bb.222:                              ;   in Loop: Header=BB130_20 Depth=1
	v_mov_b32_e32 v3, v22
	v_mov_b32_e32 v6, v0
                                        ; implicit-def: $sgpr14_sgpr15
	s_branch .LBB130_226
.LBB130_223:                            ;   in Loop: Header=BB130_226 Depth=2
	s_or_b64 exec, exec, s[48:49]
	s_waitcnt lgkmcnt(0)
	s_barrier
	ds_read_b32 v12, v7 offset:3072
	s_waitcnt lgkmcnt(0)
	s_barrier
	v_cmp_neq_f16_e32 vcc, 0, v12
	s_cbranch_vccnz .LBB130_229
; %bb.224:                              ;   in Loop: Header=BB130_226 Depth=2
	v_add_u32_e32 v6, s39, v6
	v_cmp_le_u32_e32 vcc, s33, v6
	v_add_u32_e32 v3, s61, v3
	s_mov_b64 s[48:49], 0
	s_orn2_b64 vcc, vcc, exec
.LBB130_225:                            ;   in Loop: Header=BB130_226 Depth=2
	s_and_b64 vcc, exec, vcc
	s_or_b64 s[42:43], vcc, s[42:43]
	s_andn2_b64 s[14:15], s[14:15], exec
	s_and_b64 s[48:49], s[48:49], exec
	s_or_b64 s[14:15], s[14:15], s[48:49]
	s_andn2_b64 exec, exec, s[42:43]
	s_cbranch_execz .LBB130_230
.LBB130_226:                            ;   Parent Loop BB130_20 Depth=1
                                        ; =>  This Inner Loop Header: Depth=2
	v_cmp_gt_u32_e32 vcc, s51, v6
	s_and_saveexec_b64 s[48:49], vcc
	s_cbranch_execz .LBB130_223
; %bb.227:                              ;   in Loop: Header=BB130_226 Depth=2
	ds_read_u16 v12, v3
	s_waitcnt lgkmcnt(0)
	v_cmp_lt_i16_e32 vcc, -1, v12
	v_cndmask_b32_e32 v13, v41, v42, vcc
	v_xor_b32_sdwa v13, v13, v12 dst_sel:DWORD dst_unused:UNUSED_PAD src0_sel:DWORD src1_sel:WORD_0
	v_cmp_o_f16_e32 vcc, v12, v12
	v_cndmask_b32_e32 v13, v41, v13, vcc
	v_and_b32_e32 v13, v13, v46
	v_cmp_eq_u32_e32 vcc, v13, v38
	s_and_b64 exec, exec, vcc
	s_cbranch_execz .LBB130_223
; %bb.228:                              ;   in Loop: Header=BB130_226 Depth=2
	v_perm_b32 v12, v12, s63, v44
	ds_write_b32 v7, v12 offset:3072
	s_branch .LBB130_223
.LBB130_229:                            ;   in Loop: Header=BB130_226 Depth=2
	s_mov_b64 vcc, -1
                                        ; implicit-def: $vgpr6
                                        ; implicit-def: $vgpr3
	s_mov_b64 s[48:49], -1
	s_branch .LBB130_225
.LBB130_230:                            ;   in Loop: Header=BB130_20 Depth=1
	s_or_b64 exec, exec, s[42:43]
	v_lshrrev_b32_e32 v47, 16, v12
	s_and_b64 s[42:43], s[14:15], exec
.LBB130_231:                            ;   in Loop: Header=BB130_20 Depth=1
	s_or_b64 exec, exec, s[12:13]
.LBB130_232:                            ;   in Loop: Header=BB130_20 Depth=1
	s_and_b64 vcc, exec, s[10:11]
	s_cbranch_vccz .LBB130_244
; %bb.233:                              ;   in Loop: Header=BB130_20 Depth=1
                                        ; implicit-def: $vgpr47
	s_and_saveexec_b64 s[10:11], s[20:21]
	s_cbranch_execz .LBB130_243
; %bb.234:                              ;   in Loop: Header=BB130_20 Depth=1
	s_mov_b64 s[12:13], 0
	v_mov_b32_e32 v6, v5
	v_mov_b32_e32 v3, v0
                                        ; implicit-def: $sgpr92_sgpr93
	s_branch .LBB130_238
.LBB130_235:                            ;   in Loop: Header=BB130_238 Depth=2
	s_or_b64 exec, exec, s[14:15]
	s_waitcnt lgkmcnt(0)
	s_barrier
	ds_read_b32 v12, v7 offset:3072
	s_waitcnt lgkmcnt(0)
	s_barrier
	v_cmp_eq_f16_e32 vcc, 0, v12
	s_cbranch_vccz .LBB130_241
; %bb.236:                              ;   in Loop: Header=BB130_238 Depth=2
	v_add_u32_e32 v3, s39, v3
	v_cmp_le_u32_e32 vcc, s58, v3
	v_add_u32_e32 v6, s45, v6
	s_mov_b64 s[14:15], 0
	s_orn2_b64 s[48:49], vcc, exec
.LBB130_237:                            ;   in Loop: Header=BB130_238 Depth=2
	s_and_b64 s[48:49], exec, s[48:49]
	s_or_b64 s[12:13], s[48:49], s[12:13]
	s_andn2_b64 s[48:49], s[92:93], exec
	s_and_b64 s[14:15], s[14:15], exec
	s_or_b64 s[92:93], s[48:49], s[14:15]
	s_andn2_b64 exec, exec, s[12:13]
	s_cbranch_execz .LBB130_242
.LBB130_238:                            ;   Parent Loop BB130_20 Depth=1
                                        ; =>  This Inner Loop Header: Depth=2
	v_cmp_gt_u32_e32 vcc, s36, v3
	s_and_saveexec_b64 s[14:15], vcc
	s_cbranch_execz .LBB130_235
; %bb.239:                              ;   in Loop: Header=BB130_238 Depth=2
	v_lshlrev_b64 v[12:13], 1, v[6:7]
	v_mov_b32_e32 v14, s46
	v_add_co_u32_e32 v12, vcc, s44, v12
	v_addc_co_u32_e32 v13, vcc, v14, v13, vcc
	global_load_ushort v12, v[12:13], off
	s_waitcnt vmcnt(0)
	v_cmp_lt_i16_e32 vcc, -1, v12
	v_cndmask_b32_e32 v13, v41, v42, vcc
	v_xor_b32_sdwa v13, v13, v12 dst_sel:DWORD dst_unused:UNUSED_PAD src0_sel:DWORD src1_sel:WORD_0
	v_cmp_o_f16_e32 vcc, v12, v12
	v_cndmask_b32_e32 v13, v41, v13, vcc
	v_and_b32_e32 v13, v13, v46
	v_cmp_eq_u32_e32 vcc, v13, v38
	s_and_b64 exec, exec, vcc
	s_cbranch_execz .LBB130_235
; %bb.240:                              ;   in Loop: Header=BB130_238 Depth=2
	v_perm_b32 v12, v12, s63, v44
	ds_write_b32 v7, v12 offset:3072
	s_branch .LBB130_235
.LBB130_241:                            ;   in Loop: Header=BB130_238 Depth=2
	s_mov_b64 s[48:49], -1
                                        ; implicit-def: $vgpr3
	s_mov_b64 s[14:15], -1
	s_branch .LBB130_237
.LBB130_242:                            ;   in Loop: Header=BB130_20 Depth=1
	s_or_b64 exec, exec, s[12:13]
	s_andn2_b64 s[12:13], s[42:43], exec
	s_and_b64 s[14:15], s[92:93], exec
	v_lshrrev_b32_e32 v47, 16, v12
	s_or_b64 s[42:43], s[12:13], s[14:15]
.LBB130_243:                            ;   in Loop: Header=BB130_20 Depth=1
	s_or_b64 exec, exec, s[10:11]
	s_mov_b64 s[92:93], 0
	s_mov_b64 s[94:95], -1
.LBB130_244:                            ;   in Loop: Header=BB130_20 Depth=1
	s_orn2_b64 s[10:11], s[42:43], exec
.LBB130_245:                            ;   in Loop: Header=BB130_20 Depth=1
	s_or_b64 exec, exec, s[40:41]
	s_mov_b64 s[12:13], 0
	s_and_saveexec_b64 s[40:41], s[10:11]
	s_cbranch_execz .LBB130_256
; %bb.246:                              ;   in Loop: Header=BB130_20 Depth=1
	s_xor_b64 s[12:13], s[30:31], -1
	v_mov_b32_e32 v2, 1
	v_mov_b32_e32 v3, 1
	s_and_saveexec_b64 s[10:11], s[12:13]
	s_cbranch_execz .LBB130_255
; %bb.247:                              ;   in Loop: Header=BB130_20 Depth=1
	v_cmp_ge_u32_e32 vcc, s50, v4
	s_and_saveexec_b64 s[12:13], vcc
	s_xor_b64 s[12:13], exec, s[12:13]
	s_cbranch_execz .LBB130_252
; %bb.248:                              ;   in Loop: Header=BB130_20 Depth=1
	v_or_b32_e32 v38, v38, v1
	v_or_b32_e32 v46, v46, v1
	ds_read_b32 v1, v7 offset:4104
	s_waitcnt lgkmcnt(0)
	v_cmp_ne_u32_e32 vcc, 0, v1
	s_cbranch_vccnz .LBB130_252
; %bb.249:                              ;   in Loop: Header=BB130_20 Depth=1
	s_and_saveexec_b64 s[14:15], s[2:3]
; %bb.250:                              ;   in Loop: Header=BB130_20 Depth=1
	v_mov_b32_e32 v1, s50
	ds_write_b32 v7, v1 offset:4108
; %bb.251:                              ;   in Loop: Header=BB130_20 Depth=1
	s_or_b64 exec, exec, s[14:15]
	s_waitcnt lgkmcnt(0)
	s_barrier
.LBB130_252:                            ;   in Loop: Header=BB130_20 Depth=1
	s_andn2_saveexec_b64 s[12:13], s[12:13]
; %bb.253:                              ;   in Loop: Header=BB130_20 Depth=1
	v_subrev_u32_e32 v4, s50, v4
; %bb.254:                              ;   in Loop: Header=BB130_20 Depth=1
	s_or_b64 exec, exec, s[12:13]
	v_mov_b32_e32 v2, 8
	v_mov_b32_e32 v3, v4
.LBB130_255:                            ;   in Loop: Header=BB130_20 Depth=1
	s_or_b64 exec, exec, s[10:11]
	s_mov_b64 s[12:13], exec
	v_mov_b32_e32 v4, v3
.LBB130_256:                            ;   in Loop: Header=BB130_20 Depth=1
	s_or_b64 exec, exec, s[40:41]
	s_orn2_b64 s[10:11], s[12:13], exec
.LBB130_257:                            ;   in Loop: Header=BB130_20 Depth=1
	s_or_b64 exec, exec, s[90:91]
	s_andn2_b64 s[12:13], s[86:87], exec
	s_and_b64 s[14:15], s[94:95], exec
	s_or_b64 s[86:87], s[12:13], s[14:15]
	s_andn2_b64 s[12:13], s[84:85], exec
	s_and_b64 s[14:15], s[92:93], exec
	s_or_b64 s[84:85], s[12:13], s[14:15]
	s_and_b64 s[12:13], s[10:11], exec
	v_mov_b32_e32 v12, v4
.LBB130_258:                            ;   in Loop: Header=BB130_20 Depth=1
	s_or_b64 exec, exec, s[88:89]
	s_orn2_b64 s[10:11], s[12:13], exec
.LBB130_259:                            ;   in Loop: Header=BB130_20 Depth=1
	s_or_b64 exec, exec, s[82:83]
	s_andn2_b64 s[12:13], s[78:79], exec
	s_and_b64 s[14:15], s[86:87], exec
	s_or_b64 s[78:79], s[12:13], s[14:15]
	s_andn2_b64 s[12:13], s[28:29], exec
	s_and_b64 s[14:15], s[84:85], exec
	s_or_b64 s[28:29], s[12:13], s[14:15]
	s_and_b64 s[12:13], s[10:11], exec
	v_mov_b32_e32 v4, v12
.LBB130_260:                            ;   in Loop: Header=BB130_20 Depth=1
	s_or_b64 exec, exec, s[80:81]
	s_orn2_b64 s[10:11], s[12:13], exec
.LBB130_261:                            ;   in Loop: Header=BB130_20 Depth=1
	s_or_b64 exec, exec, s[26:27]
	s_mov_b64 s[12:13], 0
                                        ; implicit-def: $sgpr40
	s_and_saveexec_b64 s[14:15], s[10:11]
	s_xor_b64 s[10:11], exec, s[14:15]
	s_cbranch_execz .LBB130_18
; %bb.262:                              ;   in Loop: Header=BB130_20 Depth=1
	v_and_b32_e32 v1, 7, v2
	v_cmp_eq_u32_e32 vcc, 0, v1
	s_mov_b64 s[14:15], -1
	s_mov_b64 s[12:13], -1
                                        ; implicit-def: $sgpr40
	s_and_saveexec_b64 s[22:23], vcc
	s_cbranch_execz .LBB130_17
; %bb.263:                              ;   in Loop: Header=BB130_20 Depth=1
	v_add_u32_e32 v1, -2, v45
	v_cmp_eq_u32_e32 vcc, 0, v45
	s_xor_b32 s40, s1, 1
	s_xor_b64 s[12:13], exec, -1
	s_orn2_b64 s[14:15], vcc, exec
	v_mov_b32_e32 v45, v1
	s_branch .LBB130_17
.LBB130_264:
	s_or_b64 exec, exec, s[64:65]
	s_xor_b64 s[8:9], s[70:71], -1
	s_xor_b64 s[0:1], s[66:67], -1
	;; [unrolled: 1-line block ×3, first 2 shown]
	s_mov_b64 s[4:5], 0
	s_and_saveexec_b64 s[2:3], s[0:1]
	s_xor_b64 s[2:3], exec, s[2:3]
	s_cbranch_execnz .LBB130_269
; %bb.265:
	s_andn2_saveexec_b64 s[0:1], s[2:3]
	s_cbranch_execnz .LBB130_282
.LBB130_266:
	s_or_b64 exec, exec, s[0:1]
	s_and_saveexec_b64 s[0:1], s[4:5]
.LBB130_267:
	; divergent unreachable
.LBB130_268:
	s_endpgm
.LBB130_269:
	s_and_saveexec_b64 s[0:1], s[8:9]
	s_xor_b64 s[4:5], exec, s[0:1]
	s_cbranch_execz .LBB130_280
; %bb.270:
	s_and_saveexec_b64 s[0:1], s[6:7]
	s_xor_b64 s[6:7], exec, s[0:1]
; %bb.271:
	v_and_b32_e32 v1, 0x8000, v38
	v_mov_b32_e32 v2, 0x8000
	v_mov_b32_e32 v3, 0xffff
	v_cmp_eq_u32_e32 vcc, 0, v1
	v_cndmask_b32_e32 v1, v2, v3, vcc
	v_xor_b32_e32 v47, v1, v38
; %bb.272:
	s_or_b64 exec, exec, s[6:7]
	v_readlane_b32 s8, v53, 12
	v_readlane_b32 s9, v53, 13
	;; [unrolled: 1-line block ×3, first 2 shown]
	s_mul_i32 s0, s10, s9
	v_readlane_b32 s1, v53, 20
	v_readlane_b32 s9, v53, 15
	s_sub_i32 s0, s1, s0
	s_mul_i32 s1, s9, s8
	s_sub_i32 s1, s10, s1
	s_add_i32 s6, s9, 1
	s_sub_i32 s7, s1, s8
	s_cmp_ge_u32 s1, s8
	s_cselect_b32 s6, s6, s9
	s_cselect_b32 s1, s7, s1
	s_add_i32 s7, s6, 1
	s_cmp_ge_u32 s1, s8
	s_cselect_b32 s1, s7, s6
	v_readlane_b32 s12, v53, 8
	s_mul_i32 s6, s1, s8
	v_readlane_b32 s13, v53, 9
	v_readlane_b32 s14, v53, 10
	s_sub_i32 s6, s10, s6
	s_mul_i32 s0, s0, s14
	s_mul_i32 s6, s6, s13
	s_add_i32 s0, s6, s0
	s_mul_i32 s1, s1, s12
	s_add_i32 s0, s0, s1
	s_mov_b32 s1, 0
	s_lshl_b64 s[0:1], s[0:1], 1
	v_readlane_b32 s6, v53, 0
	v_readlane_b32 s7, v53, 1
	s_add_u32 s0, s6, s0
	s_addc_u32 s1, s7, s1
	v_mov_b32_e32 v6, 0
	v_readlane_b32 s15, v53, 11
	global_store_short v6, v47, s[0:1]
	s_mov_b64 s[6:7], exec
	v_readlane_b32 s0, v53, 21
	v_readlane_b32 s1, v53, 22
	s_and_b64 s[0:1], s[6:7], s[0:1]
	s_mov_b64 exec, s[0:1]
	s_cbranch_execz .LBB130_279
; %bb.273:
	v_cmp_u_f16_e32 vcc, v47, v47
	s_mov_b64 s[8:9], 0
	v_mov_b32_e32 v2, s46
	s_xor_b64 s[12:13], vcc, -1
                                        ; implicit-def: $sgpr10_sgpr11
                                        ; implicit-def: $sgpr16_sgpr17
                                        ; implicit-def: $sgpr14_sgpr15
	s_branch .LBB130_275
.LBB130_274:                            ;   in Loop: Header=BB130_275 Depth=1
	s_or_b64 exec, exec, s[0:1]
	s_and_b64 s[0:1], exec, s[16:17]
	s_or_b64 s[8:9], s[0:1], s[8:9]
	s_andn2_b64 s[0:1], s[10:11], exec
	s_and_b64 s[10:11], s[14:15], exec
	s_or_b64 s[10:11], s[0:1], s[10:11]
	s_andn2_b64 exec, exec, s[8:9]
	s_cbranch_execz .LBB130_277
.LBB130_275:                            ; =>This Inner Loop Header: Depth=1
	v_lshlrev_b64 v[3:4], 1, v[5:6]
	v_mov_b32_e32 v1, v0
	v_add_co_u32_e32 v3, vcc, s44, v3
	v_addc_co_u32_e32 v4, vcc, v2, v4, vcc
	global_load_ushort v3, v[3:4], off
	s_or_b64 s[14:15], s[14:15], exec
	s_or_b64 s[16:17], s[16:17], exec
                                        ; implicit-def: $vgpr0
	s_waitcnt vmcnt(0)
	v_cmp_o_f16_e64 s[0:1], v3, v3
	v_cmp_neq_f16_e32 vcc, v3, v47
	s_or_b64 s[0:1], s[12:13], s[0:1]
	s_and_b64 s[18:19], vcc, s[0:1]
	s_and_saveexec_b64 s[0:1], s[18:19]
	s_cbranch_execz .LBB130_274
; %bb.276:                              ;   in Loop: Header=BB130_275 Depth=1
	v_add_u32_e32 v0, s39, v1
	v_cmp_le_u32_e32 vcc, s36, v0
	s_andn2_b64 s[16:17], s[16:17], exec
	s_and_b64 s[18:19], vcc, exec
	v_add_u32_e32 v5, s45, v5
	s_andn2_b64 s[14:15], s[14:15], exec
	s_or_b64 s[16:17], s[16:17], s[18:19]
	s_branch .LBB130_274
.LBB130_277:
	s_or_b64 exec, exec, s[8:9]
	s_and_saveexec_b64 s[0:1], s[10:11]
	s_xor_b64 s[0:1], exec, s[0:1]
	s_cbranch_execz .LBB130_279
; %bb.278:
	v_readlane_b32 s8, v53, 2
	v_readlane_b32 s16, v53, 16
	;; [unrolled: 1-line block ×6, first 2 shown]
	s_mov_b32 s14, s10
	s_mul_i32 s0, s15, s17
	v_readlane_b32 s1, v53, 20
	s_mov_b64 s[12:13], s[8:9]
	v_readlane_b32 s10, v53, 19
	s_sub_i32 s0, s1, s0
	s_mul_i32 s1, s10, s16
	s_sub_i32 s1, s15, s1
	s_add_i32 s8, s10, 1
	s_sub_i32 s9, s1, s16
	s_cmp_ge_u32 s1, s16
	s_cselect_b32 s8, s8, s10
	s_cselect_b32 s1, s9, s1
	s_add_i32 s9, s8, 1
	s_cmp_ge_u32 s1, s16
	s_cselect_b32 s1, s9, s8
	s_mul_i32 s8, s1, s16
	s_sub_i32 s8, s15, s8
	s_mul_i32 s0, s0, s14
	s_mul_i32 s8, s8, s13
	s_add_i32 s0, s8, s0
	s_mul_i32 s1, s1, s12
	s_add_i32 s0, s0, s1
	s_mov_b32 s1, 0
	s_lshl_b64 s[0:1], s[0:1], 3
	v_readlane_b32 s8, v53, 6
	v_readlane_b32 s9, v53, 7
	s_add_u32 s0, s8, s0
	s_addc_u32 s1, s9, s1
	v_mov_b32_e32 v2, 0
	v_readlane_b32 s11, v53, 5
	global_store_dwordx2 v2, v[1:2], s[0:1]
.LBB130_279:
	s_or_b64 exec, exec, s[6:7]
.LBB130_280:
	s_or_saveexec_b64 s[0:1], s[4:5]
	s_mov_b64 s[4:5], 0
	s_xor_b64 exec, exec, s[0:1]
	s_cbranch_execnz .LBB130_283
.LBB130_281:
	s_or_b64 exec, exec, s[0:1]
	s_and_b64 s[4:5], s[4:5], exec
	s_andn2_saveexec_b64 s[0:1], s[2:3]
	s_cbranch_execz .LBB130_266
.LBB130_282:
	s_or_b64 s[4:5], s[4:5], exec
	s_trap 2
	s_or_b64 exec, exec, s[0:1]
	s_and_saveexec_b64 s[0:1], s[4:5]
	s_cbranch_execnz .LBB130_267
	s_branch .LBB130_268
.LBB130_283:
	s_mov_b64 s[4:5], exec
	s_trap 2
	s_branch .LBB130_281
	.section	.rodata,"a",@progbits
	.p2align	6, 0x0
	.amdhsa_kernel _ZN2at6native12_GLOBAL__N_112gatherMedianIN3c104HalfEjLi3EEEvNS_4cuda6detail10TensorInfoIT_T0_EENS7_IlS9_EENS7_IKS8_S9_EES9_S9_S9_b
		.amdhsa_group_segment_fixed_size 4120
		.amdhsa_private_segment_fixed_size 0
		.amdhsa_kernarg_size 920
		.amdhsa_user_sgpr_count 6
		.amdhsa_user_sgpr_private_segment_buffer 1
		.amdhsa_user_sgpr_dispatch_ptr 0
		.amdhsa_user_sgpr_queue_ptr 0
		.amdhsa_user_sgpr_kernarg_segment_ptr 1
		.amdhsa_user_sgpr_dispatch_id 0
		.amdhsa_user_sgpr_flat_scratch_init 0
		.amdhsa_user_sgpr_private_segment_size 0
		.amdhsa_uses_dynamic_stack 0
		.amdhsa_system_sgpr_private_segment_wavefront_offset 0
		.amdhsa_system_sgpr_workgroup_id_x 1
		.amdhsa_system_sgpr_workgroup_id_y 1
		.amdhsa_system_sgpr_workgroup_id_z 1
		.amdhsa_system_sgpr_workgroup_info 0
		.amdhsa_system_vgpr_workitem_id 0
		.amdhsa_next_free_vgpr 54
		.amdhsa_next_free_sgpr 96
		.amdhsa_reserve_vcc 1
		.amdhsa_reserve_flat_scratch 0
		.amdhsa_float_round_mode_32 0
		.amdhsa_float_round_mode_16_64 0
		.amdhsa_float_denorm_mode_32 3
		.amdhsa_float_denorm_mode_16_64 3
		.amdhsa_dx10_clamp 1
		.amdhsa_ieee_mode 1
		.amdhsa_fp16_overflow 0
		.amdhsa_exception_fp_ieee_invalid_op 0
		.amdhsa_exception_fp_denorm_src 0
		.amdhsa_exception_fp_ieee_div_zero 0
		.amdhsa_exception_fp_ieee_overflow 0
		.amdhsa_exception_fp_ieee_underflow 0
		.amdhsa_exception_fp_ieee_inexact 0
		.amdhsa_exception_int_div_zero 0
	.end_amdhsa_kernel
	.section	.text._ZN2at6native12_GLOBAL__N_112gatherMedianIN3c104HalfEjLi3EEEvNS_4cuda6detail10TensorInfoIT_T0_EENS7_IlS9_EENS7_IKS8_S9_EES9_S9_S9_b,"axG",@progbits,_ZN2at6native12_GLOBAL__N_112gatherMedianIN3c104HalfEjLi3EEEvNS_4cuda6detail10TensorInfoIT_T0_EENS7_IlS9_EENS7_IKS8_S9_EES9_S9_S9_b,comdat
.Lfunc_end130:
	.size	_ZN2at6native12_GLOBAL__N_112gatherMedianIN3c104HalfEjLi3EEEvNS_4cuda6detail10TensorInfoIT_T0_EENS7_IlS9_EENS7_IKS8_S9_EES9_S9_S9_b, .Lfunc_end130-_ZN2at6native12_GLOBAL__N_112gatherMedianIN3c104HalfEjLi3EEEvNS_4cuda6detail10TensorInfoIT_T0_EENS7_IlS9_EENS7_IKS8_S9_EES9_S9_S9_b
                                        ; -- End function
	.set _ZN2at6native12_GLOBAL__N_112gatherMedianIN3c104HalfEjLi3EEEvNS_4cuda6detail10TensorInfoIT_T0_EENS7_IlS9_EENS7_IKS8_S9_EES9_S9_S9_b.num_vgpr, 54
	.set _ZN2at6native12_GLOBAL__N_112gatherMedianIN3c104HalfEjLi3EEEvNS_4cuda6detail10TensorInfoIT_T0_EENS7_IlS9_EENS7_IKS8_S9_EES9_S9_S9_b.num_agpr, 0
	.set _ZN2at6native12_GLOBAL__N_112gatherMedianIN3c104HalfEjLi3EEEvNS_4cuda6detail10TensorInfoIT_T0_EENS7_IlS9_EENS7_IKS8_S9_EES9_S9_S9_b.numbered_sgpr, 96
	.set _ZN2at6native12_GLOBAL__N_112gatherMedianIN3c104HalfEjLi3EEEvNS_4cuda6detail10TensorInfoIT_T0_EENS7_IlS9_EENS7_IKS8_S9_EES9_S9_S9_b.num_named_barrier, 0
	.set _ZN2at6native12_GLOBAL__N_112gatherMedianIN3c104HalfEjLi3EEEvNS_4cuda6detail10TensorInfoIT_T0_EENS7_IlS9_EENS7_IKS8_S9_EES9_S9_S9_b.private_seg_size, 0
	.set _ZN2at6native12_GLOBAL__N_112gatherMedianIN3c104HalfEjLi3EEEvNS_4cuda6detail10TensorInfoIT_T0_EENS7_IlS9_EENS7_IKS8_S9_EES9_S9_S9_b.uses_vcc, 1
	.set _ZN2at6native12_GLOBAL__N_112gatherMedianIN3c104HalfEjLi3EEEvNS_4cuda6detail10TensorInfoIT_T0_EENS7_IlS9_EENS7_IKS8_S9_EES9_S9_S9_b.uses_flat_scratch, 0
	.set _ZN2at6native12_GLOBAL__N_112gatherMedianIN3c104HalfEjLi3EEEvNS_4cuda6detail10TensorInfoIT_T0_EENS7_IlS9_EENS7_IKS8_S9_EES9_S9_S9_b.has_dyn_sized_stack, 0
	.set _ZN2at6native12_GLOBAL__N_112gatherMedianIN3c104HalfEjLi3EEEvNS_4cuda6detail10TensorInfoIT_T0_EENS7_IlS9_EENS7_IKS8_S9_EES9_S9_S9_b.has_recursion, 0
	.set _ZN2at6native12_GLOBAL__N_112gatherMedianIN3c104HalfEjLi3EEEvNS_4cuda6detail10TensorInfoIT_T0_EENS7_IlS9_EENS7_IKS8_S9_EES9_S9_S9_b.has_indirect_call, 0
	.section	.AMDGPU.csdata,"",@progbits
; Kernel info:
; codeLenInByte = 11548
; TotalNumSgprs: 100
; NumVgprs: 54
; ScratchSize: 0
; MemoryBound: 0
; FloatMode: 240
; IeeeMode: 1
; LDSByteSize: 4120 bytes/workgroup (compile time only)
; SGPRBlocks: 12
; VGPRBlocks: 13
; NumSGPRsForWavesPerEU: 100
; NumVGPRsForWavesPerEU: 54
; Occupancy: 4
; WaveLimiterHint : 1
; COMPUTE_PGM_RSRC2:SCRATCH_EN: 0
; COMPUTE_PGM_RSRC2:USER_SGPR: 6
; COMPUTE_PGM_RSRC2:TRAP_HANDLER: 0
; COMPUTE_PGM_RSRC2:TGID_X_EN: 1
; COMPUTE_PGM_RSRC2:TGID_Y_EN: 1
; COMPUTE_PGM_RSRC2:TGID_Z_EN: 1
; COMPUTE_PGM_RSRC2:TIDIG_COMP_CNT: 0
	.section	.text._ZN2at6native12_GLOBAL__N_112gatherMedianIN3c104HalfEjLin1EEEvNS_4cuda6detail10TensorInfoIT_T0_EENS7_IlS9_EENS7_IKS8_S9_EES9_S9_S9_b,"axG",@progbits,_ZN2at6native12_GLOBAL__N_112gatherMedianIN3c104HalfEjLin1EEEvNS_4cuda6detail10TensorInfoIT_T0_EENS7_IlS9_EENS7_IKS8_S9_EES9_S9_S9_b,comdat
	.globl	_ZN2at6native12_GLOBAL__N_112gatherMedianIN3c104HalfEjLin1EEEvNS_4cuda6detail10TensorInfoIT_T0_EENS7_IlS9_EENS7_IKS8_S9_EES9_S9_S9_b ; -- Begin function _ZN2at6native12_GLOBAL__N_112gatherMedianIN3c104HalfEjLin1EEEvNS_4cuda6detail10TensorInfoIT_T0_EENS7_IlS9_EENS7_IKS8_S9_EES9_S9_S9_b
	.p2align	8
	.type	_ZN2at6native12_GLOBAL__N_112gatherMedianIN3c104HalfEjLin1EEEvNS_4cuda6detail10TensorInfoIT_T0_EENS7_IlS9_EENS7_IKS8_S9_EES9_S9_S9_b,@function
_ZN2at6native12_GLOBAL__N_112gatherMedianIN3c104HalfEjLin1EEEvNS_4cuda6detail10TensorInfoIT_T0_EENS7_IlS9_EENS7_IKS8_S9_EES9_S9_S9_b: ; @_ZN2at6native12_GLOBAL__N_112gatherMedianIN3c104HalfEjLin1EEEvNS_4cuda6detail10TensorInfoIT_T0_EENS7_IlS9_EENS7_IKS8_S9_EES9_S9_S9_b
; %bb.0:
	s_load_dwordx2 s[12:13], s[4:5], 0x298
	s_load_dwordx4 s[36:39], s[4:5], 0x288
	s_add_u32 s10, s4, 0x298
	s_addc_u32 s11, s5, 0
	s_waitcnt lgkmcnt(0)
	s_mul_i32 s0, s13, s8
	s_add_i32 s0, s0, s7
	s_mul_i32 s0, s0, s12
	s_add_i32 s7, s0, s6
	s_cmp_ge_u32 s7, s37
	s_cbranch_scc1 .LBB131_277
; %bb.1:
	s_load_dword s0, s[4:5], 0xd0
	s_mov_b32 s35, 0
	s_mov_b32 s33, s7
	s_waitcnt lgkmcnt(0)
	s_cmp_lt_i32 s0, 2
	s_cbranch_scc1 .LBB131_4
; %bb.2:
	s_add_i32 s34, s0, -1
	s_add_i32 s2, s0, 1
	s_lshl_b64 s[0:1], s[34:35], 2
	s_add_u32 s0, s4, s0
	s_addc_u32 s1, s5, s1
	s_add_u32 s0, s0, 8
	s_addc_u32 s1, s1, 0
	s_mov_b32 s33, s7
.LBB131_3:                              ; =>This Inner Loop Header: Depth=1
	s_load_dword s3, s[0:1], 0x0
	s_load_dword s9, s[0:1], 0x64
	s_mov_b32 s8, s33
	s_waitcnt lgkmcnt(0)
	v_cvt_f32_u32_e32 v1, s3
	s_sub_i32 s13, 0, s3
	v_rcp_iflag_f32_e32 v1, v1
	v_mul_f32_e32 v1, 0x4f7ffffe, v1
	v_cvt_u32_f32_e32 v1, v1
	v_readfirstlane_b32 s14, v1
	s_mul_i32 s13, s13, s14
	s_mul_hi_u32 s13, s14, s13
	s_add_i32 s14, s14, s13
	s_mul_hi_u32 s13, s33, s14
	s_mul_i32 s14, s13, s3
	s_sub_i32 s14, s33, s14
	s_add_i32 s15, s13, 1
	s_sub_i32 s16, s14, s3
	s_cmp_ge_u32 s14, s3
	s_cselect_b32 s13, s15, s13
	s_cselect_b32 s14, s16, s14
	s_add_i32 s15, s13, 1
	s_cmp_ge_u32 s14, s3
	s_cselect_b32 s33, s15, s13
	s_mul_i32 s3, s33, s3
	s_sub_i32 s3, s8, s3
	s_mul_i32 s3, s9, s3
	s_add_i32 s2, s2, -1
	s_add_i32 s35, s3, s35
	s_add_u32 s0, s0, -4
	s_addc_u32 s1, s1, -1
	s_cmp_gt_u32 s2, 2
	s_cbranch_scc1 .LBB131_3
.LBB131_4:
	s_load_dword s2, s[4:5], 0x1a8
	s_add_u32 s0, s4, 0xd8
	s_addc_u32 s1, s5, 0
	s_mov_b32 s41, 0
	s_mov_b32 s34, s7
	s_waitcnt lgkmcnt(0)
	s_cmp_lt_i32 s2, 2
	s_cbranch_scc1 .LBB131_7
; %bb.5:
	s_add_i32 s40, s2, -1
	s_add_i32 s8, s2, 1
	s_lshl_b64 s[2:3], s[40:41], 2
	s_add_u32 s2, s0, s2
	s_addc_u32 s3, s1, s3
	s_add_u32 s2, s2, 8
	s_addc_u32 s3, s3, 0
	s_mov_b32 s34, s7
.LBB131_6:                              ; =>This Inner Loop Header: Depth=1
	s_load_dword s9, s[2:3], 0x0
	s_load_dword s14, s[2:3], 0x64
	s_mov_b32 s13, s34
	s_waitcnt lgkmcnt(0)
	v_cvt_f32_u32_e32 v1, s9
	s_sub_i32 s15, 0, s9
	v_rcp_iflag_f32_e32 v1, v1
	v_mul_f32_e32 v1, 0x4f7ffffe, v1
	v_cvt_u32_f32_e32 v1, v1
	v_readfirstlane_b32 s16, v1
	s_mul_i32 s15, s15, s16
	s_mul_hi_u32 s15, s16, s15
	s_add_i32 s16, s16, s15
	s_mul_hi_u32 s15, s34, s16
	s_mul_i32 s16, s15, s9
	s_sub_i32 s16, s34, s16
	s_add_i32 s17, s15, 1
	s_sub_i32 s18, s16, s9
	s_cmp_ge_u32 s16, s9
	s_cselect_b32 s15, s17, s15
	s_cselect_b32 s16, s18, s16
	s_add_i32 s17, s15, 1
	s_cmp_ge_u32 s16, s9
	s_cselect_b32 s34, s17, s15
	s_mul_i32 s9, s34, s9
	s_sub_i32 s9, s13, s9
	s_mul_i32 s9, s14, s9
	s_add_i32 s8, s8, -1
	s_add_i32 s41, s9, s41
	s_add_u32 s2, s2, -4
	s_addc_u32 s3, s3, -1
	s_cmp_gt_u32 s8, 2
	s_cbranch_scc1 .LBB131_6
.LBB131_7:
	s_load_dword s2, s[4:5], 0x6c
                                        ; implicit-def: $vgpr53 : SGPR spill to VGPR lane
	s_add_u32 s8, s4, 0x1b0
	s_addc_u32 s9, s5, 0
	s_mov_b32 s3, 0
	s_waitcnt lgkmcnt(0)
	v_writelane_b32 v53, s2, 0
	s_load_dword s2, s[4:5], 0x280
	s_waitcnt lgkmcnt(0)
	s_cmp_lt_i32 s2, 2
	s_cbranch_scc1 .LBB131_10
; %bb.8:
	s_add_i32 s13, s2, 1
	s_add_i32 s2, s2, -1
	s_lshl_b64 s[14:15], s[2:3], 2
	s_add_u32 s2, s8, s14
	s_addc_u32 s9, s9, s15
	s_add_u32 s8, s2, 8
	s_addc_u32 s9, s9, 0
.LBB131_9:                              ; =>This Inner Loop Header: Depth=1
	s_load_dword s2, s[8:9], 0x0
	s_load_dword s15, s[8:9], 0x64
	s_mov_b32 s14, s7
	s_waitcnt lgkmcnt(0)
	v_cvt_f32_u32_e32 v1, s2
	s_sub_i32 s7, 0, s2
	v_rcp_iflag_f32_e32 v1, v1
	v_mul_f32_e32 v1, 0x4f7ffffe, v1
	v_cvt_u32_f32_e32 v1, v1
	v_readfirstlane_b32 s16, v1
	s_mul_i32 s7, s7, s16
	s_mul_hi_u32 s7, s16, s7
	s_add_i32 s16, s16, s7
	s_mul_hi_u32 s7, s14, s16
	s_mul_i32 s16, s7, s2
	s_sub_i32 s16, s14, s16
	s_add_i32 s17, s7, 1
	s_sub_i32 s18, s16, s2
	s_cmp_ge_u32 s16, s2
	s_cselect_b32 s7, s17, s7
	s_cselect_b32 s16, s18, s16
	s_add_i32 s17, s7, 1
	s_cmp_ge_u32 s16, s2
	s_cselect_b32 s7, s17, s7
	s_mul_i32 s2, s7, s2
	s_sub_i32 s2, s14, s2
	s_mul_i32 s2, s15, s2
	s_add_i32 s13, s13, -1
	s_add_i32 s3, s2, s3
	s_add_u32 s8, s8, -4
	s_addc_u32 s9, s9, -1
	s_cmp_gt_u32 s13, 2
	s_cbranch_scc1 .LBB131_9
.LBB131_10:
	s_load_dword s0, s[0:1], 0x6c
                                        ; kill: killed $sgpr4 killed $sgpr5
	v_mov_b32_e32 v3, 0
	s_waitcnt lgkmcnt(0)
	v_writelane_b32 v53, s0, 1
	s_load_dword s2, s[4:5], 0x21c
	s_load_dwordx2 s[0:1], s[4:5], 0x0
	s_waitcnt lgkmcnt(0)
	s_mul_i32 s2, s2, s7
	v_writelane_b32 v53, s0, 2
	v_writelane_b32 v53, s1, 3
	s_load_dwordx2 s[0:1], s[4:5], 0xd8
	s_waitcnt lgkmcnt(0)
	v_writelane_b32 v53, s0, 4
	v_writelane_b32 v53, s1, 5
	s_load_dwordx2 s[0:1], s[4:5], 0x1b0
	s_mov_b32 s5, 0
	s_add_i32 s4, s2, s3
	s_lshl_b64 s[2:3], s[4:5], 1
	s_waitcnt lgkmcnt(0)
	s_add_u32 s40, s0, s2
	s_addc_u32 s37, s1, s3
	v_cmp_gt_u32_e64 s[0:1], s36, v0
	s_mov_b64 s[2:3], exec
	v_writelane_b32 v53, s0, 6
	v_writelane_b32 v53, s1, 7
	s_and_b64 s[0:1], s[2:3], s[0:1]
	s_mov_b64 exec, s[0:1]
	s_cbranch_execz .LBB131_14
; %bb.11:
	s_load_dword s0, s[10:11], 0xc
	v_mul_lo_u32 v1, v0, s38
	v_mov_b32_e32 v2, 0
	s_mov_b64 s[4:5], 0
	v_mov_b32_e32 v4, s37
	s_waitcnt lgkmcnt(0)
	s_and_b32 s0, s0, 0xffff
	s_mul_i32 s1, s38, s0
	v_mov_b32_e32 v3, v2
	v_mov_b32_e32 v5, v0
.LBB131_12:                             ; =>This Inner Loop Header: Depth=1
	v_lshlrev_b64 v[6:7], 1, v[1:2]
	v_add_u32_e32 v5, s0, v5
	v_add_co_u32_e32 v6, vcc, s40, v6
	v_addc_co_u32_e32 v7, vcc, v4, v7, vcc
	global_load_ushort v6, v[6:7], off
	v_cmp_le_u32_e32 vcc, s36, v5
	s_or_b64 s[4:5], vcc, s[4:5]
	v_add_u32_e32 v1, s1, v1
	s_waitcnt vmcnt(0)
	v_cmp_u_f16_e32 vcc, v6, v6
	v_addc_co_u32_e32 v3, vcc, 0, v3, vcc
	s_andn2_b64 exec, exec, s[4:5]
	s_cbranch_execnz .LBB131_12
; %bb.13:
	s_or_b64 exec, exec, s[4:5]
.LBB131_14:
	s_or_b64 exec, exec, s[2:3]
	v_cmp_eq_u32_e64 s[2:3], 0, v0
	s_and_saveexec_b64 s[4:5], s[2:3]
; %bb.15:
	v_mov_b32_e32 v1, 0
	v_mov_b32_e32 v2, v1
	ds_write_b64 v1, v[1:2] offset:4096
; %bb.16:
	s_or_b64 exec, exec, s[4:5]
	v_cmp_ne_u32_e32 vcc, 0, v3
	s_waitcnt lgkmcnt(0)
	s_barrier
	s_and_saveexec_b64 s[4:5], vcc
	s_cbranch_execz .LBB131_21
; %bb.17:
	s_mov_b64 s[14:15], exec
	v_mov_b32_e32 v1, 0
	s_mov_b64 s[8:9], 0
.LBB131_18:                             ; =>This Inner Loop Header: Depth=1
	s_ff1_i32_b64 s0, s[14:15]
	v_readlane_b32 s7, v3, s0
	v_readlane_b32 s1, v1, s0
	s_add_u32 s8, s8, s7
	s_addc_u32 s9, s9, s1
	s_lshl_b64 s[0:1], 1, s0
	s_andn2_b64 s[14:15], s[14:15], s[0:1]
	s_cmp_lg_u64 s[14:15], 0
	s_cbranch_scc1 .LBB131_18
; %bb.19:
	v_mbcnt_lo_u32_b32 v1, exec_lo, 0
	v_mbcnt_hi_u32_b32 v1, exec_hi, v1
	v_cmp_eq_u32_e32 vcc, 0, v1
	s_and_saveexec_b64 s[0:1], vcc
	s_xor_b64 s[0:1], exec, s[0:1]
; %bb.20:
	v_mov_b32_e32 v1, s8
	v_mov_b32_e32 v3, 0
	;; [unrolled: 1-line block ×3, first 2 shown]
	ds_add_u64 v3, v[1:2] offset:4096
.LBB131_21:
	s_or_b64 exec, exec, s[4:5]
	v_mov_b32_e32 v1, 0
	s_waitcnt lgkmcnt(0)
	s_barrier
	ds_read_b64 v[1:2], v1 offset:4096
	s_bitcmp1_b32 s39, 0
	s_cselect_b64 s[8:9], -1, 0
	s_mov_b32 s7, s36
	s_waitcnt lgkmcnt(0)
	v_readfirstlane_b32 s4, v1
	v_readfirstlane_b32 s5, v2
	v_cmp_lt_i64_e64 s[0:1], s[4:5], 1
	s_or_b64 s[0:1], s[8:9], s[0:1]
	s_andn2_b64 vcc, exec, s[0:1]
	s_cbranch_vccnz .LBB131_23
; %bb.22:
	s_not_b64 s[0:1], s[4:5]
	s_add_u32 s0, s0, s36
	s_addc_u32 s1, s1, 0
	s_lshr_b32 s4, s1, 31
	s_add_u32 s0, s0, s4
	s_addc_u32 s1, s1, 0
	s_lshr_b64 s[0:1], s[0:1], 1
	s_add_i32 s7, s0, 1
.LBB131_23:
	s_and_saveexec_b64 s[4:5], s[2:3]
	s_cbranch_execz .LBB131_25
; %bb.24:
	v_mov_b32_e32 v1, 0
	v_mov_b32_e32 v2, s36
	ds_write_b32 v1, v1 offset:4112
	ds_write_b64 v1, v[1:2] offset:4104
.LBB131_25:
	s_or_b64 exec, exec, s[4:5]
	s_waitcnt lgkmcnt(0)
	s_barrier
	s_load_dword s0, s[10:11], 0xc
	v_mul_lo_u32 v5, s38, v0
	v_mov_b32_e32 v7, 0
	v_mbcnt_lo_u32_b32 v1, -1, 0
	v_mov_b32_e32 v6, v7
	s_waitcnt lgkmcnt(0)
	s_and_b32 s39, s0, 0xffff
	v_mbcnt_hi_u32_b32 v21, -1, v1
	v_lshlrev_b64 v[1:2], 1, v[5:6]
	v_cmp_gt_u32_e32 vcc, 64, v0
	v_cmp_gt_i32_e64 s[8:9], 4, v21
	s_add_i32 s15, s39, -1
	s_lshl_b32 s14, s39, 2
	s_bfe_u32 s1, s0, 0xa0006
	s_and_b64 s[46:47], vcc, s[8:9]
	s_add_i32 s13, s15, s36
	v_mov_b32_e32 v3, s37
	v_add_co_u32_e32 v8, vcc, s40, v1
	s_cmpk_gt_u32 s36, 0x600
	v_addc_co_u32_e32 v9, vcc, v3, v2, vcc
	v_lshlrev_b64 v[2:3], v21, -1
	s_cselect_b64 s[8:9], -1, 0
	s_cmp_gt_u32 s39, 63
	s_cselect_b64 s[50:51], -1, 0
	v_not_b32_e32 v26, v2
	v_lshrrev_b32_e32 v2, 2, v0
	s_cmp_lt_u32 s6, s12
	v_writelane_b32 v53, s8, 8
	v_and_b32_e32 v2, 0xf0, v2
	s_cselect_b32 s6, 12, 18
	v_writelane_b32 v53, s9, 9
	v_or_b32_e32 v27, 0xc00, v2
	s_add_u32 s8, s10, s6
	v_add_u32_e32 v2, 2, v0
	s_addc_u32 s9, s11, 0
	v_max_u32_e32 v2, s36, v2
	v_writelane_b32 v53, s8, 10
	v_xad_u32 v2, v0, -1, v2
	v_not_b32_e32 v25, v3
	v_writelane_b32 v53, s9, 11
	v_add_u32_e32 v3, -2, v2
	v_cmp_lt_u32_e64 s[8:9], 31, v2
	v_lshrrev_b32_e32 v4, 1, v3
	v_writelane_b32 v53, s8, 12
	v_add_u32_e32 v4, 1, v4
	v_writelane_b32 v53, s9, 13
	v_cmp_lt_u32_e64 s[8:9], 13, v3
	v_and_b32_e32 v12, 7, v4
	v_writelane_b32 v53, s8, 14
	v_writelane_b32 v53, s9, 15
	v_cmp_ne_u32_e64 s[8:9], 0, v12
	v_and_b32_e32 v28, -2, v2
	v_writelane_b32 v53, s8, 16
	v_writelane_b32 v53, s9, 17
	v_cmp_ne_u32_e64 s[8:9], v2, v28
	v_cvt_f32_u32_e32 v2, s14
	v_writelane_b32 v53, s8, 18
	s_add_i32 s6, s1, -1
	v_writelane_b32 v53, s9, 19
	v_rcp_iflag_f32_e32 v2, v2
	s_bfe_u32 s8, s39, 0x30006
	s_and_b32 s6, s6, 0xffff
	s_cmp_gt_u32 s6, 6
	v_mul_f32_e32 v2, 0x4f7ffffe, v2
	v_cvt_u32_f32_e32 v2, v2
	s_cselect_b64 s[10:11], -1, 0
	s_and_b32 s9, s1, 0x3f8
	v_writelane_b32 v53, s10, 20
	s_cmp_lg_u32 s8, 0
	v_readfirstlane_b32 s6, v2
	v_cvt_f32_u32_e32 v2, s39
	v_writelane_b32 v53, s11, 21
	s_cselect_b64 s[10:11], -1, 0
	s_sub_i32 s1, 0, s14
	s_mul_i32 s1, s1, s6
	s_mul_hi_u32 s1, s6, s1
	v_and_b32_e32 v30, -8, v4
	v_writelane_b32 v53, s8, 22
	s_add_i32 s8, s6, s1
	v_rcp_iflag_f32_e32 v4, v2
	s_mul_hi_u32 s1, s36, s8
	s_mul_i32 s1, s1, s14
	s_sub_i32 s1, s36, s1
	s_sub_i32 s6, s1, s14
	v_mul_f32_e32 v4, 0x4f7ffffe, v4
	s_cmp_ge_u32 s1, s14
	v_cvt_u32_f32_e32 v4, v4
	s_cselect_b32 s1, s6, s1
	s_sub_i32 s6, s1, s14
	v_writelane_b32 v53, s10, 23
	s_cmp_ge_u32 s1, s14
	v_writelane_b32 v53, s11, 24
	s_cselect_b32 s6, s6, s1
	s_sub_i32 s10, 0, s39
	v_readfirstlane_b32 s11, v4
	s_mul_i32 s10, s10, s11
	s_mul_hi_u32 s10, s11, s10
	s_sub_i32 s1, s36, s6
	s_add_i32 s52, s11, s10
	v_add_u32_e32 v31, s1, v0
	s_mul_hi_u32 s10, s13, s52
	v_mul_lo_u32 v6, v31, s38
	s_mul_i32 s10, s10, s39
	s_sub_i32 s10, s13, s10
	s_sub_i32 s11, s10, s39
	s_cmp_ge_u32 s10, s39
	v_lshlrev_b64 v[2:3], 1, v[6:7]
	s_cselect_b32 s10, s11, s10
	v_lshlrev_b32_e32 v20, 2, v0
	s_sub_i32 s11, s10, s39
	v_add_co_u32_e32 v10, vcc, s40, v2
	s_cmp_ge_u32 s10, s39
	v_mul_lo_u32 v2, s38, v20
	s_cselect_b32 s10, s11, s10
	s_sub_i32 s53, s13, s10
	v_cmp_gt_u32_e64 s[10:11], s53, v0
	v_writelane_b32 v53, s10, 25
	v_add_u32_e32 v33, s38, v2
	v_or_b32_e32 v2, 2, v20
	v_writelane_b32 v53, s11, 26
	v_mul_lo_u32 v34, s38, v2
	v_or_b32_e32 v2, 3, v20
	s_add_i32 s10, s39, s36
	v_mul_lo_u32 v35, s38, v2
	v_add_u32_e32 v2, s10, v0
	v_subrev_u32_e32 v2, s6, v2
	v_mul_lo_u32 v37, s38, v2
	v_lshlrev_b32_e32 v22, 1, v0
	v_lshlrev_b32_e32 v1, 2, v21
	v_mov_b32_e32 v6, s37
	s_mul_i32 s44, s38, s39
	s_mov_b32 s0, 0
	v_cmp_eq_u32_e64 s[4:5], 0, v21
	v_cmp_gt_u32_e64 s[24:25], 2, v0
	v_add_u32_e32 v23, 0xc00, v22
	v_and_b32_e32 v24, 0x100, v1
	v_add_u32_e32 v29, v0, v28
	s_mov_b32 s45, s38
	v_cmp_gt_u32_e64 s[16:17], s1, v20
	v_cmp_gt_u32_e64 s[18:19], s36, v31
	v_addc_co_u32_e32 v11, vcc, v6, v3, vcc
	v_lshlrev_b32_e32 v32, 2, v12
	s_lshl_b32 s54, s44, 2
	v_lshlrev_b32_e32 v36, 2, v5
	s_lshl_b32 s55, s39, 3
	s_lshl_b32 s56, s39, 1
	v_or_b32_e32 v39, 0xc00, v1
	s_mov_b64 s[58:59], 0
	s_mov_b32 s57, 0x5040100
	s_movk_i32 s20, 0x3c00
	v_lshlrev_b32_e32 v40, 3, v0
	v_mov_b32_e32 v45, 14
	v_mov_b32_e32 v48, s7
	;; [unrolled: 1-line block ×4, first 2 shown]
	v_mov_b32_e32 v43, -1
	v_mov_b32_e32 v44, 0x5040100
	v_mov_b32_e32 v47, 0
	;; [unrolled: 1-line block ×4, first 2 shown]
                                        ; implicit-def: $sgpr60_sgpr61
                                        ; implicit-def: $sgpr64_sgpr65
                                        ; implicit-def: $sgpr62_sgpr63
                                        ; implicit-def: $sgpr68_sgpr69
                                        ; implicit-def: $sgpr70_sgpr71
                                        ; implicit-def: $sgpr66_sgpr67
	s_branch .LBB131_29
.LBB131_26:                             ;   in Loop: Header=BB131_29 Depth=1
	s_or_b64 exec, exec, s[26:27]
	s_and_b64 s[26:27], s[12:13], exec
	s_andn2_b64 s[30:31], s[30:31], exec
	s_andn2_b64 s[28:29], s[28:29], exec
	s_orn2_b64 s[22:23], s[22:23], exec
.LBB131_27:                             ;   in Loop: Header=BB131_29 Depth=1
	s_or_b64 exec, exec, s[10:11]
	s_andn2_b64 s[10:11], s[66:67], exec
	s_and_b64 s[12:13], s[26:27], exec
	s_or_b64 s[66:67], s[10:11], s[12:13]
	s_andn2_b64 s[10:11], s[70:71], exec
	s_and_b64 s[12:13], s[30:31], exec
	s_or_b64 s[70:71], s[10:11], s[12:13]
	;; [unrolled: 3-line block ×3, first 2 shown]
	s_orn2_b64 s[22:23], s[22:23], exec
.LBB131_28:                             ;   in Loop: Header=BB131_29 Depth=1
	s_or_b64 exec, exec, s[6:7]
	s_and_b64 s[6:7], exec, s[22:23]
	s_or_b64 s[58:59], s[6:7], s[58:59]
	s_andn2_b64 s[6:7], s[62:63], exec
	s_and_b64 s[10:11], s[66:67], exec
	s_or_b64 s[62:63], s[6:7], s[10:11]
	s_andn2_b64 s[6:7], s[64:65], exec
	s_and_b64 s[10:11], s[70:71], exec
	;; [unrolled: 3-line block ×3, first 2 shown]
	s_or_b64 s[60:61], s[6:7], s[10:11]
	s_mov_b32 s0, s42
	v_mov_b32_e32 v48, v4
	s_andn2_b64 exec, exec, s[58:59]
	s_cbranch_execz .LBB131_273
.LBB131_29:                             ; =>This Loop Header: Depth=1
                                        ;     Child Loop BB131_34 Depth 2
                                        ;     Child Loop BB131_55 Depth 2
	;; [unrolled: 1-line block ×18, first 2 shown]
	ds_read_b64 v[1:2], v7 offset:4104
	s_waitcnt lgkmcnt(0)
	v_readfirstlane_b32 s12, v1
	s_cmp_lg_u32 s12, 0
	s_cbranch_scc1 .LBB131_74
; %bb.30:                               ;   in Loop: Header=BB131_29 Depth=1
	v_readlane_b32 s6, v53, 8
	v_readlane_b32 s7, v53, 9
	s_and_b64 vcc, exec, s[6:7]
	s_cbranch_vccz .LBB131_42
; %bb.31:                               ;   in Loop: Header=BB131_29 Depth=1
	s_movk_i32 s6, 0x601
	v_cmp_gt_u32_e32 vcc, s6, v2
	s_mov_b64 s[26:27], 0
	s_mov_b64 s[6:7], 0
	s_cbranch_vccz .LBB131_43
; %bb.32:                               ;   in Loop: Header=BB131_29 Depth=1
	v_readlane_b32 s6, v53, 10
	v_readlane_b32 s7, v53, 11
	s_nop 4
	global_load_ushort v1, v7, s[6:7]
	global_load_ushort v4, v[8:9], off
	s_mov_b64 s[28:29], 0
	v_mov_b32_e32 v3, v0
	s_waitcnt vmcnt(1)
	v_add_u32_e32 v2, v0, v1
	v_mul_lo_u32 v6, s38, v2
	v_mul_lo_u32 v2, s38, v1
	s_branch .LBB131_34
.LBB131_33:                             ;   in Loop: Header=BB131_34 Depth=2
	s_or_b64 exec, exec, s[6:7]
	v_add_u32_e32 v6, v6, v2
	v_mov_b32_e32 v4, v12
	s_andn2_b64 exec, exec, s[28:29]
	s_cbranch_execz .LBB131_49
.LBB131_34:                             ;   Parent Loop BB131_29 Depth=1
                                        ; =>  This Inner Loop Header: Depth=2
	v_add_u32_e32 v3, v3, v1
	v_cmp_gt_u32_e64 s[6:7], s36, v3
	v_cmp_le_u32_e32 vcc, s36, v3
	s_waitcnt lgkmcnt(0)
	v_mov_b32_e32 v13, 0
	v_mov_b32_e32 v12, 0
	s_and_saveexec_b64 s[10:11], s[6:7]
	s_cbranch_execz .LBB131_36
; %bb.35:                               ;   in Loop: Header=BB131_34 Depth=2
	v_lshlrev_b64 v[14:15], 1, v[6:7]
	v_mov_b32_e32 v12, s37
	v_add_co_u32_e64 v14, s[6:7], s40, v14
	v_addc_co_u32_e64 v15, s[6:7], v12, v15, s[6:7]
	global_load_ushort v12, v[14:15], off
.LBB131_36:                             ;   in Loop: Header=BB131_34 Depth=2
	s_or_b64 exec, exec, s[10:11]
	s_waitcnt vmcnt(0)
	v_cmp_lt_i16_e64 s[6:7], -1, v4
	v_cndmask_b32_e64 v14, v41, v42, s[6:7]
	v_xor_b32_sdwa v14, v14, v4 dst_sel:DWORD dst_unused:UNUSED_PAD src0_sel:DWORD src1_sel:WORD_0
	v_cmp_o_f16_e64 s[6:7], v4, v4
	v_cndmask_b32_e64 v14, v41, v14, s[6:7]
	v_and_b32_e32 v14, v14, v46
	v_cmp_eq_u32_e64 s[22:23], v14, v38
	s_cmp_lg_u64 s[22:23], 0
	s_cselect_b64 s[6:7], -1, 0
	s_and_b64 s[6:7], s[4:5], s[6:7]
	s_and_saveexec_b64 s[10:11], s[6:7]
	s_cbranch_execz .LBB131_40
; %bb.37:                               ;   in Loop: Header=BB131_34 Depth=2
	s_mov_b64 s[30:31], exec
	v_mbcnt_lo_u32_b32 v13, s30, 0
	v_mbcnt_hi_u32_b32 v13, s31, v13
	s_bcnt1_i32_b64 s21, s[22:23]
	v_cmp_eq_u32_e64 s[6:7], 0, v13
                                        ; implicit-def: $vgpr14
	s_and_saveexec_b64 s[12:13], s[6:7]
; %bb.38:                               ;   in Loop: Header=BB131_34 Depth=2
	s_bcnt1_i32_b64 s6, s[30:31]
	s_mul_i32 s6, s21, s6
	v_mov_b32_e32 v14, s6
	ds_add_rtn_u32 v14, v7, v14 offset:4112
; %bb.39:                               ;   in Loop: Header=BB131_34 Depth=2
	s_or_b64 exec, exec, s[12:13]
	s_waitcnt lgkmcnt(0)
	v_readfirstlane_b32 s6, v14
	v_mov_b32_e32 v14, s6
	v_mad_u32_u24 v13, s21, v13, v14
.LBB131_40:                             ;   in Loop: Header=BB131_34 Depth=2
	s_or_b64 exec, exec, s[10:11]
	ds_bpermute_b32 v13, v24, v13
	s_and_b64 s[6:7], exec, vcc
	s_or_b64 s[28:29], s[6:7], s[28:29]
	s_and_saveexec_b64 s[6:7], s[22:23]
	s_cbranch_execz .LBB131_33
; %bb.41:                               ;   in Loop: Header=BB131_34 Depth=2
	v_and_b32_e32 v15, s22, v26
	v_and_b32_e32 v14, s23, v25
	v_bcnt_u32_b32 v15, v15, 0
	v_bcnt_u32_b32 v14, v14, v15
	v_lshlrev_b32_e32 v14, 1, v14
	s_waitcnt lgkmcnt(0)
	v_lshl_add_u32 v13, v13, 1, v14
	ds_write_b16 v13, v4
	s_branch .LBB131_33
.LBB131_42:                             ;   in Loop: Header=BB131_29 Depth=1
	s_mov_b64 s[26:27], -1
	s_mov_b64 s[6:7], 0
.LBB131_43:                             ;   in Loop: Header=BB131_29 Depth=1
	s_and_b64 vcc, exec, s[26:27]
	s_cbranch_vccz .LBB131_72
.LBB131_44:                             ;   in Loop: Header=BB131_29 Depth=1
	s_mov_b64 s[22:23], exec
	v_readlane_b32 s6, v53, 6
	v_readlane_b32 s7, v53, 7
	s_and_b64 s[6:7], s[22:23], s[6:7]
	s_mov_b64 exec, s[6:7]
	s_cbranch_execz .LBB131_69
; %bb.45:                               ;   in Loop: Header=BB131_29 Depth=1
	v_readlane_b32 s6, v53, 10
	v_readlane_b32 s7, v53, 11
	s_nop 4
	global_load_ushort v1, v7, s[6:7]
	global_load_ushort v16, v[8:9], off
	s_waitcnt vmcnt(1)
	v_add_u32_e32 v12, v0, v1
	v_readfirstlane_b32 s12, v1
	v_cmp_gt_u32_e32 vcc, s36, v12
	v_mov_b32_e32 v1, v0
	s_and_saveexec_b64 s[26:27], vcc
	s_cbranch_execz .LBB131_68
; %bb.46:                               ;   in Loop: Header=BB131_29 Depth=1
	v_readlane_b32 s28, v53, 12
	s_mov_b64 s[6:7], 0
	s_mul_i32 s13, s38, s12
	v_readlane_b32 s29, v53, 13
                                        ; implicit-def: $vgpr1
                                        ; implicit-def: $vgpr2
                                        ; implicit-def: $vgpr3
	s_and_saveexec_b64 s[10:11], s[28:29]
	s_xor_b64 s[28:29], exec, s[10:11]
	s_cbranch_execnz .LBB131_52
; %bb.47:                               ;   in Loop: Header=BB131_29 Depth=1
	s_andn2_saveexec_b64 s[10:11], s[28:29]
	s_cbranch_execnz .LBB131_63
.LBB131_48:                             ;   in Loop: Header=BB131_29 Depth=1
	s_or_b64 exec, exec, s[10:11]
	s_and_saveexec_b64 s[10:11], s[6:7]
	s_cbranch_execnz .LBB131_64
	s_branch .LBB131_67
.LBB131_49:                             ;   in Loop: Header=BB131_29 Depth=1
	s_or_b64 exec, exec, s[28:29]
	s_waitcnt lgkmcnt(0)
	s_barrier
	s_and_saveexec_b64 s[6:7], s[2:3]
	s_cbranch_execz .LBB131_51
; %bb.50:                               ;   in Loop: Header=BB131_29 Depth=1
	ds_read_b32 v1, v7 offset:4112
	s_waitcnt lgkmcnt(0)
	ds_write_b32 v7, v1 offset:4104
.LBB131_51:                             ;   in Loop: Header=BB131_29 Depth=1
	s_or_b64 exec, exec, s[6:7]
	s_waitcnt lgkmcnt(0)
	s_barrier
	s_mov_b64 s[6:7], -1
	s_and_b64 vcc, exec, s[26:27]
	s_cbranch_vccnz .LBB131_44
	s_branch .LBB131_72
.LBB131_52:                             ;   in Loop: Header=BB131_29 Depth=1
	v_cvt_f32_u32_e32 v1, s12
	s_sub_i32 s7, 0, s12
	v_add_u32_e32 v3, s12, v12
	v_max_u32_e32 v3, s36, v3
	v_rcp_iflag_f32_e32 v1, v1
	s_lshl_b32 s6, s12, 1
	v_sub_u32_e32 v3, v3, v0
	v_cmp_ne_u32_e32 vcc, s6, v3
	v_mul_f32_e32 v1, 0x4f7ffffe, v1
	v_cvt_u32_f32_e32 v1, v1
	v_cndmask_b32_e64 v4, 0, 1, vcc
	v_or_b32_e32 v4, s6, v4
	v_sub_u32_e32 v3, v3, v4
	v_mul_lo_u32 v2, s7, v1
	s_not_b32 s6, s13
	s_ashr_i32 s21, s6, 31
	s_abs_i32 s10, s13
	v_mul_hi_u32 v2, v1, v2
	s_cmp_eq_u32 s12, 1
	v_add_u32_e32 v1, v1, v2
	v_mul_hi_u32 v1, v3, v1
	v_mul_lo_u32 v2, s38, v12
	v_mul_lo_u32 v4, v1, s12
	v_add_u32_e32 v6, 1, v1
	v_xor_b32_e32 v2, s21, v2
	v_sub_u32_e32 v3, v3, v4
	v_cmp_le_u32_e64 s[6:7], s12, v3
	v_subrev_u32_e32 v4, s12, v3
	v_cndmask_b32_e64 v1, v1, v6, s[6:7]
	v_cndmask_b32_e64 v3, v3, v4, s[6:7]
	v_add_u32_e32 v4, 1, v1
	v_cmp_le_u32_e64 s[6:7], s12, v3
	v_cndmask_b32_e64 v1, v1, v4, s[6:7]
	v_addc_co_u32_e32 v1, vcc, 0, v1, vcc
	v_mul_hi_u32 v3, s10, v1
	v_mul_lo_u32 v1, s10, v1
	s_cselect_b64 s[10:11], -1, 0
	v_cmp_eq_u32_e32 vcc, 0, v3
	v_cmp_le_u32_e64 s[6:7], v1, v2
	s_and_b64 s[10:11], vcc, s[10:11]
	s_and_b64 s[30:31], s[10:11], s[6:7]
	s_mov_b64 s[10:11], -1
	v_mov_b32_e32 v2, v0
                                        ; implicit-def: $vgpr1
	s_and_saveexec_b64 s[6:7], s[30:31]
	s_cbranch_execz .LBB131_62
; %bb.53:                               ;   in Loop: Header=BB131_29 Depth=1
	v_add_u32_e32 v13, 1, v12
	v_mov_b32_e32 v15, v13
	s_waitcnt vmcnt(0)
	v_lshlrev_b32_e32 v17, 16, v16
	v_mov_b32_e32 v1, 0
	v_mov_b32_e32 v14, v12
                                        ; implicit-def: $vgpr16
	s_mov_b64 s[30:31], exec
	v_readlane_b32 s10, v53, 14
	v_readlane_b32 s11, v53, 15
	s_and_b64 s[10:11], s[30:31], s[10:11]
	s_mov_b64 exec, s[10:11]
	s_cbranch_execz .LBB131_57
; %bb.54:                               ;   in Loop: Header=BB131_29 Depth=1
	v_mov_b32_e32 v15, v13
	s_mov_b32 s10, 0
	s_mov_b64 s[72:73], 0
	v_mov_b32_e32 v49, v30
	v_mov_b32_e32 v50, v22
	;; [unrolled: 1-line block ×3, first 2 shown]
.LBB131_55:                             ;   Parent Loop BB131_29 Depth=1
                                        ; =>  This Inner Loop Header: Depth=2
	v_mul_lo_u32 v6, v14, s38
	v_mul_lo_u32 v1, v15, s45
	v_mov_b32_e32 v13, s37
	v_add_u32_e32 v49, -8, v49
	v_lshlrev_b64 v[2:3], 1, v[6:7]
	s_add_i32 s10, s10, 16
	v_add_co_u32_e32 v18, vcc, s40, v2
	v_mov_b32_e32 v2, v7
	v_lshlrev_b64 v[1:2], 1, v[1:2]
	v_addc_co_u32_e32 v19, vcc, v13, v3, vcc
	v_add_co_u32_e32 v1, vcc, s40, v1
	v_addc_co_u32_e32 v2, vcc, v13, v2, vcc
	global_load_ushort v3, v[18:19], off
	s_nop 0
	global_load_ushort v18, v[1:2], off
	v_add_u32_e32 v2, 2, v15
	v_mul_lo_u32 v2, v2, s45
	s_waitcnt vmcnt(1)
	v_alignbit_b32 v1, v3, v17, 16
	v_add_u32_e32 v3, 2, v14
	v_mul_lo_u32 v6, v3, s38
	v_lshlrev_b64 v[3:4], 1, v[6:7]
	v_add_co_u32_e32 v16, vcc, s40, v3
	v_mov_b32_e32 v3, v7
	v_lshlrev_b64 v[2:3], 1, v[2:3]
	v_addc_co_u32_e32 v17, vcc, v13, v4, vcc
	v_add_co_u32_e32 v2, vcc, s40, v2
	v_addc_co_u32_e32 v3, vcc, v13, v3, vcc
	global_load_ushort v4, v[16:17], off
	global_load_ushort v19, v[2:3], off
	v_add_u32_e32 v3, 4, v15
	v_mul_lo_u32 v3, v3, s45
	s_waitcnt vmcnt(1)
	v_perm_b32 v2, v4, v18, s57
	v_add_u32_e32 v4, 4, v14
	v_mul_lo_u32 v6, v4, s38
	v_mov_b32_e32 v4, v7
	v_lshlrev_b64 v[3:4], 1, v[3:4]
	v_lshlrev_b64 v[16:17], 1, v[6:7]
	v_add_co_u32_e32 v16, vcc, s40, v16
	v_addc_co_u32_e32 v17, vcc, v13, v17, vcc
	v_add_co_u32_e32 v3, vcc, s40, v3
	v_addc_co_u32_e32 v4, vcc, v13, v4, vcc
	global_load_ushort v6, v[16:17], off
	s_nop 0
	global_load_ushort v4, v[3:4], off
	v_add_u32_e32 v16, 6, v15
	v_mul_lo_u32 v16, v16, s45
	s_waitcnt vmcnt(1)
	v_perm_b32 v3, v6, v19, s57
	v_add_u32_e32 v6, 6, v14
	v_mul_lo_u32 v6, v6, s38
	v_lshlrev_b64 v[17:18], 1, v[6:7]
	v_add_co_u32_e32 v51, vcc, s40, v17
	v_mov_b32_e32 v17, v7
	v_lshlrev_b64 v[16:17], 1, v[16:17]
	v_addc_co_u32_e32 v52, vcc, v13, v18, vcc
	v_add_co_u32_e32 v16, vcc, s40, v16
	v_addc_co_u32_e32 v17, vcc, v13, v17, vcc
	global_load_ushort v6, v[51:52], off
	global_load_ushort v18, v[16:17], off
	s_waitcnt vmcnt(1)
	v_perm_b32 v4, v6, v4, s57
	ds_write_b128 v50, v[1:4]
	v_add_u32_e32 v2, 8, v14
	v_mul_lo_u32 v6, v2, s38
	v_add_u32_e32 v1, 8, v15
	v_mul_lo_u32 v1, v1, s45
	v_lshlrev_b64 v[2:3], 1, v[6:7]
	v_add_co_u32_e32 v16, vcc, s40, v2
	v_mov_b32_e32 v2, v7
	v_lshlrev_b64 v[1:2], 1, v[1:2]
	v_addc_co_u32_e32 v17, vcc, v13, v3, vcc
	v_add_co_u32_e32 v1, vcc, s40, v1
	v_addc_co_u32_e32 v2, vcc, v13, v2, vcc
	global_load_ushort v3, v[16:17], off
	global_load_ushort v19, v[1:2], off
	v_add_u32_e32 v2, 10, v15
	v_mul_lo_u32 v2, v2, s45
	s_waitcnt vmcnt(1)
	v_perm_b32 v1, v3, v18, s57
	v_add_u32_e32 v3, 10, v14
	v_mul_lo_u32 v6, v3, s38
	v_lshlrev_b64 v[3:4], 1, v[6:7]
	v_add_co_u32_e32 v16, vcc, s40, v3
	v_mov_b32_e32 v3, v7
	v_lshlrev_b64 v[2:3], 1, v[2:3]
	v_addc_co_u32_e32 v17, vcc, v13, v4, vcc
	v_add_co_u32_e32 v2, vcc, s40, v2
	v_addc_co_u32_e32 v3, vcc, v13, v3, vcc
	global_load_ushort v4, v[16:17], off
	global_load_ushort v18, v[2:3], off
	v_add_u32_e32 v3, 12, v15
	v_mul_lo_u32 v3, v3, s45
	s_waitcnt vmcnt(1)
	v_perm_b32 v2, v4, v19, s57
	v_add_u32_e32 v4, 12, v14
	v_mul_lo_u32 v6, v4, s38
	v_mov_b32_e32 v4, v7
	v_lshlrev_b64 v[3:4], 1, v[3:4]
	v_mov_b32_e32 v19, v7
	v_lshlrev_b64 v[16:17], 1, v[6:7]
	v_add_co_u32_e32 v16, vcc, s40, v16
	v_addc_co_u32_e32 v17, vcc, v13, v17, vcc
	v_add_co_u32_e32 v3, vcc, s40, v3
	v_addc_co_u32_e32 v4, vcc, v13, v4, vcc
	global_load_ushort v6, v[16:17], off
	s_nop 0
	global_load_ushort v4, v[3:4], off
	v_add_u32_e32 v16, 14, v15
	v_add_u32_e32 v15, 16, v15
	s_waitcnt vmcnt(1)
	v_perm_b32 v3, v6, v18, s57
	v_add_u32_e32 v6, 14, v14
	v_mul_lo_u32 v6, v6, s38
	v_mul_lo_u32 v18, v16, s45
	v_add_u32_e32 v14, 16, v14
	v_lshlrev_b64 v[16:17], 1, v[6:7]
	v_lshlrev_b64 v[18:19], 1, v[18:19]
	v_add_co_u32_e32 v16, vcc, s40, v16
	v_addc_co_u32_e32 v17, vcc, v13, v17, vcc
	v_add_co_u32_e32 v18, vcc, s40, v18
	v_addc_co_u32_e32 v19, vcc, v13, v19, vcc
	global_load_ushort v6, v[16:17], off
	s_nop 0
	global_load_ushort v16, v[18:19], off
	v_cmp_eq_u32_e32 vcc, 0, v49
	s_or_b64 s[72:73], vcc, s[72:73]
	s_waitcnt vmcnt(1)
	v_perm_b32 v4, v6, v4, s57
	s_waitcnt vmcnt(0)
	v_perm_b32 v17, v16, v6, s57
	ds_write_b128 v50, v[1:4] offset:16
	v_add_u32_e32 v50, 32, v50
	v_mov_b32_e32 v1, s10
	s_andn2_b64 exec, exec, s[72:73]
	s_cbranch_execnz .LBB131_55
; %bb.56:                               ;   in Loop: Header=BB131_29 Depth=1
	s_or_b64 exec, exec, s[72:73]
.LBB131_57:                             ;   in Loop: Header=BB131_29 Depth=1
	s_or_b64 exec, exec, s[30:31]
	s_mov_b64 s[10:11], exec
	v_readlane_b32 s30, v53, 16
	v_readlane_b32 s31, v53, 17
	s_and_b64 s[30:31], s[10:11], s[30:31]
	s_mov_b64 exec, s[30:31]
	s_cbranch_execz .LBB131_61
; %bb.58:                               ;   in Loop: Header=BB131_29 Depth=1
	v_lshl_add_u32 v1, v1, 1, v22
	s_mov_b64 s[30:31], 0
	v_mov_b32_e32 v2, v32
.LBB131_59:                             ;   Parent Loop BB131_29 Depth=1
                                        ; =>  This Inner Loop Header: Depth=2
	v_mul_lo_u32 v6, v14, s38
	v_mul_lo_u32 v3, v15, s45
	v_mov_b32_e32 v4, v7
	v_mov_b32_e32 v13, s37
	v_lshlrev_b64 v[18:19], 1, v[6:7]
	v_lshlrev_b64 v[3:4], 1, v[3:4]
	v_add_co_u32_e32 v18, vcc, s40, v18
	v_addc_co_u32_e32 v19, vcc, v13, v19, vcc
	v_add_co_u32_e32 v3, vcc, s40, v3
	v_addc_co_u32_e32 v4, vcc, v13, v4, vcc
	global_load_ushort v6, v[18:19], off
	global_load_ushort v16, v[3:4], off
	v_add_u32_e32 v2, -4, v2
	v_cmp_eq_u32_e32 vcc, 0, v2
	v_add_u32_e32 v15, 2, v15
	v_add_u32_e32 v14, 2, v14
	s_or_b64 s[30:31], vcc, s[30:31]
	s_waitcnt vmcnt(1)
	v_alignbit_b32 v4, v6, v17, 16
	s_waitcnt vmcnt(0)
	v_perm_b32 v3, v16, v6, s57
	ds_write_b32 v1, v4
	v_add_u32_e32 v1, 4, v1
	v_mov_b32_e32 v17, v3
	s_andn2_b64 exec, exec, s[30:31]
	s_cbranch_execnz .LBB131_59
; %bb.60:                               ;   in Loop: Header=BB131_29 Depth=1
	s_or_b64 exec, exec, s[30:31]
.LBB131_61:                             ;   in Loop: Header=BB131_29 Depth=1
	s_or_b64 exec, exec, s[10:11]
	v_readlane_b32 s10, v53, 18
	v_add_u32_e32 v12, v12, v28
	v_readlane_b32 s11, v53, 19
	v_add_u32_e32 v1, -1, v12
	s_orn2_b64 s[10:11], s[10:11], exec
	v_mov_b32_e32 v2, v29
.LBB131_62:                             ;   in Loop: Header=BB131_29 Depth=1
	s_or_b64 exec, exec, s[6:7]
	v_mov_b32_e32 v3, s13
	s_and_b64 s[6:7], s[10:11], exec
	s_andn2_saveexec_b64 s[10:11], s[28:29]
	s_cbranch_execz .LBB131_48
.LBB131_63:                             ;   in Loop: Header=BB131_29 Depth=1
	v_mov_b32_e32 v3, s13
	s_or_b64 s[6:7], s[6:7], exec
	v_mov_b32_e32 v2, v0
	s_or_b64 exec, exec, s[10:11]
	s_and_saveexec_b64 s[10:11], s[6:7]
	s_cbranch_execz .LBB131_67
.LBB131_64:                             ;   in Loop: Header=BB131_29 Depth=1
	v_mul_lo_u32 v6, s38, v12
	s_sub_i32 s13, 0, s12
	s_mov_b64 s[6:7], 0
.LBB131_65:                             ;   Parent Loop BB131_29 Depth=1
                                        ; =>  This Inner Loop Header: Depth=2
	v_lshlrev_b64 v[13:14], 1, v[6:7]
	v_mov_b32_e32 v4, s37
	v_add_co_u32_e32 v13, vcc, s40, v13
	v_addc_co_u32_e32 v14, vcc, v4, v14, vcc
	s_waitcnt vmcnt(0)
	v_mov_b32_e32 v1, v16
	global_load_ushort v16, v[13:14], off
	v_mov_b32_e32 v4, v12
	v_add_u32_e32 v12, s12, v4
	v_lshlrev_b32_e32 v2, 1, v2
	v_cmp_le_u32_e32 vcc, s36, v12
	v_add_u32_e32 v6, v6, v3
	ds_write_b16 v2, v1
	s_or_b64 s[6:7], vcc, s[6:7]
	v_mov_b32_e32 v2, v4
	s_andn2_b64 exec, exec, s[6:7]
	s_cbranch_execnz .LBB131_65
; %bb.66:                               ;   in Loop: Header=BB131_29 Depth=1
	s_or_b64 exec, exec, s[6:7]
	v_add_u32_e32 v1, s13, v12
.LBB131_67:                             ;   in Loop: Header=BB131_29 Depth=1
	s_or_b64 exec, exec, s[10:11]
.LBB131_68:                             ;   in Loop: Header=BB131_29 Depth=1
	s_or_b64 exec, exec, s[26:27]
	v_lshlrev_b32_e32 v1, 1, v1
	s_waitcnt vmcnt(0)
	ds_write_b16 v1, v16
.LBB131_69:                             ;   in Loop: Header=BB131_29 Depth=1
	s_or_b64 exec, exec, s[22:23]
	s_waitcnt lgkmcnt(0)
	s_barrier
	s_and_saveexec_b64 s[6:7], s[2:3]
; %bb.70:                               ;   in Loop: Header=BB131_29 Depth=1
	v_mov_b32_e32 v1, s36
	ds_write_b32 v7, v1 offset:4104
; %bb.71:                               ;   in Loop: Header=BB131_29 Depth=1
	s_or_b64 exec, exec, s[6:7]
	s_mov_b64 s[6:7], -1
	s_waitcnt lgkmcnt(0)
	s_barrier
.LBB131_72:                             ;   in Loop: Header=BB131_29 Depth=1
	s_mov_b32 s12, 0
	s_and_b64 vcc, exec, s[6:7]
	s_cbranch_vccz .LBB131_74
; %bb.73:                               ;   in Loop: Header=BB131_29 Depth=1
	ds_read_b32 v1, v7 offset:4104
	s_waitcnt lgkmcnt(0)
	v_readfirstlane_b32 s12, v1
.LBB131_74:                             ;   in Loop: Header=BB131_29 Depth=1
	s_cmp_lt_i32 s12, 1
	s_mov_b64 s[6:7], -1
                                        ; implicit-def: $vgpr1
	s_cbranch_scc1 .LBB131_84
; %bb.75:                               ;   in Loop: Header=BB131_29 Depth=1
	s_and_b64 vcc, exec, s[6:7]
	s_cbranch_vccnz .LBB131_95
.LBB131_76:                             ;   in Loop: Header=BB131_29 Depth=1
	s_lshl_b32 s10, s0, 6
	s_and_saveexec_b64 s[6:7], s[4:5]
.LBB131_77:                             ;   in Loop: Header=BB131_29 Depth=1
	v_lshl_add_u32 v6, s10, 2, v27
	ds_write_b128 v6, v[1:4]
.LBB131_78:                             ;   in Loop: Header=BB131_29 Depth=1
	s_or_b64 exec, exec, s[6:7]
	s_waitcnt lgkmcnt(0)
	s_barrier
	s_and_saveexec_b64 s[6:7], s[46:47]
	s_cbranch_execz .LBB131_109
; %bb.79:                               ;   in Loop: Header=BB131_29 Depth=1
	s_andn2_b64 vcc, exec, s[50:51]
	v_mov_b32_e32 v1, 0
	s_cbranch_vccnz .LBB131_108
; %bb.80:                               ;   in Loop: Header=BB131_29 Depth=1
	v_readlane_b32 s12, v53, 20
	v_readlane_b32 s13, v53, 21
	s_andn2_b64 vcc, exec, s[12:13]
	s_cbranch_vccnz .LBB131_104
; %bb.81:                               ;   in Loop: Header=BB131_29 Depth=1
	v_lshl_add_u32 v2, s0, 8, v39
	s_mov_b32 s11, 0
	v_mov_b32_e32 v1, 0
.LBB131_82:                             ;   Parent Loop BB131_29 Depth=1
                                        ; =>  This Inner Loop Header: Depth=2
	ds_read2_b32 v[3:4], v2 offset1:4
	ds_read2_b32 v[12:13], v2 offset0:8 offset1:12
	ds_read2_b32 v[14:15], v2 offset0:16 offset1:20
	;; [unrolled: 1-line block ×3, first 2 shown]
	s_add_i32 s11, s11, 8
	s_waitcnt lgkmcnt(3)
	v_add3_u32 v1, v3, v1, v4
	s_waitcnt lgkmcnt(2)
	v_add3_u32 v1, v12, v1, v13
	;; [unrolled: 2-line block ×3, first 2 shown]
	v_add_u32_e32 v2, 0x80, v2
	s_cmp_eq_u32 s9, s11
	s_waitcnt lgkmcnt(0)
	v_add3_u32 v1, v16, v1, v17
	s_cbranch_scc0 .LBB131_82
; %bb.83:                               ;   in Loop: Header=BB131_29 Depth=1
	s_mov_b32 s11, s9
	s_branch .LBB131_105
.LBB131_84:                             ;   in Loop: Header=BB131_29 Depth=1
	v_mov_b32_e32 v1, 0
	v_mov_b32_e32 v2, 0
	;; [unrolled: 1-line block ×4, first 2 shown]
	s_and_saveexec_b64 s[30:31], s[16:17]
	s_cbranch_execz .LBB131_88
; %bb.85:                               ;   in Loop: Header=BB131_29 Depth=1
	s_mov_b32 s10, 0
	s_mov_b64 s[72:73], 0
	s_mov_b32 s11, 0
	s_mov_b32 s13, 0
	;; [unrolled: 1-line block ×4, first 2 shown]
	v_mov_b32_e32 v12, v20
.LBB131_86:                             ;   Parent Loop BB131_29 Depth=1
                                        ; =>  This Inner Loop Header: Depth=2
	v_add_u32_e32 v6, s10, v36
	v_lshlrev_b64 v[1:2], 1, v[6:7]
	v_mov_b32_e32 v3, s37
	v_add_co_u32_e32 v1, vcc, s40, v1
	v_addc_co_u32_e32 v2, vcc, v3, v2, vcc
	v_add_u32_e32 v6, s10, v33
	global_load_ushort v4, v[1:2], off
	v_lshlrev_b64 v[1:2], 1, v[6:7]
	v_add_u32_e32 v6, s10, v34
	v_add_co_u32_e32 v1, vcc, s40, v1
	v_addc_co_u32_e32 v2, vcc, v3, v2, vcc
	global_load_ushort v13, v[1:2], off
	v_lshlrev_b64 v[1:2], 1, v[6:7]
	v_add_u32_e32 v6, s10, v35
	v_add_co_u32_e32 v1, vcc, s40, v1
	v_addc_co_u32_e32 v2, vcc, v3, v2, vcc
	;; [unrolled: 5-line block ×3, first 2 shown]
	global_load_ushort v1, v[1:2], off
	s_add_i32 s10, s10, s54
	s_waitcnt vmcnt(3)
	v_cmp_lt_i16_e32 vcc, -1, v4
	v_cndmask_b32_e32 v2, v41, v42, vcc
	v_cmp_o_f16_e32 vcc, v4, v4
	v_xor_b32_sdwa v2, v2, v4 dst_sel:DWORD dst_unused:UNUSED_PAD src0_sel:DWORD src1_sel:WORD_0
	v_cndmask_b32_e32 v2, v41, v2, vcc
	s_waitcnt vmcnt(2)
	v_cmp_lt_i16_e32 vcc, -1, v13
	v_cndmask_b32_e32 v3, v41, v42, vcc
	v_cmp_o_f16_e32 vcc, v13, v13
	v_xor_b32_sdwa v3, v3, v13 dst_sel:DWORD dst_unused:UNUSED_PAD src0_sel:DWORD src1_sel:WORD_0
	v_cndmask_b32_e32 v3, v41, v3, vcc
	;; [unrolled: 6-line block ×3, first 2 shown]
	s_waitcnt vmcnt(0)
	v_cmp_lt_i16_e32 vcc, -1, v1
	v_cndmask_b32_e32 v6, v41, v42, vcc
	v_cmp_o_f16_e32 vcc, v1, v1
	v_xor_b32_sdwa v1, v6, v1 dst_sel:DWORD dst_unused:UNUSED_PAD src0_sel:DWORD src1_sel:WORD_0
	v_and_b32_e32 v6, v2, v46
	v_bfe_u32 v2, v2, v45, 2
	v_cndmask_b32_e32 v1, v41, v1, vcc
	v_cmp_eq_u32_e32 vcc, v6, v38
	v_and_b32_e32 v6, v3, v46
	v_bfe_u32 v3, v3, v45, 2
	v_cmp_eq_u32_e64 s[28:29], 0, v2
	v_cmp_eq_u32_e64 s[6:7], v6, v38
	v_and_b32_e32 v6, v4, v46
	v_bfe_u32 v4, v4, v45, 2
	s_and_b64 s[48:49], vcc, s[28:29]
	v_cmp_eq_u32_e64 s[28:29], 0, v3
	v_cmp_eq_u32_e64 s[22:23], v6, v38
	v_and_b32_e32 v6, v1, v46
	v_bfe_u32 v1, v1, v45, 2
	s_and_b64 s[74:75], s[6:7], s[28:29]
	v_cmp_eq_u32_e64 s[28:29], 0, v4
	v_cmp_eq_u32_e64 s[26:27], v6, v38
	s_and_b64 s[76:77], s[22:23], s[28:29]
	v_cmp_eq_u32_e64 s[28:29], 0, v1
	v_cndmask_b32_e64 v6, 0, 1, s[48:49]
	s_and_b64 s[78:79], s[26:27], s[28:29]
	v_cmp_ne_u32_e64 s[28:29], 0, v6
	v_cndmask_b32_e64 v6, 0, 1, s[74:75]
	s_bcnt1_i32_b64 s43, s[28:29]
	v_cmp_ne_u32_e64 s[28:29], 0, v6
	v_cndmask_b32_e64 v6, 0, 1, s[76:77]
	s_bcnt1_i32_b64 s48, s[28:29]
	;; [unrolled: 3-line block ×3, first 2 shown]
	v_cmp_ne_u32_e64 s[28:29], 0, v6
	s_bcnt1_i32_b64 s28, s[28:29]
	s_add_i32 s29, s42, s43
	s_add_i32 s29, s29, s48
	s_add_i32 s29, s29, s49
	s_add_i32 s42, s29, s28
	v_cmp_eq_u32_e64 s[28:29], 1, v2
	s_and_b64 s[48:49], vcc, s[28:29]
	v_cmp_eq_u32_e64 s[28:29], 1, v3
	s_and_b64 s[74:75], s[6:7], s[28:29]
	v_cmp_eq_u32_e64 s[28:29], 1, v4
	s_and_b64 s[76:77], s[22:23], s[28:29]
	v_cmp_eq_u32_e64 s[28:29], 1, v1
	v_cndmask_b32_e64 v6, 0, 1, s[48:49]
	s_and_b64 s[78:79], s[26:27], s[28:29]
	v_cmp_ne_u32_e64 s[28:29], 0, v6
	v_cndmask_b32_e64 v6, 0, 1, s[74:75]
	s_bcnt1_i32_b64 s43, s[28:29]
	v_cmp_ne_u32_e64 s[28:29], 0, v6
	v_cndmask_b32_e64 v6, 0, 1, s[76:77]
	s_bcnt1_i32_b64 s48, s[28:29]
	v_cmp_ne_u32_e64 s[28:29], 0, v6
	v_cndmask_b32_e64 v6, 0, 1, s[78:79]
	s_add_i32 s21, s21, s43
	s_bcnt1_i32_b64 s49, s[28:29]
	v_cmp_ne_u32_e64 s[28:29], 0, v6
	s_add_i32 s21, s21, s48
	s_bcnt1_i32_b64 s28, s[28:29]
	s_add_i32 s21, s21, s49
	s_add_i32 s21, s21, s28
	v_cmp_eq_u32_e64 s[28:29], 2, v2
	s_and_b64 s[48:49], vcc, s[28:29]
	v_cmp_eq_u32_e64 s[28:29], 2, v3
	s_and_b64 s[74:75], s[6:7], s[28:29]
	v_cmp_eq_u32_e64 s[28:29], 2, v4
	s_and_b64 s[76:77], s[22:23], s[28:29]
	v_cmp_eq_u32_e64 s[28:29], 2, v1
	v_cndmask_b32_e64 v6, 0, 1, s[48:49]
	s_and_b64 s[78:79], s[26:27], s[28:29]
	v_cmp_ne_u32_e64 s[28:29], 0, v6
	v_cndmask_b32_e64 v6, 0, 1, s[74:75]
	s_bcnt1_i32_b64 s43, s[28:29]
	v_cmp_ne_u32_e64 s[28:29], 0, v6
	v_cndmask_b32_e64 v6, 0, 1, s[76:77]
	s_bcnt1_i32_b64 s48, s[28:29]
	v_cmp_ne_u32_e64 s[28:29], 0, v6
	v_cndmask_b32_e64 v6, 0, 1, s[78:79]
	s_add_i32 s13, s13, s43
	s_bcnt1_i32_b64 s49, s[28:29]
	v_cmp_ne_u32_e64 s[28:29], 0, v6
	s_add_i32 s13, s13, s48
	s_bcnt1_i32_b64 s28, s[28:29]
	s_add_i32 s13, s13, s49
	s_add_i32 s13, s13, s28
	v_cmp_eq_u32_e64 s[28:29], 3, v2
	s_and_b64 s[28:29], vcc, s[28:29]
	v_cmp_eq_u32_e32 vcc, 3, v3
	s_and_b64 s[6:7], s[6:7], vcc
	v_cmp_eq_u32_e32 vcc, 3, v4
	s_and_b64 s[22:23], s[22:23], vcc
	v_cmp_eq_u32_e32 vcc, 3, v1
	v_cndmask_b32_e64 v1, 0, 1, s[28:29]
	s_and_b64 s[26:27], s[26:27], vcc
	v_cmp_ne_u32_e32 vcc, 0, v1
	v_cndmask_b32_e64 v1, 0, 1, s[6:7]
	s_bcnt1_i32_b64 s28, vcc
	v_cmp_ne_u32_e32 vcc, 0, v1
	v_cndmask_b32_e64 v1, 0, 1, s[22:23]
	s_bcnt1_i32_b64 s6, vcc
	v_cmp_ne_u32_e32 vcc, 0, v1
	v_cndmask_b32_e64 v1, 0, 1, s[26:27]
	s_add_i32 s11, s11, s28
	s_bcnt1_i32_b64 s7, vcc
	v_cmp_ne_u32_e32 vcc, 0, v1
	s_add_i32 s6, s11, s6
	s_bcnt1_i32_b64 s22, vcc
	s_add_i32 s6, s6, s7
	s_add_i32 s11, s6, s22
	v_cmp_le_u32_e32 vcc, s1, v12
	s_or_b64 s[72:73], vcc, s[72:73]
	v_mov_b32_e32 v1, s42
	v_mov_b32_e32 v2, s21
	;; [unrolled: 1-line block ×4, first 2 shown]
	s_andn2_b64 exec, exec, s[72:73]
	s_cbranch_execnz .LBB131_86
; %bb.87:                               ;   in Loop: Header=BB131_29 Depth=1
	s_or_b64 exec, exec, s[72:73]
.LBB131_88:                             ;   in Loop: Header=BB131_29 Depth=1
	s_or_b64 exec, exec, s[30:31]
	s_and_saveexec_b64 s[22:23], s[18:19]
	s_cbranch_execz .LBB131_94
; %bb.89:                               ;   in Loop: Header=BB131_29 Depth=1
	global_load_ushort v13, v[10:11], off
	s_mov_b64 s[26:27], 0
	v_mov_b32_e32 v6, v37
	v_mov_b32_e32 v12, v31
	s_branch .LBB131_91
.LBB131_90:                             ;   in Loop: Header=BB131_91 Depth=2
	s_or_b64 exec, exec, s[10:11]
	s_and_b64 s[6:7], exec, vcc
	s_waitcnt vmcnt(0)
	v_cmp_lt_i16_e32 vcc, -1, v13
	v_cndmask_b32_e32 v15, v41, v42, vcc
	v_xor_b32_sdwa v15, v15, v13 dst_sel:DWORD dst_unused:UNUSED_PAD src0_sel:DWORD src1_sel:WORD_0
	v_cmp_o_f16_e32 vcc, v13, v13
	v_cndmask_b32_e32 v13, v41, v15, vcc
	v_and_b32_e32 v15, v13, v46
	v_bfe_u32 v13, v13, v45, 2
	s_or_b64 s[26:27], s[6:7], s[26:27]
	v_cmp_eq_u32_e32 vcc, v15, v38
	v_cmp_eq_u32_e64 s[6:7], 0, v13
	s_and_b64 s[6:7], vcc, s[6:7]
	v_cndmask_b32_e64 v15, 0, 1, s[6:7]
	v_cmp_ne_u32_e64 s[6:7], 0, v15
	s_bcnt1_i32_b64 s6, s[6:7]
	v_add_u32_e32 v1, s6, v1
	v_cmp_eq_u32_e64 s[6:7], 1, v13
	s_and_b64 s[6:7], vcc, s[6:7]
	v_cndmask_b32_e64 v15, 0, 1, s[6:7]
	v_cmp_ne_u32_e64 s[6:7], 0, v15
	s_bcnt1_i32_b64 s6, s[6:7]
	v_add_u32_e32 v2, s6, v2
	v_cmp_eq_u32_e64 s[6:7], 2, v13
	s_and_b64 s[6:7], vcc, s[6:7]
	v_cndmask_b32_e64 v15, 0, 1, s[6:7]
	v_cmp_ne_u32_e64 s[6:7], 0, v15
	s_bcnt1_i32_b64 s6, s[6:7]
	v_add_u32_e32 v3, s6, v3
	v_cmp_eq_u32_e64 s[6:7], 3, v13
	s_and_b64 s[6:7], vcc, s[6:7]
	v_cndmask_b32_e64 v13, 0, 1, s[6:7]
	v_cmp_ne_u32_e32 vcc, 0, v13
	s_bcnt1_i32_b64 s6, vcc
	v_add_u32_e32 v4, s6, v4
	v_add_u32_e32 v6, s44, v6
	v_mov_b32_e32 v13, v14
	s_andn2_b64 exec, exec, s[26:27]
	s_cbranch_execz .LBB131_93
.LBB131_91:                             ;   Parent Loop BB131_29 Depth=1
                                        ; =>  This Inner Loop Header: Depth=2
	v_add_u32_e32 v12, s39, v12
	v_cmp_gt_u32_e64 s[6:7], s36, v12
	v_cmp_le_u32_e32 vcc, s36, v12
	v_mov_b32_e32 v14, 0
	s_and_saveexec_b64 s[10:11], s[6:7]
	s_cbranch_execz .LBB131_90
; %bb.92:                               ;   in Loop: Header=BB131_91 Depth=2
	v_lshlrev_b64 v[14:15], 1, v[6:7]
	v_mov_b32_e32 v16, s37
	v_add_co_u32_e64 v14, s[6:7], s40, v14
	v_addc_co_u32_e64 v15, s[6:7], v16, v15, s[6:7]
	global_load_ushort v14, v[14:15], off
	s_branch .LBB131_90
.LBB131_93:                             ;   in Loop: Header=BB131_29 Depth=1
	s_or_b64 exec, exec, s[26:27]
.LBB131_94:                             ;   in Loop: Header=BB131_29 Depth=1
	s_or_b64 exec, exec, s[22:23]
	s_branch .LBB131_76
.LBB131_95:                             ;   in Loop: Header=BB131_29 Depth=1
	s_mul_hi_u32 s6, s12, s8
	s_mul_i32 s6, s6, s14
	s_sub_i32 s6, s12, s6
	s_sub_i32 s7, s6, s14
	s_cmp_ge_u32 s6, s14
	s_cselect_b32 s6, s7, s6
	s_sub_i32 s7, s6, s14
	s_cmp_ge_u32 s6, s14
	s_cselect_b32 s6, s7, s6
	s_sub_i32 s10, s12, s6
	v_cmp_gt_u32_e32 vcc, s10, v20
	v_mov_b32_e32 v1, 0
	v_mov_b32_e32 v2, 0
	;; [unrolled: 1-line block ×4, first 2 shown]
	s_and_saveexec_b64 s[30:31], vcc
	s_cbranch_execz .LBB131_99
; %bb.96:                               ;   in Loop: Header=BB131_29 Depth=1
	s_mov_b32 s11, 0
	s_mov_b64 s[72:73], 0
	v_mov_b32_e32 v6, v40
	s_mov_b32 s13, 0
	s_mov_b32 s21, 0
	;; [unrolled: 1-line block ×3, first 2 shown]
	v_mov_b32_e32 v12, v20
.LBB131_97:                             ;   Parent Loop BB131_29 Depth=1
                                        ; =>  This Inner Loop Header: Depth=2
	ds_read_b64 v[1:2], v6
	v_add_u32_e32 v12, s14, v12
	v_add_u32_e32 v6, s55, v6
	s_waitcnt lgkmcnt(0)
	v_cmp_lt_i16_e32 vcc, -1, v1
	v_cndmask_b32_e32 v3, v41, v42, vcc
	v_cmp_o_f16_e32 vcc, v1, v1
	v_xor_b32_sdwa v3, v3, v1 dst_sel:DWORD dst_unused:UNUSED_PAD src0_sel:DWORD src1_sel:WORD_0
	v_cndmask_b32_e32 v3, v41, v3, vcc
	v_cmp_gt_i16_sdwa vcc, v1, v43 src0_sel:WORD_1 src1_sel:DWORD
	v_cndmask_b32_e32 v4, v41, v42, vcc
	v_cmp_o_f16_sdwa vcc, v1, v1 src0_sel:WORD_1 src1_sel:WORD_1
	v_xor_b32_sdwa v1, v4, v1 dst_sel:DWORD dst_unused:UNUSED_PAD src0_sel:DWORD src1_sel:WORD_1
	v_cndmask_b32_e32 v1, v41, v1, vcc
	v_cmp_lt_i16_e32 vcc, -1, v2
	v_cndmask_b32_e32 v4, v41, v42, vcc
	v_cmp_o_f16_e32 vcc, v2, v2
	v_xor_b32_sdwa v4, v4, v2 dst_sel:DWORD dst_unused:UNUSED_PAD src0_sel:DWORD src1_sel:WORD_0
	v_cndmask_b32_e32 v4, v41, v4, vcc
	v_cmp_gt_i16_sdwa vcc, v2, v43 src0_sel:WORD_1 src1_sel:DWORD
	v_cndmask_b32_e32 v13, v41, v42, vcc
	v_cmp_o_f16_sdwa vcc, v2, v2 src0_sel:WORD_1 src1_sel:WORD_1
	v_xor_b32_sdwa v2, v13, v2 dst_sel:DWORD dst_unused:UNUSED_PAD src0_sel:DWORD src1_sel:WORD_1
	v_and_b32_e32 v13, v3, v46
	v_bfe_u32 v3, v3, v45, 2
	v_cndmask_b32_e32 v2, v41, v2, vcc
	v_cmp_eq_u32_e32 vcc, v13, v38
	v_and_b32_e32 v13, v1, v46
	v_bfe_u32 v1, v1, v45, 2
	v_cmp_eq_u32_e64 s[28:29], 0, v3
	v_cmp_eq_u32_e64 s[6:7], v13, v38
	v_and_b32_e32 v13, v4, v46
	v_bfe_u32 v4, v4, v45, 2
	s_and_b64 s[48:49], vcc, s[28:29]
	v_cmp_eq_u32_e64 s[28:29], 0, v1
	v_cmp_eq_u32_e64 s[22:23], v13, v38
	v_and_b32_e32 v13, v2, v46
	v_bfe_u32 v2, v2, v45, 2
	s_and_b64 s[74:75], s[6:7], s[28:29]
	v_cmp_eq_u32_e64 s[28:29], 0, v4
	v_cmp_eq_u32_e64 s[26:27], v13, v38
	s_and_b64 s[76:77], s[22:23], s[28:29]
	v_cmp_eq_u32_e64 s[28:29], 0, v2
	v_cndmask_b32_e64 v13, 0, 1, s[48:49]
	s_and_b64 s[78:79], s[26:27], s[28:29]
	v_cmp_ne_u32_e64 s[28:29], 0, v13
	v_cndmask_b32_e64 v13, 0, 1, s[74:75]
	s_bcnt1_i32_b64 s43, s[28:29]
	v_cmp_ne_u32_e64 s[28:29], 0, v13
	v_cndmask_b32_e64 v13, 0, 1, s[76:77]
	s_bcnt1_i32_b64 s48, s[28:29]
	;; [unrolled: 3-line block ×3, first 2 shown]
	v_cmp_ne_u32_e64 s[28:29], 0, v13
	s_bcnt1_i32_b64 s28, s[28:29]
	s_add_i32 s29, s42, s43
	s_add_i32 s29, s29, s48
	;; [unrolled: 1-line block ×4, first 2 shown]
	v_cmp_eq_u32_e64 s[28:29], 1, v3
	s_and_b64 s[48:49], vcc, s[28:29]
	v_cmp_eq_u32_e64 s[28:29], 1, v1
	s_and_b64 s[74:75], s[6:7], s[28:29]
	v_cmp_eq_u32_e64 s[28:29], 1, v4
	s_and_b64 s[76:77], s[22:23], s[28:29]
	v_cmp_eq_u32_e64 s[28:29], 1, v2
	v_cndmask_b32_e64 v13, 0, 1, s[48:49]
	s_and_b64 s[78:79], s[26:27], s[28:29]
	v_cmp_ne_u32_e64 s[28:29], 0, v13
	v_cndmask_b32_e64 v13, 0, 1, s[74:75]
	s_bcnt1_i32_b64 s43, s[28:29]
	v_cmp_ne_u32_e64 s[28:29], 0, v13
	v_cndmask_b32_e64 v13, 0, 1, s[76:77]
	s_bcnt1_i32_b64 s48, s[28:29]
	v_cmp_ne_u32_e64 s[28:29], 0, v13
	v_cndmask_b32_e64 v13, 0, 1, s[78:79]
	s_add_i32 s21, s21, s43
	s_bcnt1_i32_b64 s49, s[28:29]
	v_cmp_ne_u32_e64 s[28:29], 0, v13
	s_add_i32 s21, s21, s48
	s_bcnt1_i32_b64 s28, s[28:29]
	s_add_i32 s21, s21, s49
	s_add_i32 s21, s21, s28
	v_cmp_eq_u32_e64 s[28:29], 2, v3
	s_and_b64 s[48:49], vcc, s[28:29]
	v_cmp_eq_u32_e64 s[28:29], 2, v1
	s_and_b64 s[74:75], s[6:7], s[28:29]
	v_cmp_eq_u32_e64 s[28:29], 2, v4
	s_and_b64 s[76:77], s[22:23], s[28:29]
	v_cmp_eq_u32_e64 s[28:29], 2, v2
	v_cndmask_b32_e64 v13, 0, 1, s[48:49]
	s_and_b64 s[78:79], s[26:27], s[28:29]
	v_cmp_ne_u32_e64 s[28:29], 0, v13
	v_cndmask_b32_e64 v13, 0, 1, s[74:75]
	s_bcnt1_i32_b64 s43, s[28:29]
	v_cmp_ne_u32_e64 s[28:29], 0, v13
	v_cndmask_b32_e64 v13, 0, 1, s[76:77]
	s_bcnt1_i32_b64 s48, s[28:29]
	v_cmp_ne_u32_e64 s[28:29], 0, v13
	v_cndmask_b32_e64 v13, 0, 1, s[78:79]
	s_add_i32 s13, s13, s43
	s_bcnt1_i32_b64 s49, s[28:29]
	v_cmp_ne_u32_e64 s[28:29], 0, v13
	s_add_i32 s13, s13, s48
	s_bcnt1_i32_b64 s28, s[28:29]
	s_add_i32 s13, s13, s49
	s_add_i32 s13, s13, s28
	v_cmp_eq_u32_e64 s[28:29], 3, v3
	s_and_b64 s[28:29], vcc, s[28:29]
	v_cmp_eq_u32_e32 vcc, 3, v1
	s_and_b64 s[6:7], s[6:7], vcc
	v_cmp_eq_u32_e32 vcc, 3, v4
	s_and_b64 s[22:23], s[22:23], vcc
	v_cmp_eq_u32_e32 vcc, 3, v2
	v_cndmask_b32_e64 v1, 0, 1, s[28:29]
	s_and_b64 s[26:27], s[26:27], vcc
	v_cmp_ne_u32_e32 vcc, 0, v1
	v_cndmask_b32_e64 v1, 0, 1, s[6:7]
	s_bcnt1_i32_b64 s28, vcc
	v_cmp_ne_u32_e32 vcc, 0, v1
	v_cndmask_b32_e64 v1, 0, 1, s[22:23]
	s_bcnt1_i32_b64 s6, vcc
	v_cmp_ne_u32_e32 vcc, 0, v1
	v_cndmask_b32_e64 v1, 0, 1, s[26:27]
	s_add_i32 s11, s11, s28
	s_bcnt1_i32_b64 s7, vcc
	v_cmp_ne_u32_e32 vcc, 0, v1
	s_add_i32 s6, s11, s6
	s_bcnt1_i32_b64 s22, vcc
	s_add_i32 s6, s6, s7
	s_add_i32 s11, s6, s22
	v_cmp_le_u32_e32 vcc, s10, v12
	s_or_b64 s[72:73], vcc, s[72:73]
	v_mov_b32_e32 v1, s42
	v_mov_b32_e32 v2, s21
	v_mov_b32_e32 v3, s13
	v_mov_b32_e32 v4, s11
	s_andn2_b64 exec, exec, s[72:73]
	s_cbranch_execnz .LBB131_97
; %bb.98:                               ;   in Loop: Header=BB131_29 Depth=1
	s_or_b64 exec, exec, s[72:73]
.LBB131_99:                             ;   in Loop: Header=BB131_29 Depth=1
	s_or_b64 exec, exec, s[30:31]
	v_add_u32_e32 v6, s10, v0
	v_cmp_gt_u32_e32 vcc, s12, v6
	s_and_saveexec_b64 s[72:73], vcc
	s_cbranch_execz .LBB131_103
; %bb.100:                              ;   in Loop: Header=BB131_29 Depth=1
	v_lshlrev_b32_e32 v12, 1, v6
	s_mov_b64 s[42:43], 0
.LBB131_101:                            ;   Parent Loop BB131_29 Depth=1
                                        ; =>  This Inner Loop Header: Depth=2
	ds_read_u16 v13, v12
	v_add_u32_e32 v6, s39, v6
	v_cmp_le_u32_e32 vcc, s12, v6
	v_add_u32_e32 v12, s56, v12
	s_waitcnt lgkmcnt(0)
	v_cmp_lt_i16_e64 s[6:7], -1, v13
	v_cndmask_b32_e64 v14, v41, v42, s[6:7]
	v_xor_b32_sdwa v14, v14, v13 dst_sel:DWORD dst_unused:UNUSED_PAD src0_sel:DWORD src1_sel:WORD_0
	v_cmp_o_f16_e64 s[6:7], v13, v13
	v_cndmask_b32_e64 v13, v41, v14, s[6:7]
	v_and_b32_e32 v14, v13, v46
	v_bfe_u32 v13, v13, v45, 2
	v_cmp_eq_u32_e64 s[6:7], v14, v38
	v_cmp_eq_u32_e64 s[22:23], 0, v13
	;; [unrolled: 1-line block ×3, first 2 shown]
	s_and_b64 s[10:11], s[6:7], s[22:23]
	v_cmp_eq_u32_e64 s[28:29], 2, v13
	v_cmp_eq_u32_e64 s[30:31], 3, v13
	v_cndmask_b32_e64 v13, 0, 1, s[10:11]
	s_and_b64 s[10:11], s[6:7], s[26:27]
	v_cndmask_b32_e64 v14, 0, 1, s[10:11]
	s_and_b64 s[10:11], s[6:7], s[28:29]
	s_and_b64 s[6:7], s[6:7], s[30:31]
	v_cndmask_b32_e64 v15, 0, 1, s[10:11]
	v_cndmask_b32_e64 v16, 0, 1, s[6:7]
	v_cmp_ne_u32_e64 s[6:7], 0, v13
	v_cmp_ne_u32_e64 s[22:23], 0, v14
	;; [unrolled: 1-line block ×4, first 2 shown]
	s_bcnt1_i32_b64 s6, s[6:7]
	s_bcnt1_i32_b64 s7, s[22:23]
	;; [unrolled: 1-line block ×4, first 2 shown]
	v_add_u32_e32 v1, s6, v1
	v_add_u32_e32 v2, s7, v2
	;; [unrolled: 1-line block ×3, first 2 shown]
	s_or_b64 s[42:43], vcc, s[42:43]
	v_add_u32_e32 v4, s11, v4
	s_andn2_b64 exec, exec, s[42:43]
	s_cbranch_execnz .LBB131_101
; %bb.102:                              ;   in Loop: Header=BB131_29 Depth=1
	s_or_b64 exec, exec, s[42:43]
.LBB131_103:                            ;   in Loop: Header=BB131_29 Depth=1
	s_or_b64 exec, exec, s[72:73]
	s_lshl_b32 s10, s0, 6
	s_and_saveexec_b64 s[6:7], s[4:5]
	s_cbranch_execnz .LBB131_77
	s_branch .LBB131_78
.LBB131_104:                            ;   in Loop: Header=BB131_29 Depth=1
	v_mov_b32_e32 v1, 0
	s_mov_b32 s11, 0
.LBB131_105:                            ;   in Loop: Header=BB131_29 Depth=1
	v_readlane_b32 s12, v53, 23
	v_readlane_b32 s13, v53, 24
	s_andn2_b64 vcc, exec, s[12:13]
	s_cbranch_vccnz .LBB131_108
; %bb.106:                              ;   in Loop: Header=BB131_29 Depth=1
	s_lshl_b32 s12, s0, 8
	s_lshl_b32 s11, s11, 4
	s_add_i32 s12, s12, s11
	v_add_u32_e32 v2, s12, v39
	v_readlane_b32 s11, v53, 22
.LBB131_107:                            ;   Parent Loop BB131_29 Depth=1
                                        ; =>  This Inner Loop Header: Depth=2
	ds_read_b32 v3, v2
	s_add_i32 s11, s11, -1
	v_add_u32_e32 v2, 16, v2
	s_cmp_lg_u32 s11, 0
	s_waitcnt lgkmcnt(0)
	v_add_u32_e32 v1, v3, v1
	s_cbranch_scc1 .LBB131_107
.LBB131_108:                            ;   in Loop: Header=BB131_29 Depth=1
	v_add_lshl_u32 v2, s10, v21, 2
	ds_write_b32 v2, v1 offset:3072
.LBB131_109:                            ;   in Loop: Header=BB131_29 Depth=1
	s_or_b64 exec, exec, s[6:7]
	s_lshl_b32 s6, s10, 2
	v_mov_b32_e32 v1, s6
	s_waitcnt lgkmcnt(0)
	s_barrier
	ds_read_b128 v[1:4], v1 offset:3072
	v_cmp_eq_u32_e32 vcc, 1, v48
	s_mov_b64 s[22:23], -1
	s_mov_b64 s[10:11], -1
                                        ; implicit-def: $sgpr30_sgpr31
                                        ; implicit-def: $sgpr28_sgpr29
	s_waitcnt lgkmcnt(0)
	v_readfirstlane_b32 s78, v1
	s_cmp_eq_u32 s78, 1
	v_lshlrev_b32_e64 v1, v45, 3
	s_cselect_b64 s[6:7], -1, 0
	v_readfirstlane_b32 s82, v2
	v_readfirstlane_b32 s90, v3
	;; [unrolled: 1-line block ×3, first 2 shown]
	v_not_b32_e32 v3, v1
	s_and_b64 s[26:27], s[6:7], vcc
	s_and_saveexec_b64 s[6:7], s[26:27]
	s_cbranch_execz .LBB131_137
; %bb.110:                              ;   in Loop: Header=BB131_29 Depth=1
	ds_read_b32 v2, v7 offset:4104
	s_waitcnt lgkmcnt(0)
	s_barrier
	v_readfirstlane_b32 s48, v2
	s_and_saveexec_b64 s[10:11], s[24:25]
; %bb.111:                              ;   in Loop: Header=BB131_29 Depth=1
	ds_write_b16 v23, v7
; %bb.112:                              ;   in Loop: Header=BB131_29 Depth=1
	s_or_b64 exec, exec, s[10:11]
	v_and_b32_e32 v38, v38, v3
	v_or_b32_e32 v46, v46, v1
	s_mov_b64 s[28:29], -1
	s_mov_b64 s[30:31], 0
	s_cmp_eq_u32 s48, 0
	s_mov_b64 s[72:73], 0
	s_mov_b64 s[74:75], -1
	s_waitcnt lgkmcnt(0)
	s_barrier
                                        ; implicit-def: $vgpr47
	s_cbranch_scc1 .LBB131_124
; %bb.113:                              ;   in Loop: Header=BB131_29 Depth=1
	s_add_i32 s10, s48, s15
	s_mul_hi_u32 s11, s10, s52
	s_mul_i32 s11, s11, s39
	s_sub_i32 s11, s10, s11
	s_sub_i32 s12, s11, s39
	s_cmp_ge_u32 s11, s39
	s_cselect_b32 s11, s12, s11
	s_sub_i32 s12, s11, s39
	s_cmp_ge_u32 s11, s39
	s_cselect_b32 s11, s12, s11
	s_sub_i32 s49, s10, s11
	v_cmp_gt_u32_e32 vcc, s49, v0
	s_mov_b64 s[74:75], 0
                                        ; implicit-def: $vgpr47
	s_and_saveexec_b64 s[42:43], vcc
	s_cbranch_execz .LBB131_123
; %bb.114:                              ;   in Loop: Header=BB131_29 Depth=1
	v_mov_b32_e32 v2, v22
	v_mov_b32_e32 v4, v0
                                        ; implicit-def: $sgpr10_sgpr11
	s_branch .LBB131_118
.LBB131_115:                            ;   in Loop: Header=BB131_118 Depth=2
	s_or_b64 exec, exec, s[12:13]
	s_waitcnt lgkmcnt(0)
	s_barrier
	ds_read_b32 v6, v7 offset:3072
	s_waitcnt lgkmcnt(0)
	s_barrier
	v_cmp_neq_f16_e32 vcc, 0, v6
	s_cbranch_vccnz .LBB131_121
; %bb.116:                              ;   in Loop: Header=BB131_118 Depth=2
	v_add_u32_e32 v4, s39, v4
	v_cmp_le_u32_e32 vcc, s49, v4
	v_add_u32_e32 v2, s56, v2
	s_mov_b64 s[12:13], 0
	s_orn2_b64 s[76:77], vcc, exec
.LBB131_117:                            ;   in Loop: Header=BB131_118 Depth=2
	s_and_b64 s[76:77], exec, s[76:77]
	s_or_b64 s[72:73], s[76:77], s[72:73]
	s_andn2_b64 s[10:11], s[10:11], exec
	s_and_b64 s[12:13], s[12:13], exec
	s_or_b64 s[10:11], s[10:11], s[12:13]
	s_andn2_b64 exec, exec, s[72:73]
	s_cbranch_execz .LBB131_122
.LBB131_118:                            ;   Parent Loop BB131_29 Depth=1
                                        ; =>  This Inner Loop Header: Depth=2
	v_cmp_gt_u32_e32 vcc, s48, v4
	s_and_saveexec_b64 s[12:13], vcc
	s_cbranch_execz .LBB131_115
; %bb.119:                              ;   in Loop: Header=BB131_118 Depth=2
	ds_read_u16 v6, v2
	s_waitcnt lgkmcnt(0)
	v_cmp_lt_i16_e32 vcc, -1, v6
	v_cndmask_b32_e32 v12, v41, v42, vcc
	v_xor_b32_sdwa v12, v12, v6 dst_sel:DWORD dst_unused:UNUSED_PAD src0_sel:DWORD src1_sel:WORD_0
	v_cmp_o_f16_e32 vcc, v6, v6
	v_cndmask_b32_e32 v12, v41, v12, vcc
	v_and_b32_e32 v12, v12, v46
	v_cmp_eq_u32_e32 vcc, v12, v38
	s_and_b64 exec, exec, vcc
	s_cbranch_execz .LBB131_115
; %bb.120:                              ;   in Loop: Header=BB131_118 Depth=2
	v_perm_b32 v6, v6, s20, v44
	ds_write_b32 v7, v6 offset:3072
	s_branch .LBB131_115
.LBB131_121:                            ;   in Loop: Header=BB131_118 Depth=2
	s_mov_b64 s[76:77], -1
                                        ; implicit-def: $vgpr4
                                        ; implicit-def: $vgpr2
	s_mov_b64 s[12:13], -1
	s_branch .LBB131_117
.LBB131_122:                            ;   in Loop: Header=BB131_29 Depth=1
	s_or_b64 exec, exec, s[72:73]
	v_lshrrev_b32_e32 v47, 16, v6
	s_and_b64 s[72:73], s[10:11], exec
.LBB131_123:                            ;   in Loop: Header=BB131_29 Depth=1
	s_or_b64 exec, exec, s[42:43]
.LBB131_124:                            ;   in Loop: Header=BB131_29 Depth=1
	s_and_b64 vcc, exec, s[74:75]
	s_cbranch_vccz .LBB131_136
; %bb.125:                              ;   in Loop: Header=BB131_29 Depth=1
                                        ; implicit-def: $vgpr47
	s_mov_b64 s[28:29], exec
	v_readlane_b32 s10, v53, 25
	v_readlane_b32 s11, v53, 26
	s_and_b64 s[10:11], s[28:29], s[10:11]
	s_mov_b64 exec, s[10:11]
	s_cbranch_execz .LBB131_135
; %bb.126:                              ;   in Loop: Header=BB131_29 Depth=1
	s_mov_b64 s[30:31], 0
	v_mov_b32_e32 v6, v5
	v_mov_b32_e32 v2, v0
                                        ; implicit-def: $sgpr42_sgpr43
	s_branch .LBB131_130
.LBB131_127:                            ;   in Loop: Header=BB131_130 Depth=2
	s_or_b64 exec, exec, s[10:11]
	s_waitcnt lgkmcnt(0)
	s_barrier
	ds_read_b32 v4, v7 offset:3072
	s_waitcnt lgkmcnt(0)
	s_barrier
	v_cmp_neq_f16_e32 vcc, 0, v4
	s_cbranch_vccnz .LBB131_133
; %bb.128:                              ;   in Loop: Header=BB131_130 Depth=2
	v_add_u32_e32 v2, s39, v2
	v_cmp_le_u32_e32 vcc, s53, v2
	v_add_u32_e32 v6, s44, v6
	s_mov_b64 s[10:11], 0
	s_orn2_b64 s[12:13], vcc, exec
.LBB131_129:                            ;   in Loop: Header=BB131_130 Depth=2
	s_and_b64 s[12:13], exec, s[12:13]
	s_or_b64 s[30:31], s[12:13], s[30:31]
	s_andn2_b64 s[12:13], s[42:43], exec
	s_and_b64 s[10:11], s[10:11], exec
	s_or_b64 s[42:43], s[12:13], s[10:11]
	s_andn2_b64 exec, exec, s[30:31]
	s_cbranch_execz .LBB131_134
.LBB131_130:                            ;   Parent Loop BB131_29 Depth=1
                                        ; =>  This Inner Loop Header: Depth=2
	v_cmp_gt_u32_e32 vcc, s36, v2
	s_and_saveexec_b64 s[10:11], vcc
	s_cbranch_execz .LBB131_127
; %bb.131:                              ;   in Loop: Header=BB131_130 Depth=2
	v_lshlrev_b64 v[12:13], 1, v[6:7]
	v_mov_b32_e32 v4, s37
	v_add_co_u32_e32 v12, vcc, s40, v12
	v_addc_co_u32_e32 v13, vcc, v4, v13, vcc
	global_load_ushort v4, v[12:13], off
	s_waitcnt vmcnt(0)
	v_cmp_lt_i16_e32 vcc, -1, v4
	v_cndmask_b32_e32 v12, v41, v42, vcc
	v_xor_b32_sdwa v12, v12, v4 dst_sel:DWORD dst_unused:UNUSED_PAD src0_sel:DWORD src1_sel:WORD_0
	v_cmp_o_f16_e32 vcc, v4, v4
	v_cndmask_b32_e32 v12, v41, v12, vcc
	v_and_b32_e32 v12, v12, v46
	v_cmp_eq_u32_e32 vcc, v12, v38
	s_and_b64 exec, exec, vcc
	s_cbranch_execz .LBB131_127
; %bb.132:                              ;   in Loop: Header=BB131_130 Depth=2
	v_perm_b32 v4, v4, s20, v44
	ds_write_b32 v7, v4 offset:3072
	s_branch .LBB131_127
.LBB131_133:                            ;   in Loop: Header=BB131_130 Depth=2
	s_mov_b64 s[12:13], -1
                                        ; implicit-def: $vgpr2
	s_mov_b64 s[10:11], -1
	s_branch .LBB131_129
.LBB131_134:                            ;   in Loop: Header=BB131_29 Depth=1
	s_or_b64 exec, exec, s[30:31]
	s_andn2_b64 s[10:11], s[72:73], exec
	s_and_b64 s[12:13], s[42:43], exec
	v_lshrrev_b32_e32 v47, 16, v4
	s_or_b64 s[72:73], s[10:11], s[12:13]
.LBB131_135:                            ;   in Loop: Header=BB131_29 Depth=1
	s_or_b64 exec, exec, s[28:29]
	s_mov_b64 s[28:29], 0
	s_mov_b64 s[30:31], -1
.LBB131_136:                            ;   in Loop: Header=BB131_29 Depth=1
	s_orn2_b64 s[10:11], s[72:73], exec
.LBB131_137:                            ;   in Loop: Header=BB131_29 Depth=1
	s_or_b64 exec, exec, s[6:7]
	s_andn2_b64 s[6:7], s[70:71], exec
	s_and_b64 s[12:13], s[30:31], exec
	s_or_b64 s[70:71], s[6:7], s[12:13]
	s_andn2_b64 s[6:7], s[68:69], exec
	s_and_b64 s[12:13], s[28:29], exec
	v_readfirstlane_b32 s42, v0
	s_andn2_b64 s[66:67], s[66:67], exec
	s_or_b64 s[68:69], s[6:7], s[12:13]
                                        ; implicit-def: $vgpr4
	s_and_saveexec_b64 s[6:7], s[10:11]
	s_cbranch_execz .LBB131_28
; %bb.138:                              ;   in Loop: Header=BB131_29 Depth=1
	s_xor_b64 s[10:11], s[26:27], -1
	s_mov_b64 s[26:27], 0
	v_mov_b32_e32 v4, 1
	v_mov_b32_e32 v2, 1
	s_and_saveexec_b64 s[22:23], s[10:11]
	s_cbranch_execz .LBB131_144
; %bb.139:                              ;   in Loop: Header=BB131_29 Depth=1
	v_cmp_ge_u32_e32 vcc, s78, v48
	s_and_saveexec_b64 s[10:11], vcc
	s_xor_b64 s[10:11], exec, s[10:11]
	s_cbranch_execz .LBB131_141
; %bb.140:                              ;   in Loop: Header=BB131_29 Depth=1
	ds_read_b32 v2, v7 offset:4104
	v_and_b32_e32 v38, v38, v3
	v_or_b32_e32 v46, v46, v1
	s_waitcnt lgkmcnt(0)
	v_cmp_ne_u32_e32 vcc, 0, v2
	s_cbranch_vccz .LBB131_158
.LBB131_141:                            ;   in Loop: Header=BB131_29 Depth=1
	s_or_saveexec_b64 s[10:11], s[10:11]
	v_mov_b32_e32 v2, 8
	s_xor_b64 exec, exec, s[10:11]
.LBB131_142:                            ;   in Loop: Header=BB131_29 Depth=1
	s_mov_b64 s[26:27], exec
	v_subrev_u32_e32 v48, s78, v48
	v_mov_b32_e32 v2, 0
.LBB131_143:                            ;   in Loop: Header=BB131_29 Depth=1
	s_or_b64 exec, exec, s[10:11]
	s_and_b64 s[26:27], s[26:27], exec
	v_mov_b32_e32 v4, v48
.LBB131_144:                            ;   in Loop: Header=BB131_29 Depth=1
	s_or_b64 exec, exec, s[22:23]
	s_mov_b64 s[22:23], -1
	s_mov_b64 s[10:11], -1
                                        ; implicit-def: $sgpr28_sgpr29
                                        ; implicit-def: $sgpr30_sgpr31
	s_and_saveexec_b64 s[12:13], s[26:27]
	s_xor_b64 s[26:27], exec, s[12:13]
	s_cbranch_execz .LBB131_270
; %bb.145:                              ;   in Loop: Header=BB131_29 Depth=1
	s_cmp_eq_u32 s82, 1
	s_cselect_b64 s[10:11], -1, 0
	v_cmp_eq_u32_e32 vcc, 1, v4
	s_and_b64 s[74:75], s[10:11], vcc
	s_mov_b64 s[10:11], -1
                                        ; implicit-def: $sgpr30_sgpr31
                                        ; implicit-def: $sgpr28_sgpr29
	s_and_saveexec_b64 s[72:73], s[74:75]
	s_cbranch_execz .LBB131_176
; %bb.146:                              ;   in Loop: Header=BB131_29 Depth=1
	ds_read_b32 v6, v7 offset:4104
	s_waitcnt lgkmcnt(0)
	s_barrier
	v_readfirstlane_b32 s83, v6
	s_and_saveexec_b64 s[10:11], s[24:25]
; %bb.147:                              ;   in Loop: Header=BB131_29 Depth=1
	ds_write_b16 v23, v7
; %bb.148:                              ;   in Loop: Header=BB131_29 Depth=1
	s_or_b64 exec, exec, s[10:11]
	v_and_b32_e32 v6, v38, v3
	v_lshl_or_b32 v38, 1, v45, v6
	v_or_b32_e32 v46, v46, v1
	s_mov_b64 s[28:29], -1
	s_mov_b64 s[30:31], 0
	s_cmp_eq_u32 s83, 0
	s_mov_b64 s[76:77], 0
	s_mov_b64 s[78:79], -1
	s_waitcnt lgkmcnt(0)
	s_barrier
                                        ; implicit-def: $vgpr47
	s_cbranch_scc1 .LBB131_163
; %bb.149:                              ;   in Loop: Header=BB131_29 Depth=1
	s_add_i32 s10, s83, s15
	s_mul_hi_u32 s11, s10, s52
	s_mul_i32 s11, s11, s39
	s_sub_i32 s11, s10, s11
	s_sub_i32 s12, s11, s39
	s_cmp_ge_u32 s11, s39
	s_cselect_b32 s11, s12, s11
	s_sub_i32 s12, s11, s39
	s_cmp_ge_u32 s11, s39
	s_cselect_b32 s11, s12, s11
	s_sub_i32 s48, s10, s11
	v_cmp_gt_u32_e32 vcc, s48, v0
	s_mov_b64 s[78:79], 0
                                        ; implicit-def: $vgpr47
	s_and_saveexec_b64 s[80:81], vcc
	s_cbranch_execz .LBB131_162
; %bb.150:                              ;   in Loop: Header=BB131_29 Depth=1
	s_mov_b64 s[42:43], 0
	v_mov_b32_e32 v6, v22
	v_mov_b32_e32 v12, v0
                                        ; implicit-def: $sgpr76_sgpr77
	s_branch .LBB131_154
.LBB131_151:                            ;   in Loop: Header=BB131_154 Depth=2
	s_or_b64 exec, exec, s[10:11]
	s_waitcnt lgkmcnt(0)
	s_barrier
	ds_read_b32 v13, v7 offset:3072
	s_waitcnt lgkmcnt(0)
	s_barrier
	v_cmp_neq_f16_e32 vcc, 0, v13
	s_cbranch_vccnz .LBB131_157
; %bb.152:                              ;   in Loop: Header=BB131_154 Depth=2
	v_add_u32_e32 v12, s39, v12
	v_cmp_le_u32_e32 vcc, s48, v12
	v_add_u32_e32 v6, s56, v6
	s_mov_b64 s[10:11], 0
	s_orn2_b64 s[12:13], vcc, exec
.LBB131_153:                            ;   in Loop: Header=BB131_154 Depth=2
	s_and_b64 s[12:13], exec, s[12:13]
	s_or_b64 s[42:43], s[12:13], s[42:43]
	s_andn2_b64 s[12:13], s[76:77], exec
	s_and_b64 s[10:11], s[10:11], exec
	s_or_b64 s[76:77], s[12:13], s[10:11]
	s_andn2_b64 exec, exec, s[42:43]
	s_cbranch_execz .LBB131_161
.LBB131_154:                            ;   Parent Loop BB131_29 Depth=1
                                        ; =>  This Inner Loop Header: Depth=2
	v_cmp_gt_u32_e32 vcc, s83, v12
	s_and_saveexec_b64 s[10:11], vcc
	s_cbranch_execz .LBB131_151
; %bb.155:                              ;   in Loop: Header=BB131_154 Depth=2
	ds_read_u16 v13, v6
	s_waitcnt lgkmcnt(0)
	v_cmp_lt_i16_e32 vcc, -1, v13
	v_cndmask_b32_e32 v14, v41, v42, vcc
	v_xor_b32_sdwa v14, v14, v13 dst_sel:DWORD dst_unused:UNUSED_PAD src0_sel:DWORD src1_sel:WORD_0
	v_cmp_o_f16_e32 vcc, v13, v13
	v_cndmask_b32_e32 v14, v41, v14, vcc
	v_and_b32_e32 v14, v14, v46
	v_cmp_eq_u32_e32 vcc, v14, v38
	s_and_b64 exec, exec, vcc
	s_cbranch_execz .LBB131_151
; %bb.156:                              ;   in Loop: Header=BB131_154 Depth=2
	v_perm_b32 v13, v13, s20, v44
	ds_write_b32 v7, v13 offset:3072
	s_branch .LBB131_151
.LBB131_157:                            ;   in Loop: Header=BB131_154 Depth=2
	s_mov_b64 s[12:13], -1
                                        ; implicit-def: $vgpr12
                                        ; implicit-def: $vgpr6
	s_mov_b64 s[10:11], -1
	s_branch .LBB131_153
.LBB131_158:                            ;   in Loop: Header=BB131_29 Depth=1
	s_and_saveexec_b64 s[12:13], s[2:3]
; %bb.159:                              ;   in Loop: Header=BB131_29 Depth=1
	v_mov_b32_e32 v2, s78
	ds_write_b32 v7, v2 offset:4108
; %bb.160:                              ;   in Loop: Header=BB131_29 Depth=1
	s_or_b64 exec, exec, s[12:13]
	s_waitcnt lgkmcnt(0)
	s_barrier
	s_or_saveexec_b64 s[10:11], s[10:11]
	v_mov_b32_e32 v2, 8
	s_xor_b64 exec, exec, s[10:11]
	s_cbranch_execnz .LBB131_142
	s_branch .LBB131_143
.LBB131_161:                            ;   in Loop: Header=BB131_29 Depth=1
	s_or_b64 exec, exec, s[42:43]
	v_lshrrev_b32_e32 v47, 16, v13
	s_and_b64 s[76:77], s[76:77], exec
.LBB131_162:                            ;   in Loop: Header=BB131_29 Depth=1
	s_or_b64 exec, exec, s[80:81]
.LBB131_163:                            ;   in Loop: Header=BB131_29 Depth=1
	s_and_b64 vcc, exec, s[78:79]
	s_cbranch_vccz .LBB131_175
; %bb.164:                              ;   in Loop: Header=BB131_29 Depth=1
                                        ; implicit-def: $vgpr47
	s_mov_b64 s[28:29], exec
	v_readlane_b32 s10, v53, 25
	v_readlane_b32 s11, v53, 26
	s_and_b64 s[10:11], s[28:29], s[10:11]
	s_mov_b64 exec, s[10:11]
	s_cbranch_execz .LBB131_174
; %bb.165:                              ;   in Loop: Header=BB131_29 Depth=1
	s_mov_b64 s[30:31], 0
	v_mov_b32_e32 v6, v5
	v_mov_b32_e32 v12, v0
                                        ; implicit-def: $sgpr42_sgpr43
	s_branch .LBB131_169
.LBB131_166:                            ;   in Loop: Header=BB131_169 Depth=2
	s_or_b64 exec, exec, s[10:11]
	s_waitcnt lgkmcnt(0)
	s_barrier
	ds_read_b32 v13, v7 offset:3072
	s_waitcnt lgkmcnt(0)
	s_barrier
	v_cmp_eq_f16_e32 vcc, 0, v13
	s_cbranch_vccz .LBB131_172
; %bb.167:                              ;   in Loop: Header=BB131_169 Depth=2
	v_add_u32_e32 v12, s39, v12
	v_cmp_le_u32_e32 vcc, s53, v12
	v_add_u32_e32 v6, s44, v6
	s_mov_b64 s[10:11], 0
	s_orn2_b64 s[12:13], vcc, exec
.LBB131_168:                            ;   in Loop: Header=BB131_169 Depth=2
	s_and_b64 s[12:13], exec, s[12:13]
	s_or_b64 s[30:31], s[12:13], s[30:31]
	s_andn2_b64 s[12:13], s[42:43], exec
	s_and_b64 s[10:11], s[10:11], exec
	s_or_b64 s[42:43], s[12:13], s[10:11]
	s_andn2_b64 exec, exec, s[30:31]
	s_cbranch_execz .LBB131_173
.LBB131_169:                            ;   Parent Loop BB131_29 Depth=1
                                        ; =>  This Inner Loop Header: Depth=2
	v_cmp_gt_u32_e32 vcc, s36, v12
	s_and_saveexec_b64 s[10:11], vcc
	s_cbranch_execz .LBB131_166
; %bb.170:                              ;   in Loop: Header=BB131_169 Depth=2
	v_lshlrev_b64 v[13:14], 1, v[6:7]
	v_mov_b32_e32 v15, s37
	v_add_co_u32_e32 v13, vcc, s40, v13
	v_addc_co_u32_e32 v14, vcc, v15, v14, vcc
	global_load_ushort v13, v[13:14], off
	s_waitcnt vmcnt(0)
	v_cmp_lt_i16_e32 vcc, -1, v13
	v_cndmask_b32_e32 v14, v41, v42, vcc
	v_xor_b32_sdwa v14, v14, v13 dst_sel:DWORD dst_unused:UNUSED_PAD src0_sel:DWORD src1_sel:WORD_0
	v_cmp_o_f16_e32 vcc, v13, v13
	v_cndmask_b32_e32 v14, v41, v14, vcc
	v_and_b32_e32 v14, v14, v46
	v_cmp_eq_u32_e32 vcc, v14, v38
	s_and_b64 exec, exec, vcc
	s_cbranch_execz .LBB131_166
; %bb.171:                              ;   in Loop: Header=BB131_169 Depth=2
	v_perm_b32 v13, v13, s20, v44
	ds_write_b32 v7, v13 offset:3072
	s_branch .LBB131_166
.LBB131_172:                            ;   in Loop: Header=BB131_169 Depth=2
	s_mov_b64 s[12:13], -1
                                        ; implicit-def: $vgpr12
	s_mov_b64 s[10:11], -1
	s_branch .LBB131_168
.LBB131_173:                            ;   in Loop: Header=BB131_29 Depth=1
	s_or_b64 exec, exec, s[30:31]
	s_andn2_b64 s[10:11], s[76:77], exec
	s_and_b64 s[12:13], s[42:43], exec
	v_lshrrev_b32_e32 v47, 16, v13
	s_or_b64 s[76:77], s[10:11], s[12:13]
.LBB131_174:                            ;   in Loop: Header=BB131_29 Depth=1
	s_or_b64 exec, exec, s[28:29]
	s_mov_b64 s[28:29], 0
	s_mov_b64 s[30:31], -1
.LBB131_175:                            ;   in Loop: Header=BB131_29 Depth=1
	s_orn2_b64 s[10:11], s[76:77], exec
.LBB131_176:                            ;   in Loop: Header=BB131_29 Depth=1
	s_or_b64 exec, exec, s[72:73]
	s_mov_b64 s[42:43], 0
	s_and_saveexec_b64 s[72:73], s[10:11]
	s_cbranch_execz .LBB131_269
; %bb.177:                              ;   in Loop: Header=BB131_29 Depth=1
	s_xor_b64 s[10:11], s[74:75], -1
	s_mov_b64 s[80:81], 0
	v_mov_b32_e32 v12, 1
	v_mov_b32_e32 v2, 1
	s_and_saveexec_b64 s[42:43], s[10:11]
	s_cbranch_execz .LBB131_186
; %bb.178:                              ;   in Loop: Header=BB131_29 Depth=1
	v_cmp_ge_u32_e32 vcc, s82, v4
	s_and_saveexec_b64 s[10:11], vcc
	s_xor_b64 s[10:11], exec, s[10:11]
	s_cbranch_execz .LBB131_183
; %bb.179:                              ;   in Loop: Header=BB131_29 Depth=1
	ds_read_b32 v2, v7 offset:4104
	v_and_b32_e32 v6, v38, v3
	v_lshl_or_b32 v38, 1, v45, v6
	v_or_b32_e32 v46, v46, v1
	s_waitcnt lgkmcnt(0)
	v_cmp_ne_u32_e32 vcc, 0, v2
	s_cbranch_vccnz .LBB131_183
; %bb.180:                              ;   in Loop: Header=BB131_29 Depth=1
	s_and_saveexec_b64 s[12:13], s[2:3]
; %bb.181:                              ;   in Loop: Header=BB131_29 Depth=1
	v_mov_b32_e32 v2, s82
	ds_write_b32 v7, v2 offset:4108
; %bb.182:                              ;   in Loop: Header=BB131_29 Depth=1
	s_or_b64 exec, exec, s[12:13]
	s_waitcnt lgkmcnt(0)
	s_barrier
.LBB131_183:                            ;   in Loop: Header=BB131_29 Depth=1
	s_or_saveexec_b64 s[10:11], s[10:11]
	s_mov_b64 s[74:75], 0
	v_mov_b32_e32 v2, 8
	s_xor_b64 exec, exec, s[10:11]
; %bb.184:                              ;   in Loop: Header=BB131_29 Depth=1
	s_mov_b64 s[74:75], exec
	v_subrev_u32_e32 v4, s82, v4
	v_mov_b32_e32 v2, 0
; %bb.185:                              ;   in Loop: Header=BB131_29 Depth=1
	s_or_b64 exec, exec, s[10:11]
	s_and_b64 s[80:81], s[74:75], exec
	v_mov_b32_e32 v12, v4
.LBB131_186:                            ;   in Loop: Header=BB131_29 Depth=1
	s_or_b64 exec, exec, s[42:43]
	s_mov_b64 s[10:11], -1
                                        ; implicit-def: $sgpr76_sgpr77
                                        ; implicit-def: $sgpr78_sgpr79
	s_and_saveexec_b64 s[74:75], s[80:81]
	s_cbranch_execz .LBB131_268
; %bb.187:                              ;   in Loop: Header=BB131_29 Depth=1
	s_cmp_eq_u32 s90, 1
	s_cselect_b64 s[10:11], -1, 0
	v_cmp_eq_u32_e32 vcc, 1, v12
	s_and_b64 s[82:83], s[10:11], vcc
	s_mov_b64 s[10:11], -1
                                        ; implicit-def: $sgpr78_sgpr79
                                        ; implicit-def: $sgpr76_sgpr77
	s_and_saveexec_b64 s[80:81], s[82:83]
	s_cbranch_execz .LBB131_215
; %bb.188:                              ;   in Loop: Header=BB131_29 Depth=1
	ds_read_b32 v4, v7 offset:4104
	s_waitcnt lgkmcnt(0)
	s_barrier
	v_readfirstlane_b32 s91, v4
	s_and_saveexec_b64 s[10:11], s[24:25]
; %bb.189:                              ;   in Loop: Header=BB131_29 Depth=1
	ds_write_b16 v23, v7
; %bb.190:                              ;   in Loop: Header=BB131_29 Depth=1
	s_or_b64 exec, exec, s[10:11]
	v_and_b32_e32 v4, v38, v3
	v_lshl_or_b32 v38, 2, v45, v4
	v_or_b32_e32 v46, v46, v1
	s_mov_b64 s[76:77], -1
	s_mov_b64 s[78:79], 0
	s_cmp_eq_u32 s91, 0
	s_mov_b64 s[84:85], 0
	s_mov_b64 s[86:87], -1
	s_waitcnt lgkmcnt(0)
	s_barrier
                                        ; implicit-def: $vgpr47
	s_cbranch_scc1 .LBB131_202
; %bb.191:                              ;   in Loop: Header=BB131_29 Depth=1
	s_add_i32 s10, s91, s15
	s_mul_hi_u32 s11, s10, s52
	s_mul_i32 s11, s11, s39
	s_sub_i32 s11, s10, s11
	s_sub_i32 s12, s11, s39
	s_cmp_ge_u32 s11, s39
	s_cselect_b32 s11, s12, s11
	s_sub_i32 s12, s11, s39
	s_cmp_ge_u32 s11, s39
	s_cselect_b32 s11, s12, s11
	s_sub_i32 s48, s10, s11
	v_cmp_gt_u32_e32 vcc, s48, v0
	s_mov_b64 s[86:87], 0
                                        ; implicit-def: $vgpr47
	s_and_saveexec_b64 s[88:89], vcc
	s_cbranch_execz .LBB131_201
; %bb.192:                              ;   in Loop: Header=BB131_29 Depth=1
	s_mov_b64 s[42:43], 0
	v_mov_b32_e32 v4, v22
	v_mov_b32_e32 v6, v0
                                        ; implicit-def: $sgpr84_sgpr85
	s_branch .LBB131_196
.LBB131_193:                            ;   in Loop: Header=BB131_196 Depth=2
	s_or_b64 exec, exec, s[10:11]
	s_waitcnt lgkmcnt(0)
	s_barrier
	ds_read_b32 v13, v7 offset:3072
	s_waitcnt lgkmcnt(0)
	s_barrier
	v_cmp_neq_f16_e32 vcc, 0, v13
	s_cbranch_vccnz .LBB131_199
; %bb.194:                              ;   in Loop: Header=BB131_196 Depth=2
	v_add_u32_e32 v6, s39, v6
	v_cmp_le_u32_e32 vcc, s48, v6
	v_add_u32_e32 v4, s56, v4
	s_mov_b64 s[10:11], 0
	s_orn2_b64 s[12:13], vcc, exec
.LBB131_195:                            ;   in Loop: Header=BB131_196 Depth=2
	s_and_b64 s[12:13], exec, s[12:13]
	s_or_b64 s[42:43], s[12:13], s[42:43]
	s_andn2_b64 s[12:13], s[84:85], exec
	s_and_b64 s[10:11], s[10:11], exec
	s_or_b64 s[84:85], s[12:13], s[10:11]
	s_andn2_b64 exec, exec, s[42:43]
	s_cbranch_execz .LBB131_200
.LBB131_196:                            ;   Parent Loop BB131_29 Depth=1
                                        ; =>  This Inner Loop Header: Depth=2
	v_cmp_gt_u32_e32 vcc, s91, v6
	s_and_saveexec_b64 s[10:11], vcc
	s_cbranch_execz .LBB131_193
; %bb.197:                              ;   in Loop: Header=BB131_196 Depth=2
	ds_read_u16 v13, v4
	s_waitcnt lgkmcnt(0)
	v_cmp_lt_i16_e32 vcc, -1, v13
	v_cndmask_b32_e32 v14, v41, v42, vcc
	v_xor_b32_sdwa v14, v14, v13 dst_sel:DWORD dst_unused:UNUSED_PAD src0_sel:DWORD src1_sel:WORD_0
	v_cmp_o_f16_e32 vcc, v13, v13
	v_cndmask_b32_e32 v14, v41, v14, vcc
	v_and_b32_e32 v14, v14, v46
	v_cmp_eq_u32_e32 vcc, v14, v38
	s_and_b64 exec, exec, vcc
	s_cbranch_execz .LBB131_193
; %bb.198:                              ;   in Loop: Header=BB131_196 Depth=2
	v_perm_b32 v13, v13, s20, v44
	ds_write_b32 v7, v13 offset:3072
	s_branch .LBB131_193
.LBB131_199:                            ;   in Loop: Header=BB131_196 Depth=2
	s_mov_b64 s[12:13], -1
                                        ; implicit-def: $vgpr6
                                        ; implicit-def: $vgpr4
	s_mov_b64 s[10:11], -1
	s_branch .LBB131_195
.LBB131_200:                            ;   in Loop: Header=BB131_29 Depth=1
	s_or_b64 exec, exec, s[42:43]
	v_lshrrev_b32_e32 v47, 16, v13
	s_and_b64 s[84:85], s[84:85], exec
.LBB131_201:                            ;   in Loop: Header=BB131_29 Depth=1
	s_or_b64 exec, exec, s[88:89]
.LBB131_202:                            ;   in Loop: Header=BB131_29 Depth=1
	s_and_b64 vcc, exec, s[86:87]
	s_cbranch_vccz .LBB131_214
; %bb.203:                              ;   in Loop: Header=BB131_29 Depth=1
                                        ; implicit-def: $vgpr47
	s_mov_b64 s[76:77], exec
	v_readlane_b32 s10, v53, 25
	v_readlane_b32 s11, v53, 26
	s_and_b64 s[10:11], s[76:77], s[10:11]
	s_mov_b64 exec, s[10:11]
	s_cbranch_execz .LBB131_213
; %bb.204:                              ;   in Loop: Header=BB131_29 Depth=1
	s_mov_b64 s[42:43], 0
	v_mov_b32_e32 v6, v5
	v_mov_b32_e32 v4, v0
                                        ; implicit-def: $sgpr78_sgpr79
	s_branch .LBB131_208
.LBB131_205:                            ;   in Loop: Header=BB131_208 Depth=2
	s_or_b64 exec, exec, s[10:11]
	s_waitcnt lgkmcnt(0)
	s_barrier
	ds_read_b32 v13, v7 offset:3072
	s_waitcnt lgkmcnt(0)
	s_barrier
	v_cmp_eq_f16_e32 vcc, 0, v13
	s_cbranch_vccz .LBB131_211
; %bb.206:                              ;   in Loop: Header=BB131_208 Depth=2
	v_add_u32_e32 v4, s39, v4
	v_cmp_le_u32_e32 vcc, s53, v4
	v_add_u32_e32 v6, s44, v6
	s_mov_b64 s[10:11], 0
	s_orn2_b64 s[12:13], vcc, exec
.LBB131_207:                            ;   in Loop: Header=BB131_208 Depth=2
	s_and_b64 s[12:13], exec, s[12:13]
	s_or_b64 s[42:43], s[12:13], s[42:43]
	s_andn2_b64 s[12:13], s[78:79], exec
	s_and_b64 s[10:11], s[10:11], exec
	s_or_b64 s[78:79], s[12:13], s[10:11]
	s_andn2_b64 exec, exec, s[42:43]
	s_cbranch_execz .LBB131_212
.LBB131_208:                            ;   Parent Loop BB131_29 Depth=1
                                        ; =>  This Inner Loop Header: Depth=2
	v_cmp_gt_u32_e32 vcc, s36, v4
	s_and_saveexec_b64 s[10:11], vcc
	s_cbranch_execz .LBB131_205
; %bb.209:                              ;   in Loop: Header=BB131_208 Depth=2
	v_lshlrev_b64 v[13:14], 1, v[6:7]
	v_mov_b32_e32 v15, s37
	v_add_co_u32_e32 v13, vcc, s40, v13
	v_addc_co_u32_e32 v14, vcc, v15, v14, vcc
	global_load_ushort v13, v[13:14], off
	s_waitcnt vmcnt(0)
	v_cmp_lt_i16_e32 vcc, -1, v13
	v_cndmask_b32_e32 v14, v41, v42, vcc
	v_xor_b32_sdwa v14, v14, v13 dst_sel:DWORD dst_unused:UNUSED_PAD src0_sel:DWORD src1_sel:WORD_0
	v_cmp_o_f16_e32 vcc, v13, v13
	v_cndmask_b32_e32 v14, v41, v14, vcc
	v_and_b32_e32 v14, v14, v46
	v_cmp_eq_u32_e32 vcc, v14, v38
	s_and_b64 exec, exec, vcc
	s_cbranch_execz .LBB131_205
; %bb.210:                              ;   in Loop: Header=BB131_208 Depth=2
	v_perm_b32 v13, v13, s20, v44
	ds_write_b32 v7, v13 offset:3072
	s_branch .LBB131_205
.LBB131_211:                            ;   in Loop: Header=BB131_208 Depth=2
	s_mov_b64 s[12:13], -1
                                        ; implicit-def: $vgpr4
	s_mov_b64 s[10:11], -1
	s_branch .LBB131_207
.LBB131_212:                            ;   in Loop: Header=BB131_29 Depth=1
	s_or_b64 exec, exec, s[42:43]
	s_andn2_b64 s[10:11], s[84:85], exec
	s_and_b64 s[12:13], s[78:79], exec
	v_lshrrev_b32_e32 v47, 16, v13
	s_or_b64 s[84:85], s[10:11], s[12:13]
.LBB131_213:                            ;   in Loop: Header=BB131_29 Depth=1
	s_or_b64 exec, exec, s[76:77]
	s_mov_b64 s[76:77], 0
	s_mov_b64 s[78:79], -1
.LBB131_214:                            ;   in Loop: Header=BB131_29 Depth=1
	s_orn2_b64 s[10:11], s[84:85], exec
.LBB131_215:                            ;   in Loop: Header=BB131_29 Depth=1
	s_or_b64 exec, exec, s[80:81]
	s_mov_b64 s[42:43], 0
	s_and_saveexec_b64 s[80:81], s[10:11]
	s_cbranch_execz .LBB131_267
; %bb.216:                              ;   in Loop: Header=BB131_29 Depth=1
	s_xor_b64 s[10:11], s[82:83], -1
	v_mov_b32_e32 v4, 1
	v_mov_b32_e32 v2, 1
	s_and_saveexec_b64 s[82:83], s[10:11]
	s_cbranch_execz .LBB131_225
; %bb.217:                              ;   in Loop: Header=BB131_29 Depth=1
	v_cmp_ge_u32_e32 vcc, s90, v12
	s_and_saveexec_b64 s[10:11], vcc
	s_xor_b64 s[10:11], exec, s[10:11]
	s_cbranch_execz .LBB131_222
; %bb.218:                              ;   in Loop: Header=BB131_29 Depth=1
	v_and_b32_e32 v2, v38, v3
	v_lshl_or_b32 v38, 2, v45, v2
	ds_read_b32 v2, v7 offset:4104
	v_or_b32_e32 v46, v46, v1
	s_waitcnt lgkmcnt(0)
	v_cmp_ne_u32_e32 vcc, 0, v2
	s_cbranch_vccnz .LBB131_222
; %bb.219:                              ;   in Loop: Header=BB131_29 Depth=1
	s_and_saveexec_b64 s[12:13], s[2:3]
; %bb.220:                              ;   in Loop: Header=BB131_29 Depth=1
	v_mov_b32_e32 v2, s90
	ds_write_b32 v7, v2 offset:4108
; %bb.221:                              ;   in Loop: Header=BB131_29 Depth=1
	s_or_b64 exec, exec, s[12:13]
	s_waitcnt lgkmcnt(0)
	s_barrier
.LBB131_222:                            ;   in Loop: Header=BB131_29 Depth=1
	s_or_saveexec_b64 s[10:11], s[10:11]
	v_mov_b32_e32 v2, 8
	s_xor_b64 exec, exec, s[10:11]
; %bb.223:                              ;   in Loop: Header=BB131_29 Depth=1
	v_subrev_u32_e32 v12, s90, v12
	v_mov_b32_e32 v2, 0
	s_mov_b64 s[42:43], exec
; %bb.224:                              ;   in Loop: Header=BB131_29 Depth=1
	s_or_b64 exec, exec, s[10:11]
	s_and_b64 s[42:43], s[42:43], exec
	v_mov_b32_e32 v4, v12
.LBB131_225:                            ;   in Loop: Header=BB131_29 Depth=1
	s_or_b64 exec, exec, s[82:83]
	s_mov_b64 s[10:11], -1
                                        ; implicit-def: $sgpr86_sgpr87
                                        ; implicit-def: $sgpr84_sgpr85
	s_and_saveexec_b64 s[82:83], s[42:43]
	s_cbranch_execz .LBB131_266
; %bb.226:                              ;   in Loop: Header=BB131_29 Depth=1
	s_cmp_eq_u32 s21, 1
	s_cselect_b64 s[10:11], -1, 0
	v_cmp_eq_u32_e32 vcc, 1, v4
	s_and_b64 s[88:89], s[10:11], vcc
	s_mov_b64 s[10:11], -1
                                        ; implicit-def: $sgpr86_sgpr87
                                        ; implicit-def: $sgpr84_sgpr85
	s_and_saveexec_b64 s[90:91], s[88:89]
	s_cbranch_execz .LBB131_254
; %bb.227:                              ;   in Loop: Header=BB131_29 Depth=1
	ds_read_b32 v3, v7 offset:4104
	s_waitcnt lgkmcnt(0)
	s_barrier
	v_readfirstlane_b32 s48, v3
	s_and_saveexec_b64 s[10:11], s[24:25]
; %bb.228:                              ;   in Loop: Header=BB131_29 Depth=1
	ds_write_b16 v23, v7
; %bb.229:                              ;   in Loop: Header=BB131_29 Depth=1
	s_or_b64 exec, exec, s[10:11]
	v_or_b32_e32 v38, v38, v1
	v_or_b32_e32 v46, v46, v1
	s_mov_b64 s[84:85], -1
	s_mov_b64 s[86:87], 0
	s_cmp_eq_u32 s48, 0
	s_mov_b64 s[92:93], 0
	s_mov_b64 s[94:95], -1
	s_waitcnt lgkmcnt(0)
	s_barrier
                                        ; implicit-def: $vgpr47
	s_cbranch_scc1 .LBB131_241
; %bb.230:                              ;   in Loop: Header=BB131_29 Depth=1
	s_add_i32 s10, s48, s15
	s_mul_hi_u32 s11, s10, s52
	s_mul_i32 s11, s11, s39
	s_sub_i32 s11, s10, s11
	s_sub_i32 s12, s11, s39
	s_cmp_ge_u32 s11, s39
	s_cselect_b32 s11, s12, s11
	s_sub_i32 s12, s11, s39
	s_cmp_ge_u32 s11, s39
	s_cselect_b32 s11, s12, s11
	s_sub_i32 s49, s10, s11
	v_cmp_gt_u32_e32 vcc, s49, v0
	s_mov_b64 s[94:95], 0
                                        ; implicit-def: $vgpr47
	s_and_saveexec_b64 s[42:43], vcc
	s_cbranch_execz .LBB131_240
; %bb.231:                              ;   in Loop: Header=BB131_29 Depth=1
	v_mov_b32_e32 v3, v22
	v_mov_b32_e32 v6, v0
                                        ; implicit-def: $sgpr10_sgpr11
	s_branch .LBB131_235
.LBB131_232:                            ;   in Loop: Header=BB131_235 Depth=2
	s_or_b64 exec, exec, s[12:13]
	s_waitcnt lgkmcnt(0)
	s_barrier
	ds_read_b32 v12, v7 offset:3072
	s_waitcnt lgkmcnt(0)
	s_barrier
	v_cmp_neq_f16_e32 vcc, 0, v12
	s_cbranch_vccnz .LBB131_238
; %bb.233:                              ;   in Loop: Header=BB131_235 Depth=2
	v_add_u32_e32 v6, s39, v6
	v_cmp_le_u32_e32 vcc, s49, v6
	v_add_u32_e32 v3, s56, v3
	s_mov_b64 s[12:13], 0
	s_orn2_b64 vcc, vcc, exec
.LBB131_234:                            ;   in Loop: Header=BB131_235 Depth=2
	s_and_b64 vcc, exec, vcc
	s_or_b64 s[92:93], vcc, s[92:93]
	s_andn2_b64 s[10:11], s[10:11], exec
	s_and_b64 s[12:13], s[12:13], exec
	s_or_b64 s[10:11], s[10:11], s[12:13]
	s_andn2_b64 exec, exec, s[92:93]
	s_cbranch_execz .LBB131_239
.LBB131_235:                            ;   Parent Loop BB131_29 Depth=1
                                        ; =>  This Inner Loop Header: Depth=2
	v_cmp_gt_u32_e32 vcc, s48, v6
	s_and_saveexec_b64 s[12:13], vcc
	s_cbranch_execz .LBB131_232
; %bb.236:                              ;   in Loop: Header=BB131_235 Depth=2
	ds_read_u16 v12, v3
	s_waitcnt lgkmcnt(0)
	v_cmp_lt_i16_e32 vcc, -1, v12
	v_cndmask_b32_e32 v13, v41, v42, vcc
	v_xor_b32_sdwa v13, v13, v12 dst_sel:DWORD dst_unused:UNUSED_PAD src0_sel:DWORD src1_sel:WORD_0
	v_cmp_o_f16_e32 vcc, v12, v12
	v_cndmask_b32_e32 v13, v41, v13, vcc
	v_and_b32_e32 v13, v13, v46
	v_cmp_eq_u32_e32 vcc, v13, v38
	s_and_b64 exec, exec, vcc
	s_cbranch_execz .LBB131_232
; %bb.237:                              ;   in Loop: Header=BB131_235 Depth=2
	v_perm_b32 v12, v12, s20, v44
	ds_write_b32 v7, v12 offset:3072
	s_branch .LBB131_232
.LBB131_238:                            ;   in Loop: Header=BB131_235 Depth=2
	s_mov_b64 vcc, -1
                                        ; implicit-def: $vgpr6
                                        ; implicit-def: $vgpr3
	s_mov_b64 s[12:13], -1
	s_branch .LBB131_234
.LBB131_239:                            ;   in Loop: Header=BB131_29 Depth=1
	s_or_b64 exec, exec, s[92:93]
	v_lshrrev_b32_e32 v47, 16, v12
	s_and_b64 s[92:93], s[10:11], exec
.LBB131_240:                            ;   in Loop: Header=BB131_29 Depth=1
	s_or_b64 exec, exec, s[42:43]
.LBB131_241:                            ;   in Loop: Header=BB131_29 Depth=1
	s_and_b64 vcc, exec, s[94:95]
	s_cbranch_vccz .LBB131_253
; %bb.242:                              ;   in Loop: Header=BB131_29 Depth=1
                                        ; implicit-def: $vgpr47
	s_mov_b64 s[84:85], exec
	v_readlane_b32 s10, v53, 25
	v_readlane_b32 s11, v53, 26
	s_and_b64 s[10:11], s[84:85], s[10:11]
	s_mov_b64 exec, s[10:11]
	s_cbranch_execz .LBB131_252
; %bb.243:                              ;   in Loop: Header=BB131_29 Depth=1
	s_mov_b64 s[42:43], 0
	v_mov_b32_e32 v6, v5
	v_mov_b32_e32 v3, v0
                                        ; implicit-def: $sgpr86_sgpr87
	s_branch .LBB131_247
.LBB131_244:                            ;   in Loop: Header=BB131_247 Depth=2
	s_or_b64 exec, exec, s[10:11]
	s_waitcnt lgkmcnt(0)
	s_barrier
	ds_read_b32 v12, v7 offset:3072
	s_waitcnt lgkmcnt(0)
	s_barrier
	v_cmp_eq_f16_e32 vcc, 0, v12
	s_cbranch_vccz .LBB131_250
; %bb.245:                              ;   in Loop: Header=BB131_247 Depth=2
	v_add_u32_e32 v3, s39, v3
	v_cmp_le_u32_e32 vcc, s53, v3
	v_add_u32_e32 v6, s44, v6
	s_mov_b64 s[10:11], 0
	s_orn2_b64 s[12:13], vcc, exec
.LBB131_246:                            ;   in Loop: Header=BB131_247 Depth=2
	s_and_b64 s[12:13], exec, s[12:13]
	s_or_b64 s[42:43], s[12:13], s[42:43]
	s_andn2_b64 s[12:13], s[86:87], exec
	s_and_b64 s[10:11], s[10:11], exec
	s_or_b64 s[86:87], s[12:13], s[10:11]
	s_andn2_b64 exec, exec, s[42:43]
	s_cbranch_execz .LBB131_251
.LBB131_247:                            ;   Parent Loop BB131_29 Depth=1
                                        ; =>  This Inner Loop Header: Depth=2
	v_cmp_gt_u32_e32 vcc, s36, v3
	s_and_saveexec_b64 s[10:11], vcc
	s_cbranch_execz .LBB131_244
; %bb.248:                              ;   in Loop: Header=BB131_247 Depth=2
	v_lshlrev_b64 v[12:13], 1, v[6:7]
	v_mov_b32_e32 v14, s37
	v_add_co_u32_e32 v12, vcc, s40, v12
	v_addc_co_u32_e32 v13, vcc, v14, v13, vcc
	global_load_ushort v12, v[12:13], off
	s_waitcnt vmcnt(0)
	v_cmp_lt_i16_e32 vcc, -1, v12
	v_cndmask_b32_e32 v13, v41, v42, vcc
	v_xor_b32_sdwa v13, v13, v12 dst_sel:DWORD dst_unused:UNUSED_PAD src0_sel:DWORD src1_sel:WORD_0
	v_cmp_o_f16_e32 vcc, v12, v12
	v_cndmask_b32_e32 v13, v41, v13, vcc
	v_and_b32_e32 v13, v13, v46
	v_cmp_eq_u32_e32 vcc, v13, v38
	s_and_b64 exec, exec, vcc
	s_cbranch_execz .LBB131_244
; %bb.249:                              ;   in Loop: Header=BB131_247 Depth=2
	v_perm_b32 v12, v12, s20, v44
	ds_write_b32 v7, v12 offset:3072
	s_branch .LBB131_244
.LBB131_250:                            ;   in Loop: Header=BB131_247 Depth=2
	s_mov_b64 s[12:13], -1
                                        ; implicit-def: $vgpr3
	s_mov_b64 s[10:11], -1
	s_branch .LBB131_246
.LBB131_251:                            ;   in Loop: Header=BB131_29 Depth=1
	s_or_b64 exec, exec, s[42:43]
	s_andn2_b64 s[10:11], s[92:93], exec
	s_and_b64 s[12:13], s[86:87], exec
	v_lshrrev_b32_e32 v47, 16, v12
	s_or_b64 s[92:93], s[10:11], s[12:13]
.LBB131_252:                            ;   in Loop: Header=BB131_29 Depth=1
	s_or_b64 exec, exec, s[84:85]
	s_mov_b64 s[84:85], 0
	s_mov_b64 s[86:87], -1
.LBB131_253:                            ;   in Loop: Header=BB131_29 Depth=1
	s_orn2_b64 s[10:11], s[92:93], exec
.LBB131_254:                            ;   in Loop: Header=BB131_29 Depth=1
	s_or_b64 exec, exec, s[90:91]
	s_mov_b64 s[12:13], 0
	s_and_saveexec_b64 s[90:91], s[10:11]
	s_cbranch_execz .LBB131_265
; %bb.255:                              ;   in Loop: Header=BB131_29 Depth=1
	s_xor_b64 s[10:11], s[88:89], -1
	v_mov_b32_e32 v2, 1
	v_mov_b32_e32 v3, 1
	s_and_saveexec_b64 s[42:43], s[10:11]
	s_cbranch_execz .LBB131_264
; %bb.256:                              ;   in Loop: Header=BB131_29 Depth=1
	v_cmp_ge_u32_e32 vcc, s21, v4
	s_and_saveexec_b64 s[10:11], vcc
	s_xor_b64 s[10:11], exec, s[10:11]
	s_cbranch_execz .LBB131_261
; %bb.257:                              ;   in Loop: Header=BB131_29 Depth=1
	v_or_b32_e32 v38, v38, v1
	v_or_b32_e32 v46, v46, v1
	ds_read_b32 v1, v7 offset:4104
	s_waitcnt lgkmcnt(0)
	v_cmp_ne_u32_e32 vcc, 0, v1
	s_cbranch_vccnz .LBB131_261
; %bb.258:                              ;   in Loop: Header=BB131_29 Depth=1
	s_and_saveexec_b64 s[12:13], s[2:3]
; %bb.259:                              ;   in Loop: Header=BB131_29 Depth=1
	v_mov_b32_e32 v1, s21
	ds_write_b32 v7, v1 offset:4108
; %bb.260:                              ;   in Loop: Header=BB131_29 Depth=1
	s_or_b64 exec, exec, s[12:13]
	s_waitcnt lgkmcnt(0)
	s_barrier
.LBB131_261:                            ;   in Loop: Header=BB131_29 Depth=1
	s_andn2_saveexec_b64 s[10:11], s[10:11]
; %bb.262:                              ;   in Loop: Header=BB131_29 Depth=1
	v_subrev_u32_e32 v4, s21, v4
; %bb.263:                              ;   in Loop: Header=BB131_29 Depth=1
	s_or_b64 exec, exec, s[10:11]
	v_mov_b32_e32 v2, 8
	v_mov_b32_e32 v3, v4
.LBB131_264:                            ;   in Loop: Header=BB131_29 Depth=1
	s_or_b64 exec, exec, s[42:43]
	s_mov_b64 s[12:13], exec
	v_mov_b32_e32 v4, v3
.LBB131_265:                            ;   in Loop: Header=BB131_29 Depth=1
	s_or_b64 exec, exec, s[90:91]
	s_orn2_b64 s[10:11], s[12:13], exec
.LBB131_266:                            ;   in Loop: Header=BB131_29 Depth=1
	s_or_b64 exec, exec, s[82:83]
	s_andn2_b64 s[12:13], s[78:79], exec
	s_and_b64 s[42:43], s[86:87], exec
	s_or_b64 s[78:79], s[12:13], s[42:43]
	s_andn2_b64 s[12:13], s[76:77], exec
	s_and_b64 s[42:43], s[84:85], exec
	s_or_b64 s[76:77], s[12:13], s[42:43]
	s_and_b64 s[42:43], s[10:11], exec
	v_mov_b32_e32 v12, v4
.LBB131_267:                            ;   in Loop: Header=BB131_29 Depth=1
	s_or_b64 exec, exec, s[80:81]
	s_orn2_b64 s[10:11], s[42:43], exec
.LBB131_268:                            ;   in Loop: Header=BB131_29 Depth=1
	s_or_b64 exec, exec, s[74:75]
	s_andn2_b64 s[12:13], s[30:31], exec
	s_and_b64 s[30:31], s[78:79], exec
	s_or_b64 s[30:31], s[12:13], s[30:31]
	s_andn2_b64 s[12:13], s[28:29], exec
	s_and_b64 s[28:29], s[76:77], exec
	s_or_b64 s[28:29], s[12:13], s[28:29]
	s_and_b64 s[42:43], s[10:11], exec
	v_mov_b32_e32 v4, v12
.LBB131_269:                            ;   in Loop: Header=BB131_29 Depth=1
	s_or_b64 exec, exec, s[72:73]
	s_orn2_b64 s[10:11], s[42:43], exec
.LBB131_270:                            ;   in Loop: Header=BB131_29 Depth=1
	s_or_b64 exec, exec, s[26:27]
	s_mov_b64 s[26:27], 0
                                        ; implicit-def: $sgpr42
	s_and_saveexec_b64 s[12:13], s[10:11]
	s_xor_b64 s[10:11], exec, s[12:13]
	s_cbranch_execz .LBB131_27
; %bb.271:                              ;   in Loop: Header=BB131_29 Depth=1
	v_and_b32_e32 v1, 7, v2
	v_cmp_eq_u32_e32 vcc, 0, v1
	s_mov_b64 s[22:23], -1
	s_mov_b64 s[12:13], -1
                                        ; implicit-def: $sgpr42
	s_and_saveexec_b64 s[26:27], vcc
	s_cbranch_execz .LBB131_26
; %bb.272:                              ;   in Loop: Header=BB131_29 Depth=1
	v_add_u32_e32 v1, -2, v45
	v_cmp_eq_u32_e32 vcc, 0, v45
	s_xor_b32 s42, s0, 1
	s_xor_b64 s[12:13], exec, -1
	s_orn2_b64 s[22:23], vcc, exec
	v_mov_b32_e32 v45, v1
	s_branch .LBB131_26
.LBB131_273:
	s_or_b64 exec, exec, s[58:59]
	s_xor_b64 s[8:9], s[64:65], -1
	s_xor_b64 s[0:1], s[60:61], -1
	;; [unrolled: 1-line block ×3, first 2 shown]
	s_mov_b64 s[4:5], 0
	s_and_saveexec_b64 s[2:3], s[0:1]
	s_xor_b64 s[2:3], exec, s[2:3]
	s_cbranch_execnz .LBB131_278
; %bb.274:
	s_andn2_saveexec_b64 s[0:1], s[2:3]
	s_cbranch_execnz .LBB131_291
.LBB131_275:
	s_or_b64 exec, exec, s[0:1]
	s_and_saveexec_b64 s[0:1], s[4:5]
.LBB131_276:
	; divergent unreachable
.LBB131_277:
	s_endpgm
.LBB131_278:
	s_and_saveexec_b64 s[0:1], s[8:9]
	s_xor_b64 s[4:5], exec, s[0:1]
	s_cbranch_execz .LBB131_289
; %bb.279:
	s_and_saveexec_b64 s[0:1], s[6:7]
	s_xor_b64 s[6:7], exec, s[0:1]
; %bb.280:
	v_and_b32_e32 v1, 0x8000, v38
	v_mov_b32_e32 v2, 0x8000
	v_mov_b32_e32 v3, 0xffff
	v_cmp_eq_u32_e32 vcc, 0, v1
	v_cndmask_b32_e32 v1, v2, v3, vcc
	v_xor_b32_e32 v47, v1, v38
; %bb.281:
	s_or_b64 exec, exec, s[6:7]
	v_readlane_b32 s0, v53, 0
	s_mul_i32 s0, s0, s33
	s_add_i32 s0, s0, s35
	s_mov_b32 s1, 0
	s_lshl_b64 s[0:1], s[0:1], 1
	v_readlane_b32 s6, v53, 2
	v_readlane_b32 s7, v53, 3
	s_add_u32 s0, s6, s0
	s_addc_u32 s1, s7, s1
	v_mov_b32_e32 v6, 0
	global_store_short v6, v47, s[0:1]
	s_mov_b64 s[6:7], exec
	v_readlane_b32 s0, v53, 6
	v_readlane_b32 s1, v53, 7
	s_and_b64 s[0:1], s[6:7], s[0:1]
	s_mov_b64 exec, s[0:1]
	s_cbranch_execz .LBB131_288
; %bb.282:
	v_cmp_u_f16_e32 vcc, v47, v47
	s_mov_b64 s[8:9], 0
	v_mov_b32_e32 v2, s37
	s_xor_b64 s[12:13], vcc, -1
                                        ; implicit-def: $sgpr10_sgpr11
                                        ; implicit-def: $sgpr16_sgpr17
                                        ; implicit-def: $sgpr14_sgpr15
	s_branch .LBB131_284
.LBB131_283:                            ;   in Loop: Header=BB131_284 Depth=1
	s_or_b64 exec, exec, s[0:1]
	s_and_b64 s[0:1], exec, s[16:17]
	s_or_b64 s[8:9], s[0:1], s[8:9]
	s_andn2_b64 s[0:1], s[10:11], exec
	s_and_b64 s[10:11], s[14:15], exec
	s_or_b64 s[10:11], s[0:1], s[10:11]
	s_andn2_b64 exec, exec, s[8:9]
	s_cbranch_execz .LBB131_286
.LBB131_284:                            ; =>This Inner Loop Header: Depth=1
	v_lshlrev_b64 v[3:4], 1, v[5:6]
	v_mov_b32_e32 v1, v0
	v_add_co_u32_e32 v3, vcc, s40, v3
	v_addc_co_u32_e32 v4, vcc, v2, v4, vcc
	global_load_ushort v3, v[3:4], off
	s_or_b64 s[14:15], s[14:15], exec
	s_or_b64 s[16:17], s[16:17], exec
                                        ; implicit-def: $vgpr0
	s_waitcnt vmcnt(0)
	v_cmp_o_f16_e64 s[0:1], v3, v3
	v_cmp_neq_f16_e32 vcc, v3, v47
	s_or_b64 s[0:1], s[12:13], s[0:1]
	s_and_b64 s[18:19], vcc, s[0:1]
	s_and_saveexec_b64 s[0:1], s[18:19]
	s_cbranch_execz .LBB131_283
; %bb.285:                              ;   in Loop: Header=BB131_284 Depth=1
	v_add_u32_e32 v0, s39, v1
	v_cmp_le_u32_e32 vcc, s36, v0
	s_andn2_b64 s[16:17], s[16:17], exec
	s_and_b64 s[18:19], vcc, exec
	v_add_u32_e32 v5, s44, v5
	s_andn2_b64 s[14:15], s[14:15], exec
	s_or_b64 s[16:17], s[16:17], s[18:19]
	s_branch .LBB131_283
.LBB131_286:
	s_or_b64 exec, exec, s[8:9]
	s_and_saveexec_b64 s[0:1], s[10:11]
	s_xor_b64 s[0:1], exec, s[0:1]
	s_cbranch_execz .LBB131_288
; %bb.287:
	v_readlane_b32 s0, v53, 1
	s_mul_i32 s0, s0, s34
	s_add_i32 s0, s0, s41
	s_mov_b32 s1, 0
	s_lshl_b64 s[0:1], s[0:1], 3
	v_readlane_b32 s8, v53, 4
	v_readlane_b32 s9, v53, 5
	s_add_u32 s0, s8, s0
	s_addc_u32 s1, s9, s1
	v_mov_b32_e32 v2, 0
	global_store_dwordx2 v2, v[1:2], s[0:1]
.LBB131_288:
	s_or_b64 exec, exec, s[6:7]
.LBB131_289:
	s_or_saveexec_b64 s[0:1], s[4:5]
	s_mov_b64 s[4:5], 0
	s_xor_b64 exec, exec, s[0:1]
	s_cbranch_execnz .LBB131_292
.LBB131_290:
	s_or_b64 exec, exec, s[0:1]
	s_and_b64 s[4:5], s[4:5], exec
	s_andn2_saveexec_b64 s[0:1], s[2:3]
	s_cbranch_execz .LBB131_275
.LBB131_291:
	s_or_b64 s[4:5], s[4:5], exec
	s_trap 2
	s_or_b64 exec, exec, s[0:1]
	s_and_saveexec_b64 s[0:1], s[4:5]
	s_cbranch_execnz .LBB131_276
	s_branch .LBB131_277
.LBB131_292:
	s_mov_b64 s[4:5], exec
	s_trap 2
	s_branch .LBB131_290
	.section	.rodata,"a",@progbits
	.p2align	6, 0x0
	.amdhsa_kernel _ZN2at6native12_GLOBAL__N_112gatherMedianIN3c104HalfEjLin1EEEvNS_4cuda6detail10TensorInfoIT_T0_EENS7_IlS9_EENS7_IKS8_S9_EES9_S9_S9_b
		.amdhsa_group_segment_fixed_size 4120
		.amdhsa_private_segment_fixed_size 0
		.amdhsa_kernarg_size 920
		.amdhsa_user_sgpr_count 6
		.amdhsa_user_sgpr_private_segment_buffer 1
		.amdhsa_user_sgpr_dispatch_ptr 0
		.amdhsa_user_sgpr_queue_ptr 0
		.amdhsa_user_sgpr_kernarg_segment_ptr 1
		.amdhsa_user_sgpr_dispatch_id 0
		.amdhsa_user_sgpr_flat_scratch_init 0
		.amdhsa_user_sgpr_private_segment_size 0
		.amdhsa_uses_dynamic_stack 0
		.amdhsa_system_sgpr_private_segment_wavefront_offset 0
		.amdhsa_system_sgpr_workgroup_id_x 1
		.amdhsa_system_sgpr_workgroup_id_y 1
		.amdhsa_system_sgpr_workgroup_id_z 1
		.amdhsa_system_sgpr_workgroup_info 0
		.amdhsa_system_vgpr_workitem_id 0
		.amdhsa_next_free_vgpr 54
		.amdhsa_next_free_sgpr 96
		.amdhsa_reserve_vcc 1
		.amdhsa_reserve_flat_scratch 0
		.amdhsa_float_round_mode_32 0
		.amdhsa_float_round_mode_16_64 0
		.amdhsa_float_denorm_mode_32 3
		.amdhsa_float_denorm_mode_16_64 3
		.amdhsa_dx10_clamp 1
		.amdhsa_ieee_mode 1
		.amdhsa_fp16_overflow 0
		.amdhsa_exception_fp_ieee_invalid_op 0
		.amdhsa_exception_fp_denorm_src 0
		.amdhsa_exception_fp_ieee_div_zero 0
		.amdhsa_exception_fp_ieee_overflow 0
		.amdhsa_exception_fp_ieee_underflow 0
		.amdhsa_exception_fp_ieee_inexact 0
		.amdhsa_exception_int_div_zero 0
	.end_amdhsa_kernel
	.section	.text._ZN2at6native12_GLOBAL__N_112gatherMedianIN3c104HalfEjLin1EEEvNS_4cuda6detail10TensorInfoIT_T0_EENS7_IlS9_EENS7_IKS8_S9_EES9_S9_S9_b,"axG",@progbits,_ZN2at6native12_GLOBAL__N_112gatherMedianIN3c104HalfEjLin1EEEvNS_4cuda6detail10TensorInfoIT_T0_EENS7_IlS9_EENS7_IKS8_S9_EES9_S9_S9_b,comdat
.Lfunc_end131:
	.size	_ZN2at6native12_GLOBAL__N_112gatherMedianIN3c104HalfEjLin1EEEvNS_4cuda6detail10TensorInfoIT_T0_EENS7_IlS9_EENS7_IKS8_S9_EES9_S9_S9_b, .Lfunc_end131-_ZN2at6native12_GLOBAL__N_112gatherMedianIN3c104HalfEjLin1EEEvNS_4cuda6detail10TensorInfoIT_T0_EENS7_IlS9_EENS7_IKS8_S9_EES9_S9_S9_b
                                        ; -- End function
	.set _ZN2at6native12_GLOBAL__N_112gatherMedianIN3c104HalfEjLin1EEEvNS_4cuda6detail10TensorInfoIT_T0_EENS7_IlS9_EENS7_IKS8_S9_EES9_S9_S9_b.num_vgpr, 54
	.set _ZN2at6native12_GLOBAL__N_112gatherMedianIN3c104HalfEjLin1EEEvNS_4cuda6detail10TensorInfoIT_T0_EENS7_IlS9_EENS7_IKS8_S9_EES9_S9_S9_b.num_agpr, 0
	.set _ZN2at6native12_GLOBAL__N_112gatherMedianIN3c104HalfEjLin1EEEvNS_4cuda6detail10TensorInfoIT_T0_EENS7_IlS9_EENS7_IKS8_S9_EES9_S9_S9_b.numbered_sgpr, 96
	.set _ZN2at6native12_GLOBAL__N_112gatherMedianIN3c104HalfEjLin1EEEvNS_4cuda6detail10TensorInfoIT_T0_EENS7_IlS9_EENS7_IKS8_S9_EES9_S9_S9_b.num_named_barrier, 0
	.set _ZN2at6native12_GLOBAL__N_112gatherMedianIN3c104HalfEjLin1EEEvNS_4cuda6detail10TensorInfoIT_T0_EENS7_IlS9_EENS7_IKS8_S9_EES9_S9_S9_b.private_seg_size, 0
	.set _ZN2at6native12_GLOBAL__N_112gatherMedianIN3c104HalfEjLin1EEEvNS_4cuda6detail10TensorInfoIT_T0_EENS7_IlS9_EENS7_IKS8_S9_EES9_S9_S9_b.uses_vcc, 1
	.set _ZN2at6native12_GLOBAL__N_112gatherMedianIN3c104HalfEjLin1EEEvNS_4cuda6detail10TensorInfoIT_T0_EENS7_IlS9_EENS7_IKS8_S9_EES9_S9_S9_b.uses_flat_scratch, 0
	.set _ZN2at6native12_GLOBAL__N_112gatherMedianIN3c104HalfEjLin1EEEvNS_4cuda6detail10TensorInfoIT_T0_EENS7_IlS9_EENS7_IKS8_S9_EES9_S9_S9_b.has_dyn_sized_stack, 0
	.set _ZN2at6native12_GLOBAL__N_112gatherMedianIN3c104HalfEjLin1EEEvNS_4cuda6detail10TensorInfoIT_T0_EENS7_IlS9_EENS7_IKS8_S9_EES9_S9_S9_b.has_recursion, 0
	.set _ZN2at6native12_GLOBAL__N_112gatherMedianIN3c104HalfEjLin1EEEvNS_4cuda6detail10TensorInfoIT_T0_EENS7_IlS9_EENS7_IKS8_S9_EES9_S9_S9_b.has_indirect_call, 0
	.section	.AMDGPU.csdata,"",@progbits
; Kernel info:
; codeLenInByte = 11492
; TotalNumSgprs: 100
; NumVgprs: 54
; ScratchSize: 0
; MemoryBound: 0
; FloatMode: 240
; IeeeMode: 1
; LDSByteSize: 4120 bytes/workgroup (compile time only)
; SGPRBlocks: 12
; VGPRBlocks: 13
; NumSGPRsForWavesPerEU: 100
; NumVGPRsForWavesPerEU: 54
; Occupancy: 4
; WaveLimiterHint : 1
; COMPUTE_PGM_RSRC2:SCRATCH_EN: 0
; COMPUTE_PGM_RSRC2:USER_SGPR: 6
; COMPUTE_PGM_RSRC2:TRAP_HANDLER: 0
; COMPUTE_PGM_RSRC2:TGID_X_EN: 1
; COMPUTE_PGM_RSRC2:TGID_Y_EN: 1
; COMPUTE_PGM_RSRC2:TGID_Z_EN: 1
; COMPUTE_PGM_RSRC2:TIDIG_COMP_CNT: 0
	.section	.text._ZN2at6native12_GLOBAL__N_112gatherMedianIN3c104HalfEmLi1EEEvNS_4cuda6detail10TensorInfoIT_T0_EENS7_IlS9_EENS7_IKS8_S9_EES9_S9_S9_b,"axG",@progbits,_ZN2at6native12_GLOBAL__N_112gatherMedianIN3c104HalfEmLi1EEEvNS_4cuda6detail10TensorInfoIT_T0_EENS7_IlS9_EENS7_IKS8_S9_EES9_S9_S9_b,comdat
	.globl	_ZN2at6native12_GLOBAL__N_112gatherMedianIN3c104HalfEmLi1EEEvNS_4cuda6detail10TensorInfoIT_T0_EENS7_IlS9_EENS7_IKS8_S9_EES9_S9_S9_b ; -- Begin function _ZN2at6native12_GLOBAL__N_112gatherMedianIN3c104HalfEmLi1EEEvNS_4cuda6detail10TensorInfoIT_T0_EENS7_IlS9_EENS7_IKS8_S9_EES9_S9_S9_b
	.p2align	8
	.type	_ZN2at6native12_GLOBAL__N_112gatherMedianIN3c104HalfEmLi1EEEvNS_4cuda6detail10TensorInfoIT_T0_EENS7_IlS9_EENS7_IKS8_S9_EES9_S9_S9_b,@function
_ZN2at6native12_GLOBAL__N_112gatherMedianIN3c104HalfEmLi1EEEvNS_4cuda6detail10TensorInfoIT_T0_EENS7_IlS9_EENS7_IKS8_S9_EES9_S9_S9_b: ; @_ZN2at6native12_GLOBAL__N_112gatherMedianIN3c104HalfEmLi1EEEvNS_4cuda6detail10TensorInfoIT_T0_EENS7_IlS9_EENS7_IKS8_S9_EES9_S9_S9_b
; %bb.0:
	s_load_dwordx2 s[14:15], s[4:5], 0x500
	s_load_dwordx4 s[24:27], s[4:5], 0x4e0
	s_add_u32 s18, s4, 0x500
	s_addc_u32 s19, s5, 0
	s_mov_b32 s3, 0
	s_waitcnt lgkmcnt(0)
	s_mul_i32 s0, s15, s8
	s_add_i32 s0, s0, s7
	s_mul_i32 s0, s0, s14
	s_add_i32 s2, s0, s6
	v_mov_b32_e32 v1, s2
	v_mov_b32_e32 v2, s3
	v_cmp_le_u64_e32 vcc, s[26:27], v[1:2]
	s_cbranch_vccnz .LBB132_295
; %bb.1:
	s_load_dwordx2 s[38:39], s[4:5], 0x4f0
	s_load_dwordx2 s[0:1], s[4:5], 0x410
	;; [unrolled: 1-line block ×4, first 2 shown]
                                        ; implicit-def: $vgpr60 : SGPR spill to VGPR lane
	v_mov_b32_e32 v1, 0
	v_cmp_gt_u64_e64 s[12:13], s[24:25], v[0:1]
	s_waitcnt lgkmcnt(0)
	s_mul_i32 s1, s1, s2
	v_mov_b32_e32 v2, 0
	v_writelane_b32 v60, s10, 0
	v_writelane_b32 v60, s11, 1
	s_load_dwordx2 s[10:11], s[4:5], 0x1a0
	v_mov_b32_e32 v3, 0
	s_waitcnt lgkmcnt(0)
	v_writelane_b32 v60, s10, 2
	v_writelane_b32 v60, s11, 3
	s_load_dwordx2 s[10:11], s[4:5], 0xd0
	s_waitcnt lgkmcnt(0)
	v_writelane_b32 v60, s10, 4
	v_writelane_b32 v60, s11, 5
	s_load_dwordx2 s[10:11], s[4:5], 0x0
	s_waitcnt lgkmcnt(0)
	v_writelane_b32 v60, s10, 6
	v_writelane_b32 v60, s11, 7
	s_mov_b32 s10, s2
	s_mul_hi_u32 s2, s0, s2
	s_add_i32 s11, s2, s1
	s_mov_b32 s2, s10
	v_writelane_b32 v60, s2, 8
	v_writelane_b32 v60, s3, 9
	s_mul_i32 s10, s0, s10
	v_writelane_b32 v60, s12, 10
	v_writelane_b32 v60, s13, 11
	s_and_saveexec_b64 s[0:1], s[12:13]
	s_cbranch_execz .LBB132_5
; %bb.2:
	v_mad_u64_u32 v[2:3], s[2:3], s38, v0, 0
	s_load_dword s7, s[18:19], 0xc
	v_mov_b32_e32 v7, v1
	v_mad_u64_u32 v[3:4], s[2:3], s39, v0, v[3:4]
	s_lshl_b64 s[2:3], s[10:11], 1
	s_waitcnt lgkmcnt(0)
	s_and_b32 s7, s7, 0xffff
	s_add_u32 s2, s8, s2
	v_lshlrev_b64 v[2:3], 1, v[2:3]
	s_addc_u32 s3, s9, s3
	v_mov_b32_e32 v5, s3
	v_add_co_u32_e32 v4, vcc, s2, v2
	s_mul_i32 s2, s39, s7
	s_mul_hi_u32 s3, s38, s7
	s_add_i32 s3, s3, s2
	s_mul_i32 s2, s38, s7
	v_addc_co_u32_e32 v5, vcc, v5, v3, vcc
	s_lshl_b64 s[12:13], s[2:3], 1
	v_mov_b32_e32 v2, 0
	s_mov_b64 s[2:3], 0
	v_mov_b32_e32 v3, 0
	v_mov_b32_e32 v8, s13
	;; [unrolled: 1-line block ×3, first 2 shown]
.LBB132_3:                              ; =>This Inner Loop Header: Depth=1
	global_load_ushort v9, v[4:5], off
	v_add_co_u32_e32 v6, vcc, s7, v6
	v_addc_co_u32_e32 v7, vcc, 0, v7, vcc
	v_add_co_u32_e32 v4, vcc, s12, v4
	v_addc_co_u32_e32 v5, vcc, v5, v8, vcc
	v_cmp_le_u64_e32 vcc, s[24:25], v[6:7]
	s_or_b64 s[2:3], vcc, s[2:3]
	s_waitcnt vmcnt(0)
	v_cmp_u_f16_e32 vcc, v9, v9
	v_cndmask_b32_e64 v9, 0, 1, vcc
	v_add_co_u32_e32 v2, vcc, v2, v9
	v_addc_co_u32_e32 v3, vcc, 0, v3, vcc
	s_andn2_b64 exec, exec, s[2:3]
	s_cbranch_execnz .LBB132_3
; %bb.4:
	s_or_b64 exec, exec, s[2:3]
.LBB132_5:
	s_or_b64 exec, exec, s[0:1]
	v_cmp_eq_u32_e64 s[2:3], 0, v0
	s_mov_b64 s[0:1], exec
	v_writelane_b32 v60, s2, 12
	v_writelane_b32 v60, s3, 13
	s_and_b64 s[2:3], s[0:1], s[2:3]
	s_mov_b64 exec, s[2:3]
; %bb.6:
	v_mov_b32_e32 v4, 0
	v_mov_b32_e32 v5, v4
	ds_write_b64 v4, v[4:5] offset:5136
; %bb.7:
	s_or_b64 exec, exec, s[0:1]
	v_cmp_ne_u64_e32 vcc, 0, v[2:3]
	s_mov_b64 s[12:13], 0
	s_waitcnt lgkmcnt(0)
	s_barrier
	s_and_saveexec_b64 s[0:1], vcc
	s_cbranch_execz .LBB132_12
; %bb.8:
	s_mov_b64 s[16:17], exec
.LBB132_9:                              ; =>This Inner Loop Header: Depth=1
	s_ff1_i32_b64 s2, s[16:17]
	v_readlane_b32 s7, v2, s2
	v_readlane_b32 s3, v3, s2
	s_add_u32 s12, s12, s7
	s_addc_u32 s13, s13, s3
	s_lshl_b64 s[2:3], 1, s2
	s_andn2_b64 s[16:17], s[16:17], s[2:3]
	s_cmp_lg_u64 s[16:17], 0
	s_cbranch_scc1 .LBB132_9
; %bb.10:
	v_mbcnt_lo_u32_b32 v2, exec_lo, 0
	v_mbcnt_hi_u32_b32 v2, exec_hi, v2
	v_cmp_eq_u32_e32 vcc, 0, v2
	s_and_saveexec_b64 s[2:3], vcc
	s_xor_b64 s[2:3], exec, s[2:3]
; %bb.11:
	v_mov_b32_e32 v2, s12
	v_mov_b32_e32 v4, 0
	;; [unrolled: 1-line block ×3, first 2 shown]
	ds_add_u64 v4, v[2:3] offset:5136
.LBB132_12:
	s_or_b64 exec, exec, s[0:1]
	v_mov_b32_e32 v2, 0
	s_load_dword s0, s[4:5], 0x4f8
	s_waitcnt lgkmcnt(0)
	s_barrier
	ds_read_b64 v[2:3], v2 offset:5136
	s_bitcmp1_b32 s0, 0
	s_cselect_b64 s[0:1], -1, 0
	v_mov_b32_e32 v24, s24
	v_mov_b32_e32 v25, s25
	s_waitcnt lgkmcnt(0)
	v_cmp_gt_i64_e32 vcc, 1, v[2:3]
	s_or_b64 s[0:1], s[0:1], vcc
	s_andn2_b64 vcc, exec, s[0:1]
	s_cbranch_vccnz .LBB132_14
; %bb.13:
	v_not_b32_e32 v2, v2
	v_not_b32_e32 v3, v3
	v_mov_b32_e32 v4, s25
	v_add_co_u32_e32 v2, vcc, s24, v2
	v_addc_co_u32_e32 v3, vcc, v4, v3, vcc
	v_lshrrev_b64 v[2:3], 1, v[2:3]
	v_add_co_u32_e32 v24, vcc, 1, v2
	v_addc_co_u32_e32 v25, vcc, 0, v3, vcc
.LBB132_14:
	s_mov_b64 s[0:1], exec
	v_readlane_b32 s2, v60, 12
	v_readlane_b32 s3, v60, 13
	s_and_b64 s[2:3], s[0:1], s[2:3]
	s_mov_b64 exec, s[2:3]
	s_cbranch_execz .LBB132_16
; %bb.15:
	v_mov_b32_e32 v2, 0
	v_mov_b32_e32 v4, s24
	;; [unrolled: 1-line block ×4, first 2 shown]
	ds_write_b32 v2, v2 offset:5144
	ds_write_b128 v2, v[2:5] offset:5120
.LBB132_16:
	s_or_b64 exec, exec, s[0:1]
	s_lshl_b64 s[0:1], s[10:11], 1
	s_add_u32 s40, s8, s0
	s_addc_u32 s41, s9, s1
	v_mad_u64_u32 v[4:5], s[0:1], s38, v0, 0
	v_mbcnt_lo_u32_b32 v2, -1, 0
	v_mbcnt_hi_u32_b32 v28, -1, v2
	v_mov_b32_e32 v2, v5
	v_mad_u64_u32 v[2:3], s[0:1], s39, v0, v[2:3]
	v_mov_b32_e32 v5, 0x600
	v_mov_b32_e32 v6, 0
	v_cmp_gt_u64_e64 s[0:1], s[24:25], v[5:6]
	v_mov_b32_e32 v5, v2
	v_lshlrev_b64 v[2:3], 1, v[4:5]
	v_cmp_gt_u32_e32 vcc, 64, v0
	v_cmp_gt_i32_e64 s[8:9], 4, v28
	s_and_b64 s[44:45], vcc, s[8:9]
	v_mov_b32_e32 v6, s41
	v_add_co_u32_e32 v12, vcc, s40, v2
	v_addc_co_u32_e32 v13, vcc, v6, v3, vcc
	v_mov_b32_e32 v3, 0
	v_lshlrev_b64 v[6:7], v28, -1
	v_add_u32_e32 v2, 2, v0
	v_cmp_gt_u64_e32 vcc, s[24:25], v[2:3]
	v_not_b32_e32 v30, v6
	v_mov_b32_e32 v6, s25
	v_not_b32_e32 v29, v7
	v_cndmask_b32_e32 v7, 0, v6, vcc
	v_mov_b32_e32 v6, s24
	v_cndmask_b32_e32 v2, v2, v6, vcc
	v_not_b32_e32 v6, v0
	v_add_co_u32_e32 v6, vcc, v2, v6
	v_writelane_b32 v60, s0, 14
	v_addc_co_u32_e32 v7, vcc, -1, v7, vcc
	v_writelane_b32 v60, s1, 15
	v_cmp_lt_u64_e64 s[0:1], 1, v[6:7]
	v_and_b32_e32 v16, -2, v6
	v_writelane_b32 v60, s0, 16
	v_mov_b32_e32 v17, v7
	v_writelane_b32 v60, s1, 17
	v_cmp_ne_u64_e64 s[0:1], v[6:7], v[16:17]
	v_lshlrev_b32_e32 v9, 3, v0
	v_writelane_b32 v60, s0, 18
	v_or_b32_e32 v6, 6, v9
	v_writelane_b32 v60, s1, 19
	v_mad_u64_u32 v[18:19], s[0:1], s38, v6, 0
	v_or_b32_e32 v8, 4, v9
	v_mad_u64_u32 v[20:21], s[0:1], s38, v8, 0
	v_mov_b32_e32 v2, v19
	v_mad_u64_u32 v[6:7], s[0:1], s39, v6, v[2:3]
	v_mov_b32_e32 v2, v21
	v_mad_u64_u32 v[7:8], s[0:1], s39, v8, v[2:3]
	v_or_b32_e32 v8, 2, v9
	v_mad_u64_u32 v[21:22], s[0:1], s38, v8, 0
	s_waitcnt lgkmcnt(0)
	s_barrier
	s_load_dword s2, s[18:19], 0xc
	v_mov_b32_e32 v2, v22
	v_mov_b32_e32 v31, v6
	;; [unrolled: 1-line block ×3, first 2 shown]
	v_mad_u64_u32 v[6:7], s[0:1], s39, v8, v[2:3]
	s_waitcnt lgkmcnt(0)
	s_and_b32 s29, s2, 0xffff
	s_bfe_u32 s0, s2, 0xa0006
	s_cmp_gt_u32 s29, 63
	s_cselect_b64 s[54:55], -1, 0
	s_add_u32 s1, s29, -1
	s_addc_u32 s2, 0, -1
	s_add_u32 s57, s1, s24
	s_addc_u32 s51, s2, s25
	s_cmp_lt_u32 s6, s14
	v_writelane_b32 v60, s1, 20
	s_cselect_b32 s1, 12, 18
	s_add_u32 s52, s18, s1
	s_addc_u32 s53, s19, 0
	s_add_i32 s1, s0, -1
	v_writelane_b32 v60, s2, 21
	s_bfe_u32 s2, s29, 0x30006
	s_and_b32 s1, s1, 0xffff
	s_cmp_gt_u32 s1, 6
	s_cselect_b64 s[6:7], -1, 0
	v_writelane_b32 v60, s6, 22
	s_and_b32 s9, s0, 0x3f8
	v_writelane_b32 v60, s7, 23
	s_cmp_lg_u32 s2, 0
	v_lshlrev_b32_e32 v2, 2, v28
	v_writelane_b32 v60, s2, 24
	s_cselect_b64 s[0:1], -1, 0
	v_and_b32_e32 v33, 0x100, v2
	v_lshrrev_b32_e32 v2, 1, v0
	v_writelane_b32 v60, s0, 25
	v_and_b32_e32 v2, 0x1e0, v2
	v_writelane_b32 v60, s1, 26
	s_mul_i32 s0, s39, s29
	s_mul_hi_u32 s1, s38, s29
	v_or_b32_e32 v35, 0xc00, v2
	v_lshlrev_b64 v[22:23], 3, v[4:5]
	v_mov_b32_e32 v2, 0xc00
	s_add_i32 s1, s1, s0
	s_mul_i32 s0, s38, s29
	v_lshlrev_b32_e32 v38, 1, v0
	s_mov_b32 s43, 0
	v_cmp_eq_u32_e64 s[4:5], 0, v28
	v_cmp_gt_u32_e64 s[16:17], 2, v0
	v_lshlrev_b32_e32 v14, 2, v0
	v_mov_b32_e32 v15, v3
	v_mov_b32_e32 v34, v6
	s_mov_b32 s28, s38
	s_mov_b32 s8, s39
	s_lshl_b64 s[58:59], s[38:39], 1
	s_lshl_b64 s[60:61], s[38:39], 3
	v_lshl_or_b32 v36, v28, 3, v2
	s_lshl_b32 s2, s29, 1
	s_lshl_b64 s[46:47], s[0:1], 1
	s_mov_b32 s33, 14
	s_mov_b64 s[62:63], 0
	s_movk_i32 s3, 0x3c00
	s_mov_b32 s56, 0
	v_add_u32_e32 v39, 0xc00, v38
	v_lshlrev_b32_e32 v40, 3, v0
	v_mov_b32_e32 v41, 0xffff
	v_mov_b32_e32 v42, 0x8000
	v_mov_b32_e32 v43, 0x4f800000
	v_mov_b32_e32 v44, -1
	v_mov_b32_e32 v45, 0x5040100
	v_mov_b32_e32 v47, 0
	;; [unrolled: 1-line block ×4, first 2 shown]
	v_add_co_u32_e32 v19, vcc, v16, v0
	v_writelane_b32 v60, s54, 27
                                        ; implicit-def: $sgpr64_sgpr65
                                        ; implicit-def: $sgpr68_sgpr69
                                        ; implicit-def: $sgpr66_sgpr67
                                        ; implicit-def: $sgpr72_sgpr73
                                        ; implicit-def: $sgpr74_sgpr75
                                        ; implicit-def: $sgpr70_sgpr71
	v_writelane_b32 v60, s55, 28
	s_branch .LBB132_20
.LBB132_17:                             ;   in Loop: Header=BB132_20 Depth=1
	s_or_b64 exec, exec, s[14:15]
	s_and_b64 s[10:11], s[10:11], exec
	s_andn2_b64 s[78:79], s[78:79], exec
	s_andn2_b64 s[6:7], s[6:7], exec
	s_orn2_b64 s[20:21], s[12:13], exec
.LBB132_18:                             ;   in Loop: Header=BB132_20 Depth=1
	s_or_b64 exec, exec, s[0:1]
	s_andn2_b64 s[0:1], s[70:71], exec
	s_and_b64 s[10:11], s[10:11], exec
	s_or_b64 s[70:71], s[0:1], s[10:11]
	s_andn2_b64 s[0:1], s[74:75], exec
	s_and_b64 s[10:11], s[78:79], exec
	s_or_b64 s[74:75], s[0:1], s[10:11]
	;; [unrolled: 3-line block ×3, first 2 shown]
	s_orn2_b64 s[6:7], s[20:21], exec
.LBB132_19:                             ;   in Loop: Header=BB132_20 Depth=1
	s_or_b64 exec, exec, s[18:19]
	s_and_b64 s[0:1], exec, s[6:7]
	s_or_b64 s[62:63], s[0:1], s[62:63]
	s_andn2_b64 s[0:1], s[66:67], exec
	s_and_b64 s[6:7], s[70:71], exec
	s_or_b64 s[66:67], s[0:1], s[6:7]
	s_andn2_b64 s[0:1], s[68:69], exec
	s_and_b64 s[6:7], s[74:75], exec
	;; [unrolled: 3-line block ×3, first 2 shown]
	v_mov_b32_e32 v25, v9
	s_or_b64 s[64:65], s[0:1], s[6:7]
	v_mov_b32_e32 v24, v8
	s_andn2_b64 exec, exec, s[62:63]
	s_cbranch_execz .LBB132_291
.LBB132_20:                             ; =>This Loop Header: Depth=1
                                        ;     Child Loop BB132_25 Depth 2
                                        ;     Child Loop BB132_39 Depth 2
	;; [unrolled: 1-line block ×17, first 2 shown]
	ds_read_b128 v[4:7], v3 offset:5120
	s_waitcnt lgkmcnt(0)
	v_readfirstlane_b32 s23, v5
	v_readfirstlane_b32 s22, v4
	s_cmp_lg_u64 s[22:23], 0
	s_cbranch_scc1 .LBB132_52
; %bb.21:                               ;   in Loop: Header=BB132_20 Depth=1
	v_readlane_b32 s0, v60, 14
	v_readlane_b32 s1, v60, 15
	s_and_b64 vcc, exec, s[0:1]
	s_cbranch_vccz .LBB132_33
; %bb.22:                               ;   in Loop: Header=BB132_20 Depth=1
	s_mov_b64 s[0:1], 0x601
	v_cmp_gt_u64_e32 vcc, s[0:1], v[6:7]
	s_mov_b64 s[18:19], 0
	s_mov_b64 s[0:1], 0
	s_cbranch_vccz .LBB132_34
; %bb.23:                               ;   in Loop: Header=BB132_20 Depth=1
	global_load_ushort v2, v3, s[52:53]
	global_load_ushort v8, v[12:13], off
	v_mov_b32_e32 v4, s40
	v_mov_b32_e32 v5, s41
	s_mov_b64 s[20:21], 0
	s_waitcnt vmcnt(1)
	v_readfirstlane_b32 s0, v2
	s_and_b32 s6, 0xffff, s0
	v_add_u32_e32 v6, s6, v0
	v_mad_u64_u32 v[4:5], s[0:1], s58, v6, v[4:5]
	s_mul_i32 s7, s59, s6
	s_mul_i32 s22, s58, s6
	v_mad_u64_u32 v[5:6], s[0:1], s59, v6, v[5:6]
	s_mul_hi_u32 s0, s58, s6
	v_mov_b32_e32 v7, v1
	s_add_i32 s23, s0, s7
	v_mov_b32_e32 v6, v0
	s_branch .LBB132_25
.LBB132_24:                             ;   in Loop: Header=BB132_25 Depth=2
	s_or_b64 exec, exec, s[0:1]
	v_mov_b32_e32 v8, s23
	v_add_co_u32_e32 v4, vcc, s22, v4
	v_addc_co_u32_e32 v5, vcc, v5, v8, vcc
	v_mov_b32_e32 v8, v9
	s_andn2_b64 exec, exec, s[20:21]
	s_cbranch_execz .LBB132_153
.LBB132_25:                             ;   Parent Loop BB132_20 Depth=1
                                        ; =>  This Inner Loop Header: Depth=2
	v_add_co_u32_sdwa v6, vcc, v6, v2 dst_sel:DWORD dst_unused:UNUSED_PAD src0_sel:DWORD src1_sel:WORD_0
	v_addc_co_u32_e32 v7, vcc, 0, v7, vcc
	v_cmp_gt_u64_e64 s[6:7], s[24:25], v[6:7]
	v_cmp_le_u64_e32 vcc, s[24:25], v[6:7]
	s_waitcnt lgkmcnt(0)
	v_mov_b32_e32 v10, 0
	v_mov_b32_e32 v9, 0
	s_and_saveexec_b64 s[0:1], s[6:7]
	s_cbranch_execz .LBB132_27
; %bb.26:                               ;   in Loop: Header=BB132_25 Depth=2
	global_load_ushort v9, v[4:5], off
.LBB132_27:                             ;   in Loop: Header=BB132_25 Depth=2
	s_or_b64 exec, exec, s[0:1]
	s_waitcnt vmcnt(0)
	v_cmp_lt_i16_e64 s[6:7], -1, v8
	v_cndmask_b32_e64 v11, v41, v42, s[6:7]
	v_xor_b32_sdwa v11, v11, v8 dst_sel:DWORD dst_unused:UNUSED_PAD src0_sel:DWORD src1_sel:WORD_0
	v_cmp_o_f16_e64 s[6:7], v8, v8
	v_cndmask_b32_e64 v11, v41, v11, s[6:7]
	v_and_b32_e32 v11, v11, v46
	v_cmp_eq_u32_e64 s[14:15], v11, v37
	s_cmp_lg_u64 s[14:15], 0
	s_cselect_b64 s[0:1], -1, 0
	s_and_b64 s[6:7], s[4:5], s[0:1]
	s_and_saveexec_b64 s[0:1], s[6:7]
	s_cbranch_execz .LBB132_31
; %bb.28:                               ;   in Loop: Header=BB132_25 Depth=2
	s_mov_b64 s[12:13], exec
	v_mbcnt_lo_u32_b32 v10, s12, 0
	v_mbcnt_hi_u32_b32 v10, s13, v10
	s_bcnt1_i32_b64 s26, s[14:15]
	v_cmp_eq_u32_e64 s[6:7], 0, v10
                                        ; implicit-def: $vgpr11
	s_and_saveexec_b64 s[10:11], s[6:7]
; %bb.29:                               ;   in Loop: Header=BB132_25 Depth=2
	s_bcnt1_i32_b64 s6, s[12:13]
	s_mul_i32 s6, s26, s6
	v_mov_b32_e32 v11, s6
	ds_add_rtn_u32 v11, v3, v11 offset:5144
; %bb.30:                               ;   in Loop: Header=BB132_25 Depth=2
	s_or_b64 exec, exec, s[10:11]
	s_waitcnt lgkmcnt(0)
	v_readfirstlane_b32 s6, v11
	v_mov_b32_e32 v11, s6
	v_mad_u32_u24 v10, s26, v10, v11
.LBB132_31:                             ;   in Loop: Header=BB132_25 Depth=2
	s_or_b64 exec, exec, s[0:1]
	ds_bpermute_b32 v10, v33, v10
	s_and_b64 s[0:1], exec, vcc
	s_or_b64 s[20:21], s[0:1], s[20:21]
	s_and_saveexec_b64 s[0:1], s[14:15]
	s_cbranch_execz .LBB132_24
; %bb.32:                               ;   in Loop: Header=BB132_25 Depth=2
	v_and_b32_e32 v26, s14, v30
	v_and_b32_e32 v11, s15, v29
	v_bcnt_u32_b32 v26, v26, 0
	v_bcnt_u32_b32 v11, v11, v26
	v_lshlrev_b32_e32 v11, 1, v11
	s_waitcnt lgkmcnt(0)
	v_lshl_add_u32 v10, v10, 1, v11
	ds_write_b16 v10, v8
	s_branch .LBB132_24
.LBB132_33:                             ;   in Loop: Header=BB132_20 Depth=1
	s_mov_b64 s[18:19], -1
	s_mov_b64 s[0:1], 0
.LBB132_34:                             ;   in Loop: Header=BB132_20 Depth=1
	s_and_b64 vcc, exec, s[18:19]
	s_cbranch_vccz .LBB132_50
.LBB132_35:                             ;   in Loop: Header=BB132_20 Depth=1
	s_mov_b64 s[14:15], exec
	v_readlane_b32 s0, v60, 10
	v_readlane_b32 s1, v60, 11
	s_and_b64 s[0:1], s[14:15], s[0:1]
	s_mov_b64 exec, s[0:1]
	s_cbranch_execz .LBB132_47
; %bb.36:                               ;   in Loop: Header=BB132_20 Depth=1
	global_load_ushort v2, v3, s[52:53]
	global_load_ushort v11, v[12:13], off
	v_mov_b32_e32 v6, v0
	s_waitcnt vmcnt(1)
	v_readfirstlane_b32 s0, v2
	v_add_u32_sdwa v2, v2, v0 dst_sel:DWORD dst_unused:UNUSED_PAD src0_sel:WORD_0 src1_sel:DWORD
	v_cmp_gt_u64_e32 vcc, s[24:25], v[2:3]
	s_and_saveexec_b64 s[18:19], vcc
	s_cbranch_execz .LBB132_46
; %bb.37:                               ;   in Loop: Header=BB132_20 Depth=1
	s_and_b32 s12, s0, 0xffff
	s_cmp_eq_u32 s12, 1
	v_readlane_b32 s6, v60, 16
                                        ; implicit-def: $vgpr6_vgpr7
	s_cselect_b64 s[0:1], -1, 0
	v_readlane_b32 s7, v60, 17
	v_mov_b32_e32 v8, v1
	v_mov_b32_e32 v5, v3
	s_and_b64 s[0:1], s[6:7], s[0:1]
	s_mov_b64 s[10:11], -1
	v_mov_b32_e32 v7, v0
	v_mov_b32_e32 v4, v2
	s_and_saveexec_b64 s[6:7], s[0:1]
	s_cbranch_execz .LBB132_41
; %bb.38:                               ;   in Loop: Header=BB132_20 Depth=1
	v_add_co_u32_e32 v4, vcc, 1, v2
	v_addc_co_u32_e64 v5, s[0:1], 0, 0, vcc
	v_mov_b32_e32 v8, v16
	v_mov_b32_e32 v7, v5
	s_waitcnt vmcnt(0)
	v_lshlrev_b32_e32 v26, 16, v11
	s_mov_b64 s[10:11], 0
	v_mov_b32_e32 v9, v17
	v_mov_b32_e32 v10, v38
	;; [unrolled: 1-line block ×5, first 2 shown]
.LBB132_39:                             ;   Parent Loop BB132_20 Depth=1
                                        ; =>  This Inner Loop Header: Depth=2
	v_mul_lo_u32 v52, v5, s38
	v_mul_lo_u32 v53, v4, s39
	v_mad_u64_u32 v[50:51], s[0:1], v4, s38, 0
	v_mul_lo_u32 v11, v7, s28
	v_mul_lo_u32 v27, v6, s8
	v_mad_u64_u32 v[48:49], s[0:1], v6, s28, 0
	v_add3_u32 v51, v51, v53, v52
	v_lshlrev_b64 v[50:51], 1, v[50:51]
	v_add3_u32 v49, v49, v27, v11
	v_mov_b32_e32 v54, s41
	v_lshlrev_b64 v[48:49], 1, v[48:49]
	v_add_co_u32_e32 v50, vcc, s40, v50
	v_addc_co_u32_e32 v51, vcc, v54, v51, vcc
	v_mov_b32_e32 v55, s41
	v_add_co_u32_e32 v48, vcc, s40, v48
	v_addc_co_u32_e32 v49, vcc, v55, v49, vcc
	global_load_ushort v27, v[50:51], off
	global_load_ushort v11, v[48:49], off
	v_add_co_u32_e32 v6, vcc, 2, v6
	v_addc_co_u32_e32 v7, vcc, 0, v7, vcc
	v_add_co_u32_e32 v4, vcc, 2, v4
	v_addc_co_u32_e32 v5, vcc, 0, v5, vcc
	v_add_co_u32_e32 v8, vcc, -2, v8
	v_addc_co_u32_e32 v9, vcc, -1, v9, vcc
	s_mov_b32 s0, 0x5040100
	v_cmp_eq_u64_e32 vcc, 0, v[8:9]
	s_or_b64 s[10:11], vcc, s[10:11]
	s_waitcnt vmcnt(1)
	v_alignbit_b32 v26, v27, v26, 16
	s_waitcnt vmcnt(0)
	v_perm_b32 v48, v11, v27, s0
	ds_write_b32 v10, v26
	v_add_u32_e32 v10, 4, v10
	v_mov_b32_e32 v26, v48
	s_andn2_b64 exec, exec, s[10:11]
	s_cbranch_execnz .LBB132_39
; %bb.40:                               ;   in Loop: Header=BB132_20 Depth=1
	s_or_b64 exec, exec, s[10:11]
	v_readlane_b32 s0, v60, 18
	v_add_co_u32_e32 v4, vcc, v2, v16
	v_readlane_b32 s1, v60, 19
	v_addc_co_u32_e32 v5, vcc, 0, v17, vcc
	v_add_co_u32_e32 v6, vcc, -1, v4
	s_orn2_b64 s[10:11], s[0:1], exec
	v_mov_b32_e32 v7, v19
	v_mov_b32_e32 v8, v20
.LBB132_41:                             ;   in Loop: Header=BB132_20 Depth=1
	s_or_b64 exec, exec, s[6:7]
	s_and_saveexec_b64 s[0:1], s[10:11]
	s_cbranch_execz .LBB132_45
; %bb.42:                               ;   in Loop: Header=BB132_20 Depth=1
	v_mov_b32_e32 v8, s40
	v_mov_b32_e32 v9, s41
	v_mad_u64_u32 v[9:10], s[6:7], s58, v4, v[8:9]
	v_mul_lo_u32 v2, s58, v5
	v_mul_lo_u32 v6, s59, v4
	s_mul_i32 s6, s59, s12
	s_mul_hi_u32 s7, s58, s12
	s_mov_b64 s[10:11], 0
	s_sub_u32 s13, 0, s12
	v_add3_u32 v10, v6, v10, v2
	s_add_i32 s20, s7, s6
	s_mul_i32 s21, s58, s12
.LBB132_43:                             ;   Parent Loop BB132_20 Depth=1
                                        ; =>  This Inner Loop Header: Depth=2
	s_waitcnt vmcnt(0)
	v_mov_b32_e32 v2, v11
	global_load_ushort v11, v[9:10], off
	v_mov_b32_e32 v27, v5
	v_mov_b32_e32 v26, v4
	v_lshlrev_b32_e32 v4, 1, v7
	ds_write_b16 v4, v2
	v_add_co_u32_e32 v4, vcc, s12, v26
	v_addc_co_u32_e32 v5, vcc, 0, v27, vcc
	v_mov_b32_e32 v2, s20
	v_add_co_u32_e32 v9, vcc, s21, v9
	v_addc_co_u32_e32 v10, vcc, v10, v2, vcc
	v_cmp_le_u64_e32 vcc, s[24:25], v[4:5]
	v_add_co_u32_e64 v6, s[6:7], s13, v4
	s_or_b64 s[10:11], vcc, s[10:11]
	v_mov_b32_e32 v7, v26
	v_mov_b32_e32 v8, v27
	s_andn2_b64 exec, exec, s[10:11]
	s_cbranch_execnz .LBB132_43
; %bb.44:                               ;   in Loop: Header=BB132_20 Depth=1
	s_or_b64 exec, exec, s[10:11]
.LBB132_45:                             ;   in Loop: Header=BB132_20 Depth=1
	s_or_b64 exec, exec, s[0:1]
.LBB132_46:                             ;   in Loop: Header=BB132_20 Depth=1
	s_or_b64 exec, exec, s[18:19]
	v_lshlrev_b32_e32 v2, 1, v6
	s_waitcnt vmcnt(0)
	ds_write_b16 v2, v11
.LBB132_47:                             ;   in Loop: Header=BB132_20 Depth=1
	s_or_b64 exec, exec, s[14:15]
	s_waitcnt lgkmcnt(0)
	s_barrier
	s_mov_b64 s[0:1], exec
	v_readlane_b32 s6, v60, 12
	v_readlane_b32 s7, v60, 13
	s_and_b64 s[6:7], s[0:1], s[6:7]
	s_mov_b64 exec, s[6:7]
; %bb.48:                               ;   in Loop: Header=BB132_20 Depth=1
	v_mov_b32_e32 v4, s24
	v_mov_b32_e32 v5, s25
	ds_write_b64 v3, v[4:5] offset:5120
; %bb.49:                               ;   in Loop: Header=BB132_20 Depth=1
	s_or_b64 exec, exec, s[0:1]
	s_mov_b64 s[0:1], -1
	s_waitcnt lgkmcnt(0)
	s_barrier
.LBB132_50:                             ;   in Loop: Header=BB132_20 Depth=1
	s_mov_b64 s[22:23], 0
	s_and_b64 vcc, exec, s[0:1]
	s_cbranch_vccz .LBB132_52
; %bb.51:                               ;   in Loop: Header=BB132_20 Depth=1
	ds_read_b64 v[4:5], v3 offset:5120
	s_waitcnt lgkmcnt(0)
	v_readfirstlane_b32 s22, v4
.LBB132_52:                             ;   in Loop: Header=BB132_20 Depth=1
	s_cmp_lt_i32 s22, 1
	s_mov_b64 s[0:1], -1
                                        ; implicit-def: $vgpr4_vgpr5
                                        ; implicit-def: $vgpr8_vgpr9
	s_cbranch_scc1 .LBB132_62
; %bb.53:                               ;   in Loop: Header=BB132_20 Depth=1
	s_and_b64 vcc, exec, s[0:1]
	s_cbranch_vccnz .LBB132_76
.LBB132_54:                             ;   in Loop: Header=BB132_20 Depth=1
	s_lshl_b32 s10, s56, 6
	s_and_saveexec_b64 s[0:1], s[4:5]
	s_cbranch_execz .LBB132_56
.LBB132_55:                             ;   in Loop: Header=BB132_20 Depth=1
	v_lshl_add_u32 v2, s10, 3, v35
	ds_write_b128 v2, v[4:7]
	ds_write_b128 v2, v[8:11] offset:16
.LBB132_56:                             ;   in Loop: Header=BB132_20 Depth=1
	s_or_b64 exec, exec, s[0:1]
	s_waitcnt lgkmcnt(0)
	s_barrier
	s_and_saveexec_b64 s[6:7], s[44:45]
	s_cbranch_execz .LBB132_91
; %bb.57:                               ;   in Loop: Header=BB132_20 Depth=1
	v_mov_b32_e32 v4, 0
	v_mov_b32_e32 v5, 0
	s_andn2_b64 vcc, exec, s[54:55]
	s_cbranch_vccnz .LBB132_90
; %bb.58:                               ;   in Loop: Header=BB132_20 Depth=1
	v_readlane_b32 s0, v60, 22
	v_readlane_b32 s1, v60, 23
	s_andn2_b64 vcc, exec, s[0:1]
	s_cbranch_vccnz .LBB132_86
; %bb.59:                               ;   in Loop: Header=BB132_20 Depth=1
	v_mov_b32_e32 v4, 0
	v_lshl_add_u32 v2, s56, 9, v36
	v_mov_b32_e32 v5, 0
	s_mov_b32 s0, 0
.LBB132_60:                             ;   Parent Loop BB132_20 Depth=1
                                        ; =>  This Inner Loop Header: Depth=2
	ds_read2_b64 v[6:9], v2 offset1:4
	ds_read2_b64 v[48:51], v2 offset0:8 offset1:12
	ds_read2_b64 v[52:55], v2 offset0:16 offset1:20
	;; [unrolled: 1-line block ×3, first 2 shown]
	s_add_i32 s0, s0, 8
	s_waitcnt lgkmcnt(3)
	v_add_co_u32_e32 v4, vcc, v6, v4
	v_addc_co_u32_e32 v5, vcc, v7, v5, vcc
	v_add_co_u32_e32 v4, vcc, v8, v4
	v_addc_co_u32_e32 v5, vcc, v9, v5, vcc
	s_waitcnt lgkmcnt(2)
	v_add_co_u32_e32 v4, vcc, v48, v4
	v_addc_co_u32_e32 v5, vcc, v49, v5, vcc
	v_add_co_u32_e32 v4, vcc, v50, v4
	v_addc_co_u32_e32 v5, vcc, v51, v5, vcc
	;; [unrolled: 5-line block ×3, first 2 shown]
	s_waitcnt lgkmcnt(0)
	v_add_co_u32_e32 v4, vcc, v56, v4
	v_addc_co_u32_e32 v5, vcc, v57, v5, vcc
	v_add_co_u32_e32 v4, vcc, v58, v4
	v_add_u32_e32 v2, 0x100, v2
	s_cmp_eq_u32 s9, s0
	v_addc_co_u32_e32 v5, vcc, v59, v5, vcc
	s_cbranch_scc0 .LBB132_60
; %bb.61:                               ;   in Loop: Header=BB132_20 Depth=1
	s_mov_b32 s0, s9
	s_branch .LBB132_87
.LBB132_62:                             ;   in Loop: Header=BB132_20 Depth=1
	global_load_ushort v2, v3, s[52:53]
	s_mov_b32 s0, s43
	s_waitcnt vmcnt(0)
	v_readfirstlane_b32 s1, v2
	s_and_b32 s10, s1, 0xffff
	s_lshl_b32 s11, s10, 2
	s_mov_b32 s1, s25
	s_cmp_lg_u64 s[0:1], 0
	s_cbranch_scc0 .LBB132_85
; %bb.63:                               ;   in Loop: Header=BB132_20 Depth=1
	v_cvt_f32_u32_e32 v2, s11
	s_sub_u32 s6, 0, s11
	s_subb_u32 s7, 0, 0
	v_mac_f32_e32 v2, 0, v43
	v_rcp_f32_e32 v2, v2
	v_mul_f32_e32 v2, 0x5f7ffffc, v2
	v_mul_f32_e32 v4, 0x2f800000, v2
	v_trunc_f32_e32 v4, v4
	v_mac_f32_e32 v2, 0xcf800000, v4
	v_cvt_u32_f32_e32 v4, v4
	v_cvt_u32_f32_e32 v2, v2
	v_readfirstlane_b32 s12, v4
	v_readfirstlane_b32 s0, v2
	s_mul_i32 s1, s6, s12
	s_mul_hi_u32 s14, s6, s0
	s_mul_i32 s13, s7, s0
	s_add_i32 s1, s14, s1
	s_mul_i32 s15, s6, s0
	s_add_i32 s1, s1, s13
	s_mul_hi_u32 s14, s0, s15
	s_mul_i32 s18, s0, s1
	s_mul_hi_u32 s13, s0, s1
	s_add_u32 s14, s14, s18
	s_addc_u32 s13, 0, s13
	s_mul_hi_u32 s19, s12, s15
	s_mul_i32 s15, s12, s15
	s_add_u32 s14, s14, s15
	s_mul_hi_u32 s18, s12, s1
	s_addc_u32 s13, s13, s19
	s_addc_u32 s14, s18, 0
	s_mul_i32 s1, s12, s1
	s_add_u32 s1, s13, s1
	s_addc_u32 s13, 0, s14
	s_add_u32 s14, s0, s1
	s_cselect_b64 s[0:1], -1, 0
	s_cmp_lg_u64 s[0:1], 0
	s_addc_u32 s12, s12, s13
	s_mul_i32 s0, s6, s12
	s_mul_hi_u32 s1, s6, s14
	s_add_i32 s0, s1, s0
	s_mul_i32 s7, s7, s14
	s_add_i32 s0, s0, s7
	s_mul_i32 s6, s6, s14
	s_mul_hi_u32 s7, s12, s6
	s_mul_i32 s13, s12, s6
	s_mul_i32 s18, s14, s0
	s_mul_hi_u32 s6, s14, s6
	s_mul_hi_u32 s15, s14, s0
	s_add_u32 s6, s6, s18
	s_addc_u32 s15, 0, s15
	s_add_u32 s6, s6, s13
	s_mul_hi_u32 s1, s12, s0
	s_addc_u32 s6, s15, s7
	s_addc_u32 s1, s1, 0
	s_mul_i32 s0, s12, s0
	s_add_u32 s0, s6, s0
	s_addc_u32 s6, 0, s1
	s_add_u32 s7, s14, s0
	s_cselect_b64 s[0:1], -1, 0
	s_cmp_lg_u64 s[0:1], 0
	s_addc_u32 s0, s12, s6
	s_mul_i32 s6, s24, s0
	s_mul_hi_u32 s12, s24, s7
	s_mul_hi_u32 s1, s24, s0
	s_add_u32 s6, s12, s6
	s_addc_u32 s1, 0, s1
	s_mul_hi_u32 s13, s25, s7
	s_mul_i32 s7, s25, s7
	s_add_u32 s6, s6, s7
	s_mul_hi_u32 s12, s25, s0
	s_addc_u32 s1, s1, s13
	s_addc_u32 s6, s12, 0
	s_mul_i32 s0, s25, s0
	s_add_u32 s0, s1, s0
	s_addc_u32 s1, 0, s6
	s_mul_i32 s1, s11, s1
	s_mul_hi_u32 s6, s11, s0
	s_add_i32 s6, s6, s1
	s_mul_i32 s0, s11, s0
	s_sub_u32 s7, s24, s0
	s_cselect_b64 s[0:1], -1, 0
	s_cmp_lg_u64 s[0:1], 0
	s_subb_u32 s6, s25, s6
	s_sub_u32 s12, s7, s11
	s_cselect_b64 s[0:1], -1, 0
	s_cmp_lg_u64 s[0:1], 0
	s_subb_u32 s13, s6, 0
	;; [unrolled: 4-line block ×3, first 2 shown]
	s_cmp_ge_u32 s12, s11
	s_cselect_b32 s1, -1, 0
	s_cmp_eq_u32 s13, 0
	s_cselect_b32 s1, s1, -1
	s_cmp_lg_u32 s1, 0
	s_cselect_b32 s0, s0, s13
	s_cselect_b32 s12, s14, s12
	s_cmp_ge_u32 s7, s11
	s_cselect_b32 s1, -1, 0
	s_cmp_eq_u32 s6, 0
	s_cselect_b32 s1, s1, -1
	s_cmp_lg_u32 s1, 0
	s_cselect_b32 s1, s0, s6
	s_cselect_b32 s0, s12, s7
	s_cbranch_execnz .LBB132_65
.LBB132_64:                             ;   in Loop: Header=BB132_20 Depth=1
	v_cvt_f32_u32_e32 v2, s11
	s_sub_i32 s0, 0, s11
	v_rcp_iflag_f32_e32 v2, v2
	v_mul_f32_e32 v2, 0x4f7ffffe, v2
	v_cvt_u32_f32_e32 v2, v2
	v_readfirstlane_b32 s1, v2
	s_mul_i32 s0, s0, s1
	s_mul_hi_u32 s0, s1, s0
	s_add_i32 s1, s1, s0
	s_mul_hi_u32 s0, s24, s1
	s_mul_i32 s0, s0, s11
	s_sub_i32 s0, s24, s0
	s_sub_i32 s1, s0, s11
	s_cmp_ge_u32 s0, s11
	s_cselect_b32 s0, s1, s0
	s_sub_i32 s1, s0, s11
	s_cmp_ge_u32 s0, s11
	s_cselect_b32 s42, s1, s0
	s_mov_b64 s[0:1], s[42:43]
.LBB132_65:                             ;   in Loop: Header=BB132_20 Depth=1
	s_sub_u32 s76, s24, s0
	s_subb_u32 s77, s25, s1
	v_cmp_gt_u64_e32 vcc, s[76:77], v[14:15]
	v_mov_b32_e32 v4, 0
	v_mov_b32_e32 v6, 0
	;; [unrolled: 1-line block ×8, first 2 shown]
	s_and_saveexec_b64 s[78:79], vcc
	s_cbranch_execz .LBB132_69
; %bb.66:                               ;   in Loop: Header=BB132_20 Depth=1
	s_mul_i32 s0, s61, s10
	s_mul_hi_u32 s1, s60, s10
	v_mov_b32_e32 v27, v15
	s_add_i32 s0, s1, s0
	s_mov_b64 s[80:81], 0
	s_mov_b64 s[82:83], s[40:41]
	s_mov_b64 s[84:85], 0
	s_mov_b64 s[86:87], 0
	s_mov_b64 s[88:89], 0
	s_mov_b64 s[90:91], 0
	v_mov_b32_e32 v26, v14
.LBB132_67:                             ;   Parent Loop BB132_20 Depth=1
                                        ; =>  This Inner Loop Header: Depth=2
	v_add_co_u32_e32 v4, vcc, s82, v22
	v_mov_b32_e32 v2, s83
	v_addc_co_u32_e32 v5, vcc, v2, v23, vcc
	global_load_ushort v6, v[4:5], off
	v_add_co_u32_e32 v4, vcc, s82, v21
	v_addc_co_u32_e32 v5, vcc, v2, v34, vcc
	global_load_ushort v7, v[4:5], off
	v_add_co_u32_e32 v4, vcc, s82, v20
	v_addc_co_u32_e32 v5, vcc, v2, v32, vcc
	global_load_ushort v8, v[4:5], off
	v_add_co_u32_e32 v4, vcc, s82, v18
	v_addc_co_u32_e32 v5, vcc, v2, v31, vcc
	global_load_ushort v2, v[4:5], off
	s_waitcnt vmcnt(3)
	v_cmp_lt_i16_e32 vcc, -1, v6
	v_cndmask_b32_e32 v4, v41, v42, vcc
	v_cmp_o_f16_e32 vcc, v6, v6
	v_xor_b32_sdwa v4, v4, v6 dst_sel:DWORD dst_unused:UNUSED_PAD src0_sel:DWORD src1_sel:WORD_0
	v_cndmask_b32_e32 v4, v41, v4, vcc
	s_waitcnt vmcnt(2)
	v_cmp_lt_i16_e32 vcc, -1, v7
	v_cndmask_b32_e32 v5, v41, v42, vcc
	v_cmp_o_f16_e32 vcc, v7, v7
	v_xor_b32_sdwa v5, v5, v7 dst_sel:DWORD dst_unused:UNUSED_PAD src0_sel:DWORD src1_sel:WORD_0
	v_cndmask_b32_e32 v5, v41, v5, vcc
	s_waitcnt vmcnt(1)
	v_cmp_lt_i16_e32 vcc, -1, v8
	v_cndmask_b32_e32 v6, v41, v42, vcc
	v_cmp_o_f16_e32 vcc, v8, v8
	v_xor_b32_sdwa v6, v6, v8 dst_sel:DWORD dst_unused:UNUSED_PAD src0_sel:DWORD src1_sel:WORD_0
	v_cndmask_b32_e32 v6, v41, v6, vcc
	s_waitcnt vmcnt(0)
	v_cmp_lt_i16_e32 vcc, -1, v2
	v_cndmask_b32_e32 v7, v41, v42, vcc
	v_cmp_o_f16_e32 vcc, v2, v2
	v_xor_b32_sdwa v2, v7, v2 dst_sel:DWORD dst_unused:UNUSED_PAD src0_sel:DWORD src1_sel:WORD_0
	v_and_b32_e32 v7, v4, v46
	v_bfe_u32 v4, v4, s33, 2
	v_cndmask_b32_e32 v2, v41, v2, vcc
	v_cmp_eq_u32_e32 vcc, v7, v37
	v_and_b32_e32 v7, v5, v46
	v_bfe_u32 v5, v5, s33, 2
	v_cmp_eq_u32_e64 s[20:21], 0, v4
	v_cmp_eq_u32_e64 s[6:7], v7, v37
	v_and_b32_e32 v7, v6, v46
	v_bfe_u32 v6, v6, s33, 2
	s_and_b64 s[12:13], vcc, s[20:21]
	v_cmp_eq_u32_e64 s[20:21], 0, v5
	v_cmp_eq_u32_e64 s[14:15], v7, v37
	v_and_b32_e32 v7, v2, v46
	v_bfe_u32 v2, v2, s33, 2
	s_and_b64 s[26:27], s[6:7], s[20:21]
	v_cmp_eq_u32_e64 s[20:21], 0, v6
	v_cmp_eq_u32_e64 s[18:19], v7, v37
	s_and_b64 s[30:31], s[14:15], s[20:21]
	v_cmp_eq_u32_e64 s[20:21], 0, v2
	v_cndmask_b32_e64 v7, 0, 1, s[12:13]
	s_and_b64 s[34:35], s[18:19], s[20:21]
	v_cmp_ne_u32_e64 s[20:21], 0, v7
	v_cndmask_b32_e64 v7, 0, 1, s[26:27]
	s_bcnt1_i32_b64 s1, s[20:21]
	v_cmp_ne_u32_e64 s[20:21], 0, v7
	v_cndmask_b32_e64 v7, 0, 1, s[30:31]
	s_bcnt1_i32_b64 s12, s[20:21]
	;; [unrolled: 3-line block ×3, first 2 shown]
	v_cmp_ne_u32_e64 s[20:21], 0, v7
	s_bcnt1_i32_b64 s20, s[20:21]
	s_add_u32 s1, s1, s90
	s_addc_u32 s21, 0, s91
	s_add_u32 s1, s1, s12
	s_addc_u32 s12, s21, 0
	;; [unrolled: 2-line block ×3, first 2 shown]
	s_add_u32 s90, s1, s20
	v_cmp_eq_u32_e64 s[20:21], 1, v4
	s_addc_u32 s91, s12, 0
	s_and_b64 s[12:13], vcc, s[20:21]
	v_cmp_eq_u32_e64 s[20:21], 1, v5
	s_and_b64 s[26:27], s[6:7], s[20:21]
	v_cmp_eq_u32_e64 s[20:21], 1, v6
	s_and_b64 s[30:31], s[14:15], s[20:21]
	v_cmp_eq_u32_e64 s[20:21], 1, v2
	v_cndmask_b32_e64 v7, 0, 1, s[12:13]
	s_and_b64 s[34:35], s[18:19], s[20:21]
	v_cmp_ne_u32_e64 s[20:21], 0, v7
	v_cndmask_b32_e64 v7, 0, 1, s[26:27]
	s_bcnt1_i32_b64 s1, s[20:21]
	v_cmp_ne_u32_e64 s[20:21], 0, v7
	v_cndmask_b32_e64 v7, 0, 1, s[30:31]
	s_bcnt1_i32_b64 s12, s[20:21]
	;; [unrolled: 3-line block ×3, first 2 shown]
	v_cmp_ne_u32_e64 s[20:21], 0, v7
	s_bcnt1_i32_b64 s20, s[20:21]
	s_add_u32 s1, s1, s88
	s_addc_u32 s21, 0, s89
	s_add_u32 s1, s1, s12
	s_addc_u32 s12, s21, 0
	s_add_u32 s1, s1, s13
	s_addc_u32 s12, s12, 0
	s_add_u32 s88, s1, s20
	v_cmp_eq_u32_e64 s[20:21], 2, v4
	s_addc_u32 s89, s12, 0
	s_and_b64 s[12:13], vcc, s[20:21]
	v_cmp_eq_u32_e64 s[20:21], 2, v5
	s_and_b64 s[26:27], s[6:7], s[20:21]
	v_cmp_eq_u32_e64 s[20:21], 2, v6
	s_and_b64 s[30:31], s[14:15], s[20:21]
	v_cmp_eq_u32_e64 s[20:21], 2, v2
	v_cndmask_b32_e64 v7, 0, 1, s[12:13]
	s_and_b64 s[34:35], s[18:19], s[20:21]
	v_cmp_ne_u32_e64 s[20:21], 0, v7
	v_cndmask_b32_e64 v7, 0, 1, s[26:27]
	s_bcnt1_i32_b64 s1, s[20:21]
	v_cmp_ne_u32_e64 s[20:21], 0, v7
	v_cndmask_b32_e64 v7, 0, 1, s[30:31]
	s_bcnt1_i32_b64 s12, s[20:21]
	;; [unrolled: 3-line block ×3, first 2 shown]
	v_cmp_ne_u32_e64 s[20:21], 0, v7
	s_bcnt1_i32_b64 s20, s[20:21]
	s_add_u32 s1, s1, s86
	s_addc_u32 s21, 0, s87
	s_add_u32 s1, s1, s12
	s_addc_u32 s12, s21, 0
	s_add_u32 s1, s1, s13
	s_addc_u32 s12, s12, 0
	s_add_u32 s86, s1, s20
	v_cmp_eq_u32_e64 s[20:21], 3, v4
	s_addc_u32 s87, s12, 0
	s_and_b64 s[12:13], vcc, s[20:21]
	v_cmp_eq_u32_e32 vcc, 3, v5
	s_and_b64 s[6:7], s[6:7], vcc
	v_cmp_eq_u32_e32 vcc, 3, v6
	s_and_b64 s[14:15], s[14:15], vcc
	v_cmp_eq_u32_e32 vcc, 3, v2
	v_cndmask_b32_e64 v2, 0, 1, s[12:13]
	s_and_b64 s[18:19], s[18:19], vcc
	v_cmp_ne_u32_e32 vcc, 0, v2
	v_cndmask_b32_e64 v2, 0, 1, s[6:7]
	s_bcnt1_i32_b64 s1, vcc
	v_cmp_ne_u32_e32 vcc, 0, v2
	v_cndmask_b32_e64 v2, 0, 1, s[14:15]
	s_bcnt1_i32_b64 s6, vcc
	;; [unrolled: 3-line block ×3, first 2 shown]
	v_cmp_ne_u32_e32 vcc, 0, v2
	s_bcnt1_i32_b64 s12, vcc
	s_add_u32 s1, s1, s84
	s_addc_u32 s13, 0, s85
	s_add_u32 s1, s1, s6
	s_addc_u32 s6, s13, 0
	;; [unrolled: 2-line block ×3, first 2 shown]
	s_add_u32 s84, s1, s12
	v_add_co_u32_e32 v26, vcc, s11, v26
	s_addc_u32 s85, s6, 0
	v_addc_co_u32_e32 v27, vcc, 0, v27, vcc
	s_mul_i32 s1, s60, s10
	s_add_u32 s82, s82, s1
	v_cmp_le_u64_e32 vcc, s[76:77], v[26:27]
	s_addc_u32 s83, s83, s0
	v_mov_b32_e32 v4, s90
	v_mov_b32_e32 v6, s88
	;; [unrolled: 1-line block ×4, first 2 shown]
	s_or_b64 s[80:81], vcc, s[80:81]
	v_mov_b32_e32 v5, s91
	v_mov_b32_e32 v7, s89
	;; [unrolled: 1-line block ×4, first 2 shown]
	s_andn2_b64 exec, exec, s[80:81]
	s_cbranch_execnz .LBB132_67
; %bb.68:                               ;   in Loop: Header=BB132_20 Depth=1
	s_or_b64 exec, exec, s[80:81]
.LBB132_69:                             ;   in Loop: Header=BB132_20 Depth=1
	s_or_b64 exec, exec, s[78:79]
	v_mov_b32_e32 v2, s77
	v_add_co_u32_e32 v26, vcc, s76, v0
	v_addc_co_u32_e32 v27, vcc, 0, v2, vcc
	v_cmp_gt_u64_e32 vcc, s[24:25], v[26:27]
	s_and_saveexec_b64 s[14:15], vcc
	s_cbranch_execz .LBB132_75
; %bb.70:                               ;   in Loop: Header=BB132_20 Depth=1
	v_mul_lo_u32 v2, v27, s38
	v_mul_lo_u32 v50, v26, s39
	v_mad_u64_u32 v[48:49], s[0:1], v26, s38, 0
	s_mov_b64 s[18:19], 0
	v_add3_u32 v49, v49, v50, v2
	v_lshlrev_b64 v[48:49], 1, v[48:49]
	v_mov_b32_e32 v2, s41
	v_add_co_u32_e32 v48, vcc, s40, v48
	v_addc_co_u32_e32 v49, vcc, v2, v49, vcc
	global_load_ushort v48, v[48:49], off
	s_branch .LBB132_72
.LBB132_71:                             ;   in Loop: Header=BB132_72 Depth=2
	s_or_b64 exec, exec, s[0:1]
	s_and_b64 s[0:1], exec, vcc
	s_waitcnt vmcnt(0)
	v_cmp_lt_i16_e32 vcc, -1, v48
	v_cndmask_b32_e32 v49, v41, v42, vcc
	v_xor_b32_sdwa v49, v49, v48 dst_sel:DWORD dst_unused:UNUSED_PAD src0_sel:DWORD src1_sel:WORD_0
	v_cmp_o_f16_e32 vcc, v48, v48
	v_cndmask_b32_e32 v48, v41, v49, vcc
	v_and_b32_e32 v49, v48, v46
	v_bfe_u32 v48, v48, s33, 2
	s_or_b64 s[18:19], s[0:1], s[18:19]
	v_cmp_eq_u32_e32 vcc, v49, v37
	v_cmp_eq_u32_e64 s[6:7], 0, v48
	s_and_b64 s[0:1], vcc, s[6:7]
	v_cndmask_b32_e64 v49, 0, 1, s[0:1]
	v_cmp_ne_u32_e64 s[6:7], 0, v49
	s_bcnt1_i32_b64 s0, s[6:7]
	v_add_co_u32_e64 v4, s[6:7], s0, v4
	v_addc_co_u32_e64 v5, s[6:7], 0, v5, s[6:7]
	v_cmp_eq_u32_e64 s[6:7], 1, v48
	s_and_b64 s[0:1], vcc, s[6:7]
	v_cndmask_b32_e64 v49, 0, 1, s[0:1]
	v_cmp_ne_u32_e64 s[6:7], 0, v49
	s_bcnt1_i32_b64 s0, s[6:7]
	v_add_co_u32_e64 v6, s[6:7], s0, v6
	v_addc_co_u32_e64 v7, s[6:7], 0, v7, s[6:7]
	;; [unrolled: 7-line block ×3, first 2 shown]
	v_cmp_eq_u32_e64 s[6:7], 3, v48
	s_and_b64 s[0:1], vcc, s[6:7]
	v_cndmask_b32_e64 v48, 0, 1, s[0:1]
	v_cmp_ne_u32_e32 vcc, 0, v48
	s_bcnt1_i32_b64 s0, vcc
	v_add_co_u32_e32 v10, vcc, s0, v10
	v_addc_co_u32_e32 v11, vcc, 0, v11, vcc
	v_mov_b32_e32 v48, v2
	s_andn2_b64 exec, exec, s[18:19]
	s_cbranch_execz .LBB132_74
.LBB132_72:                             ;   Parent Loop BB132_20 Depth=1
                                        ; =>  This Inner Loop Header: Depth=2
	v_add_co_u32_e32 v26, vcc, s10, v26
	v_addc_co_u32_e32 v27, vcc, 0, v27, vcc
	v_cmp_gt_u64_e64 s[6:7], s[24:25], v[26:27]
	v_cmp_le_u64_e32 vcc, s[24:25], v[26:27]
	v_mov_b32_e32 v2, 0
	s_and_saveexec_b64 s[0:1], s[6:7]
	s_cbranch_execz .LBB132_71
; %bb.73:                               ;   in Loop: Header=BB132_72 Depth=2
	v_mul_lo_u32 v2, v27, s38
	v_mul_lo_u32 v51, v26, s39
	v_mad_u64_u32 v[49:50], s[6:7], v26, s38, 0
	v_add3_u32 v50, v50, v51, v2
	v_lshlrev_b64 v[49:50], 1, v[49:50]
	v_mov_b32_e32 v2, s41
	v_add_co_u32_e64 v49, s[6:7], s40, v49
	v_addc_co_u32_e64 v50, s[6:7], v2, v50, s[6:7]
	global_load_ushort v2, v[49:50], off
	s_branch .LBB132_71
.LBB132_74:                             ;   in Loop: Header=BB132_20 Depth=1
	s_or_b64 exec, exec, s[18:19]
.LBB132_75:                             ;   in Loop: Header=BB132_20 Depth=1
	s_or_b64 exec, exec, s[14:15]
	s_branch .LBB132_54
.LBB132_76:                             ;   in Loop: Header=BB132_20 Depth=1
	global_load_ushort v2, v3, s[52:53]
	v_mov_b32_e32 v8, 0
	v_mov_b32_e32 v9, 0
	s_waitcnt vmcnt(0)
	v_readfirstlane_b32 s0, v2
	s_and_b32 s0, 0xffff, s0
	s_lshl_b32 s1, s0, 2
	v_cvt_f32_u32_e32 v4, s1
	s_sub_i32 s6, 0, s1
	v_rcp_iflag_f32_e32 v6, v4
	v_mov_b32_e32 v4, 0
	v_mov_b32_e32 v5, 0
	v_mul_f32_e32 v6, 0x4f7ffffe, v6
	v_cvt_u32_f32_e32 v10, v6
	v_mov_b32_e32 v6, 0
	v_mov_b32_e32 v7, 0
	v_readfirstlane_b32 s7, v10
	s_mul_i32 s6, s6, s7
	s_mul_hi_u32 s6, s7, s6
	s_add_i32 s7, s7, s6
	s_mul_hi_u32 s6, s22, s7
	s_mul_i32 s7, s6, s1
	s_sub_i32 s7, s22, s7
	s_add_i32 s10, s6, 1
	s_sub_i32 s11, s7, s1
	s_cmp_ge_u32 s7, s1
	s_cselect_b32 s6, s10, s6
	s_cselect_b32 s7, s11, s7
	s_add_i32 s10, s6, 1
	s_cmp_ge_u32 s7, s1
	s_cselect_b32 s6, s10, s6
	s_mul_hi_u32 s77, s0, s6
	s_mul_i32 s76, s0, s6
	s_lshl_b64 s[78:79], s[76:77], 2
	v_cmp_gt_u64_e32 vcc, s[78:79], v[14:15]
	v_mov_b32_e32 v10, 0
	v_mov_b32_e32 v11, 0
	s_and_saveexec_b64 s[80:81], vcc
	s_cbranch_execz .LBB132_80
; %bb.77:                               ;   in Loop: Header=BB132_20 Depth=1
	v_mov_b32_e32 v27, v15
	s_lshl_b32 s10, s0, 3
	s_mov_b64 s[82:83], 0
	v_mov_b32_e32 v48, v40
	s_mov_b64 s[84:85], 0
	s_mov_b64 s[86:87], 0
	;; [unrolled: 1-line block ×4, first 2 shown]
	v_mov_b32_e32 v26, v14
.LBB132_78:                             ;   Parent Loop BB132_20 Depth=1
                                        ; =>  This Inner Loop Header: Depth=2
	ds_read_b64 v[4:5], v48
	v_add_u32_e32 v48, s10, v48
	s_waitcnt lgkmcnt(0)
	v_cmp_lt_i16_e32 vcc, -1, v4
	v_cndmask_b32_e32 v6, v41, v42, vcc
	v_cmp_o_f16_e32 vcc, v4, v4
	v_xor_b32_sdwa v6, v6, v4 dst_sel:DWORD dst_unused:UNUSED_PAD src0_sel:DWORD src1_sel:WORD_0
	v_cndmask_b32_e32 v6, v41, v6, vcc
	v_cmp_gt_i16_sdwa vcc, v4, v44 src0_sel:WORD_1 src1_sel:DWORD
	v_cndmask_b32_e32 v7, v41, v42, vcc
	v_cmp_o_f16_sdwa vcc, v4, v4 src0_sel:WORD_1 src1_sel:WORD_1
	v_xor_b32_sdwa v4, v7, v4 dst_sel:DWORD dst_unused:UNUSED_PAD src0_sel:DWORD src1_sel:WORD_1
	v_cndmask_b32_e32 v4, v41, v4, vcc
	v_cmp_lt_i16_e32 vcc, -1, v5
	v_cndmask_b32_e32 v7, v41, v42, vcc
	v_cmp_o_f16_e32 vcc, v5, v5
	v_xor_b32_sdwa v7, v7, v5 dst_sel:DWORD dst_unused:UNUSED_PAD src0_sel:DWORD src1_sel:WORD_0
	v_cndmask_b32_e32 v7, v41, v7, vcc
	v_cmp_gt_i16_sdwa vcc, v5, v44 src0_sel:WORD_1 src1_sel:DWORD
	v_cndmask_b32_e32 v8, v41, v42, vcc
	v_cmp_o_f16_sdwa vcc, v5, v5 src0_sel:WORD_1 src1_sel:WORD_1
	v_xor_b32_sdwa v5, v8, v5 dst_sel:DWORD dst_unused:UNUSED_PAD src0_sel:DWORD src1_sel:WORD_1
	v_and_b32_e32 v8, v6, v46
	v_bfe_u32 v6, v6, s33, 2
	v_cndmask_b32_e32 v5, v41, v5, vcc
	v_cmp_eq_u32_e32 vcc, v8, v37
	v_and_b32_e32 v8, v4, v46
	v_bfe_u32 v4, v4, s33, 2
	v_cmp_eq_u32_e64 s[20:21], 0, v6
	v_cmp_eq_u32_e64 s[6:7], v8, v37
	v_and_b32_e32 v8, v7, v46
	v_bfe_u32 v7, v7, s33, 2
	s_and_b64 s[12:13], vcc, s[20:21]
	v_cmp_eq_u32_e64 s[20:21], 0, v4
	v_cmp_eq_u32_e64 s[14:15], v8, v37
	v_and_b32_e32 v8, v5, v46
	v_bfe_u32 v5, v5, s33, 2
	s_and_b64 s[26:27], s[6:7], s[20:21]
	v_cmp_eq_u32_e64 s[20:21], 0, v7
	v_cmp_eq_u32_e64 s[18:19], v8, v37
	s_and_b64 s[30:31], s[14:15], s[20:21]
	v_cmp_eq_u32_e64 s[20:21], 0, v5
	v_cndmask_b32_e64 v8, 0, 1, s[12:13]
	s_and_b64 s[34:35], s[18:19], s[20:21]
	v_cmp_ne_u32_e64 s[20:21], 0, v8
	v_cndmask_b32_e64 v8, 0, 1, s[26:27]
	s_bcnt1_i32_b64 s11, s[20:21]
	v_cmp_ne_u32_e64 s[20:21], 0, v8
	v_cndmask_b32_e64 v8, 0, 1, s[30:31]
	s_bcnt1_i32_b64 s12, s[20:21]
	;; [unrolled: 3-line block ×3, first 2 shown]
	v_cmp_ne_u32_e64 s[20:21], 0, v8
	s_bcnt1_i32_b64 s20, s[20:21]
	s_add_u32 s11, s11, s90
	s_addc_u32 s21, 0, s91
	s_add_u32 s11, s11, s12
	s_addc_u32 s12, s21, 0
	;; [unrolled: 2-line block ×3, first 2 shown]
	s_add_u32 s90, s11, s20
	v_cmp_eq_u32_e64 s[20:21], 1, v6
	s_addc_u32 s91, s12, 0
	s_and_b64 s[12:13], vcc, s[20:21]
	v_cmp_eq_u32_e64 s[20:21], 1, v4
	s_and_b64 s[26:27], s[6:7], s[20:21]
	v_cmp_eq_u32_e64 s[20:21], 1, v7
	s_and_b64 s[30:31], s[14:15], s[20:21]
	v_cmp_eq_u32_e64 s[20:21], 1, v5
	v_cndmask_b32_e64 v8, 0, 1, s[12:13]
	s_and_b64 s[34:35], s[18:19], s[20:21]
	v_cmp_ne_u32_e64 s[20:21], 0, v8
	v_cndmask_b32_e64 v8, 0, 1, s[26:27]
	s_bcnt1_i32_b64 s11, s[20:21]
	v_cmp_ne_u32_e64 s[20:21], 0, v8
	v_cndmask_b32_e64 v8, 0, 1, s[30:31]
	s_bcnt1_i32_b64 s12, s[20:21]
	;; [unrolled: 3-line block ×3, first 2 shown]
	v_cmp_ne_u32_e64 s[20:21], 0, v8
	s_bcnt1_i32_b64 s20, s[20:21]
	s_add_u32 s11, s11, s88
	s_addc_u32 s21, 0, s89
	s_add_u32 s11, s11, s12
	s_addc_u32 s12, s21, 0
	;; [unrolled: 2-line block ×3, first 2 shown]
	s_add_u32 s88, s11, s20
	v_cmp_eq_u32_e64 s[20:21], 2, v6
	s_addc_u32 s89, s12, 0
	s_and_b64 s[12:13], vcc, s[20:21]
	v_cmp_eq_u32_e64 s[20:21], 2, v4
	s_and_b64 s[26:27], s[6:7], s[20:21]
	v_cmp_eq_u32_e64 s[20:21], 2, v7
	s_and_b64 s[30:31], s[14:15], s[20:21]
	v_cmp_eq_u32_e64 s[20:21], 2, v5
	v_cndmask_b32_e64 v8, 0, 1, s[12:13]
	s_and_b64 s[34:35], s[18:19], s[20:21]
	v_cmp_ne_u32_e64 s[20:21], 0, v8
	v_cndmask_b32_e64 v8, 0, 1, s[26:27]
	s_bcnt1_i32_b64 s11, s[20:21]
	v_cmp_ne_u32_e64 s[20:21], 0, v8
	v_cndmask_b32_e64 v8, 0, 1, s[30:31]
	s_bcnt1_i32_b64 s12, s[20:21]
	;; [unrolled: 3-line block ×3, first 2 shown]
	v_cmp_ne_u32_e64 s[20:21], 0, v8
	s_bcnt1_i32_b64 s20, s[20:21]
	s_add_u32 s11, s11, s86
	s_addc_u32 s21, 0, s87
	s_add_u32 s11, s11, s12
	s_addc_u32 s12, s21, 0
	;; [unrolled: 2-line block ×3, first 2 shown]
	s_add_u32 s86, s11, s20
	v_cmp_eq_u32_e64 s[20:21], 3, v6
	s_addc_u32 s87, s12, 0
	s_and_b64 s[12:13], vcc, s[20:21]
	v_cmp_eq_u32_e32 vcc, 3, v4
	s_and_b64 s[6:7], s[6:7], vcc
	v_cmp_eq_u32_e32 vcc, 3, v7
	s_and_b64 s[14:15], s[14:15], vcc
	v_cmp_eq_u32_e32 vcc, 3, v5
	v_cndmask_b32_e64 v4, 0, 1, s[12:13]
	s_and_b64 s[18:19], s[18:19], vcc
	v_cmp_ne_u32_e32 vcc, 0, v4
	v_cndmask_b32_e64 v4, 0, 1, s[6:7]
	s_bcnt1_i32_b64 s11, vcc
	v_cmp_ne_u32_e32 vcc, 0, v4
	v_cndmask_b32_e64 v4, 0, 1, s[14:15]
	s_bcnt1_i32_b64 s6, vcc
	;; [unrolled: 3-line block ×3, first 2 shown]
	v_cmp_ne_u32_e32 vcc, 0, v4
	s_bcnt1_i32_b64 s12, vcc
	s_add_u32 s11, s11, s84
	s_addc_u32 s13, 0, s85
	s_add_u32 s6, s11, s6
	s_addc_u32 s11, s13, 0
	s_add_u32 s6, s6, s7
	v_add_co_u32_e32 v26, vcc, s1, v26
	s_addc_u32 s7, s11, 0
	v_addc_co_u32_e32 v27, vcc, 0, v27, vcc
	s_add_u32 s84, s6, s12
	v_cmp_le_u64_e32 vcc, s[78:79], v[26:27]
	s_addc_u32 s85, s7, 0
	v_mov_b32_e32 v4, s90
	v_mov_b32_e32 v6, s88
	;; [unrolled: 1-line block ×4, first 2 shown]
	s_or_b64 s[82:83], vcc, s[82:83]
	v_mov_b32_e32 v5, s91
	v_mov_b32_e32 v7, s89
	;; [unrolled: 1-line block ×4, first 2 shown]
	s_andn2_b64 exec, exec, s[82:83]
	s_cbranch_execnz .LBB132_78
; %bb.79:                               ;   in Loop: Header=BB132_20 Depth=1
	s_or_b64 exec, exec, s[82:83]
.LBB132_80:                             ;   in Loop: Header=BB132_20 Depth=1
	s_or_b64 exec, exec, s[80:81]
	v_mov_b32_e32 v27, s79
	v_add_co_u32_e32 v26, vcc, s78, v0
	s_and_b32 s42, s22, 0x7fffffff
	v_addc_co_u32_e32 v27, vcc, 0, v27, vcc
	v_cmp_gt_u64_e32 vcc, s[42:43], v[26:27]
	s_and_saveexec_b64 s[26:27], vcc
	s_cbranch_execz .LBB132_84
; %bb.81:                               ;   in Loop: Header=BB132_20 Depth=1
	v_lshl_add_u32 v48, s76, 3, v38
	s_lshl_b32 s0, s0, 1
	s_mov_b64 s[30:31], 0
.LBB132_82:                             ;   Parent Loop BB132_20 Depth=1
                                        ; =>  This Inner Loop Header: Depth=2
	ds_read_u16 v49, v48
	v_add_co_u32_sdwa v26, vcc, v26, v2 dst_sel:DWORD dst_unused:UNUSED_PAD src0_sel:DWORD src1_sel:WORD_0
	v_addc_co_u32_e32 v27, vcc, 0, v27, vcc
	s_waitcnt lgkmcnt(0)
	v_cmp_lt_i16_e64 s[6:7], -1, v49
	v_cndmask_b32_e64 v50, v41, v42, s[6:7]
	v_xor_b32_sdwa v50, v50, v49 dst_sel:DWORD dst_unused:UNUSED_PAD src0_sel:DWORD src1_sel:WORD_0
	v_cmp_o_f16_e64 s[6:7], v49, v49
	v_cndmask_b32_e64 v49, v41, v50, s[6:7]
	v_and_b32_e32 v50, v49, v46
	v_bfe_u32 v49, v49, s33, 2
	v_cmp_eq_u32_e64 s[6:7], v50, v37
	v_cmp_eq_u32_e64 s[14:15], 0, v49
	;; [unrolled: 1-line block ×3, first 2 shown]
	s_and_b64 s[10:11], s[6:7], s[14:15]
	v_cmp_eq_u32_e64 s[20:21], 2, v49
	v_cmp_eq_u32_e64 s[22:23], 3, v49
	v_cndmask_b32_e64 v49, 0, 1, s[10:11]
	s_and_b64 s[10:11], s[6:7], s[18:19]
	v_cndmask_b32_e64 v50, 0, 1, s[10:11]
	s_and_b64 s[10:11], s[6:7], s[20:21]
	s_and_b64 s[6:7], s[6:7], s[22:23]
	v_cndmask_b32_e64 v52, 0, 1, s[6:7]
	v_cmp_ne_u32_e64 s[6:7], 0, v49
	s_bcnt1_i32_b64 s1, s[6:7]
	v_cmp_ne_u32_e64 s[14:15], 0, v50
	v_add_co_u32_e64 v4, s[6:7], s1, v4
	v_cndmask_b32_e64 v51, 0, 1, s[10:11]
	s_bcnt1_i32_b64 s10, s[14:15]
	v_addc_co_u32_e64 v5, s[6:7], 0, v5, s[6:7]
	v_cmp_le_u64_e32 vcc, s[42:43], v[26:27]
	v_cmp_ne_u32_e64 s[18:19], 0, v51
	v_cmp_ne_u32_e64 s[20:21], 0, v52
	v_add_co_u32_e64 v6, s[6:7], s10, v6
	s_bcnt1_i32_b64 s11, s[18:19]
	s_bcnt1_i32_b64 s12, s[20:21]
	v_addc_co_u32_e64 v7, s[6:7], 0, v7, s[6:7]
	v_add_co_u32_e64 v8, s[6:7], s11, v8
	s_or_b64 s[30:31], vcc, s[30:31]
	v_add_co_u32_e32 v10, vcc, s12, v10
	v_add_u32_e32 v48, s0, v48
	v_addc_co_u32_e64 v9, s[6:7], 0, v9, s[6:7]
	v_addc_co_u32_e32 v11, vcc, 0, v11, vcc
	s_andn2_b64 exec, exec, s[30:31]
	s_cbranch_execnz .LBB132_82
; %bb.83:                               ;   in Loop: Header=BB132_20 Depth=1
	s_or_b64 exec, exec, s[30:31]
.LBB132_84:                             ;   in Loop: Header=BB132_20 Depth=1
	s_or_b64 exec, exec, s[26:27]
	s_lshl_b32 s10, s56, 6
	s_and_saveexec_b64 s[0:1], s[4:5]
	s_cbranch_execnz .LBB132_55
	s_branch .LBB132_56
.LBB132_85:                             ;   in Loop: Header=BB132_20 Depth=1
                                        ; implicit-def: $sgpr0_sgpr1
	s_branch .LBB132_64
.LBB132_86:                             ;   in Loop: Header=BB132_20 Depth=1
	v_mov_b32_e32 v4, 0
	v_mov_b32_e32 v5, 0
	s_mov_b32 s0, 0
.LBB132_87:                             ;   in Loop: Header=BB132_20 Depth=1
	v_readlane_b32 s12, v60, 25
	v_readlane_b32 s13, v60, 26
	s_andn2_b64 vcc, exec, s[12:13]
	s_cbranch_vccnz .LBB132_90
; %bb.88:                               ;   in Loop: Header=BB132_20 Depth=1
	s_lshl_b32 s1, s56, 9
	s_lshl_b32 s0, s0, 5
	s_add_i32 s1, s1, s0
	v_add_u32_e32 v2, s1, v36
	v_readlane_b32 s0, v60, 24
.LBB132_89:                             ;   Parent Loop BB132_20 Depth=1
                                        ; =>  This Inner Loop Header: Depth=2
	ds_read_b64 v[6:7], v2
	s_add_i32 s0, s0, -1
	v_add_u32_e32 v2, 32, v2
	s_cmp_lg_u32 s0, 0
	s_waitcnt lgkmcnt(0)
	v_add_co_u32_e32 v4, vcc, v6, v4
	v_addc_co_u32_e32 v5, vcc, v7, v5, vcc
	s_cbranch_scc1 .LBB132_89
.LBB132_90:                             ;   in Loop: Header=BB132_20 Depth=1
	v_add_lshl_u32 v2, s10, v28, 3
	ds_write_b64 v2, v[4:5] offset:3072
.LBB132_91:                             ;   in Loop: Header=BB132_20 Depth=1
	s_or_b64 exec, exec, s[6:7]
	s_lshl_b32 s0, s10, 3
	v_mov_b32_e32 v2, s0
	s_waitcnt lgkmcnt(0)
	s_barrier
	ds_read_b128 v[8:11], v2 offset:3088
	ds_read_b128 v[4:7], v2 offset:3072
	v_cmp_eq_u64_e64 s[6:7], 1, v[24:25]
	s_lshl_b32 s48, 3, s33
	s_not_b32 s49, s48
	s_waitcnt lgkmcnt(1)
	v_readfirstlane_b32 s76, v8
	s_waitcnt lgkmcnt(0)
	v_cmp_eq_u64_e32 vcc, 1, v[4:5]
	v_readfirstlane_b32 s77, v9
	v_readfirstlane_b32 s14, v10
	;; [unrolled: 1-line block ×3, first 2 shown]
	s_and_b64 s[20:21], vcc, s[6:7]
	s_mov_b64 s[6:7], -1
	s_mov_b64 s[0:1], -1
                                        ; implicit-def: $sgpr26_sgpr27
                                        ; implicit-def: $sgpr22_sgpr23
	s_and_saveexec_b64 s[18:19], s[20:21]
	s_cbranch_execz .LBB132_125
; %bb.92:                               ;   in Loop: Header=BB132_20 Depth=1
	ds_read_b64 v[8:9], v3 offset:5120
	s_waitcnt lgkmcnt(0)
	s_barrier
	v_readfirstlane_b32 s34, v8
	v_readfirstlane_b32 s35, v9
	s_and_saveexec_b64 s[0:1], s[16:17]
; %bb.93:                               ;   in Loop: Header=BB132_20 Depth=1
	ds_write_b16 v39, v3
; %bb.94:                               ;   in Loop: Header=BB132_20 Depth=1
	s_or_b64 exec, exec, s[0:1]
	v_and_b32_e32 v37, s49, v37
	v_or_b32_e32 v46, s48, v46
	s_mov_b64 s[22:23], -1
	s_mov_b64 s[26:27], 0
	s_cmp_eq_u64 s[34:35], 0
	s_mov_b64 s[30:31], 0
	s_mov_b64 s[36:37], -1
	s_waitcnt lgkmcnt(0)
	s_barrier
                                        ; implicit-def: $vgpr47
	s_cbranch_scc1 .LBB132_109
; %bb.95:                               ;   in Loop: Header=BB132_20 Depth=1
	v_readlane_b32 s0, v60, 20
	s_add_u32 s12, s34, s0
	v_readlane_b32 s0, v60, 21
	s_addc_u32 s31, s35, s0
	s_mov_b32 s30, s43
	s_cmp_lg_u64 s[30:31], 0
	s_cbranch_scc0 .LBB132_152
; %bb.96:                               ;   in Loop: Header=BB132_20 Depth=1
	v_cvt_f32_u32_e32 v2, s29
	s_sub_u32 s10, 0, s29
	s_subb_u32 s11, 0, 0
	v_mac_f32_e32 v2, 0, v43
	v_rcp_f32_e32 v2, v2
	v_mul_f32_e32 v2, 0x5f7ffffc, v2
	v_mul_f32_e32 v8, 0x2f800000, v2
	v_trunc_f32_e32 v8, v8
	v_mac_f32_e32 v2, 0xcf800000, v8
	v_cvt_u32_f32_e32 v8, v8
	v_cvt_u32_f32_e32 v2, v2
	v_readfirstlane_b32 s13, v8
	v_readfirstlane_b32 s0, v2
	s_mul_i32 s1, s10, s13
	s_mul_hi_u32 s36, s10, s0
	s_mul_i32 s30, s11, s0
	s_add_i32 s1, s36, s1
	s_mul_i32 s37, s10, s0
	s_add_i32 s1, s1, s30
	s_mul_hi_u32 s36, s0, s37
	s_mul_i32 s42, s0, s1
	s_mul_hi_u32 s30, s0, s1
	s_add_u32 s36, s36, s42
	s_addc_u32 s30, 0, s30
	s_mul_hi_u32 s50, s13, s37
	s_mul_i32 s37, s13, s37
	s_add_u32 s36, s36, s37
	s_mul_hi_u32 s42, s13, s1
	s_addc_u32 s30, s30, s50
	s_addc_u32 s36, s42, 0
	s_mul_i32 s1, s13, s1
	s_add_u32 s1, s30, s1
	s_addc_u32 s30, 0, s36
	s_add_u32 s36, s0, s1
	s_cselect_b64 s[0:1], -1, 0
	s_cmp_lg_u64 s[0:1], 0
	s_addc_u32 s13, s13, s30
	s_mul_i32 s0, s10, s13
	s_mul_hi_u32 s1, s10, s36
	s_add_i32 s0, s1, s0
	s_mul_i32 s11, s11, s36
	s_add_i32 s0, s0, s11
	s_mul_i32 s10, s10, s36
	s_mul_hi_u32 s11, s13, s10
	s_mul_i32 s30, s13, s10
	s_mul_i32 s42, s36, s0
	s_mul_hi_u32 s10, s36, s10
	s_mul_hi_u32 s37, s36, s0
	s_add_u32 s10, s10, s42
	s_addc_u32 s37, 0, s37
	s_add_u32 s10, s10, s30
	s_mul_hi_u32 s1, s13, s0
	s_addc_u32 s10, s37, s11
	s_addc_u32 s1, s1, 0
	s_mul_i32 s0, s13, s0
	s_add_u32 s0, s10, s0
	s_addc_u32 s10, 0, s1
	s_add_u32 s11, s36, s0
	s_cselect_b64 s[0:1], -1, 0
	s_cmp_lg_u64 s[0:1], 0
	s_addc_u32 s0, s13, s10
	s_mul_i32 s10, s12, s0
	s_mul_hi_u32 s13, s12, s11
	s_mul_hi_u32 s1, s12, s0
	s_add_u32 s10, s13, s10
	s_addc_u32 s1, 0, s1
	s_mul_hi_u32 s30, s31, s11
	s_mul_i32 s11, s31, s11
	s_add_u32 s10, s10, s11
	s_mul_hi_u32 s13, s31, s0
	s_addc_u32 s1, s1, s30
	s_addc_u32 s10, s13, 0
	s_mul_i32 s0, s31, s0
	s_add_u32 s0, s1, s0
	s_addc_u32 s1, 0, s10
	s_mul_i32 s1, s29, s1
	s_mul_hi_u32 s10, s29, s0
	s_add_i32 s10, s10, s1
	s_mul_i32 s0, s29, s0
	s_sub_u32 s11, s12, s0
	s_cselect_b64 s[0:1], -1, 0
	s_cmp_lg_u64 s[0:1], 0
	s_subb_u32 s10, s31, s10
	s_sub_u32 s13, s11, s29
	s_cselect_b64 s[0:1], -1, 0
	s_cmp_lg_u64 s[0:1], 0
	s_subb_u32 s30, s10, 0
	;; [unrolled: 4-line block ×3, first 2 shown]
	s_cmp_ge_u32 s13, s29
	s_cselect_b32 s1, -1, 0
	s_cmp_eq_u32 s30, 0
	s_cselect_b32 s1, s1, -1
	s_cmp_lg_u32 s1, 0
	s_cselect_b32 s0, s0, s30
	s_cselect_b32 s13, s36, s13
	s_cmp_ge_u32 s11, s29
	s_cselect_b32 s1, -1, 0
	s_cmp_eq_u32 s10, 0
	s_cselect_b32 s1, s1, -1
	s_cmp_lg_u32 s1, 0
	s_cselect_b32 s1, s0, s10
	s_cselect_b32 s0, s13, s11
	s_cbranch_execnz .LBB132_98
.LBB132_97:                             ;   in Loop: Header=BB132_20 Depth=1
	v_cvt_f32_u32_e32 v2, s29
	s_sub_i32 s0, 0, s29
	v_rcp_iflag_f32_e32 v2, v2
	v_mul_f32_e32 v2, 0x4f7ffffe, v2
	v_cvt_u32_f32_e32 v2, v2
	v_readfirstlane_b32 s1, v2
	s_mul_i32 s0, s0, s1
	s_mul_hi_u32 s0, s1, s0
	s_add_i32 s1, s1, s0
	s_mul_hi_u32 s0, s12, s1
	s_mul_i32 s0, s0, s29
	s_sub_i32 s0, s12, s0
	s_sub_i32 s1, s0, s29
	s_cmp_ge_u32 s0, s29
	s_cselect_b32 s0, s1, s0
	s_sub_i32 s1, s0, s29
	s_cmp_ge_u32 s0, s29
	s_cselect_b32 s42, s1, s0
	s_mov_b64 s[0:1], s[42:43]
.LBB132_98:                             ;   in Loop: Header=BB132_20 Depth=1
	s_sub_u32 s10, s12, s0
	s_subb_u32 s11, s31, s1
	v_cmp_gt_u64_e32 vcc, s[10:11], v[0:1]
	s_mov_b64 s[36:37], 0
	s_mov_b64 s[30:31], 0
                                        ; implicit-def: $vgpr47
	s_and_saveexec_b64 s[12:13], vcc
	s_cbranch_execz .LBB132_108
; %bb.99:                               ;   in Loop: Header=BB132_20 Depth=1
	v_mov_b32_e32 v9, v1
	v_mov_b32_e32 v2, v38
	;; [unrolled: 1-line block ×3, first 2 shown]
                                        ; implicit-def: $sgpr0_sgpr1
	s_branch .LBB132_103
.LBB132_100:                            ;   in Loop: Header=BB132_103 Depth=2
	s_or_b64 exec, exec, s[54:55]
	s_waitcnt lgkmcnt(0)
	s_barrier
	ds_read_b32 v10, v3 offset:3072
	s_waitcnt lgkmcnt(0)
	s_barrier
	v_cmp_neq_f16_e32 vcc, 0, v10
	s_cbranch_vccnz .LBB132_106
; %bb.101:                              ;   in Loop: Header=BB132_103 Depth=2
	v_add_co_u32_e32 v8, vcc, s29, v8
	v_addc_co_u32_e32 v9, vcc, 0, v9, vcc
	v_cmp_le_u64_e32 vcc, s[10:11], v[8:9]
	v_add_u32_e32 v2, s2, v2
	s_mov_b64 s[54:55], 0
	s_orn2_b64 s[78:79], vcc, exec
.LBB132_102:                            ;   in Loop: Header=BB132_103 Depth=2
	s_and_b64 s[78:79], exec, s[78:79]
	s_or_b64 s[30:31], s[78:79], s[30:31]
	s_andn2_b64 s[0:1], s[0:1], exec
	s_and_b64 s[54:55], s[54:55], exec
	s_or_b64 s[0:1], s[0:1], s[54:55]
	s_andn2_b64 exec, exec, s[30:31]
	s_cbranch_execz .LBB132_107
.LBB132_103:                            ;   Parent Loop BB132_20 Depth=1
                                        ; =>  This Inner Loop Header: Depth=2
	v_cmp_gt_u64_e32 vcc, s[34:35], v[8:9]
	s_and_saveexec_b64 s[54:55], vcc
	s_cbranch_execz .LBB132_100
; %bb.104:                              ;   in Loop: Header=BB132_103 Depth=2
	ds_read_u16 v10, v2
	s_waitcnt lgkmcnt(0)
	v_cmp_lt_i16_e32 vcc, -1, v10
	v_cndmask_b32_e32 v11, v41, v42, vcc
	v_xor_b32_sdwa v11, v11, v10 dst_sel:DWORD dst_unused:UNUSED_PAD src0_sel:DWORD src1_sel:WORD_0
	v_cmp_o_f16_e32 vcc, v10, v10
	v_cndmask_b32_e32 v11, v41, v11, vcc
	v_and_b32_e32 v11, v11, v46
	v_cmp_eq_u32_e32 vcc, v11, v37
	s_and_b64 exec, exec, vcc
	s_cbranch_execz .LBB132_100
; %bb.105:                              ;   in Loop: Header=BB132_103 Depth=2
	v_perm_b32 v10, v10, s3, v45
	ds_write_b32 v3, v10 offset:3072
	s_branch .LBB132_100
.LBB132_106:                            ;   in Loop: Header=BB132_103 Depth=2
	s_mov_b64 s[78:79], -1
                                        ; implicit-def: $vgpr8_vgpr9
                                        ; implicit-def: $vgpr2
	s_mov_b64 s[54:55], -1
	s_branch .LBB132_102
.LBB132_107:                            ;   in Loop: Header=BB132_20 Depth=1
	s_or_b64 exec, exec, s[30:31]
	v_readlane_b32 s54, v60, 27
	v_lshrrev_b32_e32 v47, 16, v10
	s_and_b64 s[30:31], s[0:1], exec
	v_readlane_b32 s55, v60, 28
.LBB132_108:                            ;   in Loop: Header=BB132_20 Depth=1
	s_or_b64 exec, exec, s[12:13]
.LBB132_109:                            ;   in Loop: Header=BB132_20 Depth=1
	s_and_b64 vcc, exec, s[36:37]
	s_cbranch_vccz .LBB132_124
; %bb.110:                              ;   in Loop: Header=BB132_20 Depth=1
	s_mov_b32 s50, s43
	s_cmp_lg_u64 s[50:51], 0
	s_cbranch_scc0 .LBB132_156
; %bb.111:                              ;   in Loop: Header=BB132_20 Depth=1
	v_cvt_f32_u32_e32 v2, s29
	s_sub_u32 s10, 0, s29
	s_subb_u32 s11, 0, 0
	v_mac_f32_e32 v2, 0, v43
	v_rcp_f32_e32 v2, v2
	v_mul_f32_e32 v2, 0x5f7ffffc, v2
	v_mul_f32_e32 v8, 0x2f800000, v2
	v_trunc_f32_e32 v8, v8
	v_mac_f32_e32 v2, 0xcf800000, v8
	v_cvt_u32_f32_e32 v8, v8
	v_cvt_u32_f32_e32 v2, v2
	v_readfirstlane_b32 s12, v8
	v_readfirstlane_b32 s0, v2
	s_mul_i32 s1, s10, s12
	s_mul_hi_u32 s22, s10, s0
	s_mul_i32 s13, s11, s0
	s_add_i32 s1, s22, s1
	s_mul_i32 s23, s10, s0
	s_add_i32 s1, s1, s13
	s_mul_hi_u32 s22, s0, s23
	s_mul_i32 s26, s0, s1
	s_mul_hi_u32 s13, s0, s1
	s_add_u32 s22, s22, s26
	s_addc_u32 s13, 0, s13
	s_mul_hi_u32 s27, s12, s23
	s_mul_i32 s23, s12, s23
	s_add_u32 s22, s22, s23
	s_mul_hi_u32 s26, s12, s1
	s_addc_u32 s13, s13, s27
	s_addc_u32 s22, s26, 0
	s_mul_i32 s1, s12, s1
	s_add_u32 s1, s13, s1
	s_addc_u32 s13, 0, s22
	s_add_u32 s22, s0, s1
	s_cselect_b64 s[0:1], -1, 0
	s_cmp_lg_u64 s[0:1], 0
	s_addc_u32 s12, s12, s13
	s_mul_i32 s0, s10, s12
	s_mul_hi_u32 s1, s10, s22
	s_add_i32 s0, s1, s0
	s_mul_i32 s11, s11, s22
	s_add_i32 s0, s0, s11
	s_mul_i32 s10, s10, s22
	s_mul_hi_u32 s11, s12, s10
	s_mul_i32 s13, s12, s10
	s_mul_i32 s26, s22, s0
	s_mul_hi_u32 s10, s22, s10
	s_mul_hi_u32 s23, s22, s0
	s_add_u32 s10, s10, s26
	s_addc_u32 s23, 0, s23
	s_add_u32 s10, s10, s13
	s_mul_hi_u32 s1, s12, s0
	s_addc_u32 s10, s23, s11
	s_addc_u32 s1, s1, 0
	s_mul_i32 s0, s12, s0
	s_add_u32 s0, s10, s0
	s_addc_u32 s10, 0, s1
	s_add_u32 s11, s22, s0
	s_cselect_b64 s[0:1], -1, 0
	s_cmp_lg_u64 s[0:1], 0
	s_addc_u32 s0, s12, s10
	s_mul_i32 s10, s57, s0
	s_mul_hi_u32 s12, s57, s11
	s_mul_hi_u32 s1, s57, s0
	s_add_u32 s10, s12, s10
	s_addc_u32 s1, 0, s1
	s_mul_hi_u32 s13, s51, s11
	s_mul_i32 s11, s51, s11
	s_add_u32 s10, s10, s11
	s_mul_hi_u32 s12, s51, s0
	s_addc_u32 s1, s1, s13
	s_addc_u32 s10, s12, 0
	s_mul_i32 s0, s51, s0
	s_add_u32 s0, s1, s0
	s_addc_u32 s1, 0, s10
	s_mul_i32 s1, s29, s1
	s_mul_hi_u32 s10, s29, s0
	s_add_i32 s10, s10, s1
	s_mul_i32 s0, s29, s0
	s_sub_u32 s11, s57, s0
	s_cselect_b64 s[0:1], -1, 0
	s_cmp_lg_u64 s[0:1], 0
	s_subb_u32 s10, s51, s10
	s_sub_u32 s12, s11, s29
	s_cselect_b64 s[0:1], -1, 0
	s_cmp_lg_u64 s[0:1], 0
	s_subb_u32 s13, s10, 0
	;; [unrolled: 4-line block ×3, first 2 shown]
	s_cmp_ge_u32 s12, s29
	s_cselect_b32 s1, -1, 0
	s_cmp_eq_u32 s13, 0
	s_cselect_b32 s1, s1, -1
	s_cmp_lg_u32 s1, 0
	s_cselect_b32 s0, s0, s13
	s_cselect_b32 s12, s22, s12
	s_cmp_ge_u32 s11, s29
	s_cselect_b32 s1, -1, 0
	s_cmp_eq_u32 s10, 0
	s_cselect_b32 s1, s1, -1
	s_cmp_lg_u32 s1, 0
	s_cselect_b32 s1, s0, s10
	s_cselect_b32 s0, s12, s11
	s_cbranch_execnz .LBB132_113
.LBB132_112:                            ;   in Loop: Header=BB132_20 Depth=1
	v_cvt_f32_u32_e32 v2, s29
	s_sub_i32 s0, 0, s29
	v_rcp_iflag_f32_e32 v2, v2
	v_mul_f32_e32 v2, 0x4f7ffffe, v2
	v_cvt_u32_f32_e32 v2, v2
	v_readfirstlane_b32 s1, v2
	s_mul_i32 s0, s0, s1
	s_mul_hi_u32 s0, s1, s0
	s_add_i32 s1, s1, s0
	s_mul_hi_u32 s0, s57, s1
	s_mul_i32 s0, s0, s29
	s_sub_i32 s0, s57, s0
	s_sub_i32 s1, s0, s29
	s_cmp_ge_u32 s0, s29
	s_cselect_b32 s0, s1, s0
	s_sub_i32 s1, s0, s29
	s_cmp_ge_u32 s0, s29
	s_cselect_b32 s42, s1, s0
	s_mov_b64 s[0:1], s[42:43]
.LBB132_113:                            ;   in Loop: Header=BB132_20 Depth=1
	s_sub_u32 s26, s57, s0
	s_subb_u32 s27, s51, s1
	v_cmp_gt_u64_e32 vcc, s[26:27], v[0:1]
                                        ; implicit-def: $vgpr47
	s_and_saveexec_b64 s[22:23], vcc
	s_cbranch_execz .LBB132_123
; %bb.114:                              ;   in Loop: Header=BB132_20 Depth=1
	v_mov_b32_e32 v8, v12
	v_mov_b32_e32 v11, v1
	s_mov_b64 s[10:11], 0
	v_mov_b32_e32 v9, v13
	v_mov_b32_e32 v10, v0
                                        ; implicit-def: $sgpr12_sgpr13
	s_branch .LBB132_118
.LBB132_115:                            ;   in Loop: Header=BB132_118 Depth=2
	s_or_b64 exec, exec, s[0:1]
	s_waitcnt lgkmcnt(0)
	s_barrier
	ds_read_b32 v2, v3 offset:3072
	s_waitcnt lgkmcnt(0)
	s_barrier
	v_cmp_neq_f16_e32 vcc, 0, v2
	s_cbranch_vccnz .LBB132_121
; %bb.116:                              ;   in Loop: Header=BB132_118 Depth=2
	v_add_co_u32_e32 v10, vcc, s29, v10
	v_addc_co_u32_e32 v11, vcc, 0, v11, vcc
	v_mov_b32_e32 v26, s47
	v_add_co_u32_e32 v8, vcc, s46, v8
	v_addc_co_u32_e32 v9, vcc, v9, v26, vcc
	v_cmp_le_u64_e32 vcc, s[26:27], v[10:11]
	s_mov_b64 s[0:1], 0
	s_orn2_b64 s[34:35], vcc, exec
.LBB132_117:                            ;   in Loop: Header=BB132_118 Depth=2
	s_and_b64 s[34:35], exec, s[34:35]
	s_or_b64 s[10:11], s[34:35], s[10:11]
	s_andn2_b64 s[12:13], s[12:13], exec
	s_and_b64 s[0:1], s[0:1], exec
	s_or_b64 s[12:13], s[12:13], s[0:1]
	s_andn2_b64 exec, exec, s[10:11]
	s_cbranch_execz .LBB132_122
.LBB132_118:                            ;   Parent Loop BB132_20 Depth=1
                                        ; =>  This Inner Loop Header: Depth=2
	v_cmp_gt_u64_e32 vcc, s[24:25], v[10:11]
	s_and_saveexec_b64 s[0:1], vcc
	s_cbranch_execz .LBB132_115
; %bb.119:                              ;   in Loop: Header=BB132_118 Depth=2
	global_load_ushort v2, v[8:9], off
	s_waitcnt vmcnt(0)
	v_cmp_lt_i16_e32 vcc, -1, v2
	v_cndmask_b32_e32 v26, v41, v42, vcc
	v_xor_b32_sdwa v26, v26, v2 dst_sel:DWORD dst_unused:UNUSED_PAD src0_sel:DWORD src1_sel:WORD_0
	v_cmp_o_f16_e32 vcc, v2, v2
	v_cndmask_b32_e32 v26, v41, v26, vcc
	v_and_b32_e32 v26, v26, v46
	v_cmp_eq_u32_e32 vcc, v26, v37
	s_and_b64 exec, exec, vcc
	s_cbranch_execz .LBB132_115
; %bb.120:                              ;   in Loop: Header=BB132_118 Depth=2
	v_perm_b32 v2, v2, s3, v45
	ds_write_b32 v3, v2 offset:3072
	s_branch .LBB132_115
.LBB132_121:                            ;   in Loop: Header=BB132_118 Depth=2
	s_mov_b64 s[34:35], -1
                                        ; implicit-def: $vgpr10_vgpr11
                                        ; implicit-def: $vgpr8_vgpr9
	s_mov_b64 s[0:1], -1
	s_branch .LBB132_117
.LBB132_122:                            ;   in Loop: Header=BB132_20 Depth=1
	s_or_b64 exec, exec, s[10:11]
	s_andn2_b64 s[0:1], s[30:31], exec
	s_and_b64 s[10:11], s[12:13], exec
	v_lshrrev_b32_e32 v47, 16, v2
	s_or_b64 s[30:31], s[0:1], s[10:11]
.LBB132_123:                            ;   in Loop: Header=BB132_20 Depth=1
	s_or_b64 exec, exec, s[22:23]
	s_mov_b64 s[22:23], 0
	s_mov_b64 s[26:27], -1
.LBB132_124:                            ;   in Loop: Header=BB132_20 Depth=1
	s_orn2_b64 s[0:1], s[30:31], exec
.LBB132_125:                            ;   in Loop: Header=BB132_20 Depth=1
	s_or_b64 exec, exec, s[18:19]
	s_andn2_b64 s[10:11], s[74:75], exec
	s_and_b64 s[12:13], s[26:27], exec
	s_or_b64 s[74:75], s[10:11], s[12:13]
	s_andn2_b64 s[10:11], s[72:73], exec
	s_and_b64 s[12:13], s[22:23], exec
	s_andn2_b64 s[70:71], s[70:71], exec
	s_or_b64 s[72:73], s[10:11], s[12:13]
                                        ; implicit-def: $vgpr8_vgpr9
	s_and_saveexec_b64 s[18:19], s[0:1]
	s_cbranch_execz .LBB132_19
; %bb.126:                              ;   in Loop: Header=BB132_20 Depth=1
	v_mov_b32_e32 v8, 1
	s_xor_b64 s[0:1], s[20:21], -1
	v_mov_b32_e32 v2, 1
	v_mov_b32_e32 v9, 0
	s_mov_b64 s[10:11], 0
	s_and_saveexec_b64 s[6:7], s[0:1]
	s_cbranch_execz .LBB132_135
; %bb.127:                              ;   in Loop: Header=BB132_20 Depth=1
	v_cmp_le_u64_e32 vcc, v[24:25], v[4:5]
	s_and_saveexec_b64 s[0:1], vcc
	s_xor_b64 s[0:1], exec, s[0:1]
	s_cbranch_execz .LBB132_132
; %bb.128:                              ;   in Loop: Header=BB132_20 Depth=1
	ds_read_b64 v[8:9], v3 offset:5120
	v_and_b32_e32 v37, s49, v37
	v_or_b32_e32 v46, s48, v46
	s_waitcnt lgkmcnt(0)
	v_cmp_ne_u64_e32 vcc, 0, v[8:9]
	s_cbranch_vccnz .LBB132_132
; %bb.129:                              ;   in Loop: Header=BB132_20 Depth=1
	s_mov_b64 s[10:11], exec
	v_readlane_b32 s12, v60, 12
	v_readlane_b32 s13, v60, 13
	s_and_b64 s[12:13], s[10:11], s[12:13]
	s_mov_b64 exec, s[12:13]
; %bb.130:                              ;   in Loop: Header=BB132_20 Depth=1
	ds_write_b64 v3, v[4:5] offset:5128
; %bb.131:                              ;   in Loop: Header=BB132_20 Depth=1
	s_or_b64 exec, exec, s[10:11]
	s_waitcnt lgkmcnt(0)
	s_barrier
.LBB132_132:                            ;   in Loop: Header=BB132_20 Depth=1
	s_or_saveexec_b64 s[0:1], s[0:1]
	s_mov_b64 s[10:11], 0
	v_mov_b32_e32 v2, 8
	s_xor_b64 exec, exec, s[0:1]
; %bb.133:                              ;   in Loop: Header=BB132_20 Depth=1
	v_sub_co_u32_e32 v24, vcc, v24, v4
	s_mov_b64 s[10:11], exec
	v_subb_co_u32_e32 v25, vcc, v25, v5, vcc
	v_mov_b32_e32 v2, 0
; %bb.134:                              ;   in Loop: Header=BB132_20 Depth=1
	s_or_b64 exec, exec, s[0:1]
	v_mov_b32_e32 v8, v24
	s_and_b64 s[10:11], s[10:11], exec
	v_mov_b32_e32 v9, v25
.LBB132_135:                            ;   in Loop: Header=BB132_20 Depth=1
	s_or_b64 exec, exec, s[6:7]
	s_mov_b64 s[20:21], -1
	s_mov_b64 s[0:1], -1
                                        ; implicit-def: $sgpr6_sgpr7
                                        ; implicit-def: $sgpr78_sgpr79
	s_and_saveexec_b64 s[12:13], s[10:11]
	s_xor_b64 s[22:23], exec, s[12:13]
	s_cbranch_execz .LBB132_286
; %bb.136:                              ;   in Loop: Header=BB132_20 Depth=1
	v_cmp_eq_u64_e32 vcc, 1, v[6:7]
	v_cmp_eq_u64_e64 s[6:7], 1, v[8:9]
                                        ; implicit-def: $sgpr78_sgpr79
	s_and_b64 s[82:83], vcc, s[6:7]
                                        ; implicit-def: $sgpr6_sgpr7
	s_and_saveexec_b64 s[80:81], s[82:83]
	s_cbranch_execz .LBB132_175
; %bb.137:                              ;   in Loop: Header=BB132_20 Depth=1
	ds_read_b64 v[4:5], v3 offset:5120
	s_waitcnt lgkmcnt(0)
	s_barrier
	v_readfirstlane_b32 s30, v4
	v_readfirstlane_b32 s31, v5
	s_and_saveexec_b64 s[0:1], s[16:17]
; %bb.138:                              ;   in Loop: Header=BB132_20 Depth=1
	ds_write_b16 v39, v3
; %bb.139:                              ;   in Loop: Header=BB132_20 Depth=1
	s_or_b64 exec, exec, s[0:1]
	v_and_b32_e32 v4, s49, v37
	v_lshl_or_b32 v37, 1, s33, v4
	v_or_b32_e32 v46, s48, v46
	s_mov_b64 s[6:7], -1
	s_mov_b64 s[78:79], 0
	s_cmp_eq_u64 s[30:31], 0
	s_mov_b64 s[26:27], 0
	s_mov_b64 s[34:35], -1
	s_waitcnt lgkmcnt(0)
	s_barrier
                                        ; implicit-def: $vgpr47
	s_cbranch_scc1 .LBB132_159
; %bb.140:                              ;   in Loop: Header=BB132_20 Depth=1
	v_readlane_b32 s0, v60, 20
	s_add_u32 s12, s30, s0
	v_readlane_b32 s0, v60, 21
	s_addc_u32 s27, s31, s0
	s_mov_b32 s26, s43
	s_cmp_lg_u64 s[26:27], 0
	s_cbranch_scc0 .LBB132_203
; %bb.141:                              ;   in Loop: Header=BB132_20 Depth=1
	v_cvt_f32_u32_e32 v4, s29
	s_sub_u32 s10, 0, s29
	s_subb_u32 s11, 0, 0
	v_mac_f32_e32 v4, 0, v43
	v_rcp_f32_e32 v4, v4
	v_mul_f32_e32 v4, 0x5f7ffffc, v4
	v_mul_f32_e32 v5, 0x2f800000, v4
	v_trunc_f32_e32 v5, v5
	v_mac_f32_e32 v4, 0xcf800000, v5
	v_cvt_u32_f32_e32 v5, v5
	v_cvt_u32_f32_e32 v4, v4
	v_readfirstlane_b32 s13, v5
	v_readfirstlane_b32 s0, v4
	s_mul_i32 s1, s10, s13
	s_mul_hi_u32 s34, s10, s0
	s_mul_i32 s26, s11, s0
	s_add_i32 s1, s34, s1
	s_mul_i32 s35, s10, s0
	s_add_i32 s1, s1, s26
	s_mul_hi_u32 s34, s0, s35
	s_mul_i32 s36, s0, s1
	s_mul_hi_u32 s26, s0, s1
	s_add_u32 s34, s34, s36
	s_addc_u32 s26, 0, s26
	s_mul_hi_u32 s37, s13, s35
	s_mul_i32 s35, s13, s35
	s_add_u32 s34, s34, s35
	s_mul_hi_u32 s36, s13, s1
	s_addc_u32 s26, s26, s37
	s_addc_u32 s34, s36, 0
	s_mul_i32 s1, s13, s1
	s_add_u32 s1, s26, s1
	s_addc_u32 s26, 0, s34
	s_add_u32 s34, s0, s1
	s_cselect_b64 s[0:1], -1, 0
	s_cmp_lg_u64 s[0:1], 0
	s_addc_u32 s13, s13, s26
	s_mul_i32 s0, s10, s13
	s_mul_hi_u32 s1, s10, s34
	s_add_i32 s0, s1, s0
	s_mul_i32 s11, s11, s34
	s_add_i32 s0, s0, s11
	s_mul_i32 s10, s10, s34
	s_mul_hi_u32 s11, s13, s10
	s_mul_i32 s26, s13, s10
	s_mul_i32 s36, s34, s0
	s_mul_hi_u32 s10, s34, s10
	s_mul_hi_u32 s35, s34, s0
	s_add_u32 s10, s10, s36
	s_addc_u32 s35, 0, s35
	s_add_u32 s10, s10, s26
	s_mul_hi_u32 s1, s13, s0
	s_addc_u32 s10, s35, s11
	s_addc_u32 s1, s1, 0
	s_mul_i32 s0, s13, s0
	s_add_u32 s0, s10, s0
	s_addc_u32 s10, 0, s1
	s_add_u32 s11, s34, s0
	s_cselect_b64 s[0:1], -1, 0
	s_cmp_lg_u64 s[0:1], 0
	s_addc_u32 s0, s13, s10
	s_mul_i32 s10, s12, s0
	s_mul_hi_u32 s13, s12, s11
	s_mul_hi_u32 s1, s12, s0
	s_add_u32 s10, s13, s10
	s_addc_u32 s1, 0, s1
	s_mul_hi_u32 s26, s27, s11
	s_mul_i32 s11, s27, s11
	s_add_u32 s10, s10, s11
	s_mul_hi_u32 s13, s27, s0
	s_addc_u32 s1, s1, s26
	s_addc_u32 s10, s13, 0
	s_mul_i32 s0, s27, s0
	s_add_u32 s0, s1, s0
	s_addc_u32 s1, 0, s10
	s_mul_i32 s1, s29, s1
	s_mul_hi_u32 s10, s29, s0
	s_add_i32 s10, s10, s1
	s_mul_i32 s0, s29, s0
	s_sub_u32 s11, s12, s0
	s_cselect_b64 s[0:1], -1, 0
	s_cmp_lg_u64 s[0:1], 0
	s_subb_u32 s10, s27, s10
	s_sub_u32 s13, s11, s29
	s_cselect_b64 s[0:1], -1, 0
	s_cmp_lg_u64 s[0:1], 0
	s_subb_u32 s26, s10, 0
	;; [unrolled: 4-line block ×3, first 2 shown]
	s_cmp_ge_u32 s13, s29
	s_cselect_b32 s1, -1, 0
	s_cmp_eq_u32 s26, 0
	s_cselect_b32 s1, s1, -1
	s_cmp_lg_u32 s1, 0
	s_cselect_b32 s0, s0, s26
	s_cselect_b32 s13, s34, s13
	s_cmp_ge_u32 s11, s29
	s_cselect_b32 s1, -1, 0
	s_cmp_eq_u32 s10, 0
	s_cselect_b32 s1, s1, -1
	s_cmp_lg_u32 s1, 0
	s_cselect_b32 s1, s0, s10
	s_cselect_b32 s0, s13, s11
	s_cbranch_execnz .LBB132_143
.LBB132_142:                            ;   in Loop: Header=BB132_20 Depth=1
	v_cvt_f32_u32_e32 v4, s29
	s_sub_i32 s0, 0, s29
	v_rcp_iflag_f32_e32 v4, v4
	v_mul_f32_e32 v4, 0x4f7ffffe, v4
	v_cvt_u32_f32_e32 v4, v4
	v_readfirstlane_b32 s1, v4
	s_mul_i32 s0, s0, s1
	s_mul_hi_u32 s0, s1, s0
	s_add_i32 s1, s1, s0
	s_mul_hi_u32 s0, s12, s1
	s_mul_i32 s0, s0, s29
	s_sub_i32 s0, s12, s0
	s_sub_i32 s1, s0, s29
	s_cmp_ge_u32 s0, s29
	s_cselect_b32 s0, s1, s0
	s_sub_i32 s1, s0, s29
	s_cmp_ge_u32 s0, s29
	s_cselect_b32 s42, s1, s0
	s_mov_b64 s[0:1], s[42:43]
.LBB132_143:                            ;   in Loop: Header=BB132_20 Depth=1
	s_sub_u32 s12, s12, s0
	s_subb_u32 s13, s27, s1
	v_cmp_gt_u64_e32 vcc, s[12:13], v[0:1]
	s_mov_b64 s[34:35], 0
	s_mov_b64 s[26:27], 0
                                        ; implicit-def: $vgpr47
	s_and_saveexec_b64 s[36:37], vcc
	s_cbranch_execz .LBB132_158
; %bb.144:                              ;   in Loop: Header=BB132_20 Depth=1
	v_mov_b32_e32 v5, v1
	s_mov_b64 s[10:11], 0
	v_mov_b32_e32 v10, v38
	v_mov_b32_e32 v4, v0
                                        ; implicit-def: $sgpr26_sgpr27
	s_branch .LBB132_148
.LBB132_145:                            ;   in Loop: Header=BB132_148 Depth=2
	s_or_b64 exec, exec, s[0:1]
	s_waitcnt lgkmcnt(0)
	s_barrier
	ds_read_b32 v11, v3 offset:3072
	s_waitcnt lgkmcnt(0)
	s_barrier
	v_cmp_neq_f16_e32 vcc, 0, v11
	s_cbranch_vccnz .LBB132_151
; %bb.146:                              ;   in Loop: Header=BB132_148 Depth=2
	v_add_co_u32_e32 v4, vcc, s29, v4
	v_addc_co_u32_e32 v5, vcc, 0, v5, vcc
	v_cmp_le_u64_e32 vcc, s[12:13], v[4:5]
	v_add_u32_e32 v10, s2, v10
	s_mov_b64 s[0:1], 0
	s_orn2_b64 s[54:55], vcc, exec
.LBB132_147:                            ;   in Loop: Header=BB132_148 Depth=2
	s_and_b64 s[54:55], exec, s[54:55]
	s_or_b64 s[10:11], s[54:55], s[10:11]
	s_andn2_b64 s[26:27], s[26:27], exec
	s_and_b64 s[0:1], s[0:1], exec
	s_or_b64 s[26:27], s[26:27], s[0:1]
	s_andn2_b64 exec, exec, s[10:11]
	s_cbranch_execz .LBB132_157
.LBB132_148:                            ;   Parent Loop BB132_20 Depth=1
                                        ; =>  This Inner Loop Header: Depth=2
	v_cmp_gt_u64_e32 vcc, s[30:31], v[4:5]
	s_and_saveexec_b64 s[0:1], vcc
	s_cbranch_execz .LBB132_145
; %bb.149:                              ;   in Loop: Header=BB132_148 Depth=2
	ds_read_u16 v11, v10
	s_waitcnt lgkmcnt(0)
	v_cmp_lt_i16_e32 vcc, -1, v11
	v_cndmask_b32_e32 v24, v41, v42, vcc
	v_xor_b32_sdwa v24, v24, v11 dst_sel:DWORD dst_unused:UNUSED_PAD src0_sel:DWORD src1_sel:WORD_0
	v_cmp_o_f16_e32 vcc, v11, v11
	v_cndmask_b32_e32 v24, v41, v24, vcc
	v_and_b32_e32 v24, v24, v46
	v_cmp_eq_u32_e32 vcc, v24, v37
	s_and_b64 exec, exec, vcc
	s_cbranch_execz .LBB132_145
; %bb.150:                              ;   in Loop: Header=BB132_148 Depth=2
	v_perm_b32 v11, v11, s3, v45
	ds_write_b32 v3, v11 offset:3072
	s_branch .LBB132_145
.LBB132_151:                            ;   in Loop: Header=BB132_148 Depth=2
	s_mov_b64 s[54:55], -1
                                        ; implicit-def: $vgpr4_vgpr5
                                        ; implicit-def: $vgpr10
	s_mov_b64 s[0:1], -1
	s_branch .LBB132_147
.LBB132_152:                            ;   in Loop: Header=BB132_20 Depth=1
                                        ; implicit-def: $sgpr0_sgpr1
	s_branch .LBB132_97
.LBB132_153:                            ;   in Loop: Header=BB132_20 Depth=1
	s_or_b64 exec, exec, s[20:21]
	s_waitcnt lgkmcnt(0)
	s_barrier
	s_mov_b64 s[0:1], exec
	v_readlane_b32 s6, v60, 12
	v_readlane_b32 s7, v60, 13
	s_and_b64 s[6:7], s[0:1], s[6:7]
	s_mov_b64 exec, s[6:7]
	s_cbranch_execz .LBB132_155
; %bb.154:                              ;   in Loop: Header=BB132_20 Depth=1
	ds_read_b32 v4, v3 offset:5144
	s_waitcnt lgkmcnt(0)
	v_ashrrev_i32_e32 v5, 31, v4
	ds_write_b64 v3, v[4:5] offset:5120
.LBB132_155:                            ;   in Loop: Header=BB132_20 Depth=1
	s_or_b64 exec, exec, s[0:1]
	s_waitcnt lgkmcnt(0)
	s_barrier
	s_mov_b64 s[0:1], -1
	s_and_b64 vcc, exec, s[18:19]
	s_cbranch_vccnz .LBB132_35
	s_branch .LBB132_50
.LBB132_156:                            ;   in Loop: Header=BB132_20 Depth=1
                                        ; implicit-def: $sgpr0_sgpr1
	s_branch .LBB132_112
.LBB132_157:                            ;   in Loop: Header=BB132_20 Depth=1
	s_or_b64 exec, exec, s[10:11]
	v_readlane_b32 s54, v60, 27
	v_lshrrev_b32_e32 v47, 16, v11
	s_and_b64 s[26:27], s[26:27], exec
	v_readlane_b32 s55, v60, 28
.LBB132_158:                            ;   in Loop: Header=BB132_20 Depth=1
	s_or_b64 exec, exec, s[36:37]
.LBB132_159:                            ;   in Loop: Header=BB132_20 Depth=1
	s_and_b64 vcc, exec, s[34:35]
	s_cbranch_vccz .LBB132_174
; %bb.160:                              ;   in Loop: Header=BB132_20 Depth=1
	s_mov_b32 s50, s43
	s_cmp_lg_u64 s[50:51], 0
	s_cbranch_scc0 .LBB132_204
; %bb.161:                              ;   in Loop: Header=BB132_20 Depth=1
	v_cvt_f32_u32_e32 v4, s29
	s_sub_u32 s6, 0, s29
	s_subb_u32 s7, 0, 0
	v_mac_f32_e32 v4, 0, v43
	v_rcp_f32_e32 v4, v4
	v_mul_f32_e32 v4, 0x5f7ffffc, v4
	v_mul_f32_e32 v5, 0x2f800000, v4
	v_trunc_f32_e32 v5, v5
	v_mac_f32_e32 v4, 0xcf800000, v5
	v_cvt_u32_f32_e32 v5, v5
	v_cvt_u32_f32_e32 v4, v4
	v_readfirstlane_b32 s10, v5
	v_readfirstlane_b32 s0, v4
	s_mul_i32 s1, s6, s10
	s_mul_hi_u32 s12, s6, s0
	s_mul_i32 s11, s7, s0
	s_add_i32 s1, s12, s1
	s_mul_i32 s13, s6, s0
	s_add_i32 s1, s1, s11
	s_mul_hi_u32 s12, s0, s13
	s_mul_i32 s30, s0, s1
	s_mul_hi_u32 s11, s0, s1
	s_add_u32 s12, s12, s30
	s_addc_u32 s11, 0, s11
	s_mul_hi_u32 s31, s10, s13
	s_mul_i32 s13, s10, s13
	s_add_u32 s12, s12, s13
	s_mul_hi_u32 s30, s10, s1
	s_addc_u32 s11, s11, s31
	s_addc_u32 s12, s30, 0
	s_mul_i32 s1, s10, s1
	s_add_u32 s1, s11, s1
	s_addc_u32 s11, 0, s12
	s_add_u32 s12, s0, s1
	s_cselect_b64 s[0:1], -1, 0
	s_cmp_lg_u64 s[0:1], 0
	s_addc_u32 s10, s10, s11
	s_mul_i32 s0, s6, s10
	s_mul_hi_u32 s1, s6, s12
	s_add_i32 s0, s1, s0
	s_mul_i32 s7, s7, s12
	s_add_i32 s0, s0, s7
	s_mul_i32 s6, s6, s12
	s_mul_hi_u32 s7, s10, s6
	s_mul_i32 s11, s10, s6
	s_mul_i32 s30, s12, s0
	s_mul_hi_u32 s6, s12, s6
	s_mul_hi_u32 s13, s12, s0
	s_add_u32 s6, s6, s30
	s_addc_u32 s13, 0, s13
	s_add_u32 s6, s6, s11
	s_mul_hi_u32 s1, s10, s0
	s_addc_u32 s6, s13, s7
	s_addc_u32 s1, s1, 0
	s_mul_i32 s0, s10, s0
	s_add_u32 s0, s6, s0
	s_addc_u32 s6, 0, s1
	s_add_u32 s7, s12, s0
	s_cselect_b64 s[0:1], -1, 0
	s_cmp_lg_u64 s[0:1], 0
	s_addc_u32 s0, s10, s6
	s_mul_i32 s6, s57, s0
	s_mul_hi_u32 s10, s57, s7
	s_mul_hi_u32 s1, s57, s0
	s_add_u32 s6, s10, s6
	s_addc_u32 s1, 0, s1
	s_mul_hi_u32 s11, s51, s7
	s_mul_i32 s7, s51, s7
	s_add_u32 s6, s6, s7
	s_mul_hi_u32 s10, s51, s0
	s_addc_u32 s1, s1, s11
	s_addc_u32 s6, s10, 0
	s_mul_i32 s0, s51, s0
	s_add_u32 s0, s1, s0
	s_addc_u32 s1, 0, s6
	s_mul_i32 s1, s29, s1
	s_mul_hi_u32 s6, s29, s0
	s_add_i32 s6, s6, s1
	s_mul_i32 s0, s29, s0
	s_sub_u32 s7, s57, s0
	s_cselect_b64 s[0:1], -1, 0
	s_cmp_lg_u64 s[0:1], 0
	s_subb_u32 s6, s51, s6
	s_sub_u32 s10, s7, s29
	s_cselect_b64 s[0:1], -1, 0
	s_cmp_lg_u64 s[0:1], 0
	s_subb_u32 s11, s6, 0
	;; [unrolled: 4-line block ×3, first 2 shown]
	s_cmp_ge_u32 s10, s29
	s_cselect_b32 s1, -1, 0
	s_cmp_eq_u32 s11, 0
	s_cselect_b32 s1, s1, -1
	s_cmp_lg_u32 s1, 0
	s_cselect_b32 s0, s0, s11
	s_cselect_b32 s10, s12, s10
	s_cmp_ge_u32 s7, s29
	s_cselect_b32 s1, -1, 0
	s_cmp_eq_u32 s6, 0
	s_cselect_b32 s1, s1, -1
	s_cmp_lg_u32 s1, 0
	s_cselect_b32 s1, s0, s6
	s_cselect_b32 s0, s10, s7
	s_cbranch_execnz .LBB132_163
.LBB132_162:                            ;   in Loop: Header=BB132_20 Depth=1
	v_cvt_f32_u32_e32 v4, s29
	s_sub_i32 s0, 0, s29
	v_rcp_iflag_f32_e32 v4, v4
	v_mul_f32_e32 v4, 0x4f7ffffe, v4
	v_cvt_u32_f32_e32 v4, v4
	v_readfirstlane_b32 s1, v4
	s_mul_i32 s0, s0, s1
	s_mul_hi_u32 s0, s1, s0
	s_add_i32 s1, s1, s0
	s_mul_hi_u32 s0, s57, s1
	s_mul_i32 s0, s0, s29
	s_sub_i32 s0, s57, s0
	s_sub_i32 s1, s0, s29
	s_cmp_ge_u32 s0, s29
	s_cselect_b32 s0, s1, s0
	s_sub_i32 s1, s0, s29
	s_cmp_ge_u32 s0, s29
	s_cselect_b32 s42, s1, s0
	s_mov_b64 s[0:1], s[42:43]
.LBB132_163:                            ;   in Loop: Header=BB132_20 Depth=1
	s_sub_u32 s30, s57, s0
	s_subb_u32 s31, s51, s1
	v_cmp_gt_u64_e32 vcc, s[30:31], v[0:1]
                                        ; implicit-def: $vgpr47
	s_and_saveexec_b64 s[6:7], vcc
	s_cbranch_execz .LBB132_173
; %bb.164:                              ;   in Loop: Header=BB132_20 Depth=1
	v_mov_b32_e32 v4, v12
	v_mov_b32_e32 v11, v1
	s_mov_b64 s[10:11], 0
	v_mov_b32_e32 v5, v13
	v_mov_b32_e32 v10, v0
                                        ; implicit-def: $sgpr12_sgpr13
	s_branch .LBB132_168
.LBB132_165:                            ;   in Loop: Header=BB132_168 Depth=2
	s_or_b64 exec, exec, s[0:1]
	s_waitcnt lgkmcnt(0)
	s_barrier
	ds_read_b32 v24, v3 offset:3072
	s_waitcnt lgkmcnt(0)
	s_barrier
	v_cmp_eq_f16_e32 vcc, 0, v24
	s_cbranch_vccz .LBB132_171
; %bb.166:                              ;   in Loop: Header=BB132_168 Depth=2
	v_add_co_u32_e32 v10, vcc, s29, v10
	v_addc_co_u32_e32 v11, vcc, 0, v11, vcc
	v_mov_b32_e32 v25, s47
	v_add_co_u32_e32 v4, vcc, s46, v4
	v_addc_co_u32_e32 v5, vcc, v5, v25, vcc
	v_cmp_le_u64_e32 vcc, s[30:31], v[10:11]
	s_mov_b64 s[0:1], 0
	s_orn2_b64 s[34:35], vcc, exec
.LBB132_167:                            ;   in Loop: Header=BB132_168 Depth=2
	s_and_b64 s[34:35], exec, s[34:35]
	s_or_b64 s[10:11], s[34:35], s[10:11]
	s_andn2_b64 s[12:13], s[12:13], exec
	s_and_b64 s[0:1], s[0:1], exec
	s_or_b64 s[12:13], s[12:13], s[0:1]
	s_andn2_b64 exec, exec, s[10:11]
	s_cbranch_execz .LBB132_172
.LBB132_168:                            ;   Parent Loop BB132_20 Depth=1
                                        ; =>  This Inner Loop Header: Depth=2
	v_cmp_gt_u64_e32 vcc, s[24:25], v[10:11]
	s_and_saveexec_b64 s[0:1], vcc
	s_cbranch_execz .LBB132_165
; %bb.169:                              ;   in Loop: Header=BB132_168 Depth=2
	global_load_ushort v24, v[4:5], off
	s_waitcnt vmcnt(0)
	v_cmp_lt_i16_e32 vcc, -1, v24
	v_cndmask_b32_e32 v25, v41, v42, vcc
	v_xor_b32_sdwa v25, v25, v24 dst_sel:DWORD dst_unused:UNUSED_PAD src0_sel:DWORD src1_sel:WORD_0
	v_cmp_o_f16_e32 vcc, v24, v24
	v_cndmask_b32_e32 v25, v41, v25, vcc
	v_and_b32_e32 v25, v25, v46
	v_cmp_eq_u32_e32 vcc, v25, v37
	s_and_b64 exec, exec, vcc
	s_cbranch_execz .LBB132_165
; %bb.170:                              ;   in Loop: Header=BB132_168 Depth=2
	v_perm_b32 v24, v24, s3, v45
	ds_write_b32 v3, v24 offset:3072
	s_branch .LBB132_165
.LBB132_171:                            ;   in Loop: Header=BB132_168 Depth=2
	s_mov_b64 s[34:35], -1
                                        ; implicit-def: $vgpr10_vgpr11
                                        ; implicit-def: $vgpr4_vgpr5
	s_mov_b64 s[0:1], -1
	s_branch .LBB132_167
.LBB132_172:                            ;   in Loop: Header=BB132_20 Depth=1
	s_or_b64 exec, exec, s[10:11]
	s_andn2_b64 s[0:1], s[26:27], exec
	s_and_b64 s[10:11], s[12:13], exec
	v_lshrrev_b32_e32 v47, 16, v24
	s_or_b64 s[26:27], s[0:1], s[10:11]
.LBB132_173:                            ;   in Loop: Header=BB132_20 Depth=1
	s_or_b64 exec, exec, s[6:7]
	s_mov_b64 s[6:7], 0
	s_mov_b64 s[78:79], -1
.LBB132_174:                            ;   in Loop: Header=BB132_20 Depth=1
	s_orn2_b64 s[0:1], s[26:27], exec
.LBB132_175:                            ;   in Loop: Header=BB132_20 Depth=1
	s_or_b64 exec, exec, s[80:81]
	s_mov_b64 s[10:11], 0
	s_and_saveexec_b64 s[80:81], s[0:1]
	s_cbranch_execz .LBB132_285
; %bb.176:                              ;   in Loop: Header=BB132_20 Depth=1
	v_mov_b32_e32 v4, 1
	s_xor_b64 s[0:1], s[82:83], -1
	v_mov_b32_e32 v2, 1
	v_mov_b32_e32 v5, 0
	s_and_saveexec_b64 s[26:27], s[0:1]
	s_cbranch_execz .LBB132_186
; %bb.177:                              ;   in Loop: Header=BB132_20 Depth=1
	v_cmp_le_u64_e32 vcc, v[8:9], v[6:7]
	s_and_saveexec_b64 s[0:1], vcc
	s_xor_b64 s[0:1], exec, s[0:1]
	s_cbranch_execz .LBB132_183
; %bb.178:                              ;   in Loop: Header=BB132_20 Depth=1
	ds_read_b64 v[4:5], v3 offset:5120
	v_and_b32_e32 v2, s49, v37
	v_lshl_or_b32 v37, 1, s33, v2
	v_or_b32_e32 v46, s48, v46
	s_waitcnt lgkmcnt(0)
	v_cmp_ne_u64_e32 vcc, 0, v[4:5]
	s_cbranch_vccnz .LBB132_182
; %bb.179:                              ;   in Loop: Header=BB132_20 Depth=1
	s_mov_b64 s[10:11], exec
	v_readlane_b32 s12, v60, 12
	v_readlane_b32 s13, v60, 13
	s_and_b64 s[12:13], s[10:11], s[12:13]
	s_mov_b64 exec, s[12:13]
; %bb.180:                              ;   in Loop: Header=BB132_20 Depth=1
	ds_write_b64 v3, v[6:7] offset:5128
; %bb.181:                              ;   in Loop: Header=BB132_20 Depth=1
	s_or_b64 exec, exec, s[10:11]
	s_waitcnt lgkmcnt(0)
	s_barrier
.LBB132_182:                            ;   in Loop: Header=BB132_20 Depth=1
                                        ; implicit-def: $vgpr4_vgpr5_vgpr6_vgpr7
.LBB132_183:                            ;   in Loop: Header=BB132_20 Depth=1
	s_or_saveexec_b64 s[0:1], s[0:1]
	s_mov_b64 s[10:11], 0
	v_mov_b32_e32 v2, 8
	s_xor_b64 exec, exec, s[0:1]
; %bb.184:                              ;   in Loop: Header=BB132_20 Depth=1
	v_sub_co_u32_e32 v8, vcc, v8, v6
	v_subb_co_u32_e32 v9, vcc, v9, v7, vcc
	v_mov_b32_e32 v2, 0
	s_mov_b64 s[10:11], exec
; %bb.185:                              ;   in Loop: Header=BB132_20 Depth=1
	s_or_b64 exec, exec, s[0:1]
	v_mov_b32_e32 v4, v8
	s_and_b64 s[10:11], s[10:11], exec
	v_mov_b32_e32 v5, v9
.LBB132_186:                            ;   in Loop: Header=BB132_20 Depth=1
	s_or_b64 exec, exec, s[26:27]
	s_mov_b64 s[0:1], -1
                                        ; implicit-def: $sgpr84_sgpr85
                                        ; implicit-def: $sgpr86_sgpr87
	s_and_saveexec_b64 s[82:83], s[10:11]
	s_cbranch_execz .LBB132_284
; %bb.187:                              ;   in Loop: Header=BB132_20 Depth=1
	s_cmp_eq_u64 s[76:77], 1
	v_cmp_eq_u64_e32 vcc, 1, v[4:5]
	s_cselect_b64 s[0:1], -1, 0
	s_and_b64 s[90:91], s[0:1], vcc
	s_mov_b64 s[0:1], -1
                                        ; implicit-def: $sgpr86_sgpr87
                                        ; implicit-def: $sgpr84_sgpr85
	s_and_saveexec_b64 s[88:89], s[90:91]
	s_cbranch_execz .LBB132_223
; %bb.188:                              ;   in Loop: Header=BB132_20 Depth=1
	ds_read_b64 v[6:7], v3 offset:5120
	s_waitcnt lgkmcnt(0)
	s_barrier
	v_readfirstlane_b32 s30, v6
	v_readfirstlane_b32 s31, v7
	s_and_saveexec_b64 s[0:1], s[16:17]
; %bb.189:                              ;   in Loop: Header=BB132_20 Depth=1
	ds_write_b16 v39, v3
; %bb.190:                              ;   in Loop: Header=BB132_20 Depth=1
	s_or_b64 exec, exec, s[0:1]
	v_and_b32_e32 v6, s49, v37
	v_lshl_or_b32 v37, 2, s33, v6
	v_or_b32_e32 v46, s48, v46
	s_mov_b64 s[84:85], -1
	s_mov_b64 s[86:87], 0
	s_cmp_eq_u64 s[30:31], 0
	s_mov_b64 s[26:27], 0
	s_mov_b64 s[34:35], -1
	s_waitcnt lgkmcnt(0)
	s_barrier
                                        ; implicit-def: $vgpr47
	s_cbranch_scc1 .LBB132_207
; %bb.191:                              ;   in Loop: Header=BB132_20 Depth=1
	v_readlane_b32 s0, v60, 20
	s_add_u32 s12, s30, s0
	v_readlane_b32 s0, v60, 21
	s_addc_u32 s27, s31, s0
	s_mov_b32 s26, s43
	s_cmp_lg_u64 s[26:27], 0
	s_cbranch_scc0 .LBB132_250
; %bb.192:                              ;   in Loop: Header=BB132_20 Depth=1
	v_cvt_f32_u32_e32 v6, s29
	s_sub_u32 s10, 0, s29
	s_subb_u32 s11, 0, 0
	v_mac_f32_e32 v6, 0, v43
	v_rcp_f32_e32 v6, v6
	v_mul_f32_e32 v6, 0x5f7ffffc, v6
	v_mul_f32_e32 v7, 0x2f800000, v6
	v_trunc_f32_e32 v7, v7
	v_mac_f32_e32 v6, 0xcf800000, v7
	v_cvt_u32_f32_e32 v7, v7
	v_cvt_u32_f32_e32 v6, v6
	v_readfirstlane_b32 s13, v7
	v_readfirstlane_b32 s0, v6
	s_mul_i32 s1, s10, s13
	s_mul_hi_u32 s34, s10, s0
	s_mul_i32 s26, s11, s0
	s_add_i32 s1, s34, s1
	s_mul_i32 s35, s10, s0
	s_add_i32 s1, s1, s26
	s_mul_hi_u32 s34, s0, s35
	s_mul_i32 s36, s0, s1
	s_mul_hi_u32 s26, s0, s1
	s_add_u32 s34, s34, s36
	s_addc_u32 s26, 0, s26
	s_mul_hi_u32 s37, s13, s35
	s_mul_i32 s35, s13, s35
	s_add_u32 s34, s34, s35
	s_mul_hi_u32 s36, s13, s1
	s_addc_u32 s26, s26, s37
	s_addc_u32 s34, s36, 0
	s_mul_i32 s1, s13, s1
	s_add_u32 s1, s26, s1
	s_addc_u32 s26, 0, s34
	s_add_u32 s34, s0, s1
	s_cselect_b64 s[0:1], -1, 0
	s_cmp_lg_u64 s[0:1], 0
	s_addc_u32 s13, s13, s26
	s_mul_i32 s0, s10, s13
	s_mul_hi_u32 s1, s10, s34
	s_add_i32 s0, s1, s0
	s_mul_i32 s11, s11, s34
	s_add_i32 s0, s0, s11
	s_mul_i32 s10, s10, s34
	s_mul_hi_u32 s11, s13, s10
	s_mul_i32 s26, s13, s10
	s_mul_i32 s36, s34, s0
	s_mul_hi_u32 s10, s34, s10
	s_mul_hi_u32 s35, s34, s0
	s_add_u32 s10, s10, s36
	s_addc_u32 s35, 0, s35
	s_add_u32 s10, s10, s26
	s_mul_hi_u32 s1, s13, s0
	s_addc_u32 s10, s35, s11
	s_addc_u32 s1, s1, 0
	s_mul_i32 s0, s13, s0
	s_add_u32 s0, s10, s0
	s_addc_u32 s10, 0, s1
	s_add_u32 s11, s34, s0
	s_cselect_b64 s[0:1], -1, 0
	s_cmp_lg_u64 s[0:1], 0
	s_addc_u32 s0, s13, s10
	s_mul_i32 s10, s12, s0
	s_mul_hi_u32 s13, s12, s11
	s_mul_hi_u32 s1, s12, s0
	s_add_u32 s10, s13, s10
	s_addc_u32 s1, 0, s1
	s_mul_hi_u32 s26, s27, s11
	s_mul_i32 s11, s27, s11
	s_add_u32 s10, s10, s11
	s_mul_hi_u32 s13, s27, s0
	s_addc_u32 s1, s1, s26
	s_addc_u32 s10, s13, 0
	s_mul_i32 s0, s27, s0
	s_add_u32 s0, s1, s0
	s_addc_u32 s1, 0, s10
	s_mul_i32 s1, s29, s1
	s_mul_hi_u32 s10, s29, s0
	s_add_i32 s10, s10, s1
	s_mul_i32 s0, s29, s0
	s_sub_u32 s11, s12, s0
	s_cselect_b64 s[0:1], -1, 0
	s_cmp_lg_u64 s[0:1], 0
	s_subb_u32 s10, s27, s10
	s_sub_u32 s13, s11, s29
	s_cselect_b64 s[0:1], -1, 0
	s_cmp_lg_u64 s[0:1], 0
	s_subb_u32 s26, s10, 0
	;; [unrolled: 4-line block ×3, first 2 shown]
	s_cmp_ge_u32 s13, s29
	s_cselect_b32 s1, -1, 0
	s_cmp_eq_u32 s26, 0
	s_cselect_b32 s1, s1, -1
	s_cmp_lg_u32 s1, 0
	s_cselect_b32 s0, s0, s26
	s_cselect_b32 s13, s34, s13
	s_cmp_ge_u32 s11, s29
	s_cselect_b32 s1, -1, 0
	s_cmp_eq_u32 s10, 0
	s_cselect_b32 s1, s1, -1
	s_cmp_lg_u32 s1, 0
	s_cselect_b32 s1, s0, s10
	s_cselect_b32 s0, s13, s11
	s_cbranch_execnz .LBB132_194
.LBB132_193:                            ;   in Loop: Header=BB132_20 Depth=1
	v_cvt_f32_u32_e32 v6, s29
	s_sub_i32 s0, 0, s29
	v_rcp_iflag_f32_e32 v6, v6
	v_mul_f32_e32 v6, 0x4f7ffffe, v6
	v_cvt_u32_f32_e32 v6, v6
	v_readfirstlane_b32 s1, v6
	s_mul_i32 s0, s0, s1
	s_mul_hi_u32 s0, s1, s0
	s_add_i32 s1, s1, s0
	s_mul_hi_u32 s0, s12, s1
	s_mul_i32 s0, s0, s29
	s_sub_i32 s0, s12, s0
	s_sub_i32 s1, s0, s29
	s_cmp_ge_u32 s0, s29
	s_cselect_b32 s0, s1, s0
	s_sub_i32 s1, s0, s29
	s_cmp_ge_u32 s0, s29
	s_cselect_b32 s42, s1, s0
	s_mov_b64 s[0:1], s[42:43]
.LBB132_194:                            ;   in Loop: Header=BB132_20 Depth=1
	s_sub_u32 s12, s12, s0
	s_subb_u32 s13, s27, s1
	v_cmp_gt_u64_e32 vcc, s[12:13], v[0:1]
	s_mov_b64 s[34:35], 0
	s_mov_b64 s[26:27], 0
                                        ; implicit-def: $vgpr47
	s_and_saveexec_b64 s[36:37], vcc
	s_cbranch_execz .LBB132_206
; %bb.195:                              ;   in Loop: Header=BB132_20 Depth=1
	v_mov_b32_e32 v7, v1
	s_mov_b64 s[10:11], 0
	v_mov_b32_e32 v8, v38
	v_mov_b32_e32 v6, v0
                                        ; implicit-def: $sgpr26_sgpr27
	s_branch .LBB132_199
.LBB132_196:                            ;   in Loop: Header=BB132_199 Depth=2
	s_or_b64 exec, exec, s[0:1]
	s_waitcnt lgkmcnt(0)
	s_barrier
	ds_read_b32 v9, v3 offset:3072
	s_waitcnt lgkmcnt(0)
	s_barrier
	v_cmp_neq_f16_e32 vcc, 0, v9
	s_cbranch_vccnz .LBB132_202
; %bb.197:                              ;   in Loop: Header=BB132_199 Depth=2
	v_add_co_u32_e32 v6, vcc, s29, v6
	v_addc_co_u32_e32 v7, vcc, 0, v7, vcc
	v_cmp_le_u64_e32 vcc, s[12:13], v[6:7]
	v_add_u32_e32 v8, s2, v8
	s_mov_b64 s[0:1], 0
	s_orn2_b64 s[54:55], vcc, exec
.LBB132_198:                            ;   in Loop: Header=BB132_199 Depth=2
	s_and_b64 s[54:55], exec, s[54:55]
	s_or_b64 s[10:11], s[54:55], s[10:11]
	s_andn2_b64 s[26:27], s[26:27], exec
	s_and_b64 s[0:1], s[0:1], exec
	s_or_b64 s[26:27], s[26:27], s[0:1]
	s_andn2_b64 exec, exec, s[10:11]
	s_cbranch_execz .LBB132_205
.LBB132_199:                            ;   Parent Loop BB132_20 Depth=1
                                        ; =>  This Inner Loop Header: Depth=2
	v_cmp_gt_u64_e32 vcc, s[30:31], v[6:7]
	s_and_saveexec_b64 s[0:1], vcc
	s_cbranch_execz .LBB132_196
; %bb.200:                              ;   in Loop: Header=BB132_199 Depth=2
	ds_read_u16 v9, v8
	s_waitcnt lgkmcnt(0)
	v_cmp_lt_i16_e32 vcc, -1, v9
	v_cndmask_b32_e32 v10, v41, v42, vcc
	v_xor_b32_sdwa v10, v10, v9 dst_sel:DWORD dst_unused:UNUSED_PAD src0_sel:DWORD src1_sel:WORD_0
	v_cmp_o_f16_e32 vcc, v9, v9
	v_cndmask_b32_e32 v10, v41, v10, vcc
	v_and_b32_e32 v10, v10, v46
	v_cmp_eq_u32_e32 vcc, v10, v37
	s_and_b64 exec, exec, vcc
	s_cbranch_execz .LBB132_196
; %bb.201:                              ;   in Loop: Header=BB132_199 Depth=2
	v_perm_b32 v9, v9, s3, v45
	ds_write_b32 v3, v9 offset:3072
	s_branch .LBB132_196
.LBB132_202:                            ;   in Loop: Header=BB132_199 Depth=2
	s_mov_b64 s[54:55], -1
                                        ; implicit-def: $vgpr6_vgpr7
                                        ; implicit-def: $vgpr8
	s_mov_b64 s[0:1], -1
	s_branch .LBB132_198
.LBB132_203:                            ;   in Loop: Header=BB132_20 Depth=1
                                        ; implicit-def: $sgpr0_sgpr1
	s_branch .LBB132_142
.LBB132_204:                            ;   in Loop: Header=BB132_20 Depth=1
                                        ; implicit-def: $sgpr0_sgpr1
	s_branch .LBB132_162
.LBB132_205:                            ;   in Loop: Header=BB132_20 Depth=1
	s_or_b64 exec, exec, s[10:11]
	v_readlane_b32 s54, v60, 27
	v_lshrrev_b32_e32 v47, 16, v9
	s_and_b64 s[26:27], s[26:27], exec
	v_readlane_b32 s55, v60, 28
.LBB132_206:                            ;   in Loop: Header=BB132_20 Depth=1
	s_or_b64 exec, exec, s[36:37]
.LBB132_207:                            ;   in Loop: Header=BB132_20 Depth=1
	s_and_b64 vcc, exec, s[34:35]
	s_cbranch_vccz .LBB132_222
; %bb.208:                              ;   in Loop: Header=BB132_20 Depth=1
	s_mov_b32 s50, s43
	s_cmp_lg_u64 s[50:51], 0
	s_cbranch_scc0 .LBB132_251
; %bb.209:                              ;   in Loop: Header=BB132_20 Depth=1
	v_cvt_f32_u32_e32 v6, s29
	s_sub_u32 s10, 0, s29
	s_subb_u32 s11, 0, 0
	v_mac_f32_e32 v6, 0, v43
	v_rcp_f32_e32 v6, v6
	v_mul_f32_e32 v6, 0x5f7ffffc, v6
	v_mul_f32_e32 v7, 0x2f800000, v6
	v_trunc_f32_e32 v7, v7
	v_mac_f32_e32 v6, 0xcf800000, v7
	v_cvt_u32_f32_e32 v7, v7
	v_cvt_u32_f32_e32 v6, v6
	v_readfirstlane_b32 s12, v7
	v_readfirstlane_b32 s0, v6
	s_mul_i32 s1, s10, s12
	s_mul_hi_u32 s30, s10, s0
	s_mul_i32 s13, s11, s0
	s_add_i32 s1, s30, s1
	s_mul_i32 s31, s10, s0
	s_add_i32 s1, s1, s13
	s_mul_hi_u32 s30, s0, s31
	s_mul_i32 s34, s0, s1
	s_mul_hi_u32 s13, s0, s1
	s_add_u32 s30, s30, s34
	s_addc_u32 s13, 0, s13
	s_mul_hi_u32 s35, s12, s31
	s_mul_i32 s31, s12, s31
	s_add_u32 s30, s30, s31
	s_mul_hi_u32 s34, s12, s1
	s_addc_u32 s13, s13, s35
	s_addc_u32 s30, s34, 0
	s_mul_i32 s1, s12, s1
	s_add_u32 s1, s13, s1
	s_addc_u32 s13, 0, s30
	s_add_u32 s30, s0, s1
	s_cselect_b64 s[0:1], -1, 0
	s_cmp_lg_u64 s[0:1], 0
	s_addc_u32 s12, s12, s13
	s_mul_i32 s0, s10, s12
	s_mul_hi_u32 s1, s10, s30
	s_add_i32 s0, s1, s0
	s_mul_i32 s11, s11, s30
	s_add_i32 s0, s0, s11
	s_mul_i32 s10, s10, s30
	s_mul_hi_u32 s11, s12, s10
	s_mul_i32 s13, s12, s10
	s_mul_i32 s34, s30, s0
	s_mul_hi_u32 s10, s30, s10
	s_mul_hi_u32 s31, s30, s0
	s_add_u32 s10, s10, s34
	s_addc_u32 s31, 0, s31
	s_add_u32 s10, s10, s13
	s_mul_hi_u32 s1, s12, s0
	s_addc_u32 s10, s31, s11
	s_addc_u32 s1, s1, 0
	s_mul_i32 s0, s12, s0
	s_add_u32 s0, s10, s0
	s_addc_u32 s10, 0, s1
	s_add_u32 s11, s30, s0
	s_cselect_b64 s[0:1], -1, 0
	s_cmp_lg_u64 s[0:1], 0
	s_addc_u32 s0, s12, s10
	s_mul_i32 s10, s57, s0
	s_mul_hi_u32 s12, s57, s11
	s_mul_hi_u32 s1, s57, s0
	s_add_u32 s10, s12, s10
	s_addc_u32 s1, 0, s1
	s_mul_hi_u32 s13, s51, s11
	s_mul_i32 s11, s51, s11
	s_add_u32 s10, s10, s11
	s_mul_hi_u32 s12, s51, s0
	s_addc_u32 s1, s1, s13
	s_addc_u32 s10, s12, 0
	s_mul_i32 s0, s51, s0
	s_add_u32 s0, s1, s0
	s_addc_u32 s1, 0, s10
	s_mul_i32 s1, s29, s1
	s_mul_hi_u32 s10, s29, s0
	s_add_i32 s10, s10, s1
	s_mul_i32 s0, s29, s0
	s_sub_u32 s11, s57, s0
	s_cselect_b64 s[0:1], -1, 0
	s_cmp_lg_u64 s[0:1], 0
	s_subb_u32 s10, s51, s10
	s_sub_u32 s12, s11, s29
	s_cselect_b64 s[0:1], -1, 0
	s_cmp_lg_u64 s[0:1], 0
	s_subb_u32 s13, s10, 0
	;; [unrolled: 4-line block ×3, first 2 shown]
	s_cmp_ge_u32 s12, s29
	s_cselect_b32 s1, -1, 0
	s_cmp_eq_u32 s13, 0
	s_cselect_b32 s1, s1, -1
	s_cmp_lg_u32 s1, 0
	s_cselect_b32 s0, s0, s13
	s_cselect_b32 s12, s30, s12
	s_cmp_ge_u32 s11, s29
	s_cselect_b32 s1, -1, 0
	s_cmp_eq_u32 s10, 0
	s_cselect_b32 s1, s1, -1
	s_cmp_lg_u32 s1, 0
	s_cselect_b32 s1, s0, s10
	s_cselect_b32 s0, s12, s11
	s_cbranch_execnz .LBB132_211
.LBB132_210:                            ;   in Loop: Header=BB132_20 Depth=1
	v_cvt_f32_u32_e32 v6, s29
	s_sub_i32 s0, 0, s29
	v_rcp_iflag_f32_e32 v6, v6
	v_mul_f32_e32 v6, 0x4f7ffffe, v6
	v_cvt_u32_f32_e32 v6, v6
	v_readfirstlane_b32 s1, v6
	s_mul_i32 s0, s0, s1
	s_mul_hi_u32 s0, s1, s0
	s_add_i32 s1, s1, s0
	s_mul_hi_u32 s0, s57, s1
	s_mul_i32 s0, s0, s29
	s_sub_i32 s0, s57, s0
	s_sub_i32 s1, s0, s29
	s_cmp_ge_u32 s0, s29
	s_cselect_b32 s0, s1, s0
	s_sub_i32 s1, s0, s29
	s_cmp_ge_u32 s0, s29
	s_cselect_b32 s42, s1, s0
	s_mov_b64 s[0:1], s[42:43]
.LBB132_211:                            ;   in Loop: Header=BB132_20 Depth=1
	s_sub_u32 s34, s57, s0
	s_subb_u32 s35, s51, s1
	v_cmp_gt_u64_e32 vcc, s[34:35], v[0:1]
                                        ; implicit-def: $vgpr47
	s_and_saveexec_b64 s[30:31], vcc
	s_cbranch_execz .LBB132_221
; %bb.212:                              ;   in Loop: Header=BB132_20 Depth=1
	v_mov_b32_e32 v6, v12
	v_mov_b32_e32 v9, v1
	s_mov_b64 s[10:11], 0
	v_mov_b32_e32 v7, v13
	v_mov_b32_e32 v8, v0
                                        ; implicit-def: $sgpr12_sgpr13
	s_branch .LBB132_216
.LBB132_213:                            ;   in Loop: Header=BB132_216 Depth=2
	s_or_b64 exec, exec, s[0:1]
	s_waitcnt lgkmcnt(0)
	s_barrier
	ds_read_b32 v10, v3 offset:3072
	s_waitcnt lgkmcnt(0)
	s_barrier
	v_cmp_eq_f16_e32 vcc, 0, v10
	s_cbranch_vccz .LBB132_219
; %bb.214:                              ;   in Loop: Header=BB132_216 Depth=2
	v_add_co_u32_e32 v8, vcc, s29, v8
	v_addc_co_u32_e32 v9, vcc, 0, v9, vcc
	v_mov_b32_e32 v11, s47
	v_add_co_u32_e32 v6, vcc, s46, v6
	v_addc_co_u32_e32 v7, vcc, v7, v11, vcc
	v_cmp_le_u64_e32 vcc, s[34:35], v[8:9]
	s_mov_b64 s[0:1], 0
	s_orn2_b64 s[36:37], vcc, exec
.LBB132_215:                            ;   in Loop: Header=BB132_216 Depth=2
	s_and_b64 s[36:37], exec, s[36:37]
	s_or_b64 s[10:11], s[36:37], s[10:11]
	s_andn2_b64 s[12:13], s[12:13], exec
	s_and_b64 s[0:1], s[0:1], exec
	s_or_b64 s[12:13], s[12:13], s[0:1]
	s_andn2_b64 exec, exec, s[10:11]
	s_cbranch_execz .LBB132_220
.LBB132_216:                            ;   Parent Loop BB132_20 Depth=1
                                        ; =>  This Inner Loop Header: Depth=2
	v_cmp_gt_u64_e32 vcc, s[24:25], v[8:9]
	s_and_saveexec_b64 s[0:1], vcc
	s_cbranch_execz .LBB132_213
; %bb.217:                              ;   in Loop: Header=BB132_216 Depth=2
	global_load_ushort v10, v[6:7], off
	s_waitcnt vmcnt(0)
	v_cmp_lt_i16_e32 vcc, -1, v10
	v_cndmask_b32_e32 v11, v41, v42, vcc
	v_xor_b32_sdwa v11, v11, v10 dst_sel:DWORD dst_unused:UNUSED_PAD src0_sel:DWORD src1_sel:WORD_0
	v_cmp_o_f16_e32 vcc, v10, v10
	v_cndmask_b32_e32 v11, v41, v11, vcc
	v_and_b32_e32 v11, v11, v46
	v_cmp_eq_u32_e32 vcc, v11, v37
	s_and_b64 exec, exec, vcc
	s_cbranch_execz .LBB132_213
; %bb.218:                              ;   in Loop: Header=BB132_216 Depth=2
	v_perm_b32 v10, v10, s3, v45
	ds_write_b32 v3, v10 offset:3072
	s_branch .LBB132_213
.LBB132_219:                            ;   in Loop: Header=BB132_216 Depth=2
	s_mov_b64 s[36:37], -1
                                        ; implicit-def: $vgpr8_vgpr9
                                        ; implicit-def: $vgpr6_vgpr7
	s_mov_b64 s[0:1], -1
	s_branch .LBB132_215
.LBB132_220:                            ;   in Loop: Header=BB132_20 Depth=1
	s_or_b64 exec, exec, s[10:11]
	s_andn2_b64 s[0:1], s[26:27], exec
	s_and_b64 s[10:11], s[12:13], exec
	v_lshrrev_b32_e32 v47, 16, v10
	s_or_b64 s[26:27], s[0:1], s[10:11]
.LBB132_221:                            ;   in Loop: Header=BB132_20 Depth=1
	s_or_b64 exec, exec, s[30:31]
	s_mov_b64 s[84:85], 0
	s_mov_b64 s[86:87], -1
.LBB132_222:                            ;   in Loop: Header=BB132_20 Depth=1
	s_orn2_b64 s[0:1], s[26:27], exec
.LBB132_223:                            ;   in Loop: Header=BB132_20 Depth=1
	s_or_b64 exec, exec, s[88:89]
	s_mov_b64 s[10:11], 0
	s_and_saveexec_b64 s[88:89], s[0:1]
	s_cbranch_execz .LBB132_283
; %bb.224:                              ;   in Loop: Header=BB132_20 Depth=1
	v_mov_b32_e32 v6, 1
	s_xor_b64 s[0:1], s[90:91], -1
	v_mov_b32_e32 v2, 1
	v_mov_b32_e32 v7, 0
	s_and_saveexec_b64 s[26:27], s[0:1]
	s_cbranch_execz .LBB132_233
; %bb.225:                              ;   in Loop: Header=BB132_20 Depth=1
	v_cmp_ge_u64_e32 vcc, s[76:77], v[4:5]
	s_and_saveexec_b64 s[0:1], vcc
	s_xor_b64 s[0:1], exec, s[0:1]
	s_cbranch_execz .LBB132_230
; %bb.226:                              ;   in Loop: Header=BB132_20 Depth=1
	ds_read_b64 v[6:7], v3 offset:5120
	v_and_b32_e32 v2, s49, v37
	v_lshl_or_b32 v37, 2, s33, v2
	v_or_b32_e32 v46, s48, v46
	s_waitcnt lgkmcnt(0)
	v_cmp_ne_u64_e32 vcc, 0, v[6:7]
	s_cbranch_vccnz .LBB132_230
; %bb.227:                              ;   in Loop: Header=BB132_20 Depth=1
	s_mov_b64 s[10:11], exec
	v_readlane_b32 s12, v60, 12
	v_readlane_b32 s13, v60, 13
	s_and_b64 s[12:13], s[10:11], s[12:13]
	s_mov_b64 exec, s[12:13]
; %bb.228:                              ;   in Loop: Header=BB132_20 Depth=1
	v_mov_b32_e32 v6, s76
	v_mov_b32_e32 v7, s77
	ds_write_b64 v3, v[6:7] offset:5128
; %bb.229:                              ;   in Loop: Header=BB132_20 Depth=1
	s_or_b64 exec, exec, s[10:11]
	s_waitcnt lgkmcnt(0)
	s_barrier
.LBB132_230:                            ;   in Loop: Header=BB132_20 Depth=1
	s_or_saveexec_b64 s[0:1], s[0:1]
	s_mov_b64 s[10:11], 0
	v_mov_b32_e32 v2, 8
	s_xor_b64 exec, exec, s[0:1]
; %bb.231:                              ;   in Loop: Header=BB132_20 Depth=1
	v_subrev_co_u32_e32 v4, vcc, s76, v4
	v_mov_b32_e32 v2, s77
	v_subb_co_u32_e32 v5, vcc, v5, v2, vcc
	v_mov_b32_e32 v2, 0
	s_mov_b64 s[10:11], exec
; %bb.232:                              ;   in Loop: Header=BB132_20 Depth=1
	s_or_b64 exec, exec, s[0:1]
	v_mov_b32_e32 v7, v5
	s_and_b64 s[10:11], s[10:11], exec
	v_mov_b32_e32 v6, v4
.LBB132_233:                            ;   in Loop: Header=BB132_20 Depth=1
	s_or_b64 exec, exec, s[26:27]
	s_mov_b64 s[0:1], -1
                                        ; implicit-def: $sgpr26_sgpr27
                                        ; implicit-def: $sgpr94_sgpr95
	s_and_saveexec_b64 s[76:77], s[10:11]
	s_cbranch_execz .LBB132_282
; %bb.234:                              ;   in Loop: Header=BB132_20 Depth=1
	s_cmp_eq_u64 s[14:15], 1
	v_cmp_eq_u64_e32 vcc, 1, v[6:7]
	s_cselect_b64 s[0:1], -1, 0
	s_and_b64 s[90:91], s[0:1], vcc
	s_mov_b64 s[0:1], -1
                                        ; implicit-def: $sgpr26_sgpr27
                                        ; implicit-def: $sgpr94_sgpr95
	s_and_saveexec_b64 s[92:93], s[90:91]
	s_cbranch_execz .LBB132_270
; %bb.235:                              ;   in Loop: Header=BB132_20 Depth=1
	ds_read_b64 v[4:5], v3 offset:5120
	s_waitcnt lgkmcnt(0)
	s_barrier
	v_readfirstlane_b32 s34, v4
	v_readfirstlane_b32 s35, v5
	s_and_saveexec_b64 s[0:1], s[16:17]
; %bb.236:                              ;   in Loop: Header=BB132_20 Depth=1
	ds_write_b16 v39, v3
; %bb.237:                              ;   in Loop: Header=BB132_20 Depth=1
	s_or_b64 exec, exec, s[0:1]
	v_or_b32_e32 v37, s48, v37
	v_or_b32_e32 v46, s48, v46
	s_mov_b64 s[94:95], -1
	s_mov_b64 s[26:27], 0
	s_cmp_eq_u64 s[34:35], 0
	s_mov_b64 s[30:31], 0
	s_mov_b64 s[36:37], -1
	s_waitcnt lgkmcnt(0)
	s_barrier
                                        ; implicit-def: $vgpr47
	s_cbranch_scc1 .LBB132_254
; %bb.238:                              ;   in Loop: Header=BB132_20 Depth=1
	v_readlane_b32 s0, v60, 20
	s_add_u32 s12, s34, s0
	v_readlane_b32 s0, v60, 21
	s_addc_u32 s31, s35, s0
	s_mov_b32 s30, s43
	s_cmp_lg_u64 s[30:31], 0
	s_cbranch_scc0 .LBB132_289
; %bb.239:                              ;   in Loop: Header=BB132_20 Depth=1
	v_cvt_f32_u32_e32 v4, s29
	s_sub_u32 s10, 0, s29
	s_subb_u32 s11, 0, 0
	v_mac_f32_e32 v4, 0, v43
	v_rcp_f32_e32 v4, v4
	v_mul_f32_e32 v4, 0x5f7ffffc, v4
	v_mul_f32_e32 v5, 0x2f800000, v4
	v_trunc_f32_e32 v5, v5
	v_mac_f32_e32 v4, 0xcf800000, v5
	v_cvt_u32_f32_e32 v5, v5
	v_cvt_u32_f32_e32 v4, v4
	v_readfirstlane_b32 s13, v5
	v_readfirstlane_b32 s0, v4
	s_mul_i32 s1, s10, s13
	s_mul_hi_u32 s36, s10, s0
	s_mul_i32 s30, s11, s0
	s_add_i32 s1, s36, s1
	s_mul_i32 s37, s10, s0
	s_add_i32 s1, s1, s30
	s_mul_hi_u32 s36, s0, s37
	s_mul_i32 s42, s0, s1
	s_mul_hi_u32 s30, s0, s1
	s_add_u32 s36, s36, s42
	s_addc_u32 s30, 0, s30
	s_mul_hi_u32 s49, s13, s37
	s_mul_i32 s37, s13, s37
	s_add_u32 s36, s36, s37
	s_mul_hi_u32 s42, s13, s1
	s_addc_u32 s30, s30, s49
	s_addc_u32 s36, s42, 0
	s_mul_i32 s1, s13, s1
	s_add_u32 s1, s30, s1
	s_addc_u32 s30, 0, s36
	s_add_u32 s36, s0, s1
	s_cselect_b64 s[0:1], -1, 0
	s_cmp_lg_u64 s[0:1], 0
	s_addc_u32 s13, s13, s30
	s_mul_i32 s0, s10, s13
	s_mul_hi_u32 s1, s10, s36
	s_add_i32 s0, s1, s0
	s_mul_i32 s11, s11, s36
	s_add_i32 s0, s0, s11
	s_mul_i32 s10, s10, s36
	s_mul_hi_u32 s11, s13, s10
	s_mul_i32 s30, s13, s10
	s_mul_i32 s42, s36, s0
	s_mul_hi_u32 s10, s36, s10
	s_mul_hi_u32 s37, s36, s0
	s_add_u32 s10, s10, s42
	s_addc_u32 s37, 0, s37
	s_add_u32 s10, s10, s30
	s_mul_hi_u32 s1, s13, s0
	s_addc_u32 s10, s37, s11
	s_addc_u32 s1, s1, 0
	s_mul_i32 s0, s13, s0
	s_add_u32 s0, s10, s0
	s_addc_u32 s10, 0, s1
	s_add_u32 s11, s36, s0
	s_cselect_b64 s[0:1], -1, 0
	s_cmp_lg_u64 s[0:1], 0
	s_addc_u32 s0, s13, s10
	s_mul_i32 s10, s12, s0
	s_mul_hi_u32 s13, s12, s11
	s_mul_hi_u32 s1, s12, s0
	s_add_u32 s10, s13, s10
	s_addc_u32 s1, 0, s1
	s_mul_hi_u32 s30, s31, s11
	s_mul_i32 s11, s31, s11
	s_add_u32 s10, s10, s11
	s_mul_hi_u32 s13, s31, s0
	s_addc_u32 s1, s1, s30
	s_addc_u32 s10, s13, 0
	s_mul_i32 s0, s31, s0
	s_add_u32 s0, s1, s0
	s_addc_u32 s1, 0, s10
	s_mul_i32 s1, s29, s1
	s_mul_hi_u32 s10, s29, s0
	s_add_i32 s10, s10, s1
	s_mul_i32 s0, s29, s0
	s_sub_u32 s11, s12, s0
	s_cselect_b64 s[0:1], -1, 0
	s_cmp_lg_u64 s[0:1], 0
	s_subb_u32 s10, s31, s10
	s_sub_u32 s13, s11, s29
	s_cselect_b64 s[0:1], -1, 0
	s_cmp_lg_u64 s[0:1], 0
	s_subb_u32 s30, s10, 0
	;; [unrolled: 4-line block ×3, first 2 shown]
	s_cmp_ge_u32 s13, s29
	s_cselect_b32 s1, -1, 0
	s_cmp_eq_u32 s30, 0
	s_cselect_b32 s1, s1, -1
	s_cmp_lg_u32 s1, 0
	s_cselect_b32 s0, s0, s30
	s_cselect_b32 s13, s36, s13
	s_cmp_ge_u32 s11, s29
	s_cselect_b32 s1, -1, 0
	s_cmp_eq_u32 s10, 0
	s_cselect_b32 s1, s1, -1
	s_cmp_lg_u32 s1, 0
	s_cselect_b32 s1, s0, s10
	s_cselect_b32 s0, s13, s11
	s_cbranch_execnz .LBB132_241
.LBB132_240:                            ;   in Loop: Header=BB132_20 Depth=1
	v_cvt_f32_u32_e32 v4, s29
	s_sub_i32 s0, 0, s29
	v_rcp_iflag_f32_e32 v4, v4
	v_mul_f32_e32 v4, 0x4f7ffffe, v4
	v_cvt_u32_f32_e32 v4, v4
	v_readfirstlane_b32 s1, v4
	s_mul_i32 s0, s0, s1
	s_mul_hi_u32 s0, s1, s0
	s_add_i32 s1, s1, s0
	s_mul_hi_u32 s0, s12, s1
	s_mul_i32 s0, s0, s29
	s_sub_i32 s0, s12, s0
	s_sub_i32 s1, s0, s29
	s_cmp_ge_u32 s0, s29
	s_cselect_b32 s0, s1, s0
	s_sub_i32 s1, s0, s29
	s_cmp_ge_u32 s0, s29
	s_cselect_b32 s42, s1, s0
	s_mov_b64 s[0:1], s[42:43]
.LBB132_241:                            ;   in Loop: Header=BB132_20 Depth=1
	s_sub_u32 s10, s12, s0
	s_subb_u32 s11, s31, s1
	v_cmp_gt_u64_e32 vcc, s[10:11], v[0:1]
	s_mov_b64 s[36:37], 0
	s_mov_b64 s[30:31], 0
                                        ; implicit-def: $vgpr47
	s_and_saveexec_b64 s[12:13], vcc
	s_cbranch_execz .LBB132_253
; %bb.242:                              ;   in Loop: Header=BB132_20 Depth=1
	v_mov_b32_e32 v5, v1
	v_mov_b32_e32 v8, v38
	;; [unrolled: 1-line block ×3, first 2 shown]
                                        ; implicit-def: $sgpr0_sgpr1
	s_branch .LBB132_246
.LBB132_243:                            ;   in Loop: Header=BB132_246 Depth=2
	s_or_b64 exec, exec, s[54:55]
	s_waitcnt lgkmcnt(0)
	s_barrier
	ds_read_b32 v9, v3 offset:3072
	s_waitcnt lgkmcnt(0)
	s_barrier
	v_cmp_neq_f16_e32 vcc, 0, v9
	s_cbranch_vccnz .LBB132_249
; %bb.244:                              ;   in Loop: Header=BB132_246 Depth=2
	v_add_co_u32_e32 v4, vcc, s29, v4
	v_addc_co_u32_e32 v5, vcc, 0, v5, vcc
	v_cmp_le_u64_e32 vcc, s[10:11], v[4:5]
	v_add_u32_e32 v8, s2, v8
	s_mov_b64 s[54:55], 0
	s_orn2_b64 vcc, vcc, exec
.LBB132_245:                            ;   in Loop: Header=BB132_246 Depth=2
	s_and_b64 vcc, exec, vcc
	s_or_b64 s[30:31], vcc, s[30:31]
	s_andn2_b64 s[0:1], s[0:1], exec
	s_and_b64 s[54:55], s[54:55], exec
	s_or_b64 s[0:1], s[0:1], s[54:55]
	s_andn2_b64 exec, exec, s[30:31]
	s_cbranch_execz .LBB132_252
.LBB132_246:                            ;   Parent Loop BB132_20 Depth=1
                                        ; =>  This Inner Loop Header: Depth=2
	v_cmp_gt_u64_e32 vcc, s[34:35], v[4:5]
	s_and_saveexec_b64 s[54:55], vcc
	s_cbranch_execz .LBB132_243
; %bb.247:                              ;   in Loop: Header=BB132_246 Depth=2
	ds_read_u16 v9, v8
	s_waitcnt lgkmcnt(0)
	v_cmp_lt_i16_e32 vcc, -1, v9
	v_cndmask_b32_e32 v10, v41, v42, vcc
	v_xor_b32_sdwa v10, v10, v9 dst_sel:DWORD dst_unused:UNUSED_PAD src0_sel:DWORD src1_sel:WORD_0
	v_cmp_o_f16_e32 vcc, v9, v9
	v_cndmask_b32_e32 v10, v41, v10, vcc
	v_and_b32_e32 v10, v10, v46
	v_cmp_eq_u32_e32 vcc, v10, v37
	s_and_b64 exec, exec, vcc
	s_cbranch_execz .LBB132_243
; %bb.248:                              ;   in Loop: Header=BB132_246 Depth=2
	v_perm_b32 v9, v9, s3, v45
	ds_write_b32 v3, v9 offset:3072
	s_branch .LBB132_243
.LBB132_249:                            ;   in Loop: Header=BB132_246 Depth=2
	s_mov_b64 vcc, -1
                                        ; implicit-def: $vgpr4_vgpr5
                                        ; implicit-def: $vgpr8
	s_mov_b64 s[54:55], -1
	s_branch .LBB132_245
.LBB132_250:                            ;   in Loop: Header=BB132_20 Depth=1
                                        ; implicit-def: $sgpr0_sgpr1
	s_branch .LBB132_193
.LBB132_251:                            ;   in Loop: Header=BB132_20 Depth=1
                                        ; implicit-def: $sgpr0_sgpr1
	s_branch .LBB132_210
.LBB132_252:                            ;   in Loop: Header=BB132_20 Depth=1
	s_or_b64 exec, exec, s[30:31]
	v_readlane_b32 s54, v60, 27
	v_lshrrev_b32_e32 v47, 16, v9
	s_and_b64 s[30:31], s[0:1], exec
	v_readlane_b32 s55, v60, 28
.LBB132_253:                            ;   in Loop: Header=BB132_20 Depth=1
	s_or_b64 exec, exec, s[12:13]
.LBB132_254:                            ;   in Loop: Header=BB132_20 Depth=1
	s_and_b64 vcc, exec, s[36:37]
	s_cbranch_vccz .LBB132_269
; %bb.255:                              ;   in Loop: Header=BB132_20 Depth=1
	s_mov_b32 s50, s43
	s_cmp_lg_u64 s[50:51], 0
	s_cbranch_scc0 .LBB132_290
; %bb.256:                              ;   in Loop: Header=BB132_20 Depth=1
	v_cvt_f32_u32_e32 v4, s29
	s_sub_u32 s10, 0, s29
	s_subb_u32 s11, 0, 0
	v_mac_f32_e32 v4, 0, v43
	v_rcp_f32_e32 v4, v4
	v_mul_f32_e32 v4, 0x5f7ffffc, v4
	v_mul_f32_e32 v5, 0x2f800000, v4
	v_trunc_f32_e32 v5, v5
	v_mac_f32_e32 v4, 0xcf800000, v5
	v_cvt_u32_f32_e32 v5, v5
	v_cvt_u32_f32_e32 v4, v4
	v_readfirstlane_b32 s12, v5
	v_readfirstlane_b32 s0, v4
	s_mul_i32 s1, s10, s12
	s_mul_hi_u32 s26, s10, s0
	s_mul_i32 s13, s11, s0
	s_add_i32 s1, s26, s1
	s_mul_i32 s27, s10, s0
	s_add_i32 s1, s1, s13
	s_mul_hi_u32 s26, s0, s27
	s_mul_i32 s34, s0, s1
	s_mul_hi_u32 s13, s0, s1
	s_add_u32 s26, s26, s34
	s_addc_u32 s13, 0, s13
	s_mul_hi_u32 s35, s12, s27
	s_mul_i32 s27, s12, s27
	s_add_u32 s26, s26, s27
	s_mul_hi_u32 s34, s12, s1
	s_addc_u32 s13, s13, s35
	s_addc_u32 s26, s34, 0
	s_mul_i32 s1, s12, s1
	s_add_u32 s1, s13, s1
	s_addc_u32 s13, 0, s26
	s_add_u32 s26, s0, s1
	s_cselect_b64 s[0:1], -1, 0
	s_cmp_lg_u64 s[0:1], 0
	s_addc_u32 s12, s12, s13
	s_mul_i32 s0, s10, s12
	s_mul_hi_u32 s1, s10, s26
	s_add_i32 s0, s1, s0
	s_mul_i32 s11, s11, s26
	s_add_i32 s0, s0, s11
	s_mul_i32 s10, s10, s26
	s_mul_hi_u32 s11, s12, s10
	s_mul_i32 s13, s12, s10
	s_mul_i32 s34, s26, s0
	s_mul_hi_u32 s10, s26, s10
	s_mul_hi_u32 s27, s26, s0
	s_add_u32 s10, s10, s34
	s_addc_u32 s27, 0, s27
	s_add_u32 s10, s10, s13
	s_mul_hi_u32 s1, s12, s0
	s_addc_u32 s10, s27, s11
	s_addc_u32 s1, s1, 0
	s_mul_i32 s0, s12, s0
	s_add_u32 s0, s10, s0
	s_addc_u32 s10, 0, s1
	s_add_u32 s11, s26, s0
	s_cselect_b64 s[0:1], -1, 0
	s_cmp_lg_u64 s[0:1], 0
	s_addc_u32 s0, s12, s10
	s_mul_i32 s10, s57, s0
	s_mul_hi_u32 s12, s57, s11
	s_mul_hi_u32 s1, s57, s0
	s_add_u32 s10, s12, s10
	s_addc_u32 s1, 0, s1
	s_mul_hi_u32 s13, s51, s11
	s_mul_i32 s11, s51, s11
	s_add_u32 s10, s10, s11
	s_mul_hi_u32 s12, s51, s0
	s_addc_u32 s1, s1, s13
	s_addc_u32 s10, s12, 0
	s_mul_i32 s0, s51, s0
	s_add_u32 s0, s1, s0
	s_addc_u32 s1, 0, s10
	s_mul_i32 s1, s29, s1
	s_mul_hi_u32 s10, s29, s0
	s_add_i32 s10, s10, s1
	s_mul_i32 s0, s29, s0
	s_sub_u32 s11, s57, s0
	s_cselect_b64 s[0:1], -1, 0
	s_cmp_lg_u64 s[0:1], 0
	s_subb_u32 s10, s51, s10
	s_sub_u32 s12, s11, s29
	s_cselect_b64 s[0:1], -1, 0
	s_cmp_lg_u64 s[0:1], 0
	s_subb_u32 s13, s10, 0
	;; [unrolled: 4-line block ×3, first 2 shown]
	s_cmp_ge_u32 s12, s29
	s_cselect_b32 s1, -1, 0
	s_cmp_eq_u32 s13, 0
	s_cselect_b32 s1, s1, -1
	s_cmp_lg_u32 s1, 0
	s_cselect_b32 s0, s0, s13
	s_cselect_b32 s12, s26, s12
	s_cmp_ge_u32 s11, s29
	s_cselect_b32 s1, -1, 0
	s_cmp_eq_u32 s10, 0
	s_cselect_b32 s1, s1, -1
	s_cmp_lg_u32 s1, 0
	s_cselect_b32 s1, s0, s10
	s_cselect_b32 s0, s12, s11
	s_cbranch_execnz .LBB132_258
.LBB132_257:                            ;   in Loop: Header=BB132_20 Depth=1
	v_cvt_f32_u32_e32 v4, s29
	s_sub_i32 s0, 0, s29
	v_rcp_iflag_f32_e32 v4, v4
	v_mul_f32_e32 v4, 0x4f7ffffe, v4
	v_cvt_u32_f32_e32 v4, v4
	v_readfirstlane_b32 s1, v4
	s_mul_i32 s0, s0, s1
	s_mul_hi_u32 s0, s1, s0
	s_add_i32 s1, s1, s0
	s_mul_hi_u32 s0, s57, s1
	s_mul_i32 s0, s0, s29
	s_sub_i32 s0, s57, s0
	s_sub_i32 s1, s0, s29
	s_cmp_ge_u32 s0, s29
	s_cselect_b32 s0, s1, s0
	s_sub_i32 s1, s0, s29
	s_cmp_ge_u32 s0, s29
	s_cselect_b32 s42, s1, s0
	s_mov_b64 s[0:1], s[42:43]
.LBB132_258:                            ;   in Loop: Header=BB132_20 Depth=1
	s_sub_u32 s34, s57, s0
	s_subb_u32 s35, s51, s1
	v_cmp_gt_u64_e32 vcc, s[34:35], v[0:1]
                                        ; implicit-def: $vgpr47
	s_and_saveexec_b64 s[26:27], vcc
	s_cbranch_execz .LBB132_268
; %bb.259:                              ;   in Loop: Header=BB132_20 Depth=1
	v_mov_b32_e32 v4, v12
	v_mov_b32_e32 v9, v1
	s_mov_b64 s[10:11], 0
	v_mov_b32_e32 v5, v13
	v_mov_b32_e32 v8, v0
                                        ; implicit-def: $sgpr12_sgpr13
	s_branch .LBB132_263
.LBB132_260:                            ;   in Loop: Header=BB132_263 Depth=2
	s_or_b64 exec, exec, s[0:1]
	s_waitcnt lgkmcnt(0)
	s_barrier
	ds_read_b32 v10, v3 offset:3072
	s_waitcnt lgkmcnt(0)
	s_barrier
	v_cmp_eq_f16_e32 vcc, 0, v10
	s_cbranch_vccz .LBB132_266
; %bb.261:                              ;   in Loop: Header=BB132_263 Depth=2
	v_add_co_u32_e32 v8, vcc, s29, v8
	v_addc_co_u32_e32 v9, vcc, 0, v9, vcc
	v_mov_b32_e32 v11, s47
	v_add_co_u32_e32 v4, vcc, s46, v4
	v_addc_co_u32_e32 v5, vcc, v5, v11, vcc
	v_cmp_le_u64_e32 vcc, s[34:35], v[8:9]
	s_mov_b64 s[0:1], 0
	s_orn2_b64 s[36:37], vcc, exec
.LBB132_262:                            ;   in Loop: Header=BB132_263 Depth=2
	s_and_b64 s[36:37], exec, s[36:37]
	s_or_b64 s[10:11], s[36:37], s[10:11]
	s_andn2_b64 s[12:13], s[12:13], exec
	s_and_b64 s[0:1], s[0:1], exec
	s_or_b64 s[12:13], s[12:13], s[0:1]
	s_andn2_b64 exec, exec, s[10:11]
	s_cbranch_execz .LBB132_267
.LBB132_263:                            ;   Parent Loop BB132_20 Depth=1
                                        ; =>  This Inner Loop Header: Depth=2
	v_cmp_gt_u64_e32 vcc, s[24:25], v[8:9]
	s_and_saveexec_b64 s[0:1], vcc
	s_cbranch_execz .LBB132_260
; %bb.264:                              ;   in Loop: Header=BB132_263 Depth=2
	global_load_ushort v10, v[4:5], off
	s_waitcnt vmcnt(0)
	v_cmp_lt_i16_e32 vcc, -1, v10
	v_cndmask_b32_e32 v11, v41, v42, vcc
	v_xor_b32_sdwa v11, v11, v10 dst_sel:DWORD dst_unused:UNUSED_PAD src0_sel:DWORD src1_sel:WORD_0
	v_cmp_o_f16_e32 vcc, v10, v10
	v_cndmask_b32_e32 v11, v41, v11, vcc
	v_and_b32_e32 v11, v11, v46
	v_cmp_eq_u32_e32 vcc, v11, v37
	s_and_b64 exec, exec, vcc
	s_cbranch_execz .LBB132_260
; %bb.265:                              ;   in Loop: Header=BB132_263 Depth=2
	v_perm_b32 v10, v10, s3, v45
	ds_write_b32 v3, v10 offset:3072
	s_branch .LBB132_260
.LBB132_266:                            ;   in Loop: Header=BB132_263 Depth=2
	s_mov_b64 s[36:37], -1
                                        ; implicit-def: $vgpr8_vgpr9
                                        ; implicit-def: $vgpr4_vgpr5
	s_mov_b64 s[0:1], -1
	s_branch .LBB132_262
.LBB132_267:                            ;   in Loop: Header=BB132_20 Depth=1
	s_or_b64 exec, exec, s[10:11]
	s_andn2_b64 s[0:1], s[30:31], exec
	s_and_b64 s[10:11], s[12:13], exec
	v_lshrrev_b32_e32 v47, 16, v10
	s_or_b64 s[30:31], s[0:1], s[10:11]
.LBB132_268:                            ;   in Loop: Header=BB132_20 Depth=1
	s_or_b64 exec, exec, s[26:27]
	s_mov_b64 s[94:95], 0
	s_mov_b64 s[26:27], -1
.LBB132_269:                            ;   in Loop: Header=BB132_20 Depth=1
	s_orn2_b64 s[0:1], s[30:31], exec
.LBB132_270:                            ;   in Loop: Header=BB132_20 Depth=1
	s_or_b64 exec, exec, s[92:93]
	s_mov_b64 s[10:11], 0
	s_and_saveexec_b64 s[30:31], s[0:1]
	s_cbranch_execz .LBB132_281
; %bb.271:                              ;   in Loop: Header=BB132_20 Depth=1
	v_mov_b32_e32 v4, 1
	s_xor_b64 s[0:1], s[90:91], -1
	v_mov_b32_e32 v5, 0
	v_mov_b32_e32 v2, 1
	s_and_saveexec_b64 s[12:13], s[0:1]
	s_cbranch_execz .LBB132_280
; %bb.272:                              ;   in Loop: Header=BB132_20 Depth=1
	v_cmp_ge_u64_e32 vcc, s[14:15], v[6:7]
	s_and_saveexec_b64 s[0:1], vcc
	s_xor_b64 s[0:1], exec, s[0:1]
	s_cbranch_execz .LBB132_277
; %bb.273:                              ;   in Loop: Header=BB132_20 Depth=1
	ds_read_b64 v[4:5], v3 offset:5120
	v_or_b32_e32 v37, s48, v37
	v_or_b32_e32 v46, s48, v46
	s_waitcnt lgkmcnt(0)
	v_cmp_ne_u64_e32 vcc, 0, v[4:5]
	s_cbranch_vccnz .LBB132_277
; %bb.274:                              ;   in Loop: Header=BB132_20 Depth=1
	s_mov_b64 s[10:11], exec
	v_readlane_b32 s34, v60, 12
	v_readlane_b32 s35, v60, 13
	s_and_b64 s[34:35], s[10:11], s[34:35]
	s_mov_b64 exec, s[34:35]
; %bb.275:                              ;   in Loop: Header=BB132_20 Depth=1
	v_mov_b32_e32 v4, s14
	v_mov_b32_e32 v5, s15
	ds_write_b64 v3, v[4:5] offset:5128
; %bb.276:                              ;   in Loop: Header=BB132_20 Depth=1
	s_or_b64 exec, exec, s[10:11]
	s_waitcnt lgkmcnt(0)
	s_barrier
.LBB132_277:                            ;   in Loop: Header=BB132_20 Depth=1
	s_andn2_saveexec_b64 s[0:1], s[0:1]
; %bb.278:                              ;   in Loop: Header=BB132_20 Depth=1
	v_mov_b32_e32 v2, s15
	v_subrev_co_u32_e32 v6, vcc, s14, v6
	v_subb_co_u32_e32 v7, vcc, v7, v2, vcc
; %bb.279:                              ;   in Loop: Header=BB132_20 Depth=1
	s_or_b64 exec, exec, s[0:1]
	v_mov_b32_e32 v4, v6
	v_mov_b32_e32 v2, 8
	;; [unrolled: 1-line block ×3, first 2 shown]
.LBB132_280:                            ;   in Loop: Header=BB132_20 Depth=1
	s_or_b64 exec, exec, s[12:13]
	v_mov_b32_e32 v7, v5
	s_mov_b64 s[10:11], exec
	v_mov_b32_e32 v6, v4
.LBB132_281:                            ;   in Loop: Header=BB132_20 Depth=1
	s_or_b64 exec, exec, s[30:31]
	s_orn2_b64 s[0:1], s[10:11], exec
.LBB132_282:                            ;   in Loop: Header=BB132_20 Depth=1
	s_or_b64 exec, exec, s[76:77]
	s_andn2_b64 s[10:11], s[86:87], exec
	s_and_b64 s[12:13], s[26:27], exec
	s_or_b64 s[86:87], s[10:11], s[12:13]
	s_andn2_b64 s[10:11], s[84:85], exec
	s_and_b64 s[12:13], s[94:95], exec
	v_mov_b32_e32 v4, v6
	s_or_b64 s[84:85], s[10:11], s[12:13]
	s_and_b64 s[10:11], s[0:1], exec
	v_mov_b32_e32 v5, v7
.LBB132_283:                            ;   in Loop: Header=BB132_20 Depth=1
	s_or_b64 exec, exec, s[88:89]
	s_orn2_b64 s[0:1], s[10:11], exec
.LBB132_284:                            ;   in Loop: Header=BB132_20 Depth=1
	s_or_b64 exec, exec, s[82:83]
	s_andn2_b64 s[10:11], s[78:79], exec
	s_and_b64 s[12:13], s[86:87], exec
	s_or_b64 s[78:79], s[10:11], s[12:13]
	s_andn2_b64 s[6:7], s[6:7], exec
	s_and_b64 s[10:11], s[84:85], exec
	v_mov_b32_e32 v9, v5
	s_or_b64 s[6:7], s[6:7], s[10:11]
	s_and_b64 s[10:11], s[0:1], exec
	v_mov_b32_e32 v8, v4
.LBB132_285:                            ;   in Loop: Header=BB132_20 Depth=1
	s_or_b64 exec, exec, s[80:81]
	s_orn2_b64 s[0:1], s[10:11], exec
.LBB132_286:                            ;   in Loop: Header=BB132_20 Depth=1
	s_or_b64 exec, exec, s[22:23]
	s_mov_b64 s[10:11], 0
	s_and_saveexec_b64 s[12:13], s[0:1]
	s_xor_b64 s[0:1], exec, s[12:13]
	s_cbranch_execz .LBB132_18
; %bb.287:                              ;   in Loop: Header=BB132_20 Depth=1
	v_and_b32_e32 v2, 7, v2
	v_cmp_eq_u32_e32 vcc, 0, v2
	s_mov_b64 s[12:13], -1
	s_mov_b64 s[10:11], -1
	s_and_saveexec_b64 s[14:15], vcc
	s_cbranch_execz .LBB132_17
; %bb.288:                              ;   in Loop: Header=BB132_20 Depth=1
	s_xor_b32 s56, s56, 1
	s_add_i32 s20, s33, -2
	s_cmp_eq_u32 s33, 0
	s_cselect_b64 s[12:13], -1, 0
	s_xor_b64 s[10:11], exec, -1
	s_orn2_b64 s[12:13], s[12:13], exec
	s_mov_b32 s33, s20
	s_branch .LBB132_17
.LBB132_289:                            ;   in Loop: Header=BB132_20 Depth=1
                                        ; implicit-def: $sgpr0_sgpr1
	s_branch .LBB132_240
.LBB132_290:                            ;   in Loop: Header=BB132_20 Depth=1
                                        ; implicit-def: $sgpr0_sgpr1
	s_branch .LBB132_257
.LBB132_291:
	s_or_b64 exec, exec, s[62:63]
	s_xor_b64 s[4:5], s[68:69], -1
	s_xor_b64 s[2:3], s[64:65], -1
	;; [unrolled: 1-line block ×3, first 2 shown]
	s_mov_b64 s[0:1], 0
	s_and_saveexec_b64 s[8:9], s[2:3]
	s_xor_b64 s[2:3], exec, s[8:9]
	s_cbranch_execnz .LBB132_296
; %bb.292:
	s_andn2_saveexec_b64 s[2:3], s[2:3]
	s_cbranch_execnz .LBB132_309
.LBB132_293:
	s_or_b64 exec, exec, s[2:3]
	s_and_saveexec_b64 s[2:3], s[0:1]
.LBB132_294:
	; divergent unreachable
.LBB132_295:
	s_endpgm
.LBB132_296:
	s_and_saveexec_b64 s[0:1], s[4:5]
	s_xor_b64 s[4:5], exec, s[0:1]
	s_cbranch_execz .LBB132_307
; %bb.297:
	s_and_saveexec_b64 s[0:1], s[6:7]
	s_xor_b64 s[0:1], exec, s[0:1]
; %bb.298:
	v_and_b32_e32 v2, 0x8000, v37
	v_mov_b32_e32 v3, 0x8000
	v_mov_b32_e32 v4, 0xffff
	v_cmp_eq_u32_e32 vcc, 0, v2
	v_cndmask_b32_e32 v2, v3, v4, vcc
	v_xor_b32_e32 v47, v2, v37
; %bb.299:
	s_or_b64 exec, exec, s[0:1]
	v_readlane_b32 s0, v60, 8
	v_readlane_b32 s8, v60, 4
	;; [unrolled: 1-line block ×3, first 2 shown]
	s_mov_b32 s6, s0
	v_readlane_b32 s9, v60, 5
	s_mul_i32 s0, s9, s0
	s_mul_hi_u32 s1, s8, s6
	s_add_i32 s1, s1, s0
	s_mul_i32 s0, s8, s6
	s_lshl_b64 s[0:1], s[0:1], 1
	v_readlane_b32 s6, v60, 6
	v_readlane_b32 s7, v60, 7
	s_add_u32 s0, s6, s0
	s_addc_u32 s1, s7, s1
	v_mov_b32_e32 v2, 0
	global_store_short v2, v47, s[0:1]
	s_mov_b64 s[6:7], exec
	v_readlane_b32 s0, v60, 10
	v_readlane_b32 s1, v60, 11
	s_and_b64 s[0:1], s[6:7], s[0:1]
	s_mov_b64 exec, s[0:1]
	s_cbranch_execz .LBB132_306
; %bb.300:
	v_cmp_u_f16_e32 vcc, v47, v47
	s_mov_b64 s[8:9], 0
	s_xor_b64 s[12:13], vcc, -1
                                        ; implicit-def: $sgpr10_sgpr11
                                        ; implicit-def: $sgpr16_sgpr17
                                        ; implicit-def: $sgpr14_sgpr15
	s_branch .LBB132_302
.LBB132_301:                            ;   in Loop: Header=BB132_302 Depth=1
	s_or_b64 exec, exec, s[0:1]
	s_and_b64 s[0:1], exec, s[16:17]
	s_or_b64 s[8:9], s[0:1], s[8:9]
	s_andn2_b64 s[0:1], s[10:11], exec
	s_and_b64 s[10:11], s[14:15], exec
	s_or_b64 s[10:11], s[0:1], s[10:11]
	s_andn2_b64 exec, exec, s[8:9]
	s_cbranch_execz .LBB132_304
.LBB132_302:                            ; =>This Inner Loop Header: Depth=1
	global_load_ushort v4, v[12:13], off
	v_mov_b32_e32 v3, v1
	v_mov_b32_e32 v2, v0
	s_or_b64 s[14:15], s[14:15], exec
	s_or_b64 s[16:17], s[16:17], exec
                                        ; implicit-def: $vgpr0_vgpr1
	s_waitcnt vmcnt(0)
	v_cmp_o_f16_e64 s[0:1], v4, v4
	v_cmp_neq_f16_e32 vcc, v4, v47
	s_or_b64 s[0:1], s[12:13], s[0:1]
	s_and_b64 s[18:19], vcc, s[0:1]
	s_and_saveexec_b64 s[0:1], s[18:19]
	s_cbranch_execz .LBB132_301
; %bb.303:                              ;   in Loop: Header=BB132_302 Depth=1
	v_add_co_u32_e32 v0, vcc, s29, v2
	v_addc_co_u32_e32 v1, vcc, 0, v3, vcc
	v_mov_b32_e32 v4, s47
	v_add_co_u32_e32 v12, vcc, s46, v12
	v_addc_co_u32_e32 v13, vcc, v13, v4, vcc
	v_cmp_le_u64_e32 vcc, s[24:25], v[0:1]
	s_andn2_b64 s[16:17], s[16:17], exec
	s_and_b64 s[18:19], vcc, exec
	s_andn2_b64 s[14:15], s[14:15], exec
	s_or_b64 s[16:17], s[16:17], s[18:19]
	s_branch .LBB132_301
.LBB132_304:
	s_or_b64 exec, exec, s[8:9]
	s_and_saveexec_b64 s[0:1], s[10:11]
	s_xor_b64 s[0:1], exec, s[0:1]
	s_cbranch_execz .LBB132_306
; %bb.305:
	v_readlane_b32 s0, v60, 8
	v_readlane_b32 s10, v60, 0
	;; [unrolled: 1-line block ×3, first 2 shown]
	s_mov_b32 s8, s0
	v_readlane_b32 s11, v60, 1
	s_mul_i32 s0, s11, s0
	s_mul_hi_u32 s1, s10, s8
	s_add_i32 s1, s1, s0
	s_mul_i32 s0, s10, s8
	s_lshl_b64 s[0:1], s[0:1], 3
	v_readlane_b32 s8, v60, 2
	v_readlane_b32 s9, v60, 3
	s_add_u32 s0, s8, s0
	s_addc_u32 s1, s9, s1
	v_mov_b32_e32 v0, 0
	global_store_dwordx2 v0, v[2:3], s[0:1]
.LBB132_306:
	s_or_b64 exec, exec, s[6:7]
.LBB132_307:
	s_or_saveexec_b64 s[0:1], s[4:5]
	s_mov_b64 s[4:5], 0
	s_xor_b64 exec, exec, s[0:1]
	s_cbranch_execnz .LBB132_310
.LBB132_308:
	s_or_b64 exec, exec, s[0:1]
	s_and_b64 s[0:1], s[4:5], exec
	s_andn2_saveexec_b64 s[2:3], s[2:3]
	s_cbranch_execz .LBB132_293
.LBB132_309:
	s_or_b64 s[0:1], s[0:1], exec
	s_trap 2
	s_or_b64 exec, exec, s[2:3]
	s_and_saveexec_b64 s[2:3], s[0:1]
	s_cbranch_execnz .LBB132_294
	s_branch .LBB132_295
.LBB132_310:
	s_mov_b64 s[4:5], exec
	s_trap 2
	s_branch .LBB132_308
	.section	.rodata,"a",@progbits
	.p2align	6, 0x0
	.amdhsa_kernel _ZN2at6native12_GLOBAL__N_112gatherMedianIN3c104HalfEmLi1EEEvNS_4cuda6detail10TensorInfoIT_T0_EENS7_IlS9_EENS7_IKS8_S9_EES9_S9_S9_b
		.amdhsa_group_segment_fixed_size 5152
		.amdhsa_private_segment_fixed_size 0
		.amdhsa_kernarg_size 1536
		.amdhsa_user_sgpr_count 6
		.amdhsa_user_sgpr_private_segment_buffer 1
		.amdhsa_user_sgpr_dispatch_ptr 0
		.amdhsa_user_sgpr_queue_ptr 0
		.amdhsa_user_sgpr_kernarg_segment_ptr 1
		.amdhsa_user_sgpr_dispatch_id 0
		.amdhsa_user_sgpr_flat_scratch_init 0
		.amdhsa_user_sgpr_private_segment_size 0
		.amdhsa_uses_dynamic_stack 0
		.amdhsa_system_sgpr_private_segment_wavefront_offset 0
		.amdhsa_system_sgpr_workgroup_id_x 1
		.amdhsa_system_sgpr_workgroup_id_y 1
		.amdhsa_system_sgpr_workgroup_id_z 1
		.amdhsa_system_sgpr_workgroup_info 0
		.amdhsa_system_vgpr_workitem_id 0
		.amdhsa_next_free_vgpr 61
		.amdhsa_next_free_sgpr 96
		.amdhsa_reserve_vcc 1
		.amdhsa_reserve_flat_scratch 0
		.amdhsa_float_round_mode_32 0
		.amdhsa_float_round_mode_16_64 0
		.amdhsa_float_denorm_mode_32 3
		.amdhsa_float_denorm_mode_16_64 3
		.amdhsa_dx10_clamp 1
		.amdhsa_ieee_mode 1
		.amdhsa_fp16_overflow 0
		.amdhsa_exception_fp_ieee_invalid_op 0
		.amdhsa_exception_fp_denorm_src 0
		.amdhsa_exception_fp_ieee_div_zero 0
		.amdhsa_exception_fp_ieee_overflow 0
		.amdhsa_exception_fp_ieee_underflow 0
		.amdhsa_exception_fp_ieee_inexact 0
		.amdhsa_exception_int_div_zero 0
	.end_amdhsa_kernel
	.section	.text._ZN2at6native12_GLOBAL__N_112gatherMedianIN3c104HalfEmLi1EEEvNS_4cuda6detail10TensorInfoIT_T0_EENS7_IlS9_EENS7_IKS8_S9_EES9_S9_S9_b,"axG",@progbits,_ZN2at6native12_GLOBAL__N_112gatherMedianIN3c104HalfEmLi1EEEvNS_4cuda6detail10TensorInfoIT_T0_EENS7_IlS9_EENS7_IKS8_S9_EES9_S9_S9_b,comdat
.Lfunc_end132:
	.size	_ZN2at6native12_GLOBAL__N_112gatherMedianIN3c104HalfEmLi1EEEvNS_4cuda6detail10TensorInfoIT_T0_EENS7_IlS9_EENS7_IKS8_S9_EES9_S9_S9_b, .Lfunc_end132-_ZN2at6native12_GLOBAL__N_112gatherMedianIN3c104HalfEmLi1EEEvNS_4cuda6detail10TensorInfoIT_T0_EENS7_IlS9_EENS7_IKS8_S9_EES9_S9_S9_b
                                        ; -- End function
	.set _ZN2at6native12_GLOBAL__N_112gatherMedianIN3c104HalfEmLi1EEEvNS_4cuda6detail10TensorInfoIT_T0_EENS7_IlS9_EENS7_IKS8_S9_EES9_S9_S9_b.num_vgpr, 61
	.set _ZN2at6native12_GLOBAL__N_112gatherMedianIN3c104HalfEmLi1EEEvNS_4cuda6detail10TensorInfoIT_T0_EENS7_IlS9_EENS7_IKS8_S9_EES9_S9_S9_b.num_agpr, 0
	.set _ZN2at6native12_GLOBAL__N_112gatherMedianIN3c104HalfEmLi1EEEvNS_4cuda6detail10TensorInfoIT_T0_EENS7_IlS9_EENS7_IKS8_S9_EES9_S9_S9_b.numbered_sgpr, 96
	.set _ZN2at6native12_GLOBAL__N_112gatherMedianIN3c104HalfEmLi1EEEvNS_4cuda6detail10TensorInfoIT_T0_EENS7_IlS9_EENS7_IKS8_S9_EES9_S9_S9_b.num_named_barrier, 0
	.set _ZN2at6native12_GLOBAL__N_112gatherMedianIN3c104HalfEmLi1EEEvNS_4cuda6detail10TensorInfoIT_T0_EENS7_IlS9_EENS7_IKS8_S9_EES9_S9_S9_b.private_seg_size, 0
	.set _ZN2at6native12_GLOBAL__N_112gatherMedianIN3c104HalfEmLi1EEEvNS_4cuda6detail10TensorInfoIT_T0_EENS7_IlS9_EENS7_IKS8_S9_EES9_S9_S9_b.uses_vcc, 1
	.set _ZN2at6native12_GLOBAL__N_112gatherMedianIN3c104HalfEmLi1EEEvNS_4cuda6detail10TensorInfoIT_T0_EENS7_IlS9_EENS7_IKS8_S9_EES9_S9_S9_b.uses_flat_scratch, 0
	.set _ZN2at6native12_GLOBAL__N_112gatherMedianIN3c104HalfEmLi1EEEvNS_4cuda6detail10TensorInfoIT_T0_EENS7_IlS9_EENS7_IKS8_S9_EES9_S9_S9_b.has_dyn_sized_stack, 0
	.set _ZN2at6native12_GLOBAL__N_112gatherMedianIN3c104HalfEmLi1EEEvNS_4cuda6detail10TensorInfoIT_T0_EENS7_IlS9_EENS7_IKS8_S9_EES9_S9_S9_b.has_recursion, 0
	.set _ZN2at6native12_GLOBAL__N_112gatherMedianIN3c104HalfEmLi1EEEvNS_4cuda6detail10TensorInfoIT_T0_EENS7_IlS9_EENS7_IKS8_S9_EES9_S9_S9_b.has_indirect_call, 0
	.section	.AMDGPU.csdata,"",@progbits
; Kernel info:
; codeLenInByte = 15528
; TotalNumSgprs: 100
; NumVgprs: 61
; ScratchSize: 0
; MemoryBound: 0
; FloatMode: 240
; IeeeMode: 1
; LDSByteSize: 5152 bytes/workgroup (compile time only)
; SGPRBlocks: 12
; VGPRBlocks: 15
; NumSGPRsForWavesPerEU: 100
; NumVGPRsForWavesPerEU: 61
; Occupancy: 4
; WaveLimiterHint : 1
; COMPUTE_PGM_RSRC2:SCRATCH_EN: 0
; COMPUTE_PGM_RSRC2:USER_SGPR: 6
; COMPUTE_PGM_RSRC2:TRAP_HANDLER: 0
; COMPUTE_PGM_RSRC2:TGID_X_EN: 1
; COMPUTE_PGM_RSRC2:TGID_Y_EN: 1
; COMPUTE_PGM_RSRC2:TGID_Z_EN: 1
; COMPUTE_PGM_RSRC2:TIDIG_COMP_CNT: 0
	.section	.text._ZN2at6native12_GLOBAL__N_112gatherMedianIN3c104HalfEmLi2EEEvNS_4cuda6detail10TensorInfoIT_T0_EENS7_IlS9_EENS7_IKS8_S9_EES9_S9_S9_b,"axG",@progbits,_ZN2at6native12_GLOBAL__N_112gatherMedianIN3c104HalfEmLi2EEEvNS_4cuda6detail10TensorInfoIT_T0_EENS7_IlS9_EENS7_IKS8_S9_EES9_S9_S9_b,comdat
	.globl	_ZN2at6native12_GLOBAL__N_112gatherMedianIN3c104HalfEmLi2EEEvNS_4cuda6detail10TensorInfoIT_T0_EENS7_IlS9_EENS7_IKS8_S9_EES9_S9_S9_b ; -- Begin function _ZN2at6native12_GLOBAL__N_112gatherMedianIN3c104HalfEmLi2EEEvNS_4cuda6detail10TensorInfoIT_T0_EENS7_IlS9_EENS7_IKS8_S9_EES9_S9_S9_b
	.p2align	8
	.type	_ZN2at6native12_GLOBAL__N_112gatherMedianIN3c104HalfEmLi2EEEvNS_4cuda6detail10TensorInfoIT_T0_EENS7_IlS9_EENS7_IKS8_S9_EES9_S9_S9_b,@function
_ZN2at6native12_GLOBAL__N_112gatherMedianIN3c104HalfEmLi2EEEvNS_4cuda6detail10TensorInfoIT_T0_EENS7_IlS9_EENS7_IKS8_S9_EES9_S9_S9_b: ; @_ZN2at6native12_GLOBAL__N_112gatherMedianIN3c104HalfEmLi2EEEvNS_4cuda6detail10TensorInfoIT_T0_EENS7_IlS9_EENS7_IKS8_S9_EES9_S9_S9_b
; %bb.0:
	s_load_dwordx2 s[10:11], s[4:5], 0x500
	s_load_dwordx4 s[56:59], s[4:5], 0x4e0
	s_add_u32 s12, s4, 0x500
	s_addc_u32 s13, s5, 0
	s_mov_b32 s19, 0
	s_waitcnt lgkmcnt(0)
	s_mul_i32 s0, s11, s8
	s_add_i32 s0, s0, s7
	s_mul_i32 s0, s0, s10
	s_add_i32 s18, s0, s6
	v_mov_b32_e32 v1, s18
	v_mov_b32_e32 v2, s19
	v_cmp_le_u64_e32 vcc, s[58:59], v[1:2]
	s_cbranch_vccnz .LBB133_305
; %bb.1:
	s_load_dwordx2 s[20:21], s[4:5], 0x10
	s_load_dwordx2 s[72:73], s[4:5], 0x4f0
	;; [unrolled: 1-line block ×4, first 2 shown]
                                        ; implicit-def: $vgpr52 : SGPR spill to VGPR lane
	s_waitcnt lgkmcnt(0)
	v_mov_b32_e32 v1, s20
	v_mov_b32_e32 v2, s21
	v_cmp_lt_u64_e32 vcc, s[18:19], v[1:2]
	v_writelane_b32 v52, s0, 0
	v_writelane_b32 v52, s1, 1
	s_mov_b64 s[0:1], 0
	v_writelane_b32 v52, s0, 2
	v_writelane_b32 v52, s1, 3
	s_mov_b64 s[0:1], 0
	s_cbranch_vccnz .LBB133_3
; %bb.2:
	v_cvt_f32_u32_e32 v1, s20
	s_sub_i32 s0, 0, s20
	v_rcp_iflag_f32_e32 v1, v1
	v_mul_f32_e32 v1, 0x4f7ffffe, v1
	v_cvt_u32_f32_e32 v1, v1
	v_readfirstlane_b32 s1, v1
	s_mul_i32 s0, s0, s1
	s_mul_hi_u32 s0, s1, s0
	s_add_i32 s1, s1, s0
	s_mul_hi_u32 s0, s18, s1
	s_mul_i32 s2, s0, s20
	s_sub_i32 s2, s18, s2
	s_add_i32 s1, s0, 1
	s_sub_i32 s3, s2, s20
	s_cmp_ge_u32 s2, s20
	s_cselect_b32 s0, s1, s0
	s_cselect_b32 s2, s3, s2
	s_add_i32 s1, s0, 1
	s_cmp_ge_u32 s2, s20
	s_cselect_b32 s0, s1, s0
.LBB133_3:
	v_writelane_b32 v52, s0, 4
	v_writelane_b32 v52, s1, 5
	s_load_dwordx2 s[14:15], s[4:5], 0x340
	s_load_dwordx2 s[0:1], s[4:5], 0x1b0
	s_waitcnt lgkmcnt(0)
	v_mov_b32_e32 v2, s1
	v_mov_b32_e32 v1, s0
	v_cmp_lt_u64_e32 vcc, s[18:19], v[1:2]
	s_cbranch_vccnz .LBB133_5
; %bb.4:
	s_load_dwordx2 s[16:17], s[4:5], 0x1b0
	s_waitcnt lgkmcnt(0)
	v_cvt_f32_u32_e32 v1, s16
	s_sub_i32 s0, 0, s16
	v_rcp_iflag_f32_e32 v1, v1
	v_mul_f32_e32 v1, 0x4f7ffffe, v1
	v_cvt_u32_f32_e32 v1, v1
	v_readfirstlane_b32 s1, v1
	s_mul_i32 s0, s0, s1
	s_mul_hi_u32 s0, s1, s0
	s_add_i32 s1, s1, s0
	s_mul_hi_u32 s0, s18, s1
	s_mul_i32 s2, s0, s16
	s_sub_i32 s2, s18, s2
	s_add_i32 s1, s0, 1
	s_sub_i32 s3, s2, s16
	s_cmp_ge_u32 s2, s16
	s_cselect_b32 s0, s1, s0
	s_cselect_b32 s2, s3, s2
	s_add_i32 s1, s0, 1
	s_cmp_ge_u32 s2, s16
	s_cselect_b32 s0, s1, s0
	v_writelane_b32 v52, s0, 2
	v_writelane_b32 v52, s1, 3
.LBB133_5:
	s_load_dwordx4 s[0:3], s[4:5], 0x410
	v_mov_b32_e32 v1, s8
	v_mov_b32_e32 v2, s9
	v_cmp_lt_u64_e32 vcc, s[18:19], v[1:2]
	v_writelane_b32 v52, s20, 6
	s_mov_b64 s[16:17], 0
	v_writelane_b32 v52, s21, 7
	s_cbranch_vccnz .LBB133_7
; %bb.6:
	v_cvt_f32_u32_e32 v1, s8
	s_sub_i32 s7, 0, s8
	v_rcp_iflag_f32_e32 v1, v1
	v_mul_f32_e32 v1, 0x4f7ffffe, v1
	v_cvt_u32_f32_e32 v1, v1
	v_readfirstlane_b32 s11, v1
	s_mul_i32 s7, s7, s11
	s_mul_hi_u32 s7, s11, s7
	s_add_i32 s11, s11, s7
	s_mul_hi_u32 s7, s18, s11
	s_mul_i32 s16, s7, s8
	s_sub_i32 s16, s18, s16
	s_add_i32 s11, s7, 1
	s_sub_i32 s17, s16, s8
	s_cmp_ge_u32 s16, s8
	s_cselect_b32 s7, s11, s7
	s_cselect_b32 s16, s17, s16
	s_add_i32 s11, s7, 1
	s_cmp_ge_u32 s16, s8
	s_cselect_b32 s16, s11, s7
.LBB133_7:
	s_load_dwordx2 s[20:21], s[4:5], 0x1a0
	s_mul_i32 s7, s16, s9
	s_mul_hi_u32 s9, s16, s8
	s_add_i32 s9, s9, s7
	s_mul_i32 s7, s16, s8
	s_waitcnt lgkmcnt(0)
	v_writelane_b32 v52, s20, 8
	v_writelane_b32 v52, s21, 9
	s_load_dwordx2 s[20:21], s[4:5], 0x0
	s_mov_b32 s8, s18
	s_sub_u32 s7, s18, s7
	s_mul_i32 s3, s7, s3
	s_mul_i32 s1, s16, s1
	s_waitcnt lgkmcnt(0)
	v_writelane_b32 v52, s20, 10
	v_writelane_b32 v52, s21, 11
	;; [unrolled: 1-line block ×4, first 2 shown]
	s_subb_u32 s8, 0, s9
	s_mul_hi_u32 s9, s7, s2
	s_mul_i32 s8, s8, s2
	s_mul_i32 s2, s7, s2
	s_mul_hi_u32 s7, s16, s0
	s_add_i32 s3, s9, s3
	s_add_i32 s1, s7, s1
	s_mul_i32 s0, s16, s0
	s_add_i32 s3, s3, s8
	s_lshl_b64 s[0:1], s[0:1], 1
	s_add_u32 s7, s14, s0
	s_addc_u32 s8, s15, s1
	s_lshl_b64 s[0:1], s[2:3], 1
	s_add_u32 s33, s7, s0
	v_mov_b32_e32 v2, 0
	v_mov_b32_e32 v1, 0
	;; [unrolled: 1-line block ×3, first 2 shown]
	s_addc_u32 s69, s8, s1
	v_cmp_gt_u64_e64 s[2:3], s[56:57], v[0:1]
	s_mov_b64 s[0:1], exec
	v_writelane_b32 v52, s2, 14
	v_writelane_b32 v52, s3, 15
	s_and_b64 s[2:3], s[0:1], s[2:3]
	s_mov_b64 exec, s[2:3]
	s_cbranch_execz .LBB133_11
; %bb.8:
	s_load_dword s7, s[12:13], 0xc
	v_mov_b32_e32 v2, 0
	v_mov_b32_e32 v5, v1
	s_mov_b64 s[2:3], 0
	v_mov_b32_e32 v3, 0
	v_mov_b32_e32 v6, s69
	s_waitcnt lgkmcnt(0)
	s_and_b32 s7, s7, 0xffff
	v_mov_b32_e32 v4, v0
.LBB133_9:                              ; =>This Inner Loop Header: Depth=1
	v_mul_lo_u32 v9, v5, s72
	v_mul_lo_u32 v10, v4, s73
	v_mad_u64_u32 v[7:8], s[8:9], v4, s72, 0
	v_add3_u32 v8, v8, v10, v9
	v_lshlrev_b64 v[7:8], 1, v[7:8]
	v_add_co_u32_e32 v7, vcc, s33, v7
	v_addc_co_u32_e32 v8, vcc, v6, v8, vcc
	global_load_ushort v7, v[7:8], off
	v_add_co_u32_e32 v4, vcc, s7, v4
	v_addc_co_u32_e32 v5, vcc, 0, v5, vcc
	v_cmp_le_u64_e32 vcc, s[56:57], v[4:5]
	s_or_b64 s[2:3], vcc, s[2:3]
	s_waitcnt vmcnt(0)
	v_cmp_u_f16_e32 vcc, v7, v7
	v_cndmask_b32_e64 v7, 0, 1, vcc
	v_add_co_u32_e32 v2, vcc, v2, v7
	v_addc_co_u32_e32 v3, vcc, 0, v3, vcc
	s_andn2_b64 exec, exec, s[2:3]
	s_cbranch_execnz .LBB133_9
; %bb.10:
	s_or_b64 exec, exec, s[2:3]
.LBB133_11:
	s_or_b64 exec, exec, s[0:1]
	s_load_dwordx4 s[0:3], s[4:5], 0x270
	s_waitcnt lgkmcnt(0)
	v_writelane_b32 v52, s0, 18
	v_writelane_b32 v52, s1, 19
	;; [unrolled: 1-line block ×4, first 2 shown]
	s_load_dwordx4 s[0:3], s[4:5], 0xd0
	s_waitcnt lgkmcnt(0)
	v_writelane_b32 v52, s0, 22
	v_writelane_b32 v52, s1, 23
	;; [unrolled: 1-line block ×4, first 2 shown]
	v_cmp_eq_u32_e64 s[2:3], 0, v0
	s_mov_b64 s[0:1], exec
	v_writelane_b32 v52, s2, 16
	v_writelane_b32 v52, s3, 17
	s_and_b64 s[2:3], s[0:1], s[2:3]
	s_mov_b64 exec, s[2:3]
; %bb.12:
	v_mov_b32_e32 v4, 0
	v_mov_b32_e32 v5, v4
	ds_write_b64 v4, v[4:5] offset:5136
; %bb.13:
	s_or_b64 exec, exec, s[0:1]
	v_cmp_ne_u64_e32 vcc, 0, v[2:3]
	s_mov_b64 s[8:9], 0
	s_waitcnt lgkmcnt(0)
	s_barrier
	s_and_saveexec_b64 s[0:1], vcc
	s_cbranch_execz .LBB133_18
; %bb.14:
	s_mov_b64 s[14:15], exec
.LBB133_15:                             ; =>This Inner Loop Header: Depth=1
	s_ff1_i32_b64 s2, s[14:15]
	v_readlane_b32 s7, v2, s2
	v_readlane_b32 s3, v3, s2
	s_add_u32 s8, s8, s7
	s_addc_u32 s9, s9, s3
	s_lshl_b64 s[2:3], 1, s2
	s_andn2_b64 s[14:15], s[14:15], s[2:3]
	s_cmp_lg_u64 s[14:15], 0
	s_cbranch_scc1 .LBB133_15
; %bb.16:
	v_mbcnt_lo_u32_b32 v2, exec_lo, 0
	v_mbcnt_hi_u32_b32 v2, exec_hi, v2
	v_cmp_eq_u32_e32 vcc, 0, v2
	s_and_saveexec_b64 s[2:3], vcc
	s_xor_b64 s[2:3], exec, s[2:3]
; %bb.17:
	v_mov_b32_e32 v2, s8
	v_mov_b32_e32 v4, 0
	;; [unrolled: 1-line block ×3, first 2 shown]
	ds_add_u64 v4, v[2:3] offset:5136
.LBB133_18:
	s_or_b64 exec, exec, s[0:1]
	v_mov_b32_e32 v2, 0
	s_load_dword s0, s[4:5], 0x4f8
	s_waitcnt lgkmcnt(0)
	s_barrier
	ds_read_b64 v[2:3], v2 offset:5136
	s_bitcmp1_b32 s0, 0
	s_cselect_b64 s[0:1], -1, 0
	v_mov_b32_e32 v19, s56
	v_mov_b32_e32 v20, s57
	s_waitcnt lgkmcnt(0)
	v_cmp_gt_i64_e32 vcc, 1, v[2:3]
	s_or_b64 s[0:1], s[0:1], vcc
	s_andn2_b64 vcc, exec, s[0:1]
	s_cbranch_vccnz .LBB133_20
; %bb.19:
	v_not_b32_e32 v2, v2
	v_not_b32_e32 v3, v3
	v_mov_b32_e32 v4, s57
	v_add_co_u32_e32 v2, vcc, s56, v2
	v_addc_co_u32_e32 v3, vcc, v4, v3, vcc
	v_lshrrev_b64 v[2:3], 1, v[2:3]
	v_add_co_u32_e32 v19, vcc, 1, v2
	v_addc_co_u32_e32 v20, vcc, 0, v3, vcc
.LBB133_20:
	s_mov_b64 s[0:1], exec
	v_readlane_b32 s2, v52, 16
	v_readlane_b32 s3, v52, 17
	s_and_b64 s[2:3], s[0:1], s[2:3]
	s_mov_b64 exec, s[2:3]
	s_cbranch_execz .LBB133_22
; %bb.21:
	v_mov_b32_e32 v2, 0
	v_mov_b32_e32 v4, s56
	;; [unrolled: 1-line block ×4, first 2 shown]
	ds_write_b32 v2, v2 offset:5144
	ds_write_b128 v2, v[2:5] offset:5120
.LBB133_22:
	s_or_b64 exec, exec, s[0:1]
	v_mbcnt_lo_u32_b32 v2, -1, 0
	v_mbcnt_hi_u32_b32 v23, -1, v2
	v_mad_u64_u32 v[2:3], s[0:1], s72, v0, 0
	v_cmp_gt_u32_e64 s[0:1], 2, v0
	v_writelane_b32 v52, s0, 26
	v_writelane_b32 v52, s1, 27
	v_mad_u64_u32 v[3:4], s[0:1], s73, v0, v[3:4]
	v_mov_b32_e32 v4, 0x600
	v_mov_b32_e32 v5, 0
	v_cmp_gt_u64_e64 s[0:1], s[56:57], v[4:5]
	v_lshlrev_b64 v[2:3], 1, v[2:3]
	v_writelane_b32 v52, s0, 28
	s_waitcnt lgkmcnt(0)
	s_barrier
	v_cmp_gt_u32_e32 vcc, 64, v0
	v_cmp_gt_i32_e64 s[8:9], 4, v23
	v_writelane_b32 v52, s1, 29
	s_load_dword s0, s[12:13], 0xc
	s_and_b64 s[90:91], vcc, s[8:9]
	v_add_co_u32_e32 v12, vcc, s33, v2
	v_lshlrev_b32_e32 v2, 2, v23
	v_and_b32_e32 v26, 0x100, v2
	v_lshrrev_b32_e32 v2, 1, v0
	v_mov_b32_e32 v4, s69
	v_and_b32_e32 v2, 0x1e0, v2
	v_addc_co_u32_e32 v13, vcc, v4, v3, vcc
	v_mov_b32_e32 v3, 0
	v_lshlrev_b64 v[4:5], v23, -1
	v_or_b32_e32 v29, 0xc00, v2
	v_add_u32_e32 v2, 2, v0
	s_waitcnt lgkmcnt(0)
	s_and_b32 s68, s0, 0xffff
	s_bfe_u32 s0, s0, 0xa0006
	v_cmp_gt_u64_e32 vcc, s[56:57], v[2:3]
	v_not_b32_e32 v28, v4
	s_cmp_gt_u32 s68, 63
	v_mov_b32_e32 v4, s57
	v_not_b32_e32 v27, v5
	s_cselect_b64 s[2:3], -1, 0
	s_add_u32 s85, s68, -1
	v_cndmask_b32_e32 v5, 0, v4, vcc
	v_mov_b32_e32 v4, s56
	v_writelane_b32 v52, s2, 30
	s_addc_u32 s1, 0, -1
	v_cndmask_b32_e32 v2, v2, v4, vcc
	v_not_b32_e32 v4, v0
	v_writelane_b32 v52, s3, 31
	s_add_u32 s2, s85, s56
	v_add_co_u32_e32 v4, vcc, v2, v4
	s_addc_u32 s89, s1, s57
	v_addc_co_u32_e32 v5, vcc, -1, v5, vcc
	s_cmp_lt_u32 s6, s10
	v_cmp_lt_u64_e64 s[6:7], 1, v[4:5]
	v_writelane_b32 v52, s1, 32
	v_writelane_b32 v52, s6, 33
	v_and_b32_e32 v16, -2, v4
	v_mov_b32_e32 v17, v5
	s_cselect_b32 s1, 12, 18
	v_writelane_b32 v52, s7, 34
	v_cmp_ne_u64_e64 s[6:7], v[4:5], v[16:17]
	s_add_u32 s76, s12, s1
	s_addc_u32 s77, s13, 0
	v_writelane_b32 v52, s6, 35
	s_add_i32 s1, s0, -1
	v_writelane_b32 v52, s7, 36
	s_bfe_u32 s6, s68, 0x30006
	s_and_b32 s1, s1, 0xffff
	s_cmp_gt_u32 s1, 6
	s_cselect_b64 s[8:9], -1, 0
	v_writelane_b32 v52, s8, 37
	s_and_b32 s87, s0, 0x3f8
	v_writelane_b32 v52, s9, 38
	s_cmp_lg_u32 s6, 0
	v_writelane_b32 v52, s6, 39
	s_cselect_b64 s[0:1], -1, 0
	v_writelane_b32 v52, s0, 40
	v_writelane_b32 v52, s1, 41
	v_lshlrev_b32_e32 v24, 1, v0
	v_mov_b32_e32 v2, 0xc00
	v_writelane_b32 v52, s76, 42
	s_mov_b32 s83, 0
	v_cmp_eq_u32_e64 s[4:5], 0, v23
	v_add_u32_e32 v25, 0xc00, v24
	v_lshlrev_b32_e32 v14, 2, v0
	v_mov_b32_e32 v15, v3
	s_mov_b32 s3, s72
	s_mov_b32 s88, s73
	v_lshlrev_b32_e32 v31, 3, v0
	v_lshl_or_b32 v32, v23, 3, v2
	s_lshl_b32 s38, s68, 1
	s_mov_b32 s86, 14
	s_mov_b64 s[74:75], 0
	s_movk_i32 s39, 0x3c00
	v_mov_b32_e32 v33, 0xffff
	v_mov_b32_e32 v34, 0x8000
	;; [unrolled: 1-line block ×3, first 2 shown]
	v_mov_b32_e32 v36, -1
	v_mov_b32_e32 v37, 0x5040100
	v_mov_b32_e32 v39, 0
	s_mov_b32 s84, 0
	v_mov_b32_e32 v30, 0
	v_mov_b32_e32 v38, 0
	v_add_co_u32_e32 v18, vcc, v16, v0
	v_writelane_b32 v52, s77, 43
                                        ; implicit-def: $sgpr60_sgpr61
                                        ; implicit-def: $sgpr80_sgpr81
                                        ; implicit-def: $sgpr62_sgpr63
                                        ; implicit-def: $sgpr12_sgpr13
                                        ; implicit-def: $sgpr10_sgpr11
                                        ; implicit-def: $sgpr70_sgpr71
	v_writelane_b32 v52, s88, 44
	s_branch .LBB133_26
.LBB133_23:                             ;   in Loop: Header=BB133_26 Depth=1
	s_or_b64 exec, exec, s[18:19]
	s_and_b64 s[8:9], s[8:9], exec
	s_andn2_b64 s[24:25], s[24:25], exec
	s_andn2_b64 s[6:7], s[6:7], exec
	s_orn2_b64 s[18:19], s[14:15], exec
.LBB133_24:                             ;   in Loop: Header=BB133_26 Depth=1
	s_or_b64 exec, exec, s[0:1]
	s_andn2_b64 s[0:1], s[70:71], exec
	s_and_b64 s[8:9], s[8:9], exec
	s_or_b64 s[70:71], s[0:1], s[8:9]
	s_andn2_b64 s[0:1], s[10:11], exec
	s_and_b64 s[8:9], s[24:25], exec
	s_or_b64 s[10:11], s[0:1], s[8:9]
	;; [unrolled: 3-line block ×3, first 2 shown]
	s_orn2_b64 s[6:7], s[18:19], exec
.LBB133_25:                             ;   in Loop: Header=BB133_26 Depth=1
	s_or_b64 exec, exec, s[16:17]
	s_and_b64 s[0:1], exec, s[6:7]
	s_or_b64 s[74:75], s[0:1], s[74:75]
	s_andn2_b64 s[0:1], s[62:63], exec
	s_and_b64 s[6:7], s[70:71], exec
	s_or_b64 s[62:63], s[0:1], s[6:7]
	s_andn2_b64 s[0:1], s[80:81], exec
	s_and_b64 s[6:7], s[10:11], exec
	;; [unrolled: 3-line block ×3, first 2 shown]
	v_mov_b32_e32 v20, v9
	s_or_b64 s[60:61], s[0:1], s[6:7]
	v_mov_b32_e32 v19, v8
	s_andn2_b64 exec, exec, s[74:75]
	s_cbranch_execz .LBB133_301
.LBB133_26:                             ; =>This Loop Header: Depth=1
                                        ;     Child Loop BB133_31 Depth 2
                                        ;     Child Loop BB133_45 Depth 2
	;; [unrolled: 1-line block ×17, first 2 shown]
	ds_read_b128 v[4:7], v3 offset:5120
	s_waitcnt lgkmcnt(0)
	v_readfirstlane_b32 s65, v5
	v_readfirstlane_b32 s64, v4
	s_cmp_lg_u64 s[64:65], 0
	s_cbranch_scc1 .LBB133_58
; %bb.27:                               ;   in Loop: Header=BB133_26 Depth=1
	v_readlane_b32 s0, v52, 28
	v_readlane_b32 s1, v52, 29
	s_and_b64 vcc, exec, s[0:1]
	s_cbranch_vccz .LBB133_39
; %bb.28:                               ;   in Loop: Header=BB133_26 Depth=1
	s_mov_b64 s[0:1], 0x601
	v_cmp_gt_u64_e32 vcc, s[0:1], v[6:7]
	s_mov_b64 s[0:1], 0
	s_mov_b64 s[6:7], 0
	s_cbranch_vccz .LBB133_40
; %bb.29:                               ;   in Loop: Header=BB133_26 Depth=1
	global_load_ushort v6, v[12:13], off
	global_load_ushort v2, v3, s[76:77]
	v_mov_b32_e32 v5, v1
	s_mov_b64 s[8:9], 0
	v_mov_b32_e32 v4, v0
	s_branch .LBB133_31
.LBB133_30:                             ;   in Loop: Header=BB133_31 Depth=2
	s_or_b64 exec, exec, s[6:7]
	s_waitcnt vmcnt(0)
	v_mov_b32_e32 v6, v7
	s_andn2_b64 exec, exec, s[8:9]
	s_cbranch_execz .LBB133_119
.LBB133_31:                             ;   Parent Loop BB133_26 Depth=1
                                        ; =>  This Inner Loop Header: Depth=2
	s_waitcnt vmcnt(0)
	v_add_co_u32_sdwa v4, vcc, v4, v2 dst_sel:DWORD dst_unused:UNUSED_PAD src0_sel:DWORD src1_sel:WORD_0
	v_addc_co_u32_e32 v5, vcc, 0, v5, vcc
	v_cmp_gt_u64_e64 s[6:7], s[56:57], v[4:5]
	v_cmp_le_u64_e32 vcc, s[56:57], v[4:5]
	s_waitcnt lgkmcnt(0)
	v_mov_b32_e32 v8, 0
	v_mov_b32_e32 v7, 0
	s_and_saveexec_b64 s[14:15], s[6:7]
	s_cbranch_execz .LBB133_33
; %bb.32:                               ;   in Loop: Header=BB133_31 Depth=2
	v_mul_lo_u32 v7, v5, s72
	v_mul_lo_u32 v11, v4, s73
	v_mad_u64_u32 v[9:10], s[6:7], v4, s72, 0
	v_add3_u32 v10, v10, v11, v7
	v_lshlrev_b64 v[9:10], 1, v[9:10]
	v_mov_b32_e32 v7, s69
	v_add_co_u32_e64 v9, s[6:7], s33, v9
	v_addc_co_u32_e64 v10, s[6:7], v7, v10, s[6:7]
	global_load_ushort v7, v[9:10], off
.LBB133_33:                             ;   in Loop: Header=BB133_31 Depth=2
	s_or_b64 exec, exec, s[14:15]
	v_cmp_lt_i16_e64 s[6:7], -1, v6
	v_cndmask_b32_e64 v9, v33, v34, s[6:7]
	v_xor_b32_sdwa v9, v9, v6 dst_sel:DWORD dst_unused:UNUSED_PAD src0_sel:DWORD src1_sel:WORD_0
	v_cmp_o_f16_e64 s[6:7], v6, v6
	v_cndmask_b32_e64 v9, v33, v9, s[6:7]
	v_and_b32_e32 v9, v9, v38
	v_cmp_eq_u32_e64 s[14:15], v9, v30
	s_cmp_lg_u64 s[14:15], 0
	s_cselect_b64 s[6:7], -1, 0
	s_and_b64 s[6:7], s[4:5], s[6:7]
	s_and_saveexec_b64 s[16:17], s[6:7]
	s_cbranch_execz .LBB133_37
; %bb.34:                               ;   in Loop: Header=BB133_31 Depth=2
	s_mov_b64 s[20:21], exec
	v_mbcnt_lo_u32_b32 v8, s20, 0
	v_mbcnt_hi_u32_b32 v8, s21, v8
	s_bcnt1_i32_b64 s22, s[14:15]
	v_cmp_eq_u32_e64 s[6:7], 0, v8
                                        ; implicit-def: $vgpr9
	s_and_saveexec_b64 s[18:19], s[6:7]
; %bb.35:                               ;   in Loop: Header=BB133_31 Depth=2
	s_bcnt1_i32_b64 s6, s[20:21]
	s_mul_i32 s6, s22, s6
	v_mov_b32_e32 v9, s6
	ds_add_rtn_u32 v9, v3, v9 offset:5144
; %bb.36:                               ;   in Loop: Header=BB133_31 Depth=2
	s_or_b64 exec, exec, s[18:19]
	s_waitcnt lgkmcnt(0)
	v_readfirstlane_b32 s6, v9
	v_mov_b32_e32 v9, s6
	v_mad_u32_u24 v8, s22, v8, v9
.LBB133_37:                             ;   in Loop: Header=BB133_31 Depth=2
	s_or_b64 exec, exec, s[16:17]
	ds_bpermute_b32 v8, v26, v8
	s_and_b64 s[6:7], exec, vcc
	s_or_b64 s[8:9], s[6:7], s[8:9]
	s_and_saveexec_b64 s[6:7], s[14:15]
	s_cbranch_execz .LBB133_30
; %bb.38:                               ;   in Loop: Header=BB133_31 Depth=2
	v_and_b32_e32 v10, s14, v28
	v_and_b32_e32 v9, s15, v27
	v_bcnt_u32_b32 v10, v10, 0
	v_bcnt_u32_b32 v9, v9, v10
	v_lshlrev_b32_e32 v9, 1, v9
	s_waitcnt lgkmcnt(0)
	v_lshl_add_u32 v8, v8, 1, v9
	ds_write_b16 v8, v6
	s_branch .LBB133_30
.LBB133_39:                             ;   in Loop: Header=BB133_26 Depth=1
	s_mov_b64 s[0:1], -1
	s_mov_b64 s[6:7], 0
.LBB133_40:                             ;   in Loop: Header=BB133_26 Depth=1
	s_and_b64 vcc, exec, s[0:1]
	s_cbranch_vccz .LBB133_56
.LBB133_41:                             ;   in Loop: Header=BB133_26 Depth=1
	s_mov_b64 s[0:1], exec
	v_readlane_b32 s6, v52, 14
	v_readlane_b32 s7, v52, 15
	s_and_b64 s[6:7], s[0:1], s[6:7]
	s_mov_b64 exec, s[6:7]
	s_cbranch_execz .LBB133_53
; %bb.42:                               ;   in Loop: Header=BB133_26 Depth=1
	global_load_ushort v2, v3, s[76:77]
	global_load_ushort v10, v[12:13], off
	v_mov_b32_e32 v4, v0
	s_waitcnt vmcnt(1)
	v_readfirstlane_b32 s8, v2
	v_add_u32_sdwa v2, v2, v0 dst_sel:DWORD dst_unused:UNUSED_PAD src0_sel:WORD_0 src1_sel:DWORD
	v_cmp_gt_u64_e32 vcc, s[56:57], v[2:3]
	s_and_saveexec_b64 s[6:7], vcc
	s_cbranch_execz .LBB133_52
; %bb.43:                               ;   in Loop: Header=BB133_26 Depth=1
	s_and_b32 s16, s8, 0xffff
	s_cmp_eq_u32 s16, 1
	v_readlane_b32 s14, v52, 33
                                        ; implicit-def: $vgpr4_vgpr5
	s_cselect_b64 s[8:9], -1, 0
	v_readlane_b32 s15, v52, 34
	v_mov_b32_e32 v8, v1
	v_mov_b32_e32 v6, v3
	s_and_b64 s[18:19], s[14:15], s[8:9]
	s_mov_b64 s[14:15], -1
	v_mov_b32_e32 v7, v0
	v_mov_b32_e32 v5, v2
	s_and_saveexec_b64 s[8:9], s[18:19]
	s_cbranch_execz .LBB133_47
; %bb.44:                               ;   in Loop: Header=BB133_26 Depth=1
	v_add_co_u32_e32 v4, vcc, 1, v2
	v_addc_co_u32_e64 v5, s[14:15], 0, 0, vcc
	v_mov_b32_e32 v8, v16
	v_mov_b32_e32 v7, v5
	s_waitcnt vmcnt(0)
	v_lshlrev_b32_e32 v21, 16, v10
	s_mov_b64 s[14:15], 0
	v_mov_b32_e32 v9, v17
	v_mov_b32_e32 v11, v24
	v_mov_b32_e32 v6, v4
	v_mov_b32_e32 v5, v3
	v_mov_b32_e32 v4, v2
.LBB133_45:                             ;   Parent Loop BB133_26 Depth=1
                                        ; =>  This Inner Loop Header: Depth=2
	v_mul_lo_u32 v44, v5, s72
	v_mul_lo_u32 v45, v4, s73
	v_mad_u64_u32 v[42:43], s[18:19], v4, s72, 0
	v_mul_lo_u32 v10, v7, s3
	v_mul_lo_u32 v22, v6, s88
	v_mad_u64_u32 v[40:41], s[18:19], v6, s3, 0
	v_add3_u32 v43, v43, v45, v44
	v_lshlrev_b64 v[42:43], 1, v[42:43]
	v_add3_u32 v41, v41, v22, v10
	v_mov_b32_e32 v46, s69
	v_lshlrev_b64 v[40:41], 1, v[40:41]
	v_add_co_u32_e32 v42, vcc, s33, v42
	v_addc_co_u32_e32 v43, vcc, v46, v43, vcc
	v_add_co_u32_e32 v40, vcc, s33, v40
	v_addc_co_u32_e32 v41, vcc, v46, v41, vcc
	global_load_ushort v22, v[42:43], off
	global_load_ushort v10, v[40:41], off
	v_add_co_u32_e32 v6, vcc, 2, v6
	v_addc_co_u32_e32 v7, vcc, 0, v7, vcc
	v_add_co_u32_e32 v4, vcc, 2, v4
	v_addc_co_u32_e32 v5, vcc, 0, v5, vcc
	v_add_co_u32_e32 v8, vcc, -2, v8
	v_addc_co_u32_e32 v9, vcc, -1, v9, vcc
	s_mov_b32 s17, 0x5040100
	v_cmp_eq_u64_e32 vcc, 0, v[8:9]
	s_or_b64 s[14:15], vcc, s[14:15]
	s_waitcnt vmcnt(1)
	v_alignbit_b32 v21, v22, v21, 16
	s_waitcnt vmcnt(0)
	v_perm_b32 v40, v10, v22, s17
	ds_write_b32 v11, v21
	v_add_u32_e32 v11, 4, v11
	v_mov_b32_e32 v21, v40
	s_andn2_b64 exec, exec, s[14:15]
	s_cbranch_execnz .LBB133_45
; %bb.46:                               ;   in Loop: Header=BB133_26 Depth=1
	s_or_b64 exec, exec, s[14:15]
	v_readlane_b32 s14, v52, 35
	v_add_co_u32_e32 v5, vcc, v2, v16
	v_readlane_b32 s15, v52, 36
	v_addc_co_u32_e32 v6, vcc, 0, v17, vcc
	v_add_co_u32_e32 v4, vcc, -1, v5
	s_orn2_b64 s[14:15], s[14:15], exec
	v_mov_b32_e32 v7, v18
	v_mov_b32_e32 v8, v19
.LBB133_47:                             ;   in Loop: Header=BB133_26 Depth=1
	s_or_b64 exec, exec, s[8:9]
	s_and_saveexec_b64 s[8:9], s[14:15]
	s_cbranch_execz .LBB133_51
; %bb.48:                               ;   in Loop: Header=BB133_26 Depth=1
	s_mov_b64 s[14:15], 0
	s_sub_u32 s17, 0, s16
.LBB133_49:                             ;   Parent Loop BB133_26 Depth=1
                                        ; =>  This Inner Loop Header: Depth=2
	v_mov_b32_e32 v9, v6
	v_mov_b32_e32 v8, v5
	s_waitcnt vmcnt(0)
	v_mov_b32_e32 v2, v10
	v_mul_lo_u32 v6, v9, s72
	v_mul_lo_u32 v10, v8, s73
	v_mad_u64_u32 v[4:5], s[18:19], v8, s72, 0
	v_mov_b32_e32 v11, s69
	v_add3_u32 v5, v5, v10, v6
	v_lshlrev_b64 v[4:5], 1, v[4:5]
	v_add_co_u32_e32 v4, vcc, s33, v4
	v_addc_co_u32_e32 v5, vcc, v11, v5, vcc
	global_load_ushort v10, v[4:5], off
	v_add_co_u32_e32 v5, vcc, s16, v8
	v_addc_co_u32_e32 v6, vcc, 0, v9, vcc
	v_cmp_le_u64_e32 vcc, s[56:57], v[5:6]
	v_lshlrev_b32_e32 v4, 1, v7
	ds_write_b16 v4, v2
	v_mov_b32_e32 v7, v8
	s_or_b64 s[14:15], vcc, s[14:15]
	v_add_co_u32_e32 v4, vcc, s17, v5
	v_mov_b32_e32 v8, v9
	s_andn2_b64 exec, exec, s[14:15]
	s_cbranch_execnz .LBB133_49
; %bb.50:                               ;   in Loop: Header=BB133_26 Depth=1
	s_or_b64 exec, exec, s[14:15]
.LBB133_51:                             ;   in Loop: Header=BB133_26 Depth=1
	s_or_b64 exec, exec, s[8:9]
.LBB133_52:                             ;   in Loop: Header=BB133_26 Depth=1
	s_or_b64 exec, exec, s[6:7]
	v_lshlrev_b32_e32 v2, 1, v4
	s_waitcnt vmcnt(0)
	ds_write_b16 v2, v10
.LBB133_53:                             ;   in Loop: Header=BB133_26 Depth=1
	s_or_b64 exec, exec, s[0:1]
	s_waitcnt lgkmcnt(0)
	s_barrier
	s_mov_b64 s[0:1], exec
	v_readlane_b32 s6, v52, 16
	v_readlane_b32 s7, v52, 17
	s_and_b64 s[6:7], s[0:1], s[6:7]
	s_mov_b64 exec, s[6:7]
; %bb.54:                               ;   in Loop: Header=BB133_26 Depth=1
	v_mov_b32_e32 v4, s56
	v_mov_b32_e32 v5, s57
	ds_write_b64 v3, v[4:5] offset:5120
; %bb.55:                               ;   in Loop: Header=BB133_26 Depth=1
	s_or_b64 exec, exec, s[0:1]
	s_mov_b64 s[6:7], -1
	s_waitcnt lgkmcnt(0)
	s_barrier
.LBB133_56:                             ;   in Loop: Header=BB133_26 Depth=1
	s_mov_b64 s[64:65], 0
	s_and_b64 vcc, exec, s[6:7]
	s_cbranch_vccz .LBB133_58
; %bb.57:                               ;   in Loop: Header=BB133_26 Depth=1
	ds_read_b64 v[4:5], v3 offset:5120
	s_waitcnt lgkmcnt(0)
	v_readfirstlane_b32 s64, v4
.LBB133_58:                             ;   in Loop: Header=BB133_26 Depth=1
	s_cmp_lt_i32 s64, 1
	s_mov_b64 s[0:1], -1
                                        ; implicit-def: $vgpr4_vgpr5
                                        ; implicit-def: $vgpr8_vgpr9
	s_cbranch_scc1 .LBB133_68
; %bb.59:                               ;   in Loop: Header=BB133_26 Depth=1
	s_and_b64 vcc, exec, s[0:1]
	s_cbranch_vccnz .LBB133_82
.LBB133_60:                             ;   in Loop: Header=BB133_26 Depth=1
	s_lshl_b32 s6, s84, 6
	s_and_saveexec_b64 s[0:1], s[4:5]
	s_cbranch_execz .LBB133_62
.LBB133_61:                             ;   in Loop: Header=BB133_26 Depth=1
	v_lshl_add_u32 v2, s6, 3, v29
	ds_write_b128 v2, v[4:7]
	ds_write_b128 v2, v[8:11] offset:16
.LBB133_62:                             ;   in Loop: Header=BB133_26 Depth=1
	s_or_b64 exec, exec, s[0:1]
	s_waitcnt lgkmcnt(0)
	s_barrier
	s_and_saveexec_b64 s[0:1], s[90:91]
	s_cbranch_execz .LBB133_97
; %bb.63:                               ;   in Loop: Header=BB133_26 Depth=1
	v_readlane_b32 s8, v52, 30
	v_mov_b32_e32 v4, 0
	v_readlane_b32 s9, v52, 31
	v_mov_b32_e32 v5, 0
	s_andn2_b64 vcc, exec, s[8:9]
	s_cbranch_vccnz .LBB133_96
; %bb.64:                               ;   in Loop: Header=BB133_26 Depth=1
	v_readlane_b32 s8, v52, 37
	v_readlane_b32 s9, v52, 38
	s_andn2_b64 vcc, exec, s[8:9]
	s_cbranch_vccnz .LBB133_92
; %bb.65:                               ;   in Loop: Header=BB133_26 Depth=1
	v_mov_b32_e32 v4, 0
	v_lshl_add_u32 v2, s84, 9, v32
	v_mov_b32_e32 v5, 0
	s_mov_b32 s7, 0
.LBB133_66:                             ;   Parent Loop BB133_26 Depth=1
                                        ; =>  This Inner Loop Header: Depth=2
	ds_read2_b64 v[6:9], v2 offset1:4
	ds_read2_b64 v[40:43], v2 offset0:8 offset1:12
	ds_read2_b64 v[44:47], v2 offset0:16 offset1:20
	;; [unrolled: 1-line block ×3, first 2 shown]
	s_add_i32 s7, s7, 8
	s_waitcnt lgkmcnt(3)
	v_add_co_u32_e32 v4, vcc, v6, v4
	v_addc_co_u32_e32 v5, vcc, v7, v5, vcc
	v_add_co_u32_e32 v4, vcc, v8, v4
	v_addc_co_u32_e32 v5, vcc, v9, v5, vcc
	s_waitcnt lgkmcnt(2)
	v_add_co_u32_e32 v4, vcc, v40, v4
	v_addc_co_u32_e32 v5, vcc, v41, v5, vcc
	v_add_co_u32_e32 v4, vcc, v42, v4
	v_addc_co_u32_e32 v5, vcc, v43, v5, vcc
	;; [unrolled: 5-line block ×3, first 2 shown]
	s_waitcnt lgkmcnt(0)
	v_add_co_u32_e32 v4, vcc, v48, v4
	v_addc_co_u32_e32 v5, vcc, v49, v5, vcc
	v_add_co_u32_e32 v4, vcc, v50, v4
	v_add_u32_e32 v2, 0x100, v2
	s_cmp_eq_u32 s87, s7
	v_addc_co_u32_e32 v5, vcc, v51, v5, vcc
	s_cbranch_scc0 .LBB133_66
; %bb.67:                               ;   in Loop: Header=BB133_26 Depth=1
	s_mov_b32 s7, s87
	s_branch .LBB133_93
.LBB133_68:                             ;   in Loop: Header=BB133_26 Depth=1
	global_load_ushort v2, v3, s[76:77]
	s_mov_b32 s0, s83
	s_waitcnt vmcnt(0)
	v_readfirstlane_b32 s1, v2
	s_and_b32 s1, 0xffff, s1
	s_lshl_b32 s65, s1, 2
	s_mov_b32 s1, s57
	s_cmp_lg_u64 s[0:1], 0
	s_cbranch_scc0 .LBB133_91
; %bb.69:                               ;   in Loop: Header=BB133_26 Depth=1
	v_cvt_f32_u32_e32 v4, s65
	s_sub_u32 s6, 0, s65
	s_subb_u32 s7, 0, 0
	v_mac_f32_e32 v4, 0, v35
	v_rcp_f32_e32 v4, v4
	v_mul_f32_e32 v4, 0x5f7ffffc, v4
	v_mul_f32_e32 v5, 0x2f800000, v4
	v_trunc_f32_e32 v5, v5
	v_mac_f32_e32 v4, 0xcf800000, v5
	v_cvt_u32_f32_e32 v5, v5
	v_cvt_u32_f32_e32 v4, v4
	v_readfirstlane_b32 s8, v5
	v_readfirstlane_b32 s0, v4
	s_mul_i32 s1, s6, s8
	s_mul_hi_u32 s14, s6, s0
	s_mul_i32 s9, s7, s0
	s_add_i32 s1, s14, s1
	s_mul_i32 s15, s6, s0
	s_add_i32 s1, s1, s9
	s_mul_hi_u32 s14, s0, s15
	s_mul_i32 s16, s0, s1
	s_mul_hi_u32 s9, s0, s1
	s_add_u32 s14, s14, s16
	s_addc_u32 s9, 0, s9
	s_mul_hi_u32 s17, s8, s15
	s_mul_i32 s15, s8, s15
	s_add_u32 s14, s14, s15
	s_mul_hi_u32 s16, s8, s1
	s_addc_u32 s9, s9, s17
	s_addc_u32 s14, s16, 0
	s_mul_i32 s1, s8, s1
	s_add_u32 s1, s9, s1
	s_addc_u32 s9, 0, s14
	s_add_u32 s14, s0, s1
	s_cselect_b64 s[0:1], -1, 0
	s_cmp_lg_u64 s[0:1], 0
	s_addc_u32 s8, s8, s9
	s_mul_i32 s0, s6, s8
	s_mul_hi_u32 s1, s6, s14
	s_add_i32 s0, s1, s0
	s_mul_i32 s7, s7, s14
	s_add_i32 s0, s0, s7
	s_mul_i32 s6, s6, s14
	s_mul_hi_u32 s7, s8, s6
	s_mul_i32 s9, s8, s6
	s_mul_i32 s16, s14, s0
	s_mul_hi_u32 s6, s14, s6
	s_mul_hi_u32 s15, s14, s0
	s_add_u32 s6, s6, s16
	s_addc_u32 s15, 0, s15
	s_add_u32 s6, s6, s9
	s_mul_hi_u32 s1, s8, s0
	s_addc_u32 s6, s15, s7
	s_addc_u32 s1, s1, 0
	s_mul_i32 s0, s8, s0
	s_add_u32 s0, s6, s0
	s_addc_u32 s6, 0, s1
	s_add_u32 s7, s14, s0
	s_cselect_b64 s[0:1], -1, 0
	s_cmp_lg_u64 s[0:1], 0
	s_addc_u32 s0, s8, s6
	s_mul_i32 s6, s56, s0
	s_mul_hi_u32 s8, s56, s7
	s_mul_hi_u32 s1, s56, s0
	s_add_u32 s6, s8, s6
	s_addc_u32 s1, 0, s1
	s_mul_hi_u32 s9, s57, s7
	s_mul_i32 s7, s57, s7
	s_add_u32 s6, s6, s7
	s_mul_hi_u32 s8, s57, s0
	s_addc_u32 s1, s1, s9
	s_addc_u32 s6, s8, 0
	s_mul_i32 s0, s57, s0
	s_add_u32 s0, s1, s0
	s_addc_u32 s1, 0, s6
	s_mul_i32 s1, s65, s1
	s_mul_hi_u32 s6, s65, s0
	s_add_i32 s6, s6, s1
	s_mul_i32 s0, s65, s0
	s_sub_u32 s7, s56, s0
	s_cselect_b64 s[0:1], -1, 0
	s_cmp_lg_u64 s[0:1], 0
	s_subb_u32 s6, s57, s6
	s_sub_u32 s8, s7, s65
	s_cselect_b64 s[0:1], -1, 0
	s_cmp_lg_u64 s[0:1], 0
	s_subb_u32 s9, s6, 0
	s_sub_u32 s14, s8, s65
	s_cselect_b64 s[0:1], -1, 0
	s_cmp_lg_u64 s[0:1], 0
	s_subb_u32 s0, s9, 0
	s_cmp_ge_u32 s8, s65
	s_cselect_b32 s1, -1, 0
	s_cmp_eq_u32 s9, 0
	s_cselect_b32 s1, s1, -1
	s_cmp_lg_u32 s1, 0
	s_cselect_b32 s0, s0, s9
	s_cselect_b32 s8, s14, s8
	s_cmp_ge_u32 s7, s65
	s_cselect_b32 s1, -1, 0
	s_cmp_eq_u32 s6, 0
	s_cselect_b32 s1, s1, -1
	s_cmp_lg_u32 s1, 0
	s_cselect_b32 s1, s0, s6
	s_cselect_b32 s0, s8, s7
	s_cbranch_execnz .LBB133_71
.LBB133_70:                             ;   in Loop: Header=BB133_26 Depth=1
	v_cvt_f32_u32_e32 v4, s65
	s_sub_i32 s0, 0, s65
	v_rcp_iflag_f32_e32 v4, v4
	v_mul_f32_e32 v4, 0x4f7ffffe, v4
	v_cvt_u32_f32_e32 v4, v4
	v_readfirstlane_b32 s1, v4
	s_mul_i32 s0, s0, s1
	s_mul_hi_u32 s0, s1, s0
	s_add_i32 s1, s1, s0
	s_mul_hi_u32 s0, s56, s1
	s_mul_i32 s0, s0, s65
	s_sub_i32 s0, s56, s0
	s_sub_i32 s1, s0, s65
	s_cmp_ge_u32 s0, s65
	s_cselect_b32 s0, s1, s0
	s_sub_i32 s1, s0, s65
	s_cmp_ge_u32 s0, s65
	s_cselect_b32 s82, s1, s0
	s_mov_b64 s[0:1], s[82:83]
.LBB133_71:                             ;   in Loop: Header=BB133_26 Depth=1
	s_sub_u32 s54, s56, s0
	s_subb_u32 s55, s57, s1
	v_cmp_gt_u64_e32 vcc, s[54:55], v[14:15]
	v_mov_b32_e32 v4, 0
	v_mov_b32_e32 v6, 0
	;; [unrolled: 1-line block ×8, first 2 shown]
	s_and_saveexec_b64 s[66:67], vcc
	s_cbranch_execz .LBB133_75
; %bb.72:                               ;   in Loop: Header=BB133_26 Depth=1
	v_mov_b32_e32 v22, v15
	s_mov_b64 s[78:79], 0
	s_mov_b64 s[58:59], 0
	;; [unrolled: 1-line block ×5, first 2 shown]
	v_mov_b32_e32 v21, v14
.LBB133_73:                             ;   Parent Loop BB133_26 Depth=1
                                        ; =>  This Inner Loop Header: Depth=2
	v_mul_lo_u32 v6, v22, s72
	v_mul_lo_u32 v7, v21, s73
	v_mad_u64_u32 v[4:5], s[6:7], v21, s72, 0
	v_mov_b32_e32 v8, s69
	s_lshl_b64 s[8:9], s[72:73], 1
	v_add3_u32 v5, v5, v7, v6
	v_lshlrev_b64 v[4:5], 1, v[4:5]
	v_mov_b32_e32 v9, s9
	v_add_co_u32_e64 v4, s[6:7], s33, v4
	v_addc_co_u32_e64 v5, s[6:7], v8, v5, s[6:7]
	global_load_ushort v6, v[4:5], off
	v_add_co_u32_e64 v4, s[6:7], s8, v4
	v_addc_co_u32_e64 v5, s[6:7], v5, v9, s[6:7]
	global_load_ushort v7, v[4:5], off
	;; [unrolled: 3-line block ×4, first 2 shown]
	v_add_co_u32_e32 v21, vcc, s65, v21
	v_addc_co_u32_e32 v22, vcc, 0, v22, vcc
	v_cmp_le_u64_e32 vcc, s[54:55], v[21:22]
	s_waitcnt vmcnt(3)
	v_cmp_lt_i16_e64 s[6:7], -1, v6
	v_cndmask_b32_e64 v5, v33, v34, s[6:7]
	v_xor_b32_sdwa v5, v5, v6 dst_sel:DWORD dst_unused:UNUSED_PAD src0_sel:DWORD src1_sel:WORD_0
	s_waitcnt vmcnt(2)
	v_cmp_lt_i16_e64 s[6:7], -1, v7
	v_cndmask_b32_e64 v9, v33, v34, s[6:7]
	v_cmp_o_f16_e64 s[6:7], v6, v6
	v_cndmask_b32_e64 v5, v33, v5, s[6:7]
	v_xor_b32_sdwa v6, v9, v7 dst_sel:DWORD dst_unused:UNUSED_PAD src0_sel:DWORD src1_sel:WORD_0
	s_waitcnt vmcnt(1)
	v_cmp_lt_i16_e64 s[6:7], -1, v8
	v_cndmask_b32_e64 v9, v33, v34, s[6:7]
	v_cmp_o_f16_e64 s[6:7], v7, v7
	v_cndmask_b32_e64 v6, v33, v6, s[6:7]
	v_xor_b32_sdwa v7, v9, v8 dst_sel:DWORD dst_unused:UNUSED_PAD src0_sel:DWORD src1_sel:WORD_0
	s_waitcnt vmcnt(0)
	v_cmp_lt_i16_e64 s[6:7], -1, v4
	v_cndmask_b32_e64 v9, v33, v34, s[6:7]
	v_and_b32_e32 v10, v5, v38
	v_bfe_u32 v5, v5, s86, 2
	v_cmp_o_f16_e64 s[6:7], v8, v8
	v_cndmask_b32_e64 v7, v33, v7, s[6:7]
	v_xor_b32_sdwa v8, v9, v4 dst_sel:DWORD dst_unused:UNUSED_PAD src0_sel:DWORD src1_sel:WORD_0
	v_cmp_eq_u32_e64 s[16:17], v10, v30
	v_cmp_eq_u32_e64 s[6:7], 0, v5
	v_cmp_o_f16_e64 s[14:15], v4, v4
	v_and_b32_e32 v9, v6, v38
	v_bfe_u32 v6, v6, s86, 2
	v_cmp_eq_u32_e64 s[40:41], 1, v5
	v_cmp_eq_u32_e64 s[30:31], 2, v5
	;; [unrolled: 1-line block ×3, first 2 shown]
	v_cndmask_b32_e64 v4, v33, v8, s[14:15]
	v_and_b32_e32 v5, v7, v38
	v_bfe_u32 v7, v7, s86, 2
	s_and_b64 s[6:7], s[16:17], s[6:7]
	v_cmp_eq_u32_e64 s[14:15], v9, v30
	v_cmp_eq_u32_e64 s[26:27], 0, v6
	;; [unrolled: 1-line block ×5, first 2 shown]
	v_cndmask_b32_e64 v6, 0, 1, s[6:7]
	v_cmp_eq_u32_e64 s[22:23], v5, v30
	v_and_b32_e32 v5, v4, v38
	v_bfe_u32 v4, v4, s86, 2
	v_cmp_eq_u32_e64 s[6:7], 0, v7
	s_and_b64 s[8:9], s[14:15], s[26:27]
	v_cmp_eq_u32_e64 s[26:27], v5, v30
	v_cmp_eq_u32_e64 s[48:49], 0, v4
	s_and_b64 s[6:7], s[22:23], s[6:7]
	v_cmp_ne_u32_e64 s[46:47], 0, v6
	v_cndmask_b32_e64 v6, 0, 1, s[8:9]
	v_cmp_eq_u32_e64 s[50:51], 1, v4
	v_cmp_eq_u32_e64 s[52:53], 2, v4
	;; [unrolled: 1-line block ×3, first 2 shown]
	v_cndmask_b32_e64 v4, 0, 1, s[6:7]
	s_and_b64 s[8:9], s[26:27], s[48:49]
	v_cmp_ne_u32_e64 s[6:7], 0, v4
	v_cndmask_b32_e64 v4, 0, 1, s[8:9]
	s_bcnt1_i32_b64 s82, s[46:47]
	v_cmp_ne_u32_e64 s[46:47], 0, v6
	s_bcnt1_i32_b64 s8, s[6:7]
	v_cmp_ne_u32_e64 s[6:7], 0, v4
	s_bcnt1_i32_b64 s46, s[46:47]
	s_bcnt1_i32_b64 s6, s[6:7]
	s_add_u32 s7, s82, s92
	s_addc_u32 s9, 0, s93
	s_add_u32 s7, s7, s46
	s_addc_u32 s9, s9, 0
	;; [unrolled: 2-line block ×4, first 2 shown]
	s_and_b64 s[6:7], s[16:17], s[40:41]
	v_cmp_eq_u32_e64 s[44:45], 1, v7
	v_cndmask_b32_e64 v6, 0, 1, s[6:7]
	s_and_b64 s[6:7], s[14:15], s[42:43]
	v_cmp_eq_u32_e64 s[36:37], 2, v7
	v_cmp_eq_u32_e64 s[24:25], 3, v7
	v_cndmask_b32_e64 v7, 0, 1, s[6:7]
	s_and_b64 s[6:7], s[22:23], s[44:45]
	v_cndmask_b32_e64 v8, 0, 1, s[6:7]
	s_and_b64 s[6:7], s[26:27], s[50:51]
	v_cndmask_b32_e64 v9, 0, 1, s[6:7]
	v_cmp_ne_u32_e64 s[6:7], 0, v6
	v_cmp_ne_u32_e64 s[40:41], 0, v7
	;; [unrolled: 1-line block ×4, first 2 shown]
	s_bcnt1_i32_b64 s6, s[6:7]
	s_bcnt1_i32_b64 s7, s[40:41]
	;; [unrolled: 1-line block ×4, first 2 shown]
	s_add_u32 s0, s6, s0
	s_addc_u32 s1, 0, s1
	s_add_u32 s0, s0, s7
	s_addc_u32 s1, s1, 0
	;; [unrolled: 2-line block ×4, first 2 shown]
	s_and_b64 s[6:7], s[16:17], s[30:31]
	v_cndmask_b32_e64 v8, 0, 1, s[6:7]
	s_and_b64 s[6:7], s[14:15], s[34:35]
	v_cndmask_b32_e64 v9, 0, 1, s[6:7]
	;; [unrolled: 2-line block ×4, first 2 shown]
	v_cmp_ne_u32_e64 s[6:7], 0, v8
	v_cmp_ne_u32_e64 s[30:31], 0, v9
	;; [unrolled: 1-line block ×4, first 2 shown]
	s_bcnt1_i32_b64 s6, s[6:7]
	s_bcnt1_i32_b64 s7, s[30:31]
	s_bcnt1_i32_b64 s8, s[34:35]
	s_bcnt1_i32_b64 s9, s[36:37]
	s_add_u32 s6, s6, s76
	s_addc_u32 s30, 0, s77
	s_add_u32 s6, s6, s7
	s_addc_u32 s7, s30, 0
	;; [unrolled: 2-line block ×4, first 2 shown]
	s_and_b64 s[6:7], s[16:17], s[18:19]
	v_cndmask_b32_e64 v10, 0, 1, s[6:7]
	s_and_b64 s[6:7], s[14:15], s[20:21]
	v_cndmask_b32_e64 v11, 0, 1, s[6:7]
	;; [unrolled: 2-line block ×4, first 2 shown]
	v_cmp_ne_u32_e64 s[6:7], 0, v10
	v_cmp_ne_u32_e64 s[14:15], 0, v11
	;; [unrolled: 1-line block ×4, first 2 shown]
	s_bcnt1_i32_b64 s6, s[6:7]
	s_bcnt1_i32_b64 s7, s[14:15]
	;; [unrolled: 1-line block ×4, first 2 shown]
	s_add_u32 s6, s6, s58
	s_addc_u32 s14, 0, s59
	s_add_u32 s6, s6, s7
	s_addc_u32 s7, s14, 0
	;; [unrolled: 2-line block ×3, first 2 shown]
	s_add_u32 s58, s6, s9
	v_mov_b32_e32 v4, s92
	v_mov_b32_e32 v7, s1
	;; [unrolled: 1-line block ×3, first 2 shown]
	s_addc_u32 s59, s7, 0
	v_mov_b32_e32 v10, s58
	v_mov_b32_e32 v5, s93
	;; [unrolled: 1-line block ×4, first 2 shown]
	s_or_b64 s[78:79], vcc, s[78:79]
	v_mov_b32_e32 v11, s59
	s_andn2_b64 exec, exec, s[78:79]
	s_cbranch_execnz .LBB133_73
; %bb.74:                               ;   in Loop: Header=BB133_26 Depth=1
	s_or_b64 exec, exec, s[78:79]
	v_readlane_b32 s76, v52, 42
	v_readlane_b32 s77, v52, 43
.LBB133_75:                             ;   in Loop: Header=BB133_26 Depth=1
	s_or_b64 exec, exec, s[66:67]
	v_mov_b32_e32 v22, s55
	v_add_co_u32_e32 v21, vcc, s54, v0
	v_addc_co_u32_e32 v22, vcc, 0, v22, vcc
	v_cmp_gt_u64_e32 vcc, s[56:57], v[21:22]
	s_and_saveexec_b64 s[0:1], vcc
	s_cbranch_execz .LBB133_81
; %bb.76:                               ;   in Loop: Header=BB133_26 Depth=1
	v_mul_lo_u32 v42, v22, s72
	v_mul_lo_u32 v43, v21, s73
	v_mad_u64_u32 v[40:41], s[6:7], v21, s72, 0
	s_mov_b64 s[8:9], 0
	v_add3_u32 v41, v41, v43, v42
	v_lshlrev_b64 v[40:41], 1, v[40:41]
	v_mov_b32_e32 v42, s69
	v_add_co_u32_e32 v40, vcc, s33, v40
	v_addc_co_u32_e32 v41, vcc, v42, v41, vcc
	global_load_ushort v41, v[40:41], off
	s_branch .LBB133_78
.LBB133_77:                             ;   in Loop: Header=BB133_78 Depth=2
	s_or_b64 exec, exec, s[14:15]
	s_and_b64 s[6:7], exec, vcc
	s_waitcnt vmcnt(0)
	v_cmp_lt_i16_e32 vcc, -1, v41
	v_cndmask_b32_e32 v42, v33, v34, vcc
	v_xor_b32_sdwa v42, v42, v41 dst_sel:DWORD dst_unused:UNUSED_PAD src0_sel:DWORD src1_sel:WORD_0
	v_cmp_o_f16_e32 vcc, v41, v41
	v_cndmask_b32_e32 v41, v33, v42, vcc
	v_and_b32_e32 v42, v41, v38
	v_bfe_u32 v41, v41, s86, 2
	s_or_b64 s[8:9], s[6:7], s[8:9]
	v_cmp_eq_u32_e32 vcc, v42, v30
	v_cmp_eq_u32_e64 s[6:7], 0, v41
	s_and_b64 s[6:7], vcc, s[6:7]
	v_cndmask_b32_e64 v42, 0, 1, s[6:7]
	v_cmp_ne_u32_e64 s[6:7], 0, v42
	s_bcnt1_i32_b64 s6, s[6:7]
	v_add_co_u32_e64 v4, s[6:7], s6, v4
	v_addc_co_u32_e64 v5, s[6:7], 0, v5, s[6:7]
	v_cmp_eq_u32_e64 s[6:7], 1, v41
	s_and_b64 s[6:7], vcc, s[6:7]
	v_cndmask_b32_e64 v42, 0, 1, s[6:7]
	v_cmp_ne_u32_e64 s[6:7], 0, v42
	s_bcnt1_i32_b64 s6, s[6:7]
	v_add_co_u32_e64 v6, s[6:7], s6, v6
	v_addc_co_u32_e64 v7, s[6:7], 0, v7, s[6:7]
	;; [unrolled: 7-line block ×3, first 2 shown]
	v_cmp_eq_u32_e64 s[6:7], 3, v41
	s_and_b64 s[6:7], vcc, s[6:7]
	v_cndmask_b32_e64 v41, 0, 1, s[6:7]
	v_cmp_ne_u32_e32 vcc, 0, v41
	s_bcnt1_i32_b64 s6, vcc
	v_add_co_u32_e32 v10, vcc, s6, v10
	v_addc_co_u32_e32 v11, vcc, 0, v11, vcc
	v_mov_b32_e32 v41, v40
	s_andn2_b64 exec, exec, s[8:9]
	s_cbranch_execz .LBB133_80
.LBB133_78:                             ;   Parent Loop BB133_26 Depth=1
                                        ; =>  This Inner Loop Header: Depth=2
	v_add_co_u32_sdwa v21, vcc, v21, v2 dst_sel:DWORD dst_unused:UNUSED_PAD src0_sel:DWORD src1_sel:WORD_0
	v_addc_co_u32_e32 v22, vcc, 0, v22, vcc
	v_cmp_gt_u64_e64 s[6:7], s[56:57], v[21:22]
	v_cmp_le_u64_e32 vcc, s[56:57], v[21:22]
	v_mov_b32_e32 v40, 0
	s_and_saveexec_b64 s[14:15], s[6:7]
	s_cbranch_execz .LBB133_77
; %bb.79:                               ;   in Loop: Header=BB133_78 Depth=2
	v_mul_lo_u32 v40, v22, s72
	v_mul_lo_u32 v44, v21, s73
	v_mad_u64_u32 v[42:43], s[6:7], v21, s72, 0
	v_add3_u32 v43, v43, v44, v40
	v_lshlrev_b64 v[42:43], 1, v[42:43]
	v_mov_b32_e32 v40, s69
	v_add_co_u32_e64 v42, s[6:7], s33, v42
	v_addc_co_u32_e64 v43, s[6:7], v40, v43, s[6:7]
	global_load_ushort v40, v[42:43], off
	s_branch .LBB133_77
.LBB133_80:                             ;   in Loop: Header=BB133_26 Depth=1
	s_or_b64 exec, exec, s[8:9]
.LBB133_81:                             ;   in Loop: Header=BB133_26 Depth=1
	s_or_b64 exec, exec, s[0:1]
	s_branch .LBB133_60
.LBB133_82:                             ;   in Loop: Header=BB133_26 Depth=1
	global_load_ushort v2, v3, s[76:77]
	v_mov_b32_e32 v8, 0
	v_mov_b32_e32 v9, 0
	s_waitcnt vmcnt(0)
	v_readfirstlane_b32 s0, v2
	s_and_b32 s65, 0xffff, s0
	s_lshl_b32 s82, s65, 2
	v_cvt_f32_u32_e32 v4, s82
	s_sub_i32 s0, 0, s82
	v_rcp_iflag_f32_e32 v6, v4
	v_mov_b32_e32 v4, 0
	v_mov_b32_e32 v5, 0
	v_mul_f32_e32 v6, 0x4f7ffffe, v6
	v_cvt_u32_f32_e32 v10, v6
	v_mov_b32_e32 v6, 0
	v_mov_b32_e32 v7, 0
	v_readfirstlane_b32 s1, v10
	s_mul_i32 s0, s0, s1
	s_mul_hi_u32 s0, s1, s0
	s_add_i32 s1, s1, s0
	s_mul_hi_u32 s0, s64, s1
	s_mul_i32 s1, s0, s82
	s_sub_i32 s1, s64, s1
	s_add_i32 s6, s0, 1
	s_sub_i32 s7, s1, s82
	s_cmp_ge_u32 s1, s82
	s_cselect_b32 s0, s6, s0
	s_cselect_b32 s1, s7, s1
	s_add_i32 s6, s0, 1
	s_cmp_ge_u32 s1, s82
	s_cselect_b32 s0, s6, s0
	s_mul_hi_u32 s1, s65, s0
	s_mul_i32 s0, s65, s0
	s_lshl_b64 s[58:59], s[0:1], 2
	v_cmp_gt_u64_e32 vcc, s[58:59], v[14:15]
	v_mov_b32_e32 v10, 0
	v_mov_b32_e32 v11, 0
	s_and_saveexec_b64 s[66:67], vcc
	s_cbranch_execz .LBB133_86
; %bb.83:                               ;   in Loop: Header=BB133_26 Depth=1
	v_mov_b32_e32 v22, v15
	s_lshl_b32 s1, s65, 3
	s_mov_b64 s[76:77], 0
	v_mov_b32_e32 v40, v31
	s_mov_b64 s[78:79], 0
	s_mov_b64 s[92:93], 0
	;; [unrolled: 1-line block ×4, first 2 shown]
	v_mov_b32_e32 v21, v14
.LBB133_84:                             ;   Parent Loop BB133_26 Depth=1
                                        ; =>  This Inner Loop Header: Depth=2
	ds_read_b64 v[4:5], v40
	v_add_co_u32_e32 v21, vcc, s82, v21
	v_addc_co_u32_e32 v22, vcc, 0, v22, vcc
	s_waitcnt lgkmcnt(0)
	v_cmp_lt_i16_e64 s[6:7], -1, v4
	v_cndmask_b32_e64 v6, v33, v34, s[6:7]
	v_cmp_gt_i16_sdwa s[6:7], v4, v36 src0_sel:WORD_1 src1_sel:DWORD
	v_cndmask_b32_e64 v7, v33, v34, s[6:7]
	v_cmp_lt_i16_e64 s[6:7], -1, v5
	v_cndmask_b32_e64 v8, v33, v34, s[6:7]
	v_cmp_gt_i16_sdwa s[6:7], v5, v36 src0_sel:WORD_1 src1_sel:DWORD
	v_cndmask_b32_e64 v9, v33, v34, s[6:7]
	v_xor_b32_sdwa v8, v8, v5 dst_sel:DWORD dst_unused:UNUSED_PAD src0_sel:DWORD src1_sel:WORD_0
	v_cmp_o_f16_e64 s[14:15], v5, v5
	v_xor_b32_sdwa v9, v9, v5 dst_sel:DWORD dst_unused:UNUSED_PAD src0_sel:DWORD src1_sel:WORD_1
	v_cmp_o_f16_sdwa s[16:17], v5, v5 src0_sel:WORD_1 src1_sel:WORD_1
	v_xor_b32_sdwa v5, v6, v4 dst_sel:DWORD dst_unused:UNUSED_PAD src0_sel:DWORD src1_sel:WORD_0
	v_cmp_o_f16_e64 s[18:19], v4, v4
	v_xor_b32_sdwa v7, v7, v4 dst_sel:DWORD dst_unused:UNUSED_PAD src0_sel:DWORD src1_sel:WORD_1
	v_cmp_o_f16_sdwa s[6:7], v4, v4 src0_sel:WORD_1 src1_sel:WORD_1
	v_cndmask_b32_e64 v4, v33, v5, s[18:19]
	v_cndmask_b32_e64 v5, v33, v7, s[6:7]
	;; [unrolled: 1-line block ×3, first 2 shown]
	v_and_b32_e32 v8, v4, v38
	v_bfe_u32 v4, v4, s86, 2
	v_cndmask_b32_e64 v7, v33, v9, s[16:17]
	v_and_b32_e32 v9, v5, v38
	v_bfe_u32 v5, v5, s86, 2
	v_cmp_eq_u32_e64 s[20:21], v8, v30
	v_cmp_eq_u32_e64 s[6:7], 0, v4
	v_and_b32_e32 v10, v6, v38
	v_bfe_u32 v6, v6, s86, 2
	v_cmp_eq_u32_e64 s[18:19], v9, v30
	v_cmp_eq_u32_e64 s[30:31], 0, v5
	s_and_b64 s[6:7], s[20:21], s[6:7]
	v_and_b32_e32 v11, v7, v38
	v_bfe_u32 v7, v7, s86, 2
	v_cmp_eq_u32_e64 s[16:17], v10, v30
	v_cmp_eq_u32_e64 s[34:35], 0, v6
	;; [unrolled: 1-line block ×5, first 2 shown]
	v_cndmask_b32_e64 v4, 0, 1, s[6:7]
	s_and_b64 s[6:7], s[18:19], s[30:31]
	v_cmp_eq_u32_e64 s[14:15], v11, v30
	v_cmp_eq_u32_e64 s[36:37], 0, v7
	;; [unrolled: 1-line block ×5, first 2 shown]
	v_cndmask_b32_e64 v5, 0, 1, s[6:7]
	s_and_b64 s[6:7], s[16:17], s[34:35]
	v_cmp_eq_u32_e64 s[44:45], 1, v6
	v_cmp_eq_u32_e64 s[52:53], 2, v6
	;; [unrolled: 1-line block ×3, first 2 shown]
	v_cndmask_b32_e64 v6, 0, 1, s[6:7]
	s_and_b64 s[6:7], s[14:15], s[36:37]
	v_cmp_eq_u32_e64 s[46:47], 1, v7
	v_cmp_eq_u32_e64 s[54:55], 2, v7
	;; [unrolled: 1-line block ×3, first 2 shown]
	v_cndmask_b32_e64 v7, 0, 1, s[6:7]
	v_cmp_ne_u32_e64 s[6:7], 0, v4
	v_cmp_ne_u32_e64 s[30:31], 0, v5
	v_cmp_ne_u32_e64 s[34:35], 0, v6
	v_cmp_ne_u32_e64 s[36:37], 0, v7
	s_bcnt1_i32_b64 s6, s[6:7]
	s_bcnt1_i32_b64 s7, s[30:31]
	s_bcnt1_i32_b64 s30, s[34:35]
	s_bcnt1_i32_b64 s31, s[36:37]
	s_add_u32 s6, s6, s8
	s_addc_u32 s8, 0, s9
	s_add_u32 s6, s6, s7
	s_addc_u32 s7, s8, 0
	s_add_u32 s6, s6, s30
	s_addc_u32 s7, s7, 0
	s_add_u32 s8, s6, s31
	s_addc_u32 s9, s7, 0
	s_and_b64 s[6:7], s[20:21], s[40:41]
	v_cndmask_b32_e64 v6, 0, 1, s[6:7]
	s_and_b64 s[6:7], s[18:19], s[42:43]
	v_cndmask_b32_e64 v7, 0, 1, s[6:7]
	s_and_b64 s[6:7], s[16:17], s[44:45]
	v_cndmask_b32_e64 v8, 0, 1, s[6:7]
	s_and_b64 s[6:7], s[14:15], s[46:47]
	v_cndmask_b32_e64 v9, 0, 1, s[6:7]
	v_cmp_ne_u32_e64 s[6:7], 0, v6
	v_cmp_ne_u32_e64 s[30:31], 0, v7
	v_cmp_ne_u32_e64 s[34:35], 0, v8
	v_cmp_ne_u32_e64 s[36:37], 0, v9
	s_bcnt1_i32_b64 s6, s[6:7]
	s_bcnt1_i32_b64 s7, s[30:31]
	s_bcnt1_i32_b64 s30, s[34:35]
	s_bcnt1_i32_b64 s31, s[36:37]
	s_add_u32 s6, s6, s94
	s_addc_u32 s34, 0, s95
	s_add_u32 s6, s6, s7
	s_addc_u32 s7, s34, 0
	s_add_u32 s6, s6, s30
	s_addc_u32 s7, s7, 0
	s_add_u32 s94, s6, s31
	s_addc_u32 s95, s7, 0
	s_and_b64 s[6:7], s[20:21], s[48:49]
	v_cndmask_b32_e64 v8, 0, 1, s[6:7]
	s_and_b64 s[6:7], s[18:19], s[50:51]
	v_cndmask_b32_e64 v9, 0, 1, s[6:7]
	s_and_b64 s[6:7], s[16:17], s[52:53]
	v_cndmask_b32_e64 v10, 0, 1, s[6:7]
	s_and_b64 s[6:7], s[14:15], s[54:55]
	;; [unrolled: 24-line block ×3, first 2 shown]
	v_cndmask_b32_e64 v42, 0, 1, s[6:7]
	v_cmp_ne_u32_e64 s[6:7], 0, v10
	v_cmp_ne_u32_e64 s[14:15], 0, v11
	;; [unrolled: 1-line block ×4, first 2 shown]
	s_bcnt1_i32_b64 s6, s[6:7]
	s_bcnt1_i32_b64 s7, s[14:15]
	;; [unrolled: 1-line block ×4, first 2 shown]
	s_add_u32 s6, s6, s78
	s_addc_u32 s16, 0, s79
	s_add_u32 s6, s6, s7
	s_addc_u32 s7, s16, 0
	;; [unrolled: 2-line block ×3, first 2 shown]
	v_cmp_le_u64_e32 vcc, s[58:59], v[21:22]
	s_add_u32 s78, s6, s15
	v_mov_b32_e32 v4, s8
	v_mov_b32_e32 v6, s94
	;; [unrolled: 1-line block ×3, first 2 shown]
	s_addc_u32 s79, s7, 0
	v_mov_b32_e32 v10, s78
	v_add_u32_e32 v40, s1, v40
	v_mov_b32_e32 v5, s9
	v_mov_b32_e32 v7, s95
	;; [unrolled: 1-line block ×3, first 2 shown]
	s_or_b64 s[76:77], vcc, s[76:77]
	v_mov_b32_e32 v11, s79
	s_andn2_b64 exec, exec, s[76:77]
	s_cbranch_execnz .LBB133_84
; %bb.85:                               ;   in Loop: Header=BB133_26 Depth=1
	s_or_b64 exec, exec, s[76:77]
	v_readlane_b32 s76, v52, 42
	v_readlane_b32 s77, v52, 43
.LBB133_86:                             ;   in Loop: Header=BB133_26 Depth=1
	s_or_b64 exec, exec, s[66:67]
	v_mov_b32_e32 v22, s59
	v_add_co_u32_e32 v21, vcc, s58, v0
	s_and_b32 s82, s64, 0x7fffffff
	v_addc_co_u32_e32 v22, vcc, 0, v22, vcc
	v_cmp_gt_u64_e32 vcc, s[82:83], v[21:22]
	s_and_saveexec_b64 s[8:9], vcc
	s_cbranch_execz .LBB133_90
; %bb.87:                               ;   in Loop: Header=BB133_26 Depth=1
	v_lshl_add_u32 v40, s0, 3, v24
	s_lshl_b32 s22, s65, 1
	s_mov_b64 s[0:1], 0
.LBB133_88:                             ;   Parent Loop BB133_26 Depth=1
                                        ; =>  This Inner Loop Header: Depth=2
	ds_read_u16 v41, v40
	v_add_co_u32_sdwa v21, vcc, v21, v2 dst_sel:DWORD dst_unused:UNUSED_PAD src0_sel:DWORD src1_sel:WORD_0
	v_addc_co_u32_e32 v22, vcc, 0, v22, vcc
	s_waitcnt lgkmcnt(0)
	v_cmp_lt_i16_e64 s[6:7], -1, v41
	v_cndmask_b32_e64 v42, v33, v34, s[6:7]
	v_xor_b32_sdwa v42, v42, v41 dst_sel:DWORD dst_unused:UNUSED_PAD src0_sel:DWORD src1_sel:WORD_0
	v_cmp_o_f16_e64 s[6:7], v41, v41
	v_cndmask_b32_e64 v41, v33, v42, s[6:7]
	v_and_b32_e32 v42, v41, v38
	v_bfe_u32 v41, v41, s86, 2
	v_cmp_eq_u32_e64 s[6:7], v42, v30
	v_cmp_eq_u32_e64 s[14:15], 0, v41
	;; [unrolled: 1-line block ×3, first 2 shown]
	s_and_b64 s[14:15], s[6:7], s[14:15]
	v_cmp_eq_u32_e64 s[18:19], 2, v41
	v_cmp_eq_u32_e64 s[20:21], 3, v41
	v_cndmask_b32_e64 v41, 0, 1, s[14:15]
	s_and_b64 s[14:15], s[6:7], s[16:17]
	v_cndmask_b32_e64 v42, 0, 1, s[14:15]
	s_and_b64 s[14:15], s[6:7], s[18:19]
	s_and_b64 s[6:7], s[6:7], s[20:21]
	v_cndmask_b32_e64 v44, 0, 1, s[6:7]
	v_cmp_ne_u32_e64 s[6:7], 0, v41
	s_bcnt1_i32_b64 s6, s[6:7]
	v_cndmask_b32_e64 v43, 0, 1, s[14:15]
	v_cmp_ne_u32_e64 s[14:15], 0, v42
	v_add_co_u32_e64 v4, s[6:7], s6, v4
	s_bcnt1_i32_b64 s14, s[14:15]
	v_addc_co_u32_e64 v5, s[6:7], 0, v5, s[6:7]
	v_cmp_le_u64_e32 vcc, s[82:83], v[21:22]
	v_cmp_ne_u32_e64 s[16:17], 0, v43
	v_cmp_ne_u32_e64 s[18:19], 0, v44
	v_add_co_u32_e64 v6, s[6:7], s14, v6
	s_bcnt1_i32_b64 s15, s[16:17]
	s_bcnt1_i32_b64 s16, s[18:19]
	v_addc_co_u32_e64 v7, s[6:7], 0, v7, s[6:7]
	v_add_co_u32_e64 v8, s[6:7], s15, v8
	s_or_b64 s[0:1], vcc, s[0:1]
	v_add_co_u32_e32 v10, vcc, s16, v10
	v_add_u32_e32 v40, s22, v40
	v_addc_co_u32_e64 v9, s[6:7], 0, v9, s[6:7]
	v_addc_co_u32_e32 v11, vcc, 0, v11, vcc
	s_andn2_b64 exec, exec, s[0:1]
	s_cbranch_execnz .LBB133_88
; %bb.89:                               ;   in Loop: Header=BB133_26 Depth=1
	s_or_b64 exec, exec, s[0:1]
.LBB133_90:                             ;   in Loop: Header=BB133_26 Depth=1
	s_or_b64 exec, exec, s[8:9]
	s_lshl_b32 s6, s84, 6
	s_and_saveexec_b64 s[0:1], s[4:5]
	s_cbranch_execnz .LBB133_61
	s_branch .LBB133_62
.LBB133_91:                             ;   in Loop: Header=BB133_26 Depth=1
                                        ; implicit-def: $sgpr0_sgpr1
	s_branch .LBB133_70
.LBB133_92:                             ;   in Loop: Header=BB133_26 Depth=1
	v_mov_b32_e32 v4, 0
	v_mov_b32_e32 v5, 0
	s_mov_b32 s7, 0
.LBB133_93:                             ;   in Loop: Header=BB133_26 Depth=1
	v_readlane_b32 s8, v52, 40
	v_readlane_b32 s9, v52, 41
	s_andn2_b64 vcc, exec, s[8:9]
	s_cbranch_vccnz .LBB133_96
; %bb.94:                               ;   in Loop: Header=BB133_26 Depth=1
	s_lshl_b32 s8, s84, 9
	s_lshl_b32 s7, s7, 5
	s_add_i32 s8, s8, s7
	v_add_u32_e32 v2, s8, v32
	v_readlane_b32 s7, v52, 39
.LBB133_95:                             ;   Parent Loop BB133_26 Depth=1
                                        ; =>  This Inner Loop Header: Depth=2
	ds_read_b64 v[6:7], v2
	s_add_i32 s7, s7, -1
	v_add_u32_e32 v2, 32, v2
	s_cmp_lg_u32 s7, 0
	s_waitcnt lgkmcnt(0)
	v_add_co_u32_e32 v4, vcc, v6, v4
	v_addc_co_u32_e32 v5, vcc, v7, v5, vcc
	s_cbranch_scc1 .LBB133_95
.LBB133_96:                             ;   in Loop: Header=BB133_26 Depth=1
	v_add_lshl_u32 v2, s6, v23, 3
	ds_write_b64 v2, v[4:5] offset:3072
.LBB133_97:                             ;   in Loop: Header=BB133_26 Depth=1
	s_or_b64 exec, exec, s[0:1]
	s_lshl_b32 s0, s6, 3
	v_mov_b32_e32 v2, s0
	s_waitcnt lgkmcnt(0)
	s_barrier
	ds_read_b128 v[8:11], v2 offset:3088
	ds_read_b128 v[4:7], v2 offset:3072
	v_cmp_eq_u64_e64 s[6:7], 1, v[19:20]
	s_lshl_b32 s66, 3, s86
	s_not_b32 s54, s66
	s_waitcnt lgkmcnt(1)
	v_readfirstlane_b32 s22, v8
	s_waitcnt lgkmcnt(0)
	v_cmp_eq_u64_e32 vcc, 1, v[4:5]
	v_readfirstlane_b32 s23, v9
	v_readfirstlane_b32 s14, v10
	;; [unrolled: 1-line block ×3, first 2 shown]
	s_and_b64 s[18:19], vcc, s[6:7]
	s_mov_b64 s[6:7], -1
	s_mov_b64 s[20:21], -1
                                        ; implicit-def: $sgpr8_sgpr9
                                        ; implicit-def: $sgpr0_sgpr1
	s_and_saveexec_b64 s[16:17], s[18:19]
	s_cbranch_execz .LBB133_137
; %bb.98:                               ;   in Loop: Header=BB133_26 Depth=1
	ds_read_b64 v[8:9], v3 offset:5120
	s_waitcnt lgkmcnt(0)
	s_barrier
	v_readfirstlane_b32 s24, v8
	v_readfirstlane_b32 s25, v9
	s_mov_b64 s[0:1], exec
	v_readlane_b32 s8, v52, 26
	v_readlane_b32 s9, v52, 27
	s_and_b64 s[8:9], s[0:1], s[8:9]
	s_mov_b64 exec, s[8:9]
; %bb.99:                               ;   in Loop: Header=BB133_26 Depth=1
	ds_write_b16 v25, v3
; %bb.100:                              ;   in Loop: Header=BB133_26 Depth=1
	s_or_b64 exec, exec, s[0:1]
	v_and_b32_e32 v30, s54, v30
	v_or_b32_e32 v38, s66, v38
	s_mov_b64 s[0:1], -1
	s_mov_b64 s[8:9], 0
	s_cmp_eq_u64 s[24:25], 0
	s_mov_b64 s[20:21], 0
	s_mov_b64 s[26:27], -1
	s_waitcnt lgkmcnt(0)
	s_barrier
                                        ; implicit-def: $vgpr39
	s_cbranch_scc1 .LBB133_115
; %bb.101:                              ;   in Loop: Header=BB133_26 Depth=1
	s_add_u32 s30, s24, s85
	v_readlane_b32 s20, v52, 32
	s_addc_u32 s21, s25, s20
	s_mov_b32 s20, s83
	s_cmp_lg_u64 s[20:21], 0
	s_cbranch_scc0 .LBB133_118
; %bb.102:                              ;   in Loop: Header=BB133_26 Depth=1
	v_cvt_f32_u32_e32 v2, s68
	s_sub_u32 s20, 0, s68
	s_subb_u32 s28, 0, 0
	v_mac_f32_e32 v2, 0, v35
	v_rcp_f32_e32 v2, v2
	v_mul_f32_e32 v2, 0x5f7ffffc, v2
	v_mul_f32_e32 v8, 0x2f800000, v2
	v_trunc_f32_e32 v8, v8
	v_mac_f32_e32 v2, 0xcf800000, v8
	v_cvt_u32_f32_e32 v8, v8
	v_cvt_u32_f32_e32 v2, v2
	v_readfirstlane_b32 s29, v8
	v_readfirstlane_b32 s26, v2
	s_mul_i32 s27, s20, s29
	s_mul_hi_u32 s34, s20, s26
	s_mul_i32 s31, s28, s26
	s_add_i32 s27, s34, s27
	s_mul_i32 s35, s20, s26
	s_add_i32 s27, s27, s31
	s_mul_hi_u32 s34, s26, s35
	s_mul_i32 s36, s26, s27
	s_mul_hi_u32 s31, s26, s27
	s_add_u32 s34, s34, s36
	s_addc_u32 s31, 0, s31
	s_mul_hi_u32 s37, s29, s35
	s_mul_i32 s35, s29, s35
	s_add_u32 s34, s34, s35
	s_mul_hi_u32 s36, s29, s27
	s_addc_u32 s31, s31, s37
	s_addc_u32 s34, s36, 0
	s_mul_i32 s27, s29, s27
	s_add_u32 s27, s31, s27
	s_addc_u32 s31, 0, s34
	s_add_u32 s34, s26, s27
	s_cselect_b64 s[26:27], -1, 0
	s_cmp_lg_u64 s[26:27], 0
	s_addc_u32 s29, s29, s31
	s_mul_i32 s26, s20, s29
	s_mul_hi_u32 s27, s20, s34
	s_add_i32 s26, s27, s26
	s_mul_i32 s28, s28, s34
	s_add_i32 s26, s26, s28
	s_mul_i32 s20, s20, s34
	s_mul_hi_u32 s28, s29, s20
	s_mul_i32 s31, s29, s20
	s_mul_i32 s36, s34, s26
	s_mul_hi_u32 s20, s34, s20
	s_mul_hi_u32 s35, s34, s26
	s_add_u32 s20, s20, s36
	s_addc_u32 s35, 0, s35
	s_add_u32 s20, s20, s31
	s_mul_hi_u32 s27, s29, s26
	s_addc_u32 s20, s35, s28
	s_addc_u32 s27, s27, 0
	s_mul_i32 s26, s29, s26
	s_add_u32 s20, s20, s26
	s_addc_u32 s28, 0, s27
	s_add_u32 s20, s34, s20
	s_cselect_b64 s[26:27], -1, 0
	s_cmp_lg_u64 s[26:27], 0
	s_addc_u32 s26, s29, s28
	s_mul_i32 s28, s30, s26
	s_mul_hi_u32 s29, s30, s20
	s_mul_hi_u32 s27, s30, s26
	s_add_u32 s28, s29, s28
	s_addc_u32 s27, 0, s27
	s_mul_hi_u32 s31, s21, s20
	s_mul_i32 s20, s21, s20
	s_add_u32 s20, s28, s20
	s_mul_hi_u32 s29, s21, s26
	s_addc_u32 s20, s27, s31
	s_addc_u32 s27, s29, 0
	s_mul_i32 s26, s21, s26
	s_add_u32 s20, s20, s26
	s_addc_u32 s26, 0, s27
	s_mul_i32 s26, s68, s26
	s_mul_hi_u32 s27, s68, s20
	s_add_i32 s28, s27, s26
	s_mul_i32 s20, s68, s20
	s_sub_u32 s20, s30, s20
	s_cselect_b64 s[26:27], -1, 0
	s_cmp_lg_u64 s[26:27], 0
	s_subb_u32 s28, s21, s28
	s_sub_u32 s29, s20, s68
	s_cselect_b64 s[26:27], -1, 0
	s_cmp_lg_u64 s[26:27], 0
	s_subb_u32 s31, s28, 0
	;; [unrolled: 4-line block ×3, first 2 shown]
	s_cmp_ge_u32 s29, s68
	s_cselect_b32 s27, -1, 0
	s_cmp_eq_u32 s31, 0
	s_cselect_b32 s27, s27, -1
	s_cmp_lg_u32 s27, 0
	s_cselect_b32 s26, s26, s31
	s_cselect_b32 s29, s34, s29
	s_cmp_ge_u32 s20, s68
	s_cselect_b32 s27, -1, 0
	s_cmp_eq_u32 s28, 0
	s_cselect_b32 s27, s27, -1
	s_cmp_lg_u32 s27, 0
	s_cselect_b32 s27, s26, s28
	s_cselect_b32 s26, s29, s20
	s_cbranch_execnz .LBB133_104
.LBB133_103:                            ;   in Loop: Header=BB133_26 Depth=1
	v_cvt_f32_u32_e32 v2, s68
	s_sub_i32 s20, 0, s68
	v_rcp_iflag_f32_e32 v2, v2
	v_mul_f32_e32 v2, 0x4f7ffffe, v2
	v_cvt_u32_f32_e32 v2, v2
	v_readfirstlane_b32 s26, v2
	s_mul_i32 s20, s20, s26
	s_mul_hi_u32 s20, s26, s20
	s_add_i32 s26, s26, s20
	s_mul_hi_u32 s20, s30, s26
	s_mul_i32 s20, s20, s68
	s_sub_i32 s20, s30, s20
	s_sub_i32 s26, s20, s68
	s_cmp_ge_u32 s20, s68
	s_cselect_b32 s20, s26, s20
	s_sub_i32 s26, s20, s68
	s_cmp_ge_u32 s20, s68
	s_cselect_b32 s82, s26, s20
	s_mov_b64 s[26:27], s[82:83]
.LBB133_104:                            ;   in Loop: Header=BB133_26 Depth=1
	s_sub_u32 s30, s30, s26
	s_subb_u32 s31, s21, s27
	v_cmp_gt_u64_e32 vcc, s[30:31], v[0:1]
	s_mov_b64 s[26:27], 0
	s_mov_b64 s[20:21], 0
                                        ; implicit-def: $vgpr39
	s_and_saveexec_b64 s[28:29], vcc
	s_cbranch_execz .LBB133_114
; %bb.105:                              ;   in Loop: Header=BB133_26 Depth=1
	v_mov_b32_e32 v9, v1
	v_mov_b32_e32 v2, v24
	v_mov_b32_e32 v8, v0
                                        ; implicit-def: $sgpr34_sgpr35
	s_branch .LBB133_109
.LBB133_106:                            ;   in Loop: Header=BB133_109 Depth=2
	s_or_b64 exec, exec, s[36:37]
	s_waitcnt lgkmcnt(0)
	s_barrier
	ds_read_b32 v10, v3 offset:3072
	s_waitcnt lgkmcnt(0)
	s_barrier
	v_cmp_neq_f16_e32 vcc, 0, v10
	s_cbranch_vccnz .LBB133_112
; %bb.107:                              ;   in Loop: Header=BB133_109 Depth=2
	v_add_co_u32_e32 v8, vcc, s68, v8
	v_addc_co_u32_e32 v9, vcc, 0, v9, vcc
	v_cmp_le_u64_e32 vcc, s[30:31], v[8:9]
	v_add_u32_e32 v2, s38, v2
	s_mov_b64 s[36:37], 0
	s_orn2_b64 s[40:41], vcc, exec
.LBB133_108:                            ;   in Loop: Header=BB133_109 Depth=2
	s_and_b64 s[40:41], exec, s[40:41]
	s_or_b64 s[20:21], s[40:41], s[20:21]
	s_andn2_b64 s[34:35], s[34:35], exec
	s_and_b64 s[36:37], s[36:37], exec
	s_or_b64 s[34:35], s[34:35], s[36:37]
	s_andn2_b64 exec, exec, s[20:21]
	s_cbranch_execz .LBB133_113
.LBB133_109:                            ;   Parent Loop BB133_26 Depth=1
                                        ; =>  This Inner Loop Header: Depth=2
	v_cmp_gt_u64_e32 vcc, s[24:25], v[8:9]
	s_and_saveexec_b64 s[36:37], vcc
	s_cbranch_execz .LBB133_106
; %bb.110:                              ;   in Loop: Header=BB133_109 Depth=2
	ds_read_u16 v10, v2
	s_waitcnt lgkmcnt(0)
	v_cmp_lt_i16_e32 vcc, -1, v10
	v_cndmask_b32_e32 v11, v33, v34, vcc
	v_xor_b32_sdwa v11, v11, v10 dst_sel:DWORD dst_unused:UNUSED_PAD src0_sel:DWORD src1_sel:WORD_0
	v_cmp_o_f16_e32 vcc, v10, v10
	v_cndmask_b32_e32 v11, v33, v11, vcc
	v_and_b32_e32 v11, v11, v38
	v_cmp_eq_u32_e32 vcc, v11, v30
	s_and_b64 exec, exec, vcc
	s_cbranch_execz .LBB133_106
; %bb.111:                              ;   in Loop: Header=BB133_109 Depth=2
	v_perm_b32 v10, v10, s39, v37
	ds_write_b32 v3, v10 offset:3072
	s_branch .LBB133_106
.LBB133_112:                            ;   in Loop: Header=BB133_109 Depth=2
	s_mov_b64 s[40:41], -1
                                        ; implicit-def: $vgpr8_vgpr9
                                        ; implicit-def: $vgpr2
	s_mov_b64 s[36:37], -1
	s_branch .LBB133_108
.LBB133_113:                            ;   in Loop: Header=BB133_26 Depth=1
	s_or_b64 exec, exec, s[20:21]
	v_lshrrev_b32_e32 v39, 16, v10
	s_and_b64 s[20:21], s[34:35], exec
.LBB133_114:                            ;   in Loop: Header=BB133_26 Depth=1
	s_or_b64 exec, exec, s[28:29]
.LBB133_115:                            ;   in Loop: Header=BB133_26 Depth=1
	s_and_b64 vcc, exec, s[26:27]
	s_cbranch_vccz .LBB133_136
; %bb.116:                              ;   in Loop: Header=BB133_26 Depth=1
	s_mov_b32 s88, s83
	s_cmp_lg_u64 s[88:89], 0
	s_cbranch_scc0 .LBB133_122
; %bb.117:                              ;   in Loop: Header=BB133_26 Depth=1
	v_cvt_f32_u32_e32 v2, s68
	s_sub_u32 s8, 0, s68
	s_subb_u32 s9, 0, 0
	v_mac_f32_e32 v2, 0, v35
	v_rcp_f32_e32 v2, v2
	v_mul_f32_e32 v2, 0x5f7ffffc, v2
	v_mul_f32_e32 v8, 0x2f800000, v2
	v_trunc_f32_e32 v8, v8
	v_mac_f32_e32 v2, 0xcf800000, v8
	v_cvt_u32_f32_e32 v8, v8
	v_cvt_u32_f32_e32 v2, v2
	v_readfirstlane_b32 s24, v8
	v_readfirstlane_b32 s0, v2
	s_mul_i32 s1, s8, s24
	s_mul_hi_u32 s26, s8, s0
	s_mul_i32 s25, s9, s0
	s_add_i32 s1, s26, s1
	s_mul_i32 s27, s8, s0
	s_add_i32 s1, s1, s25
	s_mul_hi_u32 s26, s0, s27
	s_mul_i32 s28, s0, s1
	s_mul_hi_u32 s25, s0, s1
	s_add_u32 s26, s26, s28
	s_addc_u32 s25, 0, s25
	s_mul_hi_u32 s29, s24, s27
	s_mul_i32 s27, s24, s27
	s_add_u32 s26, s26, s27
	s_mul_hi_u32 s28, s24, s1
	s_addc_u32 s25, s25, s29
	s_addc_u32 s26, s28, 0
	s_mul_i32 s1, s24, s1
	s_add_u32 s1, s25, s1
	s_addc_u32 s25, 0, s26
	s_add_u32 s26, s0, s1
	s_cselect_b64 s[0:1], -1, 0
	s_cmp_lg_u64 s[0:1], 0
	s_addc_u32 s24, s24, s25
	s_mul_i32 s0, s8, s24
	s_mul_hi_u32 s1, s8, s26
	s_add_i32 s0, s1, s0
	s_mul_i32 s9, s9, s26
	s_add_i32 s0, s0, s9
	s_mul_i32 s8, s8, s26
	s_mul_hi_u32 s9, s24, s8
	s_mul_i32 s25, s24, s8
	s_mul_i32 s28, s26, s0
	s_mul_hi_u32 s8, s26, s8
	s_mul_hi_u32 s27, s26, s0
	s_add_u32 s8, s8, s28
	s_addc_u32 s27, 0, s27
	s_add_u32 s8, s8, s25
	s_mul_hi_u32 s1, s24, s0
	s_addc_u32 s8, s27, s9
	s_addc_u32 s1, s1, 0
	s_mul_i32 s0, s24, s0
	s_add_u32 s0, s8, s0
	s_addc_u32 s8, 0, s1
	s_add_u32 s9, s26, s0
	s_cselect_b64 s[0:1], -1, 0
	s_cmp_lg_u64 s[0:1], 0
	s_addc_u32 s0, s24, s8
	s_mul_i32 s8, s2, s0
	s_mul_hi_u32 s24, s2, s9
	s_mul_hi_u32 s1, s2, s0
	s_add_u32 s8, s24, s8
	s_addc_u32 s1, 0, s1
	s_mul_hi_u32 s25, s89, s9
	s_mul_i32 s9, s89, s9
	s_add_u32 s8, s8, s9
	s_mul_hi_u32 s24, s89, s0
	s_addc_u32 s1, s1, s25
	s_addc_u32 s8, s24, 0
	s_mul_i32 s0, s89, s0
	s_add_u32 s0, s1, s0
	s_addc_u32 s1, 0, s8
	s_mul_i32 s1, s68, s1
	s_mul_hi_u32 s8, s68, s0
	s_add_i32 s8, s8, s1
	s_mul_i32 s0, s68, s0
	s_sub_u32 s9, s2, s0
	s_cselect_b64 s[0:1], -1, 0
	s_cmp_lg_u64 s[0:1], 0
	s_subb_u32 s8, s89, s8
	s_sub_u32 s24, s9, s68
	s_cselect_b64 s[0:1], -1, 0
	s_cmp_lg_u64 s[0:1], 0
	s_subb_u32 s25, s8, 0
	;; [unrolled: 4-line block ×3, first 2 shown]
	s_cmp_ge_u32 s24, s68
	s_cselect_b32 s1, -1, 0
	s_cmp_eq_u32 s25, 0
	s_cselect_b32 s1, s1, -1
	s_cmp_lg_u32 s1, 0
	s_cselect_b32 s0, s0, s25
	s_cselect_b32 s24, s26, s24
	s_cmp_ge_u32 s9, s68
	s_cselect_b32 s1, -1, 0
	s_cmp_eq_u32 s8, 0
	s_cselect_b32 s1, s1, -1
	s_cmp_lg_u32 s1, 0
	s_cselect_b32 s1, s0, s8
	s_cselect_b32 s0, s24, s9
	s_mov_b64 s[8:9], 0
	s_branch .LBB133_123
.LBB133_118:                            ;   in Loop: Header=BB133_26 Depth=1
                                        ; implicit-def: $sgpr26_sgpr27
	s_branch .LBB133_103
.LBB133_119:                            ;   in Loop: Header=BB133_26 Depth=1
	s_or_b64 exec, exec, s[8:9]
	s_waitcnt lgkmcnt(0)
	s_barrier
	s_mov_b64 s[6:7], exec
	v_readlane_b32 s8, v52, 16
	v_readlane_b32 s9, v52, 17
	s_and_b64 s[8:9], s[6:7], s[8:9]
	s_mov_b64 exec, s[8:9]
	s_cbranch_execz .LBB133_121
; %bb.120:                              ;   in Loop: Header=BB133_26 Depth=1
	ds_read_b32 v4, v3 offset:5144
	s_waitcnt lgkmcnt(0)
	v_ashrrev_i32_e32 v5, 31, v4
	ds_write_b64 v3, v[4:5] offset:5120
.LBB133_121:                            ;   in Loop: Header=BB133_26 Depth=1
	s_or_b64 exec, exec, s[6:7]
	s_waitcnt lgkmcnt(0)
	s_barrier
	s_mov_b64 s[6:7], -1
	s_and_b64 vcc, exec, s[0:1]
	s_cbranch_vccnz .LBB133_41
	s_branch .LBB133_56
.LBB133_122:                            ;   in Loop: Header=BB133_26 Depth=1
	s_mov_b64 s[8:9], -1
                                        ; implicit-def: $sgpr0_sgpr1
.LBB133_123:                            ;   in Loop: Header=BB133_26 Depth=1
	s_andn2_b64 vcc, exec, s[8:9]
	v_readlane_b32 s88, v52, 44
	s_cbranch_vccnz .LBB133_125
; %bb.124:                              ;   in Loop: Header=BB133_26 Depth=1
	v_cvt_f32_u32_e32 v2, s68
	s_sub_i32 s0, 0, s68
	v_rcp_iflag_f32_e32 v2, v2
	v_mul_f32_e32 v2, 0x4f7ffffe, v2
	v_cvt_u32_f32_e32 v2, v2
	v_readfirstlane_b32 s1, v2
	s_mul_i32 s0, s0, s1
	s_mul_hi_u32 s0, s1, s0
	s_add_i32 s1, s1, s0
	s_mul_hi_u32 s0, s2, s1
	s_mul_i32 s0, s0, s68
	s_sub_i32 s0, s2, s0
	s_sub_i32 s1, s0, s68
	s_cmp_ge_u32 s0, s68
	s_cselect_b32 s0, s1, s0
	s_sub_i32 s1, s0, s68
	s_cmp_ge_u32 s0, s68
	s_cselect_b32 s82, s1, s0
	s_mov_b64 s[0:1], s[82:83]
.LBB133_125:                            ;   in Loop: Header=BB133_26 Depth=1
	s_sub_u32 s8, s2, s0
	s_subb_u32 s9, s89, s1
	v_cmp_gt_u64_e32 vcc, s[8:9], v[0:1]
                                        ; implicit-def: $vgpr39
	s_and_saveexec_b64 s[0:1], vcc
	s_cbranch_execz .LBB133_135
; %bb.126:                              ;   in Loop: Header=BB133_26 Depth=1
	v_mov_b32_e32 v9, v1
	s_mov_b64 s[24:25], 0
	v_mov_b32_e32 v8, v0
                                        ; implicit-def: $sgpr26_sgpr27
	s_branch .LBB133_130
.LBB133_127:                            ;   in Loop: Header=BB133_130 Depth=2
	s_or_b64 exec, exec, s[28:29]
	s_waitcnt lgkmcnt(0)
	s_barrier
	ds_read_b32 v2, v3 offset:3072
	s_waitcnt lgkmcnt(0)
	s_barrier
	v_cmp_neq_f16_e32 vcc, 0, v2
	s_cbranch_vccnz .LBB133_133
; %bb.128:                              ;   in Loop: Header=BB133_130 Depth=2
	v_add_co_u32_e32 v8, vcc, s68, v8
	v_addc_co_u32_e32 v9, vcc, 0, v9, vcc
	v_cmp_le_u64_e32 vcc, s[8:9], v[8:9]
	s_mov_b64 s[28:29], 0
	s_orn2_b64 s[30:31], vcc, exec
.LBB133_129:                            ;   in Loop: Header=BB133_130 Depth=2
	s_and_b64 s[30:31], exec, s[30:31]
	s_or_b64 s[24:25], s[30:31], s[24:25]
	s_andn2_b64 s[26:27], s[26:27], exec
	s_and_b64 s[28:29], s[28:29], exec
	s_or_b64 s[26:27], s[26:27], s[28:29]
	s_andn2_b64 exec, exec, s[24:25]
	s_cbranch_execz .LBB133_134
.LBB133_130:                            ;   Parent Loop BB133_26 Depth=1
                                        ; =>  This Inner Loop Header: Depth=2
	v_cmp_gt_u64_e32 vcc, s[56:57], v[8:9]
	s_and_saveexec_b64 s[28:29], vcc
	s_cbranch_execz .LBB133_127
; %bb.131:                              ;   in Loop: Header=BB133_130 Depth=2
	v_mul_lo_u32 v2, v9, s72
	v_mul_lo_u32 v21, v8, s73
	v_mad_u64_u32 v[10:11], s[30:31], v8, s72, 0
	v_add3_u32 v11, v11, v21, v2
	v_lshlrev_b64 v[10:11], 1, v[10:11]
	v_mov_b32_e32 v2, s69
	v_add_co_u32_e32 v10, vcc, s33, v10
	v_addc_co_u32_e32 v11, vcc, v2, v11, vcc
	global_load_ushort v2, v[10:11], off
	s_waitcnt vmcnt(0)
	v_cmp_lt_i16_e32 vcc, -1, v2
	v_cndmask_b32_e32 v10, v33, v34, vcc
	v_xor_b32_sdwa v10, v10, v2 dst_sel:DWORD dst_unused:UNUSED_PAD src0_sel:DWORD src1_sel:WORD_0
	v_cmp_o_f16_e32 vcc, v2, v2
	v_cndmask_b32_e32 v10, v33, v10, vcc
	v_and_b32_e32 v10, v10, v38
	v_cmp_eq_u32_e32 vcc, v10, v30
	s_and_b64 exec, exec, vcc
	s_cbranch_execz .LBB133_127
; %bb.132:                              ;   in Loop: Header=BB133_130 Depth=2
	v_perm_b32 v2, v2, s39, v37
	ds_write_b32 v3, v2 offset:3072
	s_branch .LBB133_127
.LBB133_133:                            ;   in Loop: Header=BB133_130 Depth=2
	s_mov_b64 s[30:31], -1
                                        ; implicit-def: $vgpr8_vgpr9
	s_mov_b64 s[28:29], -1
	s_branch .LBB133_129
.LBB133_134:                            ;   in Loop: Header=BB133_26 Depth=1
	s_or_b64 exec, exec, s[24:25]
	s_andn2_b64 s[8:9], s[20:21], exec
	s_and_b64 s[20:21], s[26:27], exec
	v_lshrrev_b32_e32 v39, 16, v2
	s_or_b64 s[20:21], s[8:9], s[20:21]
.LBB133_135:                            ;   in Loop: Header=BB133_26 Depth=1
	s_or_b64 exec, exec, s[0:1]
	s_mov_b64 s[0:1], 0
	s_mov_b64 s[8:9], -1
.LBB133_136:                            ;   in Loop: Header=BB133_26 Depth=1
	s_orn2_b64 s[20:21], s[20:21], exec
.LBB133_137:                            ;   in Loop: Header=BB133_26 Depth=1
	s_or_b64 exec, exec, s[16:17]
	s_andn2_b64 s[10:11], s[10:11], exec
	s_and_b64 s[8:9], s[8:9], exec
	s_or_b64 s[10:11], s[10:11], s[8:9]
	s_andn2_b64 s[8:9], s[12:13], exec
	s_and_b64 s[0:1], s[0:1], exec
	s_andn2_b64 s[70:71], s[70:71], exec
	s_or_b64 s[12:13], s[8:9], s[0:1]
                                        ; implicit-def: $vgpr8_vgpr9
	s_and_saveexec_b64 s[16:17], s[20:21]
	s_cbranch_execz .LBB133_25
; %bb.138:                              ;   in Loop: Header=BB133_26 Depth=1
	v_mov_b32_e32 v8, 1
	s_xor_b64 s[6:7], s[18:19], -1
	v_mov_b32_e32 v2, 1
	v_mov_b32_e32 v9, 0
	s_mov_b64 s[8:9], 0
	s_and_saveexec_b64 s[0:1], s[6:7]
	s_cbranch_execz .LBB133_147
; %bb.139:                              ;   in Loop: Header=BB133_26 Depth=1
	v_cmp_le_u64_e32 vcc, v[19:20], v[4:5]
	s_and_saveexec_b64 s[6:7], vcc
	s_xor_b64 s[6:7], exec, s[6:7]
	s_cbranch_execz .LBB133_144
; %bb.140:                              ;   in Loop: Header=BB133_26 Depth=1
	ds_read_b64 v[8:9], v3 offset:5120
	v_and_b32_e32 v30, s54, v30
	v_or_b32_e32 v38, s66, v38
	s_waitcnt lgkmcnt(0)
	v_cmp_ne_u64_e32 vcc, 0, v[8:9]
	s_cbranch_vccnz .LBB133_144
; %bb.141:                              ;   in Loop: Header=BB133_26 Depth=1
	s_mov_b64 s[8:9], exec
	v_readlane_b32 s18, v52, 16
	v_readlane_b32 s19, v52, 17
	s_and_b64 s[18:19], s[8:9], s[18:19]
	s_mov_b64 exec, s[18:19]
; %bb.142:                              ;   in Loop: Header=BB133_26 Depth=1
	ds_write_b64 v3, v[4:5] offset:5128
; %bb.143:                              ;   in Loop: Header=BB133_26 Depth=1
	s_or_b64 exec, exec, s[8:9]
	s_waitcnt lgkmcnt(0)
	s_barrier
.LBB133_144:                            ;   in Loop: Header=BB133_26 Depth=1
	s_or_saveexec_b64 s[6:7], s[6:7]
	s_mov_b64 s[8:9], 0
	v_mov_b32_e32 v2, 8
	s_xor_b64 exec, exec, s[6:7]
; %bb.145:                              ;   in Loop: Header=BB133_26 Depth=1
	v_sub_co_u32_e32 v19, vcc, v19, v4
	s_mov_b64 s[8:9], exec
	v_subb_co_u32_e32 v20, vcc, v20, v5, vcc
	v_mov_b32_e32 v2, 0
; %bb.146:                              ;   in Loop: Header=BB133_26 Depth=1
	s_or_b64 exec, exec, s[6:7]
	v_mov_b32_e32 v8, v19
	s_and_b64 s[8:9], s[8:9], exec
	v_mov_b32_e32 v9, v20
.LBB133_147:                            ;   in Loop: Header=BB133_26 Depth=1
	s_or_b64 exec, exec, s[0:1]
	s_mov_b64 s[18:19], -1
	s_mov_b64 s[0:1], -1
                                        ; implicit-def: $sgpr6_sgpr7
                                        ; implicit-def: $sgpr24_sgpr25
	s_and_saveexec_b64 s[20:21], s[8:9]
	s_xor_b64 s[20:21], exec, s[20:21]
	s_cbranch_execz .LBB133_298
; %bb.148:                              ;   in Loop: Header=BB133_26 Depth=1
	v_cmp_eq_u64_e32 vcc, 1, v[6:7]
	v_cmp_eq_u64_e64 s[6:7], 1, v[8:9]
                                        ; implicit-def: $sgpr24_sgpr25
	s_and_b64 s[28:29], vcc, s[6:7]
                                        ; implicit-def: $sgpr6_sgpr7
	s_and_saveexec_b64 s[26:27], s[28:29]
	s_cbranch_execz .LBB133_185
; %bb.149:                              ;   in Loop: Header=BB133_26 Depth=1
	ds_read_b64 v[4:5], v3 offset:5120
	s_waitcnt lgkmcnt(0)
	s_barrier
	v_readfirstlane_b32 s8, v4
	v_readfirstlane_b32 s9, v5
	s_mov_b64 s[0:1], exec
	v_readlane_b32 s6, v52, 26
	v_readlane_b32 s7, v52, 27
	s_and_b64 s[6:7], s[0:1], s[6:7]
	s_mov_b64 exec, s[6:7]
; %bb.150:                              ;   in Loop: Header=BB133_26 Depth=1
	ds_write_b16 v25, v3
; %bb.151:                              ;   in Loop: Header=BB133_26 Depth=1
	s_or_b64 exec, exec, s[0:1]
	v_and_b32_e32 v4, s54, v30
	v_lshl_or_b32 v30, 1, s86, v4
	v_or_b32_e32 v38, s66, v38
	s_mov_b64 s[6:7], -1
	s_mov_b64 s[24:25], 0
	s_cmp_eq_u64 s[8:9], 0
	s_mov_b64 s[0:1], 0
	s_mov_b64 s[30:31], -1
	s_waitcnt lgkmcnt(0)
	s_barrier
                                        ; implicit-def: $vgpr39
	s_cbranch_scc1 .LBB133_166
; %bb.152:                              ;   in Loop: Header=BB133_26 Depth=1
	s_add_u32 s36, s8, s85
	v_readlane_b32 s0, v52, 32
	s_addc_u32 s1, s9, s0
	s_mov_b32 s0, s83
	s_cmp_lg_u64 s[0:1], 0
	s_cbranch_scc0 .LBB133_169
; %bb.153:                              ;   in Loop: Header=BB133_26 Depth=1
	v_cvt_f32_u32_e32 v4, s68
	s_sub_u32 s0, 0, s68
	s_subb_u32 s34, 0, 0
	v_mac_f32_e32 v4, 0, v35
	v_rcp_f32_e32 v4, v4
	v_mul_f32_e32 v4, 0x5f7ffffc, v4
	v_mul_f32_e32 v5, 0x2f800000, v4
	v_trunc_f32_e32 v5, v5
	v_mac_f32_e32 v4, 0xcf800000, v5
	v_cvt_u32_f32_e32 v5, v5
	v_cvt_u32_f32_e32 v4, v4
	v_readfirstlane_b32 s35, v5
	v_readfirstlane_b32 s30, v4
	s_mul_i32 s31, s0, s35
	s_mul_hi_u32 s40, s0, s30
	s_mul_i32 s37, s34, s30
	s_add_i32 s31, s40, s31
	s_mul_i32 s41, s0, s30
	s_add_i32 s31, s31, s37
	s_mul_hi_u32 s40, s30, s41
	s_mul_i32 s42, s30, s31
	s_mul_hi_u32 s37, s30, s31
	s_add_u32 s40, s40, s42
	s_addc_u32 s37, 0, s37
	s_mul_hi_u32 s43, s35, s41
	s_mul_i32 s41, s35, s41
	s_add_u32 s40, s40, s41
	s_mul_hi_u32 s42, s35, s31
	s_addc_u32 s37, s37, s43
	s_addc_u32 s40, s42, 0
	s_mul_i32 s31, s35, s31
	s_add_u32 s31, s37, s31
	s_addc_u32 s37, 0, s40
	s_add_u32 s40, s30, s31
	s_cselect_b64 s[30:31], -1, 0
	s_cmp_lg_u64 s[30:31], 0
	s_addc_u32 s35, s35, s37
	s_mul_i32 s30, s0, s35
	s_mul_hi_u32 s31, s0, s40
	s_add_i32 s30, s31, s30
	s_mul_i32 s34, s34, s40
	s_add_i32 s30, s30, s34
	s_mul_i32 s0, s0, s40
	s_mul_hi_u32 s34, s35, s0
	s_mul_i32 s37, s35, s0
	s_mul_i32 s42, s40, s30
	s_mul_hi_u32 s0, s40, s0
	s_mul_hi_u32 s41, s40, s30
	s_add_u32 s0, s0, s42
	s_addc_u32 s41, 0, s41
	s_add_u32 s0, s0, s37
	s_mul_hi_u32 s31, s35, s30
	s_addc_u32 s0, s41, s34
	s_addc_u32 s31, s31, 0
	s_mul_i32 s30, s35, s30
	s_add_u32 s0, s0, s30
	s_addc_u32 s34, 0, s31
	s_add_u32 s0, s40, s0
	s_cselect_b64 s[30:31], -1, 0
	s_cmp_lg_u64 s[30:31], 0
	s_addc_u32 s30, s35, s34
	s_mul_i32 s34, s36, s30
	s_mul_hi_u32 s35, s36, s0
	s_mul_hi_u32 s31, s36, s30
	s_add_u32 s34, s35, s34
	s_addc_u32 s31, 0, s31
	s_mul_hi_u32 s37, s1, s0
	s_mul_i32 s0, s1, s0
	s_add_u32 s0, s34, s0
	s_mul_hi_u32 s35, s1, s30
	s_addc_u32 s0, s31, s37
	s_addc_u32 s31, s35, 0
	s_mul_i32 s30, s1, s30
	s_add_u32 s0, s0, s30
	s_addc_u32 s30, 0, s31
	s_mul_i32 s30, s68, s30
	s_mul_hi_u32 s31, s68, s0
	s_add_i32 s34, s31, s30
	s_mul_i32 s0, s68, s0
	s_sub_u32 s0, s36, s0
	s_cselect_b64 s[30:31], -1, 0
	s_cmp_lg_u64 s[30:31], 0
	s_subb_u32 s34, s1, s34
	s_sub_u32 s35, s0, s68
	s_cselect_b64 s[30:31], -1, 0
	s_cmp_lg_u64 s[30:31], 0
	s_subb_u32 s37, s34, 0
	;; [unrolled: 4-line block ×3, first 2 shown]
	s_cmp_ge_u32 s35, s68
	s_cselect_b32 s31, -1, 0
	s_cmp_eq_u32 s37, 0
	s_cselect_b32 s31, s31, -1
	s_cmp_lg_u32 s31, 0
	s_cselect_b32 s30, s30, s37
	s_cselect_b32 s35, s40, s35
	s_cmp_ge_u32 s0, s68
	s_cselect_b32 s31, -1, 0
	s_cmp_eq_u32 s34, 0
	s_cselect_b32 s31, s31, -1
	s_cmp_lg_u32 s31, 0
	s_cselect_b32 s31, s30, s34
	s_cselect_b32 s30, s35, s0
	s_cbranch_execnz .LBB133_155
.LBB133_154:                            ;   in Loop: Header=BB133_26 Depth=1
	v_cvt_f32_u32_e32 v4, s68
	s_sub_i32 s0, 0, s68
	v_rcp_iflag_f32_e32 v4, v4
	v_mul_f32_e32 v4, 0x4f7ffffe, v4
	v_cvt_u32_f32_e32 v4, v4
	v_readfirstlane_b32 s30, v4
	s_mul_i32 s0, s0, s30
	s_mul_hi_u32 s0, s30, s0
	s_add_i32 s30, s30, s0
	s_mul_hi_u32 s0, s36, s30
	s_mul_i32 s0, s0, s68
	s_sub_i32 s0, s36, s0
	s_sub_i32 s30, s0, s68
	s_cmp_ge_u32 s0, s68
	s_cselect_b32 s0, s30, s0
	s_sub_i32 s30, s0, s68
	s_cmp_ge_u32 s0, s68
	s_cselect_b32 s82, s30, s0
	s_mov_b64 s[30:31], s[82:83]
.LBB133_155:                            ;   in Loop: Header=BB133_26 Depth=1
	s_sub_u32 s36, s36, s30
	s_subb_u32 s37, s1, s31
	v_cmp_gt_u64_e32 vcc, s[36:37], v[0:1]
	s_mov_b64 s[30:31], 0
	s_mov_b64 s[0:1], 0
                                        ; implicit-def: $vgpr39
	s_and_saveexec_b64 s[34:35], vcc
	s_cbranch_execz .LBB133_165
; %bb.156:                              ;   in Loop: Header=BB133_26 Depth=1
	v_mov_b32_e32 v5, v1
	v_mov_b32_e32 v10, v24
	;; [unrolled: 1-line block ×3, first 2 shown]
                                        ; implicit-def: $sgpr40_sgpr41
	s_branch .LBB133_160
.LBB133_157:                            ;   in Loop: Header=BB133_160 Depth=2
	s_or_b64 exec, exec, s[42:43]
	s_waitcnt lgkmcnt(0)
	s_barrier
	ds_read_b32 v11, v3 offset:3072
	s_waitcnt lgkmcnt(0)
	s_barrier
	v_cmp_neq_f16_e32 vcc, 0, v11
	s_cbranch_vccnz .LBB133_163
; %bb.158:                              ;   in Loop: Header=BB133_160 Depth=2
	v_add_co_u32_e32 v4, vcc, s68, v4
	v_addc_co_u32_e32 v5, vcc, 0, v5, vcc
	v_cmp_le_u64_e32 vcc, s[36:37], v[4:5]
	v_add_u32_e32 v10, s38, v10
	s_mov_b64 s[42:43], 0
	s_orn2_b64 s[44:45], vcc, exec
.LBB133_159:                            ;   in Loop: Header=BB133_160 Depth=2
	s_and_b64 s[44:45], exec, s[44:45]
	s_or_b64 s[0:1], s[44:45], s[0:1]
	s_andn2_b64 s[40:41], s[40:41], exec
	s_and_b64 s[42:43], s[42:43], exec
	s_or_b64 s[40:41], s[40:41], s[42:43]
	s_andn2_b64 exec, exec, s[0:1]
	s_cbranch_execz .LBB133_164
.LBB133_160:                            ;   Parent Loop BB133_26 Depth=1
                                        ; =>  This Inner Loop Header: Depth=2
	v_cmp_gt_u64_e32 vcc, s[8:9], v[4:5]
	s_and_saveexec_b64 s[42:43], vcc
	s_cbranch_execz .LBB133_157
; %bb.161:                              ;   in Loop: Header=BB133_160 Depth=2
	ds_read_u16 v11, v10
	s_waitcnt lgkmcnt(0)
	v_cmp_lt_i16_e32 vcc, -1, v11
	v_cndmask_b32_e32 v19, v33, v34, vcc
	v_xor_b32_sdwa v19, v19, v11 dst_sel:DWORD dst_unused:UNUSED_PAD src0_sel:DWORD src1_sel:WORD_0
	v_cmp_o_f16_e32 vcc, v11, v11
	v_cndmask_b32_e32 v19, v33, v19, vcc
	v_and_b32_e32 v19, v19, v38
	v_cmp_eq_u32_e32 vcc, v19, v30
	s_and_b64 exec, exec, vcc
	s_cbranch_execz .LBB133_157
; %bb.162:                              ;   in Loop: Header=BB133_160 Depth=2
	v_perm_b32 v11, v11, s39, v37
	ds_write_b32 v3, v11 offset:3072
	s_branch .LBB133_157
.LBB133_163:                            ;   in Loop: Header=BB133_160 Depth=2
	s_mov_b64 s[44:45], -1
                                        ; implicit-def: $vgpr4_vgpr5
                                        ; implicit-def: $vgpr10
	s_mov_b64 s[42:43], -1
	s_branch .LBB133_159
.LBB133_164:                            ;   in Loop: Header=BB133_26 Depth=1
	s_or_b64 exec, exec, s[0:1]
	v_lshrrev_b32_e32 v39, 16, v11
	s_and_b64 s[0:1], s[40:41], exec
.LBB133_165:                            ;   in Loop: Header=BB133_26 Depth=1
	s_or_b64 exec, exec, s[34:35]
.LBB133_166:                            ;   in Loop: Header=BB133_26 Depth=1
	s_and_b64 vcc, exec, s[30:31]
	s_cbranch_vccz .LBB133_184
; %bb.167:                              ;   in Loop: Header=BB133_26 Depth=1
	s_mov_b32 s88, s83
	s_cmp_lg_u64 s[88:89], 0
	s_cbranch_scc0 .LBB133_170
; %bb.168:                              ;   in Loop: Header=BB133_26 Depth=1
	v_cvt_f32_u32_e32 v4, s68
	s_sub_u32 s8, 0, s68
	s_subb_u32 s9, 0, 0
	v_mac_f32_e32 v4, 0, v35
	v_rcp_f32_e32 v4, v4
	v_mul_f32_e32 v4, 0x5f7ffffc, v4
	v_mul_f32_e32 v5, 0x2f800000, v4
	v_trunc_f32_e32 v5, v5
	v_mac_f32_e32 v4, 0xcf800000, v5
	v_cvt_u32_f32_e32 v5, v5
	v_cvt_u32_f32_e32 v4, v4
	v_readfirstlane_b32 s24, v5
	v_readfirstlane_b32 s6, v4
	s_mul_i32 s7, s8, s24
	s_mul_hi_u32 s30, s8, s6
	s_mul_i32 s25, s9, s6
	s_add_i32 s7, s30, s7
	s_mul_i32 s31, s8, s6
	s_add_i32 s7, s7, s25
	s_mul_hi_u32 s30, s6, s31
	s_mul_i32 s34, s6, s7
	s_mul_hi_u32 s25, s6, s7
	s_add_u32 s30, s30, s34
	s_addc_u32 s25, 0, s25
	s_mul_hi_u32 s35, s24, s31
	s_mul_i32 s31, s24, s31
	s_add_u32 s30, s30, s31
	s_mul_hi_u32 s34, s24, s7
	s_addc_u32 s25, s25, s35
	s_addc_u32 s30, s34, 0
	s_mul_i32 s7, s24, s7
	s_add_u32 s7, s25, s7
	s_addc_u32 s25, 0, s30
	s_add_u32 s30, s6, s7
	s_cselect_b64 s[6:7], -1, 0
	s_cmp_lg_u64 s[6:7], 0
	s_addc_u32 s24, s24, s25
	s_mul_i32 s6, s8, s24
	s_mul_hi_u32 s7, s8, s30
	s_add_i32 s6, s7, s6
	s_mul_i32 s9, s9, s30
	s_add_i32 s6, s6, s9
	s_mul_i32 s8, s8, s30
	s_mul_hi_u32 s9, s24, s8
	s_mul_i32 s25, s24, s8
	s_mul_i32 s34, s30, s6
	s_mul_hi_u32 s8, s30, s8
	s_mul_hi_u32 s31, s30, s6
	s_add_u32 s8, s8, s34
	s_addc_u32 s31, 0, s31
	s_add_u32 s8, s8, s25
	s_mul_hi_u32 s7, s24, s6
	s_addc_u32 s8, s31, s9
	s_addc_u32 s7, s7, 0
	s_mul_i32 s6, s24, s6
	s_add_u32 s6, s8, s6
	s_addc_u32 s8, 0, s7
	s_add_u32 s9, s30, s6
	s_cselect_b64 s[6:7], -1, 0
	s_cmp_lg_u64 s[6:7], 0
	s_addc_u32 s6, s24, s8
	s_mul_i32 s8, s2, s6
	s_mul_hi_u32 s24, s2, s9
	s_mul_hi_u32 s7, s2, s6
	s_add_u32 s8, s24, s8
	s_addc_u32 s7, 0, s7
	s_mul_hi_u32 s25, s89, s9
	s_mul_i32 s9, s89, s9
	s_add_u32 s8, s8, s9
	s_mul_hi_u32 s24, s89, s6
	s_addc_u32 s7, s7, s25
	s_addc_u32 s8, s24, 0
	s_mul_i32 s6, s89, s6
	s_add_u32 s6, s7, s6
	s_addc_u32 s7, 0, s8
	s_mul_i32 s7, s68, s7
	s_mul_hi_u32 s8, s68, s6
	s_add_i32 s8, s8, s7
	s_mul_i32 s6, s68, s6
	s_sub_u32 s9, s2, s6
	s_cselect_b64 s[6:7], -1, 0
	s_cmp_lg_u64 s[6:7], 0
	s_subb_u32 s8, s89, s8
	s_sub_u32 s24, s9, s68
	s_cselect_b64 s[6:7], -1, 0
	s_cmp_lg_u64 s[6:7], 0
	s_subb_u32 s25, s8, 0
	;; [unrolled: 4-line block ×3, first 2 shown]
	s_cmp_ge_u32 s24, s68
	s_cselect_b32 s7, -1, 0
	s_cmp_eq_u32 s25, 0
	s_cselect_b32 s7, s7, -1
	s_cmp_lg_u32 s7, 0
	s_cselect_b32 s6, s6, s25
	s_cselect_b32 s24, s30, s24
	s_cmp_ge_u32 s9, s68
	s_cselect_b32 s7, -1, 0
	s_cmp_eq_u32 s8, 0
	s_cselect_b32 s7, s7, -1
	s_cmp_lg_u32 s7, 0
	s_cselect_b32 s7, s6, s8
	s_cselect_b32 s6, s24, s9
	s_mov_b64 s[8:9], 0
	s_branch .LBB133_171
.LBB133_169:                            ;   in Loop: Header=BB133_26 Depth=1
                                        ; implicit-def: $sgpr30_sgpr31
	s_branch .LBB133_154
.LBB133_170:                            ;   in Loop: Header=BB133_26 Depth=1
	s_mov_b64 s[8:9], -1
                                        ; implicit-def: $sgpr6_sgpr7
.LBB133_171:                            ;   in Loop: Header=BB133_26 Depth=1
	s_andn2_b64 vcc, exec, s[8:9]
	v_readlane_b32 s88, v52, 44
	s_cbranch_vccnz .LBB133_173
; %bb.172:                              ;   in Loop: Header=BB133_26 Depth=1
	v_cvt_f32_u32_e32 v4, s68
	s_sub_i32 s6, 0, s68
	v_rcp_iflag_f32_e32 v4, v4
	v_mul_f32_e32 v4, 0x4f7ffffe, v4
	v_cvt_u32_f32_e32 v4, v4
	v_readfirstlane_b32 s7, v4
	s_mul_i32 s6, s6, s7
	s_mul_hi_u32 s6, s7, s6
	s_add_i32 s7, s7, s6
	s_mul_hi_u32 s6, s2, s7
	s_mul_i32 s6, s6, s68
	s_sub_i32 s6, s2, s6
	s_sub_i32 s7, s6, s68
	s_cmp_ge_u32 s6, s68
	s_cselect_b32 s6, s7, s6
	s_sub_i32 s7, s6, s68
	s_cmp_ge_u32 s6, s68
	s_cselect_b32 s82, s7, s6
	s_mov_b64 s[6:7], s[82:83]
.LBB133_173:                            ;   in Loop: Header=BB133_26 Depth=1
	s_sub_u32 s8, s2, s6
	s_subb_u32 s9, s89, s7
	v_cmp_gt_u64_e32 vcc, s[8:9], v[0:1]
                                        ; implicit-def: $vgpr39
	s_and_saveexec_b64 s[6:7], vcc
	s_cbranch_execz .LBB133_183
; %bb.174:                              ;   in Loop: Header=BB133_26 Depth=1
	v_mov_b32_e32 v5, v1
	s_mov_b64 s[24:25], 0
	v_mov_b32_e32 v4, v0
                                        ; implicit-def: $sgpr30_sgpr31
	s_branch .LBB133_178
.LBB133_175:                            ;   in Loop: Header=BB133_178 Depth=2
	s_or_b64 exec, exec, s[34:35]
	s_waitcnt lgkmcnt(0)
	s_barrier
	ds_read_b32 v10, v3 offset:3072
	s_waitcnt lgkmcnt(0)
	s_barrier
	v_cmp_eq_f16_e32 vcc, 0, v10
	s_cbranch_vccz .LBB133_181
; %bb.176:                              ;   in Loop: Header=BB133_178 Depth=2
	v_add_co_u32_e32 v4, vcc, s68, v4
	v_addc_co_u32_e32 v5, vcc, 0, v5, vcc
	v_cmp_le_u64_e32 vcc, s[8:9], v[4:5]
	s_mov_b64 s[34:35], 0
	s_orn2_b64 s[36:37], vcc, exec
.LBB133_177:                            ;   in Loop: Header=BB133_178 Depth=2
	s_and_b64 s[36:37], exec, s[36:37]
	s_or_b64 s[24:25], s[36:37], s[24:25]
	s_andn2_b64 s[30:31], s[30:31], exec
	s_and_b64 s[34:35], s[34:35], exec
	s_or_b64 s[30:31], s[30:31], s[34:35]
	s_andn2_b64 exec, exec, s[24:25]
	s_cbranch_execz .LBB133_182
.LBB133_178:                            ;   Parent Loop BB133_26 Depth=1
                                        ; =>  This Inner Loop Header: Depth=2
	v_cmp_gt_u64_e32 vcc, s[56:57], v[4:5]
	s_and_saveexec_b64 s[34:35], vcc
	s_cbranch_execz .LBB133_175
; %bb.179:                              ;   in Loop: Header=BB133_178 Depth=2
	v_mul_lo_u32 v19, v5, s72
	v_mul_lo_u32 v20, v4, s73
	v_mad_u64_u32 v[10:11], s[36:37], v4, s72, 0
	v_add3_u32 v11, v11, v20, v19
	v_lshlrev_b64 v[10:11], 1, v[10:11]
	v_mov_b32_e32 v19, s69
	v_add_co_u32_e32 v10, vcc, s33, v10
	v_addc_co_u32_e32 v11, vcc, v19, v11, vcc
	global_load_ushort v10, v[10:11], off
	s_waitcnt vmcnt(0)
	v_cmp_lt_i16_e32 vcc, -1, v10
	v_cndmask_b32_e32 v11, v33, v34, vcc
	v_xor_b32_sdwa v11, v11, v10 dst_sel:DWORD dst_unused:UNUSED_PAD src0_sel:DWORD src1_sel:WORD_0
	v_cmp_o_f16_e32 vcc, v10, v10
	v_cndmask_b32_e32 v11, v33, v11, vcc
	v_and_b32_e32 v11, v11, v38
	v_cmp_eq_u32_e32 vcc, v11, v30
	s_and_b64 exec, exec, vcc
	s_cbranch_execz .LBB133_175
; %bb.180:                              ;   in Loop: Header=BB133_178 Depth=2
	v_perm_b32 v10, v10, s39, v37
	ds_write_b32 v3, v10 offset:3072
	s_branch .LBB133_175
.LBB133_181:                            ;   in Loop: Header=BB133_178 Depth=2
	s_mov_b64 s[36:37], -1
                                        ; implicit-def: $vgpr4_vgpr5
	s_mov_b64 s[34:35], -1
	s_branch .LBB133_177
.LBB133_182:                            ;   in Loop: Header=BB133_26 Depth=1
	s_or_b64 exec, exec, s[24:25]
	s_andn2_b64 s[0:1], s[0:1], exec
	s_and_b64 s[8:9], s[30:31], exec
	v_lshrrev_b32_e32 v39, 16, v10
	s_or_b64 s[0:1], s[0:1], s[8:9]
.LBB133_183:                            ;   in Loop: Header=BB133_26 Depth=1
	s_or_b64 exec, exec, s[6:7]
	s_mov_b64 s[6:7], 0
	s_mov_b64 s[24:25], -1
.LBB133_184:                            ;   in Loop: Header=BB133_26 Depth=1
	s_orn2_b64 s[0:1], s[0:1], exec
.LBB133_185:                            ;   in Loop: Header=BB133_26 Depth=1
	s_or_b64 exec, exec, s[26:27]
	s_mov_b64 s[8:9], 0
	s_and_saveexec_b64 s[26:27], s[0:1]
	s_cbranch_execz .LBB133_297
; %bb.186:                              ;   in Loop: Header=BB133_26 Depth=1
	v_mov_b32_e32 v4, 1
	s_xor_b64 s[28:29], s[28:29], -1
	v_mov_b32_e32 v2, 1
	v_mov_b32_e32 v5, 0
	s_and_saveexec_b64 s[0:1], s[28:29]
	s_cbranch_execz .LBB133_196
; %bb.187:                              ;   in Loop: Header=BB133_26 Depth=1
	v_cmp_le_u64_e32 vcc, v[8:9], v[6:7]
	s_and_saveexec_b64 s[8:9], vcc
	s_xor_b64 s[8:9], exec, s[8:9]
	s_cbranch_execz .LBB133_193
; %bb.188:                              ;   in Loop: Header=BB133_26 Depth=1
	ds_read_b64 v[4:5], v3 offset:5120
	v_and_b32_e32 v2, s54, v30
	v_lshl_or_b32 v30, 1, s86, v2
	v_or_b32_e32 v38, s66, v38
	s_waitcnt lgkmcnt(0)
	v_cmp_ne_u64_e32 vcc, 0, v[4:5]
	s_cbranch_vccnz .LBB133_192
; %bb.189:                              ;   in Loop: Header=BB133_26 Depth=1
	s_mov_b64 s[28:29], exec
	v_readlane_b32 s30, v52, 16
	v_readlane_b32 s31, v52, 17
	s_and_b64 s[30:31], s[28:29], s[30:31]
	s_mov_b64 exec, s[30:31]
; %bb.190:                              ;   in Loop: Header=BB133_26 Depth=1
	ds_write_b64 v3, v[6:7] offset:5128
; %bb.191:                              ;   in Loop: Header=BB133_26 Depth=1
	s_or_b64 exec, exec, s[28:29]
	s_waitcnt lgkmcnt(0)
	s_barrier
.LBB133_192:                            ;   in Loop: Header=BB133_26 Depth=1
                                        ; implicit-def: $vgpr4_vgpr5_vgpr6_vgpr7
.LBB133_193:                            ;   in Loop: Header=BB133_26 Depth=1
	s_or_saveexec_b64 s[8:9], s[8:9]
	s_mov_b64 s[28:29], 0
	v_mov_b32_e32 v2, 8
	s_xor_b64 exec, exec, s[8:9]
; %bb.194:                              ;   in Loop: Header=BB133_26 Depth=1
	v_sub_co_u32_e32 v8, vcc, v8, v6
	v_subb_co_u32_e32 v9, vcc, v9, v7, vcc
	v_mov_b32_e32 v2, 0
	s_mov_b64 s[28:29], exec
; %bb.195:                              ;   in Loop: Header=BB133_26 Depth=1
	s_or_b64 exec, exec, s[8:9]
	v_mov_b32_e32 v4, v8
	s_and_b64 s[8:9], s[28:29], exec
	v_mov_b32_e32 v5, v9
.LBB133_196:                            ;   in Loop: Header=BB133_26 Depth=1
	s_or_b64 exec, exec, s[0:1]
	s_mov_b64 s[0:1], -1
                                        ; implicit-def: $sgpr30_sgpr31
                                        ; implicit-def: $sgpr34_sgpr35
	s_and_saveexec_b64 s[28:29], s[8:9]
	s_cbranch_execz .LBB133_296
; %bb.197:                              ;   in Loop: Header=BB133_26 Depth=1
	s_cmp_eq_u64 s[22:23], 1
	v_cmp_eq_u64_e32 vcc, 1, v[4:5]
	s_cselect_b64 s[0:1], -1, 0
	s_and_b64 s[40:41], s[0:1], vcc
	s_mov_b64 s[0:1], -1
                                        ; implicit-def: $sgpr34_sgpr35
                                        ; implicit-def: $sgpr30_sgpr31
	s_and_saveexec_b64 s[36:37], s[40:41]
	s_cbranch_execz .LBB133_234
; %bb.198:                              ;   in Loop: Header=BB133_26 Depth=1
	ds_read_b64 v[6:7], v3 offset:5120
	s_waitcnt lgkmcnt(0)
	s_barrier
	v_readfirstlane_b32 s8, v6
	v_readfirstlane_b32 s9, v7
	s_mov_b64 s[0:1], exec
	v_readlane_b32 s30, v52, 26
	v_readlane_b32 s31, v52, 27
	s_and_b64 s[30:31], s[0:1], s[30:31]
	s_mov_b64 exec, s[30:31]
; %bb.199:                              ;   in Loop: Header=BB133_26 Depth=1
	ds_write_b16 v25, v3
; %bb.200:                              ;   in Loop: Header=BB133_26 Depth=1
	s_or_b64 exec, exec, s[0:1]
	v_and_b32_e32 v6, s54, v30
	v_lshl_or_b32 v30, 2, s86, v6
	v_or_b32_e32 v38, s66, v38
	s_mov_b64 s[30:31], -1
	s_mov_b64 s[34:35], 0
	s_cmp_eq_u64 s[8:9], 0
	s_mov_b64 s[0:1], 0
	s_mov_b64 s[42:43], -1
	s_waitcnt lgkmcnt(0)
	s_barrier
                                        ; implicit-def: $vgpr39
	s_cbranch_scc1 .LBB133_215
; %bb.201:                              ;   in Loop: Header=BB133_26 Depth=1
	s_add_u32 s46, s8, s85
	v_readlane_b32 s0, v52, 32
	s_addc_u32 s1, s9, s0
	s_mov_b32 s0, s83
	s_cmp_lg_u64 s[0:1], 0
	s_cbranch_scc0 .LBB133_218
; %bb.202:                              ;   in Loop: Header=BB133_26 Depth=1
	v_cvt_f32_u32_e32 v6, s68
	s_sub_u32 s0, 0, s68
	s_subb_u32 s44, 0, 0
	v_mac_f32_e32 v6, 0, v35
	v_rcp_f32_e32 v6, v6
	v_mul_f32_e32 v6, 0x5f7ffffc, v6
	v_mul_f32_e32 v7, 0x2f800000, v6
	v_trunc_f32_e32 v7, v7
	v_mac_f32_e32 v6, 0xcf800000, v7
	v_cvt_u32_f32_e32 v7, v7
	v_cvt_u32_f32_e32 v6, v6
	v_readfirstlane_b32 s45, v7
	v_readfirstlane_b32 s42, v6
	s_mul_i32 s43, s0, s45
	s_mul_hi_u32 s48, s0, s42
	s_mul_i32 s47, s44, s42
	s_add_i32 s43, s48, s43
	s_mul_i32 s49, s0, s42
	s_add_i32 s43, s43, s47
	s_mul_hi_u32 s48, s42, s49
	s_mul_i32 s50, s42, s43
	s_mul_hi_u32 s47, s42, s43
	s_add_u32 s48, s48, s50
	s_addc_u32 s47, 0, s47
	s_mul_hi_u32 s51, s45, s49
	s_mul_i32 s49, s45, s49
	s_add_u32 s48, s48, s49
	s_mul_hi_u32 s50, s45, s43
	s_addc_u32 s47, s47, s51
	s_addc_u32 s48, s50, 0
	s_mul_i32 s43, s45, s43
	s_add_u32 s43, s47, s43
	s_addc_u32 s47, 0, s48
	s_add_u32 s48, s42, s43
	s_cselect_b64 s[42:43], -1, 0
	s_cmp_lg_u64 s[42:43], 0
	s_addc_u32 s45, s45, s47
	s_mul_i32 s42, s0, s45
	s_mul_hi_u32 s43, s0, s48
	s_add_i32 s42, s43, s42
	s_mul_i32 s44, s44, s48
	s_add_i32 s42, s42, s44
	s_mul_i32 s0, s0, s48
	s_mul_hi_u32 s44, s45, s0
	s_mul_i32 s47, s45, s0
	s_mul_i32 s50, s48, s42
	s_mul_hi_u32 s0, s48, s0
	s_mul_hi_u32 s49, s48, s42
	s_add_u32 s0, s0, s50
	s_addc_u32 s49, 0, s49
	s_add_u32 s0, s0, s47
	s_mul_hi_u32 s43, s45, s42
	s_addc_u32 s0, s49, s44
	s_addc_u32 s43, s43, 0
	s_mul_i32 s42, s45, s42
	s_add_u32 s0, s0, s42
	s_addc_u32 s44, 0, s43
	s_add_u32 s0, s48, s0
	s_cselect_b64 s[42:43], -1, 0
	s_cmp_lg_u64 s[42:43], 0
	s_addc_u32 s42, s45, s44
	s_mul_i32 s44, s46, s42
	s_mul_hi_u32 s45, s46, s0
	s_mul_hi_u32 s43, s46, s42
	s_add_u32 s44, s45, s44
	s_addc_u32 s43, 0, s43
	s_mul_hi_u32 s47, s1, s0
	s_mul_i32 s0, s1, s0
	s_add_u32 s0, s44, s0
	s_mul_hi_u32 s45, s1, s42
	s_addc_u32 s0, s43, s47
	s_addc_u32 s43, s45, 0
	s_mul_i32 s42, s1, s42
	s_add_u32 s0, s0, s42
	s_addc_u32 s42, 0, s43
	s_mul_i32 s42, s68, s42
	s_mul_hi_u32 s43, s68, s0
	s_add_i32 s44, s43, s42
	s_mul_i32 s0, s68, s0
	s_sub_u32 s0, s46, s0
	s_cselect_b64 s[42:43], -1, 0
	s_cmp_lg_u64 s[42:43], 0
	s_subb_u32 s44, s1, s44
	s_sub_u32 s45, s0, s68
	s_cselect_b64 s[42:43], -1, 0
	s_cmp_lg_u64 s[42:43], 0
	s_subb_u32 s47, s44, 0
	;; [unrolled: 4-line block ×3, first 2 shown]
	s_cmp_ge_u32 s45, s68
	s_cselect_b32 s43, -1, 0
	s_cmp_eq_u32 s47, 0
	s_cselect_b32 s43, s43, -1
	s_cmp_lg_u32 s43, 0
	s_cselect_b32 s42, s42, s47
	s_cselect_b32 s45, s48, s45
	s_cmp_ge_u32 s0, s68
	s_cselect_b32 s43, -1, 0
	s_cmp_eq_u32 s44, 0
	s_cselect_b32 s43, s43, -1
	s_cmp_lg_u32 s43, 0
	s_cselect_b32 s43, s42, s44
	s_cselect_b32 s42, s45, s0
	s_cbranch_execnz .LBB133_204
.LBB133_203:                            ;   in Loop: Header=BB133_26 Depth=1
	v_cvt_f32_u32_e32 v6, s68
	s_sub_i32 s0, 0, s68
	v_rcp_iflag_f32_e32 v6, v6
	v_mul_f32_e32 v6, 0x4f7ffffe, v6
	v_cvt_u32_f32_e32 v6, v6
	v_readfirstlane_b32 s42, v6
	s_mul_i32 s0, s0, s42
	s_mul_hi_u32 s0, s42, s0
	s_add_i32 s42, s42, s0
	s_mul_hi_u32 s0, s46, s42
	s_mul_i32 s0, s0, s68
	s_sub_i32 s0, s46, s0
	s_sub_i32 s42, s0, s68
	s_cmp_ge_u32 s0, s68
	s_cselect_b32 s0, s42, s0
	s_sub_i32 s42, s0, s68
	s_cmp_ge_u32 s0, s68
	s_cselect_b32 s82, s42, s0
	s_mov_b64 s[42:43], s[82:83]
.LBB133_204:                            ;   in Loop: Header=BB133_26 Depth=1
	s_sub_u32 s46, s46, s42
	s_subb_u32 s47, s1, s43
	v_cmp_gt_u64_e32 vcc, s[46:47], v[0:1]
	s_mov_b64 s[42:43], 0
	s_mov_b64 s[0:1], 0
                                        ; implicit-def: $vgpr39
	s_and_saveexec_b64 s[44:45], vcc
	s_cbranch_execz .LBB133_214
; %bb.205:                              ;   in Loop: Header=BB133_26 Depth=1
	v_mov_b32_e32 v7, v1
	v_mov_b32_e32 v8, v24
	;; [unrolled: 1-line block ×3, first 2 shown]
                                        ; implicit-def: $sgpr48_sgpr49
	s_branch .LBB133_209
.LBB133_206:                            ;   in Loop: Header=BB133_209 Depth=2
	s_or_b64 exec, exec, s[50:51]
	s_waitcnt lgkmcnt(0)
	s_barrier
	ds_read_b32 v9, v3 offset:3072
	s_waitcnt lgkmcnt(0)
	s_barrier
	v_cmp_neq_f16_e32 vcc, 0, v9
	s_cbranch_vccnz .LBB133_212
; %bb.207:                              ;   in Loop: Header=BB133_209 Depth=2
	v_add_co_u32_e32 v6, vcc, s68, v6
	v_addc_co_u32_e32 v7, vcc, 0, v7, vcc
	v_cmp_le_u64_e32 vcc, s[46:47], v[6:7]
	v_add_u32_e32 v8, s38, v8
	s_mov_b64 s[50:51], 0
	s_orn2_b64 s[52:53], vcc, exec
.LBB133_208:                            ;   in Loop: Header=BB133_209 Depth=2
	s_and_b64 s[52:53], exec, s[52:53]
	s_or_b64 s[0:1], s[52:53], s[0:1]
	s_andn2_b64 s[48:49], s[48:49], exec
	s_and_b64 s[50:51], s[50:51], exec
	s_or_b64 s[48:49], s[48:49], s[50:51]
	s_andn2_b64 exec, exec, s[0:1]
	s_cbranch_execz .LBB133_213
.LBB133_209:                            ;   Parent Loop BB133_26 Depth=1
                                        ; =>  This Inner Loop Header: Depth=2
	v_cmp_gt_u64_e32 vcc, s[8:9], v[6:7]
	s_and_saveexec_b64 s[50:51], vcc
	s_cbranch_execz .LBB133_206
; %bb.210:                              ;   in Loop: Header=BB133_209 Depth=2
	ds_read_u16 v9, v8
	s_waitcnt lgkmcnt(0)
	v_cmp_lt_i16_e32 vcc, -1, v9
	v_cndmask_b32_e32 v10, v33, v34, vcc
	v_xor_b32_sdwa v10, v10, v9 dst_sel:DWORD dst_unused:UNUSED_PAD src0_sel:DWORD src1_sel:WORD_0
	v_cmp_o_f16_e32 vcc, v9, v9
	v_cndmask_b32_e32 v10, v33, v10, vcc
	v_and_b32_e32 v10, v10, v38
	v_cmp_eq_u32_e32 vcc, v10, v30
	s_and_b64 exec, exec, vcc
	s_cbranch_execz .LBB133_206
; %bb.211:                              ;   in Loop: Header=BB133_209 Depth=2
	v_perm_b32 v9, v9, s39, v37
	ds_write_b32 v3, v9 offset:3072
	s_branch .LBB133_206
.LBB133_212:                            ;   in Loop: Header=BB133_209 Depth=2
	s_mov_b64 s[52:53], -1
                                        ; implicit-def: $vgpr6_vgpr7
                                        ; implicit-def: $vgpr8
	s_mov_b64 s[50:51], -1
	s_branch .LBB133_208
.LBB133_213:                            ;   in Loop: Header=BB133_26 Depth=1
	s_or_b64 exec, exec, s[0:1]
	v_lshrrev_b32_e32 v39, 16, v9
	s_and_b64 s[0:1], s[48:49], exec
.LBB133_214:                            ;   in Loop: Header=BB133_26 Depth=1
	s_or_b64 exec, exec, s[44:45]
.LBB133_215:                            ;   in Loop: Header=BB133_26 Depth=1
	s_and_b64 vcc, exec, s[42:43]
	s_cbranch_vccz .LBB133_233
; %bb.216:                              ;   in Loop: Header=BB133_26 Depth=1
	s_mov_b32 s88, s83
	s_cmp_lg_u64 s[88:89], 0
	s_cbranch_scc0 .LBB133_219
; %bb.217:                              ;   in Loop: Header=BB133_26 Depth=1
	v_cvt_f32_u32_e32 v6, s68
	s_sub_u32 s30, 0, s68
	s_subb_u32 s31, 0, 0
	v_mac_f32_e32 v6, 0, v35
	v_rcp_f32_e32 v6, v6
	v_mul_f32_e32 v6, 0x5f7ffffc, v6
	v_mul_f32_e32 v7, 0x2f800000, v6
	v_trunc_f32_e32 v7, v7
	v_mac_f32_e32 v6, 0xcf800000, v7
	v_cvt_u32_f32_e32 v7, v7
	v_cvt_u32_f32_e32 v6, v6
	v_readfirstlane_b32 s34, v7
	v_readfirstlane_b32 s8, v6
	s_mul_i32 s9, s30, s34
	s_mul_hi_u32 s42, s30, s8
	s_mul_i32 s35, s31, s8
	s_add_i32 s9, s42, s9
	s_mul_i32 s43, s30, s8
	s_add_i32 s9, s9, s35
	s_mul_hi_u32 s42, s8, s43
	s_mul_i32 s44, s8, s9
	s_mul_hi_u32 s35, s8, s9
	s_add_u32 s42, s42, s44
	s_addc_u32 s35, 0, s35
	s_mul_hi_u32 s45, s34, s43
	s_mul_i32 s43, s34, s43
	s_add_u32 s42, s42, s43
	s_mul_hi_u32 s44, s34, s9
	s_addc_u32 s35, s35, s45
	s_addc_u32 s42, s44, 0
	s_mul_i32 s9, s34, s9
	s_add_u32 s9, s35, s9
	s_addc_u32 s35, 0, s42
	s_add_u32 s42, s8, s9
	s_cselect_b64 s[8:9], -1, 0
	s_cmp_lg_u64 s[8:9], 0
	s_addc_u32 s34, s34, s35
	s_mul_i32 s8, s30, s34
	s_mul_hi_u32 s9, s30, s42
	s_add_i32 s8, s9, s8
	s_mul_i32 s31, s31, s42
	s_add_i32 s8, s8, s31
	s_mul_i32 s30, s30, s42
	s_mul_hi_u32 s31, s34, s30
	s_mul_i32 s35, s34, s30
	s_mul_i32 s44, s42, s8
	s_mul_hi_u32 s30, s42, s30
	s_mul_hi_u32 s43, s42, s8
	s_add_u32 s30, s30, s44
	s_addc_u32 s43, 0, s43
	s_add_u32 s30, s30, s35
	s_mul_hi_u32 s9, s34, s8
	s_addc_u32 s30, s43, s31
	s_addc_u32 s9, s9, 0
	s_mul_i32 s8, s34, s8
	s_add_u32 s8, s30, s8
	s_addc_u32 s30, 0, s9
	s_add_u32 s31, s42, s8
	s_cselect_b64 s[8:9], -1, 0
	s_cmp_lg_u64 s[8:9], 0
	s_addc_u32 s8, s34, s30
	s_mul_i32 s30, s2, s8
	s_mul_hi_u32 s34, s2, s31
	s_mul_hi_u32 s9, s2, s8
	s_add_u32 s30, s34, s30
	s_addc_u32 s9, 0, s9
	s_mul_hi_u32 s35, s89, s31
	s_mul_i32 s31, s89, s31
	s_add_u32 s30, s30, s31
	s_mul_hi_u32 s34, s89, s8
	s_addc_u32 s9, s9, s35
	s_addc_u32 s30, s34, 0
	s_mul_i32 s8, s89, s8
	s_add_u32 s8, s9, s8
	s_addc_u32 s9, 0, s30
	s_mul_i32 s9, s68, s9
	s_mul_hi_u32 s30, s68, s8
	s_add_i32 s30, s30, s9
	s_mul_i32 s8, s68, s8
	s_sub_u32 s31, s2, s8
	s_cselect_b64 s[8:9], -1, 0
	s_cmp_lg_u64 s[8:9], 0
	s_subb_u32 s30, s89, s30
	s_sub_u32 s34, s31, s68
	s_cselect_b64 s[8:9], -1, 0
	s_cmp_lg_u64 s[8:9], 0
	s_subb_u32 s35, s30, 0
	;; [unrolled: 4-line block ×3, first 2 shown]
	s_cmp_ge_u32 s34, s68
	s_cselect_b32 s9, -1, 0
	s_cmp_eq_u32 s35, 0
	s_cselect_b32 s9, s9, -1
	s_cmp_lg_u32 s9, 0
	s_cselect_b32 s8, s8, s35
	s_cselect_b32 s34, s42, s34
	s_cmp_ge_u32 s31, s68
	s_cselect_b32 s9, -1, 0
	s_cmp_eq_u32 s30, 0
	s_cselect_b32 s9, s9, -1
	s_cmp_lg_u32 s9, 0
	s_cselect_b32 s9, s8, s30
	s_cselect_b32 s8, s34, s31
	s_mov_b64 s[30:31], 0
	s_branch .LBB133_220
.LBB133_218:                            ;   in Loop: Header=BB133_26 Depth=1
                                        ; implicit-def: $sgpr42_sgpr43
	s_branch .LBB133_203
.LBB133_219:                            ;   in Loop: Header=BB133_26 Depth=1
	s_mov_b64 s[30:31], -1
                                        ; implicit-def: $sgpr8_sgpr9
.LBB133_220:                            ;   in Loop: Header=BB133_26 Depth=1
	s_andn2_b64 vcc, exec, s[30:31]
	v_readlane_b32 s88, v52, 44
	s_cbranch_vccnz .LBB133_222
; %bb.221:                              ;   in Loop: Header=BB133_26 Depth=1
	v_cvt_f32_u32_e32 v6, s68
	s_sub_i32 s8, 0, s68
	v_rcp_iflag_f32_e32 v6, v6
	v_mul_f32_e32 v6, 0x4f7ffffe, v6
	v_cvt_u32_f32_e32 v6, v6
	v_readfirstlane_b32 s9, v6
	s_mul_i32 s8, s8, s9
	s_mul_hi_u32 s8, s9, s8
	s_add_i32 s9, s9, s8
	s_mul_hi_u32 s8, s2, s9
	s_mul_i32 s8, s8, s68
	s_sub_i32 s8, s2, s8
	s_sub_i32 s9, s8, s68
	s_cmp_ge_u32 s8, s68
	s_cselect_b32 s8, s9, s8
	s_sub_i32 s9, s8, s68
	s_cmp_ge_u32 s8, s68
	s_cselect_b32 s82, s9, s8
	s_mov_b64 s[8:9], s[82:83]
.LBB133_222:                            ;   in Loop: Header=BB133_26 Depth=1
	s_sub_u32 s30, s2, s8
	s_subb_u32 s31, s89, s9
	v_cmp_gt_u64_e32 vcc, s[30:31], v[0:1]
                                        ; implicit-def: $vgpr39
	s_and_saveexec_b64 s[8:9], vcc
	s_cbranch_execz .LBB133_232
; %bb.223:                              ;   in Loop: Header=BB133_26 Depth=1
	v_mov_b32_e32 v7, v1
	s_mov_b64 s[34:35], 0
	v_mov_b32_e32 v6, v0
                                        ; implicit-def: $sgpr42_sgpr43
	s_branch .LBB133_227
.LBB133_224:                            ;   in Loop: Header=BB133_227 Depth=2
	s_or_b64 exec, exec, s[44:45]
	s_waitcnt lgkmcnt(0)
	s_barrier
	ds_read_b32 v8, v3 offset:3072
	s_waitcnt lgkmcnt(0)
	s_barrier
	v_cmp_eq_f16_e32 vcc, 0, v8
	s_cbranch_vccz .LBB133_230
; %bb.225:                              ;   in Loop: Header=BB133_227 Depth=2
	v_add_co_u32_e32 v6, vcc, s68, v6
	v_addc_co_u32_e32 v7, vcc, 0, v7, vcc
	v_cmp_le_u64_e32 vcc, s[30:31], v[6:7]
	s_mov_b64 s[44:45], 0
	s_orn2_b64 s[46:47], vcc, exec
.LBB133_226:                            ;   in Loop: Header=BB133_227 Depth=2
	s_and_b64 s[46:47], exec, s[46:47]
	s_or_b64 s[34:35], s[46:47], s[34:35]
	s_andn2_b64 s[42:43], s[42:43], exec
	s_and_b64 s[44:45], s[44:45], exec
	s_or_b64 s[42:43], s[42:43], s[44:45]
	s_andn2_b64 exec, exec, s[34:35]
	s_cbranch_execz .LBB133_231
.LBB133_227:                            ;   Parent Loop BB133_26 Depth=1
                                        ; =>  This Inner Loop Header: Depth=2
	v_cmp_gt_u64_e32 vcc, s[56:57], v[6:7]
	s_and_saveexec_b64 s[44:45], vcc
	s_cbranch_execz .LBB133_224
; %bb.228:                              ;   in Loop: Header=BB133_227 Depth=2
	v_mul_lo_u32 v10, v7, s72
	v_mul_lo_u32 v11, v6, s73
	v_mad_u64_u32 v[8:9], s[46:47], v6, s72, 0
	v_add3_u32 v9, v9, v11, v10
	v_lshlrev_b64 v[8:9], 1, v[8:9]
	v_mov_b32_e32 v10, s69
	v_add_co_u32_e32 v8, vcc, s33, v8
	v_addc_co_u32_e32 v9, vcc, v10, v9, vcc
	global_load_ushort v8, v[8:9], off
	s_waitcnt vmcnt(0)
	v_cmp_lt_i16_e32 vcc, -1, v8
	v_cndmask_b32_e32 v9, v33, v34, vcc
	v_xor_b32_sdwa v9, v9, v8 dst_sel:DWORD dst_unused:UNUSED_PAD src0_sel:DWORD src1_sel:WORD_0
	v_cmp_o_f16_e32 vcc, v8, v8
	v_cndmask_b32_e32 v9, v33, v9, vcc
	v_and_b32_e32 v9, v9, v38
	v_cmp_eq_u32_e32 vcc, v9, v30
	s_and_b64 exec, exec, vcc
	s_cbranch_execz .LBB133_224
; %bb.229:                              ;   in Loop: Header=BB133_227 Depth=2
	v_perm_b32 v8, v8, s39, v37
	ds_write_b32 v3, v8 offset:3072
	s_branch .LBB133_224
.LBB133_230:                            ;   in Loop: Header=BB133_227 Depth=2
	s_mov_b64 s[46:47], -1
                                        ; implicit-def: $vgpr6_vgpr7
	s_mov_b64 s[44:45], -1
	s_branch .LBB133_226
.LBB133_231:                            ;   in Loop: Header=BB133_26 Depth=1
	s_or_b64 exec, exec, s[34:35]
	s_andn2_b64 s[0:1], s[0:1], exec
	s_and_b64 s[30:31], s[42:43], exec
	v_lshrrev_b32_e32 v39, 16, v8
	s_or_b64 s[0:1], s[0:1], s[30:31]
.LBB133_232:                            ;   in Loop: Header=BB133_26 Depth=1
	s_or_b64 exec, exec, s[8:9]
	s_mov_b64 s[30:31], 0
	s_mov_b64 s[34:35], -1
.LBB133_233:                            ;   in Loop: Header=BB133_26 Depth=1
	s_orn2_b64 s[0:1], s[0:1], exec
.LBB133_234:                            ;   in Loop: Header=BB133_26 Depth=1
	s_or_b64 exec, exec, s[36:37]
	s_mov_b64 s[8:9], 0
	s_and_saveexec_b64 s[36:37], s[0:1]
	s_cbranch_execz .LBB133_295
; %bb.235:                              ;   in Loop: Header=BB133_26 Depth=1
	v_mov_b32_e32 v6, 1
	s_xor_b64 s[40:41], s[40:41], -1
	v_mov_b32_e32 v2, 1
	v_mov_b32_e32 v7, 0
	s_and_saveexec_b64 s[0:1], s[40:41]
	s_cbranch_execz .LBB133_244
; %bb.236:                              ;   in Loop: Header=BB133_26 Depth=1
	v_cmp_ge_u64_e32 vcc, s[22:23], v[4:5]
	s_and_saveexec_b64 s[8:9], vcc
	s_xor_b64 s[8:9], exec, s[8:9]
	s_cbranch_execz .LBB133_241
; %bb.237:                              ;   in Loop: Header=BB133_26 Depth=1
	ds_read_b64 v[6:7], v3 offset:5120
	v_and_b32_e32 v2, s54, v30
	v_lshl_or_b32 v30, 2, s86, v2
	v_or_b32_e32 v38, s66, v38
	s_waitcnt lgkmcnt(0)
	v_cmp_ne_u64_e32 vcc, 0, v[6:7]
	s_cbranch_vccnz .LBB133_241
; %bb.238:                              ;   in Loop: Header=BB133_26 Depth=1
	s_mov_b64 s[40:41], exec
	v_readlane_b32 s42, v52, 16
	v_readlane_b32 s43, v52, 17
	s_and_b64 s[42:43], s[40:41], s[42:43]
	s_mov_b64 exec, s[42:43]
; %bb.239:                              ;   in Loop: Header=BB133_26 Depth=1
	v_mov_b32_e32 v6, s22
	v_mov_b32_e32 v7, s23
	ds_write_b64 v3, v[6:7] offset:5128
; %bb.240:                              ;   in Loop: Header=BB133_26 Depth=1
	s_or_b64 exec, exec, s[40:41]
	s_waitcnt lgkmcnt(0)
	s_barrier
.LBB133_241:                            ;   in Loop: Header=BB133_26 Depth=1
	s_or_saveexec_b64 s[8:9], s[8:9]
	s_mov_b64 s[40:41], 0
	v_mov_b32_e32 v2, 8
	s_xor_b64 exec, exec, s[8:9]
; %bb.242:                              ;   in Loop: Header=BB133_26 Depth=1
	v_subrev_co_u32_e32 v4, vcc, s22, v4
	v_mov_b32_e32 v2, s23
	v_subb_co_u32_e32 v5, vcc, v5, v2, vcc
	v_mov_b32_e32 v2, 0
	s_mov_b64 s[40:41], exec
; %bb.243:                              ;   in Loop: Header=BB133_26 Depth=1
	s_or_b64 exec, exec, s[8:9]
	v_mov_b32_e32 v7, v5
	s_and_b64 s[8:9], s[40:41], exec
	v_mov_b32_e32 v6, v4
.LBB133_244:                            ;   in Loop: Header=BB133_26 Depth=1
	s_or_b64 exec, exec, s[0:1]
	s_mov_b64 s[0:1], -1
                                        ; implicit-def: $sgpr46_sgpr47
                                        ; implicit-def: $sgpr44_sgpr45
	s_and_saveexec_b64 s[22:23], s[8:9]
	s_cbranch_execz .LBB133_294
; %bb.245:                              ;   in Loop: Header=BB133_26 Depth=1
	s_cmp_eq_u64 s[14:15], 1
	v_cmp_eq_u64_e32 vcc, 1, v[6:7]
	s_cselect_b64 s[0:1], -1, 0
	s_and_b64 s[40:41], s[0:1], vcc
	s_mov_b64 s[8:9], -1
                                        ; implicit-def: $sgpr46_sgpr47
                                        ; implicit-def: $sgpr44_sgpr45
	s_and_saveexec_b64 s[42:43], s[40:41]
	s_cbranch_execz .LBB133_282
; %bb.246:                              ;   in Loop: Header=BB133_26 Depth=1
	ds_read_b64 v[4:5], v3 offset:5120
	s_waitcnt lgkmcnt(0)
	s_barrier
	v_readfirstlane_b32 s8, v4
	v_readfirstlane_b32 s9, v5
	s_mov_b64 s[0:1], exec
	v_readlane_b32 s44, v52, 26
	v_readlane_b32 s45, v52, 27
	s_and_b64 s[44:45], s[0:1], s[44:45]
	s_mov_b64 exec, s[44:45]
; %bb.247:                              ;   in Loop: Header=BB133_26 Depth=1
	ds_write_b16 v25, v3
; %bb.248:                              ;   in Loop: Header=BB133_26 Depth=1
	s_or_b64 exec, exec, s[0:1]
	v_or_b32_e32 v30, s66, v30
	v_or_b32_e32 v38, s66, v38
	s_mov_b64 s[44:45], -1
	s_mov_b64 s[46:47], 0
	s_cmp_eq_u64 s[8:9], 0
	s_mov_b64 s[0:1], 0
	s_mov_b64 s[48:49], -1
	s_waitcnt lgkmcnt(0)
	s_barrier
                                        ; implicit-def: $vgpr39
	s_cbranch_scc1 .LBB133_263
; %bb.249:                              ;   in Loop: Header=BB133_26 Depth=1
	s_add_u32 s52, s8, s85
	v_readlane_b32 s0, v52, 32
	s_addc_u32 s1, s9, s0
	s_mov_b32 s0, s83
	s_cmp_lg_u64 s[0:1], 0
	s_cbranch_scc0 .LBB133_266
; %bb.250:                              ;   in Loop: Header=BB133_26 Depth=1
	v_cvt_f32_u32_e32 v4, s68
	s_sub_u32 s0, 0, s68
	s_subb_u32 s50, 0, 0
	v_mac_f32_e32 v4, 0, v35
	v_rcp_f32_e32 v4, v4
	v_mul_f32_e32 v4, 0x5f7ffffc, v4
	v_mul_f32_e32 v5, 0x2f800000, v4
	v_trunc_f32_e32 v5, v5
	v_mac_f32_e32 v4, 0xcf800000, v5
	v_cvt_u32_f32_e32 v5, v5
	v_cvt_u32_f32_e32 v4, v4
	v_readfirstlane_b32 s51, v5
	v_readfirstlane_b32 s48, v4
	s_mul_i32 s49, s0, s51
	s_mul_hi_u32 s54, s0, s48
	s_mul_i32 s53, s50, s48
	s_add_i32 s49, s54, s49
	s_mul_i32 s55, s0, s48
	s_add_i32 s49, s49, s53
	s_mul_hi_u32 s54, s48, s55
	s_mul_i32 s58, s48, s49
	s_mul_hi_u32 s53, s48, s49
	s_add_u32 s54, s54, s58
	s_addc_u32 s53, 0, s53
	s_mul_hi_u32 s59, s51, s55
	s_mul_i32 s55, s51, s55
	s_add_u32 s54, s54, s55
	s_mul_hi_u32 s58, s51, s49
	s_addc_u32 s53, s53, s59
	s_addc_u32 s54, s58, 0
	s_mul_i32 s49, s51, s49
	s_add_u32 s49, s53, s49
	s_addc_u32 s53, 0, s54
	s_add_u32 s54, s48, s49
	s_cselect_b64 s[48:49], -1, 0
	s_cmp_lg_u64 s[48:49], 0
	s_addc_u32 s51, s51, s53
	s_mul_i32 s48, s0, s51
	s_mul_hi_u32 s49, s0, s54
	s_add_i32 s48, s49, s48
	s_mul_i32 s50, s50, s54
	s_add_i32 s48, s48, s50
	s_mul_i32 s0, s0, s54
	s_mul_hi_u32 s50, s51, s0
	s_mul_i32 s53, s51, s0
	s_mul_i32 s58, s54, s48
	s_mul_hi_u32 s0, s54, s0
	s_mul_hi_u32 s55, s54, s48
	s_add_u32 s0, s0, s58
	s_addc_u32 s55, 0, s55
	s_add_u32 s0, s0, s53
	s_mul_hi_u32 s49, s51, s48
	s_addc_u32 s0, s55, s50
	s_addc_u32 s49, s49, 0
	s_mul_i32 s48, s51, s48
	s_add_u32 s0, s0, s48
	s_addc_u32 s50, 0, s49
	s_add_u32 s0, s54, s0
	s_cselect_b64 s[48:49], -1, 0
	s_cmp_lg_u64 s[48:49], 0
	s_addc_u32 s48, s51, s50
	s_mul_i32 s50, s52, s48
	s_mul_hi_u32 s51, s52, s0
	s_mul_hi_u32 s49, s52, s48
	s_add_u32 s50, s51, s50
	s_addc_u32 s49, 0, s49
	s_mul_hi_u32 s53, s1, s0
	s_mul_i32 s0, s1, s0
	s_add_u32 s0, s50, s0
	s_mul_hi_u32 s51, s1, s48
	s_addc_u32 s0, s49, s53
	s_addc_u32 s49, s51, 0
	s_mul_i32 s48, s1, s48
	s_add_u32 s0, s0, s48
	s_addc_u32 s48, 0, s49
	s_mul_i32 s48, s68, s48
	s_mul_hi_u32 s49, s68, s0
	s_add_i32 s50, s49, s48
	s_mul_i32 s0, s68, s0
	s_sub_u32 s0, s52, s0
	s_cselect_b64 s[48:49], -1, 0
	s_cmp_lg_u64 s[48:49], 0
	s_subb_u32 s50, s1, s50
	s_sub_u32 s51, s0, s68
	s_cselect_b64 s[48:49], -1, 0
	s_cmp_lg_u64 s[48:49], 0
	s_subb_u32 s53, s50, 0
	;; [unrolled: 4-line block ×3, first 2 shown]
	s_cmp_ge_u32 s51, s68
	s_cselect_b32 s49, -1, 0
	s_cmp_eq_u32 s53, 0
	s_cselect_b32 s49, s49, -1
	s_cmp_lg_u32 s49, 0
	s_cselect_b32 s48, s48, s53
	s_cselect_b32 s51, s54, s51
	s_cmp_ge_u32 s0, s68
	s_cselect_b32 s49, -1, 0
	s_cmp_eq_u32 s50, 0
	s_cselect_b32 s49, s49, -1
	s_cmp_lg_u32 s49, 0
	s_cselect_b32 s49, s48, s50
	s_cselect_b32 s48, s51, s0
	s_cbranch_execnz .LBB133_252
.LBB133_251:                            ;   in Loop: Header=BB133_26 Depth=1
	v_cvt_f32_u32_e32 v4, s68
	s_sub_i32 s0, 0, s68
	v_rcp_iflag_f32_e32 v4, v4
	v_mul_f32_e32 v4, 0x4f7ffffe, v4
	v_cvt_u32_f32_e32 v4, v4
	v_readfirstlane_b32 s48, v4
	s_mul_i32 s0, s0, s48
	s_mul_hi_u32 s0, s48, s0
	s_add_i32 s48, s48, s0
	s_mul_hi_u32 s0, s52, s48
	s_mul_i32 s0, s0, s68
	s_sub_i32 s0, s52, s0
	s_sub_i32 s48, s0, s68
	s_cmp_ge_u32 s0, s68
	s_cselect_b32 s0, s48, s0
	s_sub_i32 s48, s0, s68
	s_cmp_ge_u32 s0, s68
	s_cselect_b32 s82, s48, s0
	s_mov_b64 s[48:49], s[82:83]
.LBB133_252:                            ;   in Loop: Header=BB133_26 Depth=1
	s_sub_u32 s52, s52, s48
	s_subb_u32 s53, s1, s49
	v_cmp_gt_u64_e32 vcc, s[52:53], v[0:1]
	s_mov_b64 s[48:49], 0
	s_mov_b64 s[0:1], 0
                                        ; implicit-def: $vgpr39
	s_and_saveexec_b64 s[50:51], vcc
	s_cbranch_execz .LBB133_262
; %bb.253:                              ;   in Loop: Header=BB133_26 Depth=1
	v_mov_b32_e32 v5, v1
	v_mov_b32_e32 v8, v24
	;; [unrolled: 1-line block ×3, first 2 shown]
                                        ; implicit-def: $sgpr54_sgpr55
	s_branch .LBB133_257
.LBB133_254:                            ;   in Loop: Header=BB133_257 Depth=2
	s_or_b64 exec, exec, s[58:59]
	s_waitcnt lgkmcnt(0)
	s_barrier
	ds_read_b32 v9, v3 offset:3072
	s_waitcnt lgkmcnt(0)
	s_barrier
	v_cmp_neq_f16_e32 vcc, 0, v9
	s_cbranch_vccnz .LBB133_260
; %bb.255:                              ;   in Loop: Header=BB133_257 Depth=2
	v_add_co_u32_e32 v4, vcc, s68, v4
	v_addc_co_u32_e32 v5, vcc, 0, v5, vcc
	v_cmp_le_u64_e32 vcc, s[52:53], v[4:5]
	v_add_u32_e32 v8, s38, v8
	s_mov_b64 s[58:59], 0
	s_orn2_b64 s[64:65], vcc, exec
.LBB133_256:                            ;   in Loop: Header=BB133_257 Depth=2
	s_and_b64 s[64:65], exec, s[64:65]
	s_or_b64 s[0:1], s[64:65], s[0:1]
	s_andn2_b64 s[54:55], s[54:55], exec
	s_and_b64 s[58:59], s[58:59], exec
	s_or_b64 s[54:55], s[54:55], s[58:59]
	s_andn2_b64 exec, exec, s[0:1]
	s_cbranch_execz .LBB133_261
.LBB133_257:                            ;   Parent Loop BB133_26 Depth=1
                                        ; =>  This Inner Loop Header: Depth=2
	v_cmp_gt_u64_e32 vcc, s[8:9], v[4:5]
	s_and_saveexec_b64 s[58:59], vcc
	s_cbranch_execz .LBB133_254
; %bb.258:                              ;   in Loop: Header=BB133_257 Depth=2
	ds_read_u16 v9, v8
	s_waitcnt lgkmcnt(0)
	v_cmp_lt_i16_e32 vcc, -1, v9
	v_cndmask_b32_e32 v10, v33, v34, vcc
	v_xor_b32_sdwa v10, v10, v9 dst_sel:DWORD dst_unused:UNUSED_PAD src0_sel:DWORD src1_sel:WORD_0
	v_cmp_o_f16_e32 vcc, v9, v9
	v_cndmask_b32_e32 v10, v33, v10, vcc
	v_and_b32_e32 v10, v10, v38
	v_cmp_eq_u32_e32 vcc, v10, v30
	s_and_b64 exec, exec, vcc
	s_cbranch_execz .LBB133_254
; %bb.259:                              ;   in Loop: Header=BB133_257 Depth=2
	v_perm_b32 v9, v9, s39, v37
	ds_write_b32 v3, v9 offset:3072
	s_branch .LBB133_254
.LBB133_260:                            ;   in Loop: Header=BB133_257 Depth=2
	s_mov_b64 s[64:65], -1
                                        ; implicit-def: $vgpr4_vgpr5
                                        ; implicit-def: $vgpr8
	s_mov_b64 s[58:59], -1
	s_branch .LBB133_256
.LBB133_261:                            ;   in Loop: Header=BB133_26 Depth=1
	s_or_b64 exec, exec, s[0:1]
	v_lshrrev_b32_e32 v39, 16, v9
	s_and_b64 s[0:1], s[54:55], exec
.LBB133_262:                            ;   in Loop: Header=BB133_26 Depth=1
	s_or_b64 exec, exec, s[50:51]
.LBB133_263:                            ;   in Loop: Header=BB133_26 Depth=1
	s_and_b64 vcc, exec, s[48:49]
	s_cbranch_vccz .LBB133_281
; %bb.264:                              ;   in Loop: Header=BB133_26 Depth=1
	s_mov_b32 s88, s83
	s_cmp_lg_u64 s[88:89], 0
	s_cbranch_scc0 .LBB133_267
; %bb.265:                              ;   in Loop: Header=BB133_26 Depth=1
	v_cvt_f32_u32_e32 v4, s68
	s_sub_u32 s44, 0, s68
	s_subb_u32 s45, 0, 0
	v_mac_f32_e32 v4, 0, v35
	v_rcp_f32_e32 v4, v4
	v_mul_f32_e32 v4, 0x5f7ffffc, v4
	v_mul_f32_e32 v5, 0x2f800000, v4
	v_trunc_f32_e32 v5, v5
	v_mac_f32_e32 v4, 0xcf800000, v5
	v_cvt_u32_f32_e32 v5, v5
	v_cvt_u32_f32_e32 v4, v4
	v_readfirstlane_b32 s46, v5
	v_readfirstlane_b32 s8, v4
	s_mul_i32 s9, s44, s46
	s_mul_hi_u32 s48, s44, s8
	s_mul_i32 s47, s45, s8
	s_add_i32 s9, s48, s9
	s_mul_i32 s49, s44, s8
	s_add_i32 s9, s9, s47
	s_mul_hi_u32 s48, s8, s49
	s_mul_i32 s50, s8, s9
	s_mul_hi_u32 s47, s8, s9
	s_add_u32 s48, s48, s50
	s_addc_u32 s47, 0, s47
	s_mul_hi_u32 s51, s46, s49
	s_mul_i32 s49, s46, s49
	s_add_u32 s48, s48, s49
	s_mul_hi_u32 s50, s46, s9
	s_addc_u32 s47, s47, s51
	s_addc_u32 s48, s50, 0
	s_mul_i32 s9, s46, s9
	s_add_u32 s9, s47, s9
	s_addc_u32 s47, 0, s48
	s_add_u32 s48, s8, s9
	s_cselect_b64 s[8:9], -1, 0
	s_cmp_lg_u64 s[8:9], 0
	s_addc_u32 s46, s46, s47
	s_mul_i32 s8, s44, s46
	s_mul_hi_u32 s9, s44, s48
	s_add_i32 s8, s9, s8
	s_mul_i32 s45, s45, s48
	s_add_i32 s8, s8, s45
	s_mul_i32 s44, s44, s48
	s_mul_hi_u32 s45, s46, s44
	s_mul_i32 s47, s46, s44
	s_mul_i32 s50, s48, s8
	s_mul_hi_u32 s44, s48, s44
	s_mul_hi_u32 s49, s48, s8
	s_add_u32 s44, s44, s50
	s_addc_u32 s49, 0, s49
	s_add_u32 s44, s44, s47
	s_mul_hi_u32 s9, s46, s8
	s_addc_u32 s44, s49, s45
	s_addc_u32 s9, s9, 0
	s_mul_i32 s8, s46, s8
	s_add_u32 s8, s44, s8
	s_addc_u32 s44, 0, s9
	s_add_u32 s45, s48, s8
	s_cselect_b64 s[8:9], -1, 0
	s_cmp_lg_u64 s[8:9], 0
	s_addc_u32 s8, s46, s44
	s_mul_i32 s44, s2, s8
	s_mul_hi_u32 s46, s2, s45
	s_mul_hi_u32 s9, s2, s8
	s_add_u32 s44, s46, s44
	s_addc_u32 s9, 0, s9
	s_mul_hi_u32 s47, s89, s45
	s_mul_i32 s45, s89, s45
	s_add_u32 s44, s44, s45
	s_mul_hi_u32 s46, s89, s8
	s_addc_u32 s9, s9, s47
	s_addc_u32 s44, s46, 0
	s_mul_i32 s8, s89, s8
	s_add_u32 s8, s9, s8
	s_addc_u32 s9, 0, s44
	s_mul_i32 s9, s68, s9
	s_mul_hi_u32 s44, s68, s8
	s_add_i32 s44, s44, s9
	s_mul_i32 s8, s68, s8
	s_sub_u32 s45, s2, s8
	s_cselect_b64 s[8:9], -1, 0
	s_cmp_lg_u64 s[8:9], 0
	s_subb_u32 s44, s89, s44
	s_sub_u32 s46, s45, s68
	s_cselect_b64 s[8:9], -1, 0
	s_cmp_lg_u64 s[8:9], 0
	s_subb_u32 s47, s44, 0
	;; [unrolled: 4-line block ×3, first 2 shown]
	s_cmp_ge_u32 s46, s68
	s_cselect_b32 s9, -1, 0
	s_cmp_eq_u32 s47, 0
	s_cselect_b32 s9, s9, -1
	s_cmp_lg_u32 s9, 0
	s_cselect_b32 s8, s8, s47
	s_cselect_b32 s46, s48, s46
	s_cmp_ge_u32 s45, s68
	s_cselect_b32 s9, -1, 0
	s_cmp_eq_u32 s44, 0
	s_cselect_b32 s9, s9, -1
	s_cmp_lg_u32 s9, 0
	s_cselect_b32 s9, s8, s44
	s_cselect_b32 s8, s46, s45
	s_mov_b64 s[44:45], 0
	s_branch .LBB133_268
.LBB133_266:                            ;   in Loop: Header=BB133_26 Depth=1
                                        ; implicit-def: $sgpr48_sgpr49
	s_branch .LBB133_251
.LBB133_267:                            ;   in Loop: Header=BB133_26 Depth=1
	s_mov_b64 s[44:45], -1
                                        ; implicit-def: $sgpr8_sgpr9
.LBB133_268:                            ;   in Loop: Header=BB133_26 Depth=1
	s_andn2_b64 vcc, exec, s[44:45]
	v_readlane_b32 s88, v52, 44
	s_cbranch_vccnz .LBB133_270
; %bb.269:                              ;   in Loop: Header=BB133_26 Depth=1
	v_cvt_f32_u32_e32 v4, s68
	s_sub_i32 s8, 0, s68
	v_rcp_iflag_f32_e32 v4, v4
	v_mul_f32_e32 v4, 0x4f7ffffe, v4
	v_cvt_u32_f32_e32 v4, v4
	v_readfirstlane_b32 s9, v4
	s_mul_i32 s8, s8, s9
	s_mul_hi_u32 s8, s9, s8
	s_add_i32 s9, s9, s8
	s_mul_hi_u32 s8, s2, s9
	s_mul_i32 s8, s8, s68
	s_sub_i32 s8, s2, s8
	s_sub_i32 s9, s8, s68
	s_cmp_ge_u32 s8, s68
	s_cselect_b32 s8, s9, s8
	s_sub_i32 s9, s8, s68
	s_cmp_ge_u32 s8, s68
	s_cselect_b32 s82, s9, s8
	s_mov_b64 s[8:9], s[82:83]
.LBB133_270:                            ;   in Loop: Header=BB133_26 Depth=1
	s_sub_u32 s44, s2, s8
	s_subb_u32 s45, s89, s9
	v_cmp_gt_u64_e32 vcc, s[44:45], v[0:1]
                                        ; implicit-def: $vgpr39
	s_and_saveexec_b64 s[8:9], vcc
	s_cbranch_execz .LBB133_280
; %bb.271:                              ;   in Loop: Header=BB133_26 Depth=1
	v_mov_b32_e32 v5, v1
	s_mov_b64 s[46:47], 0
	v_mov_b32_e32 v4, v0
                                        ; implicit-def: $sgpr48_sgpr49
	s_branch .LBB133_275
.LBB133_272:                            ;   in Loop: Header=BB133_275 Depth=2
	s_or_b64 exec, exec, s[50:51]
	s_waitcnt lgkmcnt(0)
	s_barrier
	ds_read_b32 v8, v3 offset:3072
	s_waitcnt lgkmcnt(0)
	s_barrier
	v_cmp_eq_f16_e32 vcc, 0, v8
	s_cbranch_vccz .LBB133_278
; %bb.273:                              ;   in Loop: Header=BB133_275 Depth=2
	v_add_co_u32_e32 v4, vcc, s68, v4
	v_addc_co_u32_e32 v5, vcc, 0, v5, vcc
	v_cmp_le_u64_e32 vcc, s[44:45], v[4:5]
	s_mov_b64 s[50:51], 0
	s_orn2_b64 s[52:53], vcc, exec
.LBB133_274:                            ;   in Loop: Header=BB133_275 Depth=2
	s_and_b64 s[52:53], exec, s[52:53]
	s_or_b64 s[46:47], s[52:53], s[46:47]
	s_andn2_b64 s[48:49], s[48:49], exec
	s_and_b64 s[50:51], s[50:51], exec
	s_or_b64 s[48:49], s[48:49], s[50:51]
	s_andn2_b64 exec, exec, s[46:47]
	s_cbranch_execz .LBB133_279
.LBB133_275:                            ;   Parent Loop BB133_26 Depth=1
                                        ; =>  This Inner Loop Header: Depth=2
	v_cmp_gt_u64_e32 vcc, s[56:57], v[4:5]
	s_and_saveexec_b64 s[50:51], vcc
	s_cbranch_execz .LBB133_272
; %bb.276:                              ;   in Loop: Header=BB133_275 Depth=2
	v_mul_lo_u32 v10, v5, s72
	v_mul_lo_u32 v11, v4, s73
	v_mad_u64_u32 v[8:9], s[52:53], v4, s72, 0
	v_add3_u32 v9, v9, v11, v10
	v_lshlrev_b64 v[8:9], 1, v[8:9]
	v_mov_b32_e32 v10, s69
	v_add_co_u32_e32 v8, vcc, s33, v8
	v_addc_co_u32_e32 v9, vcc, v10, v9, vcc
	global_load_ushort v8, v[8:9], off
	s_waitcnt vmcnt(0)
	v_cmp_lt_i16_e32 vcc, -1, v8
	v_cndmask_b32_e32 v9, v33, v34, vcc
	v_xor_b32_sdwa v9, v9, v8 dst_sel:DWORD dst_unused:UNUSED_PAD src0_sel:DWORD src1_sel:WORD_0
	v_cmp_o_f16_e32 vcc, v8, v8
	v_cndmask_b32_e32 v9, v33, v9, vcc
	v_and_b32_e32 v9, v9, v38
	v_cmp_eq_u32_e32 vcc, v9, v30
	s_and_b64 exec, exec, vcc
	s_cbranch_execz .LBB133_272
; %bb.277:                              ;   in Loop: Header=BB133_275 Depth=2
	v_perm_b32 v8, v8, s39, v37
	ds_write_b32 v3, v8 offset:3072
	s_branch .LBB133_272
.LBB133_278:                            ;   in Loop: Header=BB133_275 Depth=2
	s_mov_b64 s[52:53], -1
                                        ; implicit-def: $vgpr4_vgpr5
	s_mov_b64 s[50:51], -1
	s_branch .LBB133_274
.LBB133_279:                            ;   in Loop: Header=BB133_26 Depth=1
	s_or_b64 exec, exec, s[46:47]
	s_andn2_b64 s[0:1], s[0:1], exec
	s_and_b64 s[44:45], s[48:49], exec
	v_lshrrev_b32_e32 v39, 16, v8
	s_or_b64 s[0:1], s[0:1], s[44:45]
.LBB133_280:                            ;   in Loop: Header=BB133_26 Depth=1
	s_or_b64 exec, exec, s[8:9]
	s_mov_b64 s[44:45], 0
	s_mov_b64 s[46:47], -1
.LBB133_281:                            ;   in Loop: Header=BB133_26 Depth=1
	s_orn2_b64 s[8:9], s[0:1], exec
.LBB133_282:                            ;   in Loop: Header=BB133_26 Depth=1
	s_or_b64 exec, exec, s[42:43]
	s_mov_b64 s[42:43], 0
	s_and_saveexec_b64 s[0:1], s[8:9]
	s_cbranch_execz .LBB133_293
; %bb.283:                              ;   in Loop: Header=BB133_26 Depth=1
	v_mov_b32_e32 v4, 1
	s_xor_b64 s[40:41], s[40:41], -1
	v_mov_b32_e32 v5, 0
	v_mov_b32_e32 v2, 1
	s_and_saveexec_b64 s[8:9], s[40:41]
	s_cbranch_execz .LBB133_292
; %bb.284:                              ;   in Loop: Header=BB133_26 Depth=1
	v_cmp_ge_u64_e32 vcc, s[14:15], v[6:7]
	s_and_saveexec_b64 s[40:41], vcc
	s_xor_b64 s[40:41], exec, s[40:41]
	s_cbranch_execz .LBB133_289
; %bb.285:                              ;   in Loop: Header=BB133_26 Depth=1
	ds_read_b64 v[4:5], v3 offset:5120
	v_or_b32_e32 v30, s66, v30
	v_or_b32_e32 v38, s66, v38
	s_waitcnt lgkmcnt(0)
	v_cmp_ne_u64_e32 vcc, 0, v[4:5]
	s_cbranch_vccnz .LBB133_289
; %bb.286:                              ;   in Loop: Header=BB133_26 Depth=1
	s_mov_b64 s[42:43], exec
	v_readlane_b32 s48, v52, 16
	v_readlane_b32 s49, v52, 17
	s_and_b64 s[48:49], s[42:43], s[48:49]
	s_mov_b64 exec, s[48:49]
; %bb.287:                              ;   in Loop: Header=BB133_26 Depth=1
	v_mov_b32_e32 v4, s14
	v_mov_b32_e32 v5, s15
	ds_write_b64 v3, v[4:5] offset:5128
; %bb.288:                              ;   in Loop: Header=BB133_26 Depth=1
	s_or_b64 exec, exec, s[42:43]
	s_waitcnt lgkmcnt(0)
	s_barrier
.LBB133_289:                            ;   in Loop: Header=BB133_26 Depth=1
	s_andn2_saveexec_b64 s[40:41], s[40:41]
; %bb.290:                              ;   in Loop: Header=BB133_26 Depth=1
	v_mov_b32_e32 v2, s15
	v_subrev_co_u32_e32 v6, vcc, s14, v6
	v_subb_co_u32_e32 v7, vcc, v7, v2, vcc
; %bb.291:                              ;   in Loop: Header=BB133_26 Depth=1
	s_or_b64 exec, exec, s[40:41]
	v_mov_b32_e32 v4, v6
	v_mov_b32_e32 v2, 8
	;; [unrolled: 1-line block ×3, first 2 shown]
.LBB133_292:                            ;   in Loop: Header=BB133_26 Depth=1
	s_or_b64 exec, exec, s[8:9]
	v_mov_b32_e32 v7, v5
	s_mov_b64 s[42:43], exec
	v_mov_b32_e32 v6, v4
.LBB133_293:                            ;   in Loop: Header=BB133_26 Depth=1
	s_or_b64 exec, exec, s[0:1]
	s_orn2_b64 s[0:1], s[42:43], exec
.LBB133_294:                            ;   in Loop: Header=BB133_26 Depth=1
	s_or_b64 exec, exec, s[22:23]
	s_andn2_b64 s[8:9], s[34:35], exec
	s_and_b64 s[14:15], s[46:47], exec
	s_or_b64 s[34:35], s[8:9], s[14:15]
	s_andn2_b64 s[8:9], s[30:31], exec
	s_and_b64 s[14:15], s[44:45], exec
	v_mov_b32_e32 v4, v6
	s_or_b64 s[30:31], s[8:9], s[14:15]
	s_and_b64 s[8:9], s[0:1], exec
	v_mov_b32_e32 v5, v7
.LBB133_295:                            ;   in Loop: Header=BB133_26 Depth=1
	s_or_b64 exec, exec, s[36:37]
	s_orn2_b64 s[0:1], s[8:9], exec
.LBB133_296:                            ;   in Loop: Header=BB133_26 Depth=1
	s_or_b64 exec, exec, s[28:29]
	s_andn2_b64 s[8:9], s[24:25], exec
	s_and_b64 s[14:15], s[34:35], exec
	s_or_b64 s[24:25], s[8:9], s[14:15]
	s_andn2_b64 s[6:7], s[6:7], exec
	s_and_b64 s[8:9], s[30:31], exec
	v_mov_b32_e32 v9, v5
	s_or_b64 s[6:7], s[6:7], s[8:9]
	s_and_b64 s[8:9], s[0:1], exec
	v_mov_b32_e32 v8, v4
.LBB133_297:                            ;   in Loop: Header=BB133_26 Depth=1
	s_or_b64 exec, exec, s[26:27]
	s_orn2_b64 s[0:1], s[8:9], exec
.LBB133_298:                            ;   in Loop: Header=BB133_26 Depth=1
	s_or_b64 exec, exec, s[20:21]
	s_mov_b64 s[8:9], 0
	s_and_saveexec_b64 s[14:15], s[0:1]
	s_xor_b64 s[0:1], exec, s[14:15]
	s_cbranch_execz .LBB133_24
; %bb.299:                              ;   in Loop: Header=BB133_26 Depth=1
	v_and_b32_e32 v2, 7, v2
	v_cmp_eq_u32_e32 vcc, 0, v2
	s_mov_b64 s[14:15], -1
	s_mov_b64 s[8:9], -1
	s_and_saveexec_b64 s[18:19], vcc
	s_cbranch_execz .LBB133_23
; %bb.300:                              ;   in Loop: Header=BB133_26 Depth=1
	s_xor_b32 s84, s84, 1
	s_add_i32 s20, s86, -2
	s_cmp_eq_u32 s86, 0
	s_cselect_b64 s[14:15], -1, 0
	s_xor_b64 s[8:9], exec, -1
	s_orn2_b64 s[14:15], s[14:15], exec
	s_mov_b32 s86, s20
	s_branch .LBB133_23
.LBB133_301:
	s_or_b64 exec, exec, s[74:75]
	s_xor_b64 s[4:5], s[80:81], -1
	s_xor_b64 s[2:3], s[60:61], -1
	;; [unrolled: 1-line block ×3, first 2 shown]
	s_mov_b64 s[0:1], 0
	s_and_saveexec_b64 s[8:9], s[2:3]
	s_xor_b64 s[2:3], exec, s[8:9]
	s_cbranch_execnz .LBB133_306
; %bb.302:
	s_andn2_saveexec_b64 s[2:3], s[2:3]
	s_cbranch_execnz .LBB133_319
.LBB133_303:
	s_or_b64 exec, exec, s[2:3]
	s_and_saveexec_b64 s[2:3], s[0:1]
.LBB133_304:
	; divergent unreachable
.LBB133_305:
	s_endpgm
.LBB133_306:
	s_and_saveexec_b64 s[0:1], s[4:5]
	s_xor_b64 s[4:5], exec, s[0:1]
	s_cbranch_execz .LBB133_317
; %bb.307:
	s_and_saveexec_b64 s[0:1], s[6:7]
	s_xor_b64 s[0:1], exec, s[0:1]
; %bb.308:
	v_and_b32_e32 v2, 0x8000, v30
	v_mov_b32_e32 v3, 0x8000
	v_mov_b32_e32 v4, 0xffff
	v_cmp_eq_u32_e32 vcc, 0, v2
	v_cndmask_b32_e32 v2, v3, v4, vcc
	v_xor_b32_e32 v39, v2, v30
; %bb.309:
	s_or_b64 exec, exec, s[0:1]
	v_readlane_b32 s6, v52, 6
	v_readlane_b32 s0, v52, 4
	;; [unrolled: 1-line block ×4, first 2 shown]
	s_mov_b32 s8, s0
	s_mul_i32 s0, s0, s7
	s_mul_hi_u32 s1, s8, s6
	s_add_i32 s1, s1, s0
	s_mul_i32 s0, s8, s6
	v_readlane_b32 s6, v52, 12
	v_readlane_b32 s12, v52, 22
	;; [unrolled: 1-line block ×3, first 2 shown]
	s_sub_u32 s0, s6, s0
	v_readlane_b32 s14, v52, 24
	v_readlane_b32 s15, v52, 25
	s_subb_u32 s1, 0, s1
	s_mul_i32 s6, s0, s15
	s_mul_hi_u32 s7, s0, s14
	v_readlane_b32 s13, v52, 23
	s_add_i32 s6, s7, s6
	s_mul_i32 s1, s1, s14
	s_add_i32 s1, s6, s1
	s_mul_i32 s6, s8, s13
	s_mul_hi_u32 s7, s8, s12
	s_add_i32 s7, s7, s6
	s_mul_i32 s6, s8, s12
	s_lshl_b64 s[6:7], s[6:7], 1
	v_readlane_b32 s8, v52, 10
	s_mul_i32 s0, s0, s14
	v_readlane_b32 s9, v52, 11
	s_add_u32 s6, s8, s6
	s_addc_u32 s7, s9, s7
	s_lshl_b64 s[0:1], s[0:1], 1
	s_add_u32 s0, s6, s0
	s_addc_u32 s1, s7, s1
	v_mov_b32_e32 v2, 0
	global_store_short v2, v39, s[0:1]
	s_mov_b64 s[6:7], exec
	v_readlane_b32 s0, v52, 14
	v_readlane_b32 s1, v52, 15
	s_and_b64 s[0:1], s[6:7], s[0:1]
	s_mov_b64 exec, s[0:1]
	s_cbranch_execz .LBB133_316
; %bb.310:
	v_cmp_u_f16_e32 vcc, v39, v39
	s_mov_b64 s[8:9], 0
	v_mov_b32_e32 v4, s69
	s_xor_b64 s[12:13], vcc, -1
                                        ; implicit-def: $sgpr10_sgpr11
                                        ; implicit-def: $sgpr16_sgpr17
                                        ; implicit-def: $sgpr14_sgpr15
	s_branch .LBB133_312
.LBB133_311:                            ;   in Loop: Header=BB133_312 Depth=1
	s_or_b64 exec, exec, s[0:1]
	s_and_b64 s[0:1], exec, s[16:17]
	s_or_b64 s[8:9], s[0:1], s[8:9]
	s_andn2_b64 s[0:1], s[10:11], exec
	s_and_b64 s[10:11], s[14:15], exec
	s_or_b64 s[10:11], s[0:1], s[10:11]
	s_andn2_b64 exec, exec, s[8:9]
	s_cbranch_execz .LBB133_314
.LBB133_312:                            ; =>This Inner Loop Header: Depth=1
	v_mov_b32_e32 v3, v1
	v_mov_b32_e32 v2, v0
	v_mul_lo_u32 v5, v3, s72
	v_mul_lo_u32 v6, v2, s73
	v_mad_u64_u32 v[0:1], s[0:1], v2, s72, 0
	s_or_b64 s[14:15], s[14:15], exec
	s_or_b64 s[16:17], s[16:17], exec
	v_add3_u32 v1, v1, v6, v5
	v_lshlrev_b64 v[0:1], 1, v[0:1]
	v_add_co_u32_e32 v0, vcc, s33, v0
	v_addc_co_u32_e32 v1, vcc, v4, v1, vcc
	global_load_ushort v0, v[0:1], off
	s_waitcnt vmcnt(0)
	v_cmp_o_f16_e64 s[0:1], v0, v0
	v_cmp_neq_f16_e32 vcc, v0, v39
	s_or_b64 s[0:1], s[12:13], s[0:1]
	s_and_b64 s[18:19], vcc, s[0:1]
                                        ; implicit-def: $vgpr0_vgpr1
	s_and_saveexec_b64 s[0:1], s[18:19]
	s_cbranch_execz .LBB133_311
; %bb.313:                              ;   in Loop: Header=BB133_312 Depth=1
	v_add_co_u32_e32 v0, vcc, s68, v2
	v_addc_co_u32_e32 v1, vcc, 0, v3, vcc
	v_cmp_le_u64_e32 vcc, s[56:57], v[0:1]
	s_andn2_b64 s[16:17], s[16:17], exec
	s_and_b64 s[18:19], vcc, exec
	s_andn2_b64 s[14:15], s[14:15], exec
	s_or_b64 s[16:17], s[16:17], s[18:19]
	s_branch .LBB133_311
.LBB133_314:
	s_or_b64 exec, exec, s[8:9]
	s_and_saveexec_b64 s[0:1], s[10:11]
	s_xor_b64 s[0:1], exec, s[0:1]
	s_cbranch_execz .LBB133_316
; %bb.315:
	v_readlane_b32 s8, v52, 0
	v_readlane_b32 s0, v52, 2
	;; [unrolled: 1-line block ×4, first 2 shown]
	s_mov_b32 s10, s0
	s_mul_i32 s0, s0, s9
	s_mul_hi_u32 s1, s10, s8
	s_add_i32 s1, s1, s0
	s_mul_i32 s0, s10, s8
	v_readlane_b32 s8, v52, 12
	v_readlane_b32 s12, v52, 18
	;; [unrolled: 1-line block ×3, first 2 shown]
	s_sub_u32 s0, s8, s0
	v_readlane_b32 s14, v52, 20
	v_readlane_b32 s15, v52, 21
	s_subb_u32 s1, 0, s1
	s_mul_i32 s8, s0, s15
	s_mul_hi_u32 s9, s0, s14
	v_readlane_b32 s13, v52, 19
	s_add_i32 s8, s9, s8
	s_mul_i32 s1, s1, s14
	s_add_i32 s1, s8, s1
	s_mul_i32 s8, s10, s13
	s_mul_hi_u32 s9, s10, s12
	s_add_i32 s9, s9, s8
	s_mul_i32 s8, s10, s12
	s_lshl_b64 s[8:9], s[8:9], 3
	v_readlane_b32 s10, v52, 8
	s_mul_i32 s0, s0, s14
	v_readlane_b32 s11, v52, 9
	s_add_u32 s8, s10, s8
	s_addc_u32 s9, s11, s9
	s_lshl_b64 s[0:1], s[0:1], 3
	s_add_u32 s0, s8, s0
	s_addc_u32 s1, s9, s1
	v_mov_b32_e32 v0, 0
	global_store_dwordx2 v0, v[2:3], s[0:1]
.LBB133_316:
	s_or_b64 exec, exec, s[6:7]
.LBB133_317:
	s_or_saveexec_b64 s[0:1], s[4:5]
	s_mov_b64 s[4:5], 0
	s_xor_b64 exec, exec, s[0:1]
	s_cbranch_execnz .LBB133_320
.LBB133_318:
	s_or_b64 exec, exec, s[0:1]
	s_and_b64 s[0:1], s[4:5], exec
	s_andn2_saveexec_b64 s[2:3], s[2:3]
	s_cbranch_execz .LBB133_303
.LBB133_319:
	s_or_b64 s[0:1], s[0:1], exec
	s_trap 2
	s_or_b64 exec, exec, s[2:3]
	s_and_saveexec_b64 s[2:3], s[0:1]
	s_cbranch_execnz .LBB133_304
	s_branch .LBB133_305
.LBB133_320:
	s_mov_b64 s[4:5], exec
	s_trap 2
	s_branch .LBB133_318
	.section	.rodata,"a",@progbits
	.p2align	6, 0x0
	.amdhsa_kernel _ZN2at6native12_GLOBAL__N_112gatherMedianIN3c104HalfEmLi2EEEvNS_4cuda6detail10TensorInfoIT_T0_EENS7_IlS9_EENS7_IKS8_S9_EES9_S9_S9_b
		.amdhsa_group_segment_fixed_size 5152
		.amdhsa_private_segment_fixed_size 0
		.amdhsa_kernarg_size 1536
		.amdhsa_user_sgpr_count 6
		.amdhsa_user_sgpr_private_segment_buffer 1
		.amdhsa_user_sgpr_dispatch_ptr 0
		.amdhsa_user_sgpr_queue_ptr 0
		.amdhsa_user_sgpr_kernarg_segment_ptr 1
		.amdhsa_user_sgpr_dispatch_id 0
		.amdhsa_user_sgpr_flat_scratch_init 0
		.amdhsa_user_sgpr_private_segment_size 0
		.amdhsa_uses_dynamic_stack 0
		.amdhsa_system_sgpr_private_segment_wavefront_offset 0
		.amdhsa_system_sgpr_workgroup_id_x 1
		.amdhsa_system_sgpr_workgroup_id_y 1
		.amdhsa_system_sgpr_workgroup_id_z 1
		.amdhsa_system_sgpr_workgroup_info 0
		.amdhsa_system_vgpr_workitem_id 0
		.amdhsa_next_free_vgpr 53
		.amdhsa_next_free_sgpr 96
		.amdhsa_reserve_vcc 1
		.amdhsa_reserve_flat_scratch 0
		.amdhsa_float_round_mode_32 0
		.amdhsa_float_round_mode_16_64 0
		.amdhsa_float_denorm_mode_32 3
		.amdhsa_float_denorm_mode_16_64 3
		.amdhsa_dx10_clamp 1
		.amdhsa_ieee_mode 1
		.amdhsa_fp16_overflow 0
		.amdhsa_exception_fp_ieee_invalid_op 0
		.amdhsa_exception_fp_denorm_src 0
		.amdhsa_exception_fp_ieee_div_zero 0
		.amdhsa_exception_fp_ieee_overflow 0
		.amdhsa_exception_fp_ieee_underflow 0
		.amdhsa_exception_fp_ieee_inexact 0
		.amdhsa_exception_int_div_zero 0
	.end_amdhsa_kernel
	.section	.text._ZN2at6native12_GLOBAL__N_112gatherMedianIN3c104HalfEmLi2EEEvNS_4cuda6detail10TensorInfoIT_T0_EENS7_IlS9_EENS7_IKS8_S9_EES9_S9_S9_b,"axG",@progbits,_ZN2at6native12_GLOBAL__N_112gatherMedianIN3c104HalfEmLi2EEEvNS_4cuda6detail10TensorInfoIT_T0_EENS7_IlS9_EENS7_IKS8_S9_EES9_S9_S9_b,comdat
.Lfunc_end133:
	.size	_ZN2at6native12_GLOBAL__N_112gatherMedianIN3c104HalfEmLi2EEEvNS_4cuda6detail10TensorInfoIT_T0_EENS7_IlS9_EENS7_IKS8_S9_EES9_S9_S9_b, .Lfunc_end133-_ZN2at6native12_GLOBAL__N_112gatherMedianIN3c104HalfEmLi2EEEvNS_4cuda6detail10TensorInfoIT_T0_EENS7_IlS9_EENS7_IKS8_S9_EES9_S9_S9_b
                                        ; -- End function
	.set _ZN2at6native12_GLOBAL__N_112gatherMedianIN3c104HalfEmLi2EEEvNS_4cuda6detail10TensorInfoIT_T0_EENS7_IlS9_EENS7_IKS8_S9_EES9_S9_S9_b.num_vgpr, 53
	.set _ZN2at6native12_GLOBAL__N_112gatherMedianIN3c104HalfEmLi2EEEvNS_4cuda6detail10TensorInfoIT_T0_EENS7_IlS9_EENS7_IKS8_S9_EES9_S9_S9_b.num_agpr, 0
	.set _ZN2at6native12_GLOBAL__N_112gatherMedianIN3c104HalfEmLi2EEEvNS_4cuda6detail10TensorInfoIT_T0_EENS7_IlS9_EENS7_IKS8_S9_EES9_S9_S9_b.numbered_sgpr, 96
	.set _ZN2at6native12_GLOBAL__N_112gatherMedianIN3c104HalfEmLi2EEEvNS_4cuda6detail10TensorInfoIT_T0_EENS7_IlS9_EENS7_IKS8_S9_EES9_S9_S9_b.num_named_barrier, 0
	.set _ZN2at6native12_GLOBAL__N_112gatherMedianIN3c104HalfEmLi2EEEvNS_4cuda6detail10TensorInfoIT_T0_EENS7_IlS9_EENS7_IKS8_S9_EES9_S9_S9_b.private_seg_size, 0
	.set _ZN2at6native12_GLOBAL__N_112gatherMedianIN3c104HalfEmLi2EEEvNS_4cuda6detail10TensorInfoIT_T0_EENS7_IlS9_EENS7_IKS8_S9_EES9_S9_S9_b.uses_vcc, 1
	.set _ZN2at6native12_GLOBAL__N_112gatherMedianIN3c104HalfEmLi2EEEvNS_4cuda6detail10TensorInfoIT_T0_EENS7_IlS9_EENS7_IKS8_S9_EES9_S9_S9_b.uses_flat_scratch, 0
	.set _ZN2at6native12_GLOBAL__N_112gatherMedianIN3c104HalfEmLi2EEEvNS_4cuda6detail10TensorInfoIT_T0_EENS7_IlS9_EENS7_IKS8_S9_EES9_S9_S9_b.has_dyn_sized_stack, 0
	.set _ZN2at6native12_GLOBAL__N_112gatherMedianIN3c104HalfEmLi2EEEvNS_4cuda6detail10TensorInfoIT_T0_EENS7_IlS9_EENS7_IKS8_S9_EES9_S9_S9_b.has_recursion, 0
	.set _ZN2at6native12_GLOBAL__N_112gatherMedianIN3c104HalfEmLi2EEEvNS_4cuda6detail10TensorInfoIT_T0_EENS7_IlS9_EENS7_IKS8_S9_EES9_S9_S9_b.has_indirect_call, 0
	.section	.AMDGPU.csdata,"",@progbits
; Kernel info:
; codeLenInByte = 16644
; TotalNumSgprs: 100
; NumVgprs: 53
; ScratchSize: 0
; MemoryBound: 0
; FloatMode: 240
; IeeeMode: 1
; LDSByteSize: 5152 bytes/workgroup (compile time only)
; SGPRBlocks: 12
; VGPRBlocks: 13
; NumSGPRsForWavesPerEU: 100
; NumVGPRsForWavesPerEU: 53
; Occupancy: 4
; WaveLimiterHint : 1
; COMPUTE_PGM_RSRC2:SCRATCH_EN: 0
; COMPUTE_PGM_RSRC2:USER_SGPR: 6
; COMPUTE_PGM_RSRC2:TRAP_HANDLER: 0
; COMPUTE_PGM_RSRC2:TGID_X_EN: 1
; COMPUTE_PGM_RSRC2:TGID_Y_EN: 1
; COMPUTE_PGM_RSRC2:TGID_Z_EN: 1
; COMPUTE_PGM_RSRC2:TIDIG_COMP_CNT: 0
	.section	.text._ZN2at6native12_GLOBAL__N_112gatherMedianIN3c104HalfEmLi3EEEvNS_4cuda6detail10TensorInfoIT_T0_EENS7_IlS9_EENS7_IKS8_S9_EES9_S9_S9_b,"axG",@progbits,_ZN2at6native12_GLOBAL__N_112gatherMedianIN3c104HalfEmLi3EEEvNS_4cuda6detail10TensorInfoIT_T0_EENS7_IlS9_EENS7_IKS8_S9_EES9_S9_S9_b,comdat
	.globl	_ZN2at6native12_GLOBAL__N_112gatherMedianIN3c104HalfEmLi3EEEvNS_4cuda6detail10TensorInfoIT_T0_EENS7_IlS9_EENS7_IKS8_S9_EES9_S9_S9_b ; -- Begin function _ZN2at6native12_GLOBAL__N_112gatherMedianIN3c104HalfEmLi3EEEvNS_4cuda6detail10TensorInfoIT_T0_EENS7_IlS9_EENS7_IKS8_S9_EES9_S9_S9_b
	.p2align	8
	.type	_ZN2at6native12_GLOBAL__N_112gatherMedianIN3c104HalfEmLi3EEEvNS_4cuda6detail10TensorInfoIT_T0_EENS7_IlS9_EENS7_IKS8_S9_EES9_S9_S9_b,@function
_ZN2at6native12_GLOBAL__N_112gatherMedianIN3c104HalfEmLi3EEEvNS_4cuda6detail10TensorInfoIT_T0_EENS7_IlS9_EENS7_IKS8_S9_EES9_S9_S9_b: ; @_ZN2at6native12_GLOBAL__N_112gatherMedianIN3c104HalfEmLi3EEEvNS_4cuda6detail10TensorInfoIT_T0_EENS7_IlS9_EENS7_IKS8_S9_EES9_S9_S9_b
; %bb.0:
	s_load_dwordx2 s[12:13], s[4:5], 0x500
	s_load_dwordx4 s[56:59], s[4:5], 0x4e0
	s_add_u32 s14, s4, 0x500
	s_addc_u32 s15, s5, 0
	s_mov_b32 s25, 0
	s_waitcnt lgkmcnt(0)
	s_mul_i32 s0, s13, s8
	s_add_i32 s0, s0, s7
	s_mul_i32 s0, s0, s12
	s_add_i32 s24, s0, s6
	v_mov_b32_e32 v1, s24
	v_mov_b32_e32 v2, s25
	v_cmp_le_u64_e32 vcc, s[58:59], v[1:2]
	s_cbranch_vccnz .LBB134_307
; %bb.1:
	s_load_dwordx4 s[28:31], s[4:5], 0x10
	s_mov_b64 s[10:11], 0
	s_mov_b64 s[8:9], 0
	s_waitcnt lgkmcnt(0)
	v_mov_b32_e32 v1, s30
	v_mov_b32_e32 v2, s31
	v_cmp_lt_u64_e32 vcc, s[24:25], v[1:2]
	s_cbranch_vccnz .LBB134_3
; %bb.2:
	v_cvt_f32_u32_e32 v1, s30
	s_sub_i32 s0, 0, s30
	s_mov_b32 s9, 0
	v_rcp_iflag_f32_e32 v1, v1
	v_mul_f32_e32 v1, 0x4f7ffffe, v1
	v_cvt_u32_f32_e32 v1, v1
	v_readfirstlane_b32 s1, v1
	s_mul_i32 s0, s0, s1
	s_mul_hi_u32 s0, s1, s0
	s_add_i32 s1, s1, s0
	s_mul_hi_u32 s0, s24, s1
	s_mul_i32 s2, s0, s30
	s_sub_i32 s2, s24, s2
	s_add_i32 s1, s0, 1
	s_sub_i32 s3, s2, s30
	s_cmp_ge_u32 s2, s30
	s_cselect_b32 s0, s1, s0
	s_cselect_b32 s2, s3, s2
	s_add_i32 s1, s0, 1
	s_cmp_ge_u32 s2, s30
	s_cselect_b32 s8, s1, s0
.LBB134_3:
	s_load_dwordx4 s[20:23], s[4:5], 0x1b0
	v_mov_b32_e32 v1, s28
	v_mov_b32_e32 v2, s29
                                        ; implicit-def: $vgpr52 : SGPR spill to VGPR lane
	v_cmp_lt_u64_e32 vcc, s[8:9], v[1:2]
	s_and_b64 vcc, exec, vcc
	s_waitcnt lgkmcnt(0)
	v_writelane_b32 v52, s20, 0
	v_writelane_b32 v52, s21, 1
	v_writelane_b32 v52, s22, 2
	v_writelane_b32 v52, s23, 3
	s_cbranch_vccnz .LBB134_5
; %bb.4:
	v_cvt_f32_u32_e32 v1, s28
	s_sub_i32 s0, 0, s28
	s_load_dwordx4 s[20:23], s[4:5], 0x1b0
	v_rcp_iflag_f32_e32 v1, v1
	v_mul_f32_e32 v1, 0x4f7ffffe, v1
	v_cvt_u32_f32_e32 v1, v1
	v_readfirstlane_b32 s1, v1
	s_mul_i32 s0, s0, s1
	s_mul_hi_u32 s0, s1, s0
	s_add_i32 s1, s1, s0
	s_mul_hi_u32 s0, s8, s1
	s_mul_i32 s2, s0, s28
	s_sub_i32 s2, s8, s2
	s_add_i32 s1, s0, 1
	s_sub_i32 s3, s2, s28
	s_cmp_ge_u32 s2, s28
	s_cselect_b32 s0, s1, s0
	s_cselect_b32 s2, s3, s2
	s_add_i32 s1, s0, 1
	s_cmp_ge_u32 s2, s28
	s_cselect_b32 s10, s1, s0
.LBB134_5:
	v_writelane_b32 v52, s10, 4
	v_writelane_b32 v52, s11, 5
	s_waitcnt lgkmcnt(0)
	v_mov_b32_e32 v1, s22
	v_writelane_b32 v52, s8, 6
	v_mov_b32_e32 v2, s23
	v_writelane_b32 v52, s9, 7
	v_cmp_lt_u64_e32 vcc, s[24:25], v[1:2]
	s_mov_b64 s[0:1], 0
	v_writelane_b32 v52, s0, 8
	v_writelane_b32 v52, s1, 9
	s_mov_b64 s[0:1], 0
	s_cbranch_vccnz .LBB134_7
; %bb.6:
	v_cvt_f32_u32_e32 v1, s22
	s_sub_i32 s0, 0, s22
	s_mov_b32 s9, 0
	v_rcp_iflag_f32_e32 v1, v1
	v_mul_f32_e32 v1, 0x4f7ffffe, v1
	v_cvt_u32_f32_e32 v1, v1
	v_readfirstlane_b32 s1, v1
	s_mul_i32 s0, s0, s1
	s_mul_hi_u32 s0, s1, s0
	s_add_i32 s1, s1, s0
	s_mul_hi_u32 s0, s24, s1
	s_mul_i32 s2, s0, s22
	s_sub_i32 s2, s24, s2
	s_add_i32 s1, s0, 1
	s_sub_i32 s3, s2, s22
	s_cmp_ge_u32 s2, s22
	s_cselect_b32 s0, s1, s0
	s_cselect_b32 s2, s3, s2
	s_add_i32 s1, s0, 1
	s_cmp_ge_u32 s2, s22
	s_cselect_b32 s8, s1, s0
	s_mov_b64 s[0:1], s[8:9]
.LBB134_7:
	s_load_dwordx2 s[80:81], s[4:5], 0x4f0
	s_load_dwordx2 s[16:17], s[4:5], 0x420
	s_mov_b64 s[18:19], s[0:1]
	s_load_dwordx4 s[0:3], s[4:5], 0x410
	s_load_dwordx4 s[8:11], s[4:5], 0x350
	v_mov_b32_e32 v1, s20
	v_mov_b32_e32 v2, s21
	v_writelane_b32 v52, s18, 10
	v_cmp_lt_u64_e32 vcc, s[18:19], v[1:2]
	v_writelane_b32 v52, s19, 11
	s_cbranch_vccnz .LBB134_9
; %bb.8:
	s_load_dwordx4 s[20:23], s[4:5], 0x1b0
	s_waitcnt lgkmcnt(0)
	v_readlane_b32 s22, v52, 10
	v_readlane_b32 s23, v52, 11
	v_cvt_f32_u32_e32 v1, s20
	s_sub_i32 s7, 0, s20
	v_rcp_iflag_f32_e32 v1, v1
	v_mul_f32_e32 v1, 0x4f7ffffe, v1
	v_cvt_u32_f32_e32 v1, v1
	v_readfirstlane_b32 s13, v1
	s_mul_i32 s7, s7, s13
	s_mul_hi_u32 s7, s13, s7
	s_add_i32 s13, s13, s7
	s_mul_hi_u32 s7, s22, s13
	s_mul_i32 s18, s7, s20
	s_sub_i32 s18, s22, s18
	s_add_i32 s13, s7, 1
	s_sub_i32 s19, s18, s20
	s_cmp_ge_u32 s18, s20
	s_cselect_b32 s7, s13, s7
	s_cselect_b32 s18, s19, s18
	s_add_i32 s13, s7, 1
	s_cmp_ge_u32 s18, s20
	s_cselect_b32 s18, s13, s7
	v_writelane_b32 v52, s18, 8
	v_writelane_b32 v52, s19, 9
.LBB134_9:
	s_load_dwordx2 s[18:19], s[4:5], 0x340
	s_waitcnt lgkmcnt(0)
	v_mov_b32_e32 v1, s10
	v_mov_b32_e32 v2, s11
	v_cmp_lt_u64_e32 vcc, s[24:25], v[1:2]
	s_mov_b64 s[20:21], 0
	s_mov_b64 s[22:23], 0
	s_cbranch_vccnz .LBB134_11
; %bb.10:
	v_cvt_f32_u32_e32 v1, s10
	s_sub_i32 s7, 0, s10
	s_mov_b32 s23, 0
	v_rcp_iflag_f32_e32 v1, v1
	v_mul_f32_e32 v1, 0x4f7ffffe, v1
	v_cvt_u32_f32_e32 v1, v1
	v_readfirstlane_b32 s13, v1
	s_mul_i32 s7, s7, s13
	s_mul_hi_u32 s7, s13, s7
	s_add_i32 s13, s13, s7
	s_mul_hi_u32 s7, s24, s13
	s_mul_i32 s21, s7, s10
	s_sub_i32 s21, s24, s21
	s_add_i32 s13, s7, 1
	s_sub_i32 s22, s21, s10
	s_cmp_ge_u32 s21, s10
	s_cselect_b32 s7, s13, s7
	s_cselect_b32 s21, s22, s21
	s_add_i32 s13, s7, 1
	s_cmp_ge_u32 s21, s10
	s_cselect_b32 s22, s13, s7
.LBB134_11:
	v_writelane_b32 v52, s28, 12
	v_writelane_b32 v52, s29, 13
	s_load_dwordx2 s[26:27], s[4:5], 0x280
	v_writelane_b32 v52, s30, 14
	v_writelane_b32 v52, s31, 15
	s_load_dwordx4 s[28:31], s[4:5], 0x270
	v_mov_b32_e32 v1, s8
	s_waitcnt lgkmcnt(0)
	v_writelane_b32 v52, s26, 16
	v_writelane_b32 v52, s27, 17
	s_load_dwordx2 s[26:27], s[4:5], 0xe0
	v_writelane_b32 v52, s28, 18
	v_writelane_b32 v52, s29, 19
	;; [unrolled: 1-line block ×4, first 2 shown]
	s_load_dwordx4 s[28:31], s[4:5], 0xd0
	s_waitcnt lgkmcnt(0)
	v_writelane_b32 v52, s26, 22
	v_writelane_b32 v52, s27, 23
	v_mov_b32_e32 v2, s9
	v_cmp_lt_u64_e32 vcc, s[22:23], v[1:2]
	v_writelane_b32 v52, s28, 24
	v_writelane_b32 v52, s29, 25
	;; [unrolled: 1-line block ×4, first 2 shown]
	s_cbranch_vccnz .LBB134_13
; %bb.12:
	v_cvt_f32_u32_e32 v1, s8
	s_sub_i32 s7, 0, s8
	v_rcp_iflag_f32_e32 v1, v1
	v_mul_f32_e32 v1, 0x4f7ffffe, v1
	v_cvt_u32_f32_e32 v1, v1
	v_readfirstlane_b32 s13, v1
	s_mul_i32 s7, s7, s13
	s_mul_hi_u32 s7, s13, s7
	s_add_i32 s13, s13, s7
	s_mul_hi_u32 s7, s22, s13
	s_mul_i32 s20, s7, s8
	s_sub_i32 s20, s22, s20
	s_add_i32 s13, s7, 1
	s_sub_i32 s21, s20, s8
	s_cmp_ge_u32 s20, s8
	s_cselect_b32 s7, s13, s7
	s_cselect_b32 s20, s21, s20
	s_add_i32 s13, s7, 1
	s_cmp_ge_u32 s20, s8
	s_cselect_b32 s20, s13, s7
.LBB134_13:
	s_load_dwordx2 s[26:27], s[4:5], 0x1a0
	s_mul_i32 s7, s22, s11
	s_mul_hi_u32 s11, s22, s10
	s_add_i32 s11, s11, s7
	s_mul_i32 s7, s22, s10
	s_waitcnt lgkmcnt(0)
	v_writelane_b32 v52, s26, 28
	v_writelane_b32 v52, s27, 29
	s_load_dwordx2 s[26:27], s[4:5], 0x0
	s_mov_b32 s10, s24
	s_sub_u32 s7, s24, s7
	s_mul_hi_u32 s13, s7, s16
	s_mul_i32 s1, s20, s1
	s_waitcnt lgkmcnt(0)
	v_writelane_b32 v52, s26, 30
	v_writelane_b32 v52, s27, 31
	;; [unrolled: 1-line block ×4, first 2 shown]
	s_subb_u32 s10, 0, s11
	s_mul_i32 s11, s7, s17
	s_add_i32 s11, s13, s11
	s_mul_i32 s10, s10, s16
	s_add_i32 s11, s11, s10
	s_mul_i32 s10, s7, s16
	s_mul_i32 s7, s20, s9
	s_mul_hi_u32 s9, s20, s8
	s_add_i32 s9, s9, s7
	s_mul_i32 s7, s20, s8
	s_sub_u32 s7, s22, s7
	s_subb_u32 s8, s23, s9
	s_mul_i32 s3, s7, s3
	s_mul_hi_u32 s9, s7, s2
	s_mul_i32 s8, s8, s2
	s_mul_i32 s2, s7, s2
	s_mul_hi_u32 s7, s20, s0
	s_add_i32 s3, s9, s3
	s_add_i32 s1, s7, s1
	s_mul_i32 s0, s20, s0
	s_add_i32 s3, s3, s8
	s_lshl_b64 s[0:1], s[0:1], 1
	s_add_u32 s7, s18, s0
	s_addc_u32 s8, s19, s1
	s_lshl_b64 s[0:1], s[2:3], 1
	s_add_u32 s2, s7, s0
	v_mov_b32_e32 v1, 0
	s_addc_u32 s3, s8, s1
	s_lshl_b64 s[0:1], s[10:11], 1
	v_cmp_gt_u64_e64 s[8:9], s[56:57], v[0:1]
	s_add_u32 s33, s2, s0
	v_mov_b32_e32 v2, 0
	v_mov_b32_e32 v3, 0
	s_addc_u32 s77, s3, s1
	v_writelane_b32 v52, s8, 34
	v_writelane_b32 v52, s9, 35
	s_and_saveexec_b64 s[0:1], s[8:9]
	s_cbranch_execz .LBB134_17
; %bb.14:
	s_load_dword s7, s[14:15], 0xc
	v_mov_b32_e32 v2, 0
	v_mov_b32_e32 v5, v1
	s_mov_b64 s[2:3], 0
	v_mov_b32_e32 v3, 0
	v_mov_b32_e32 v6, s77
	s_waitcnt lgkmcnt(0)
	s_and_b32 s7, s7, 0xffff
	v_mov_b32_e32 v4, v0
.LBB134_15:                             ; =>This Inner Loop Header: Depth=1
	v_mul_lo_u32 v9, v5, s80
	v_mul_lo_u32 v10, v4, s81
	v_mad_u64_u32 v[7:8], s[8:9], v4, s80, 0
	v_add3_u32 v8, v8, v10, v9
	v_lshlrev_b64 v[7:8], 1, v[7:8]
	v_add_co_u32_e32 v7, vcc, s33, v7
	v_addc_co_u32_e32 v8, vcc, v6, v8, vcc
	global_load_ushort v7, v[7:8], off
	v_add_co_u32_e32 v4, vcc, s7, v4
	v_addc_co_u32_e32 v5, vcc, 0, v5, vcc
	v_cmp_le_u64_e32 vcc, s[56:57], v[4:5]
	s_or_b64 s[2:3], vcc, s[2:3]
	s_waitcnt vmcnt(0)
	v_cmp_u_f16_e32 vcc, v7, v7
	v_cndmask_b32_e64 v7, 0, 1, vcc
	v_add_co_u32_e32 v2, vcc, v2, v7
	v_addc_co_u32_e32 v3, vcc, 0, v3, vcc
	s_andn2_b64 exec, exec, s[2:3]
	s_cbranch_execnz .LBB134_15
; %bb.16:
	s_or_b64 exec, exec, s[2:3]
.LBB134_17:
	s_or_b64 exec, exec, s[0:1]
	v_cmp_eq_u32_e64 s[2:3], 0, v0
	s_mov_b64 s[0:1], exec
	v_writelane_b32 v52, s2, 36
	v_writelane_b32 v52, s3, 37
	s_and_b64 s[2:3], s[0:1], s[2:3]
	s_mov_b64 exec, s[2:3]
; %bb.18:
	v_mov_b32_e32 v4, 0
	v_mov_b32_e32 v5, v4
	ds_write_b64 v4, v[4:5] offset:5136
; %bb.19:
	s_or_b64 exec, exec, s[0:1]
	v_cmp_ne_u64_e32 vcc, 0, v[2:3]
	s_mov_b64 s[8:9], 0
	s_waitcnt lgkmcnt(0)
	s_barrier
	s_and_saveexec_b64 s[0:1], vcc
	s_cbranch_execz .LBB134_24
; %bb.20:
	s_mov_b64 s[10:11], exec
.LBB134_21:                             ; =>This Inner Loop Header: Depth=1
	s_ff1_i32_b64 s2, s[10:11]
	v_readlane_b32 s7, v2, s2
	v_readlane_b32 s3, v3, s2
	s_add_u32 s8, s8, s7
	s_addc_u32 s9, s9, s3
	s_lshl_b64 s[2:3], 1, s2
	s_andn2_b64 s[10:11], s[10:11], s[2:3]
	s_cmp_lg_u64 s[10:11], 0
	s_cbranch_scc1 .LBB134_21
; %bb.22:
	v_mbcnt_lo_u32_b32 v2, exec_lo, 0
	v_mbcnt_hi_u32_b32 v2, exec_hi, v2
	v_cmp_eq_u32_e32 vcc, 0, v2
	s_and_saveexec_b64 s[2:3], vcc
	s_xor_b64 s[2:3], exec, s[2:3]
; %bb.23:
	v_mov_b32_e32 v2, s8
	v_mov_b32_e32 v4, 0
	;; [unrolled: 1-line block ×3, first 2 shown]
	ds_add_u64 v4, v[2:3] offset:5136
.LBB134_24:
	s_or_b64 exec, exec, s[0:1]
	v_mov_b32_e32 v2, 0
	s_load_dword s0, s[4:5], 0x4f8
	s_waitcnt lgkmcnt(0)
	s_barrier
	ds_read_b64 v[2:3], v2 offset:5136
	s_bitcmp1_b32 s0, 0
	s_cselect_b64 s[0:1], -1, 0
	v_mov_b32_e32 v19, s56
	v_mov_b32_e32 v20, s57
	s_waitcnt lgkmcnt(0)
	v_cmp_gt_i64_e32 vcc, 1, v[2:3]
	s_or_b64 s[0:1], s[0:1], vcc
	s_andn2_b64 vcc, exec, s[0:1]
	s_cbranch_vccnz .LBB134_26
; %bb.25:
	v_not_b32_e32 v2, v2
	v_not_b32_e32 v3, v3
	v_mov_b32_e32 v4, s57
	v_add_co_u32_e32 v2, vcc, s56, v2
	v_addc_co_u32_e32 v3, vcc, v4, v3, vcc
	v_lshrrev_b64 v[2:3], 1, v[2:3]
	v_add_co_u32_e32 v19, vcc, 1, v2
	v_addc_co_u32_e32 v20, vcc, 0, v3, vcc
.LBB134_26:
	s_mov_b64 s[0:1], exec
	v_readlane_b32 s2, v52, 36
	v_readlane_b32 s3, v52, 37
	s_and_b64 s[2:3], s[0:1], s[2:3]
	s_mov_b64 exec, s[2:3]
	s_cbranch_execz .LBB134_28
; %bb.27:
	v_mov_b32_e32 v2, 0
	v_mov_b32_e32 v4, s56
	;; [unrolled: 1-line block ×4, first 2 shown]
	ds_write_b32 v2, v2 offset:5144
	ds_write_b128 v2, v[2:5] offset:5120
.LBB134_28:
	s_or_b64 exec, exec, s[0:1]
	v_mbcnt_lo_u32_b32 v2, -1, 0
	v_mbcnt_hi_u32_b32 v23, -1, v2
	v_mad_u64_u32 v[2:3], s[0:1], s80, v0, 0
	v_cmp_gt_u32_e64 s[0:1], 2, v0
	v_writelane_b32 v52, s0, 38
	v_writelane_b32 v52, s1, 39
	v_mad_u64_u32 v[3:4], s[0:1], s81, v0, v[3:4]
	v_mov_b32_e32 v4, 0x600
	v_mov_b32_e32 v5, 0
	v_cmp_gt_u64_e64 s[0:1], s[56:57], v[4:5]
	s_waitcnt lgkmcnt(0)
	v_writelane_b32 v52, s0, 40
	s_barrier
	v_writelane_b32 v52, s1, 41
	s_load_dword s0, s[14:15], 0xc
	v_lshlrev_b64 v[2:3], 1, v[2:3]
	v_cmp_gt_u32_e32 vcc, 64, v0
	v_cmp_gt_i32_e64 s[8:9], 4, v23
	s_and_b64 s[78:79], vcc, s[8:9]
	v_add_co_u32_e32 v12, vcc, s33, v2
	v_lshlrev_b32_e32 v2, 2, v23
	v_and_b32_e32 v26, 0x100, v2
	v_lshrrev_b32_e32 v2, 1, v0
	v_mov_b32_e32 v4, s77
	s_waitcnt lgkmcnt(0)
	s_and_b32 s76, s0, 0xffff
	s_bfe_u32 s0, s0, 0xa0006
	v_and_b32_e32 v2, 0x1e0, v2
	v_addc_co_u32_e32 v13, vcc, v4, v3, vcc
	v_mov_b32_e32 v3, 0
	v_lshlrev_b64 v[4:5], v23, -1
	s_cmp_gt_u32 s76, 63
	v_or_b32_e32 v29, 0xc00, v2
	v_add_u32_e32 v2, 2, v0
	s_cselect_b64 s[2:3], -1, 0
	v_cmp_gt_u64_e32 vcc, s[56:57], v[2:3]
	v_not_b32_e32 v28, v4
	v_writelane_b32 v52, s2, 42
	v_mov_b32_e32 v4, s57
	v_not_b32_e32 v27, v5
	v_writelane_b32 v52, s3, 43
	s_add_u32 s2, s76, -1
	v_cndmask_b32_e32 v5, 0, v4, vcc
	v_mov_b32_e32 v4, s56
	s_addc_u32 s1, 0, -1
	v_cndmask_b32_e32 v2, v2, v4, vcc
	v_not_b32_e32 v4, v0
	v_writelane_b32 v52, s2, 44
	s_add_u32 s2, s2, s56
	v_add_co_u32_e32 v4, vcc, v2, v4
	s_addc_u32 s69, s1, s57
	v_addc_co_u32_e32 v5, vcc, -1, v5, vcc
	s_cmp_lt_u32 s6, s12
	v_cmp_lt_u64_e64 s[6:7], 1, v[4:5]
	v_writelane_b32 v52, s1, 45
	v_writelane_b32 v52, s6, 46
	v_and_b32_e32 v16, -2, v4
	v_mov_b32_e32 v17, v5
	s_cselect_b32 s1, 12, 18
	v_writelane_b32 v52, s7, 47
	v_cmp_ne_u64_e64 s[6:7], v[4:5], v[16:17]
	s_add_u32 s70, s14, s1
	s_addc_u32 s71, s15, 0
	v_writelane_b32 v52, s6, 48
	s_add_i32 s1, s0, -1
	v_writelane_b32 v52, s7, 49
	s_bfe_u32 s6, s76, 0x30006
	s_and_b32 s1, s1, 0xffff
	s_cmp_gt_u32 s1, 6
	s_cselect_b64 s[8:9], -1, 0
	v_writelane_b32 v52, s8, 50
	s_and_b32 s87, s0, 0x3f8
	v_writelane_b32 v52, s9, 51
	s_cmp_lg_u32 s6, 0
	v_writelane_b32 v52, s6, 52
	s_cselect_b64 s[0:1], -1, 0
	v_writelane_b32 v52, s0, 53
	v_lshlrev_b32_e32 v24, 1, v0
	v_writelane_b32 v52, s1, 54
	v_mov_b32_e32 v2, 0xc00
	s_mov_b32 s95, 0
	v_cmp_eq_u32_e64 s[4:5], 0, v23
	v_add_u32_e32 v25, 0xc00, v24
	v_lshlrev_b32_e32 v14, 2, v0
	v_mov_b32_e32 v15, v3
	s_mov_b32 s3, s80
	s_mov_b32 s65, s81
	v_lshlrev_b32_e32 v31, 3, v0
	v_lshl_or_b32 v32, v23, 3, v2
	s_lshl_b32 s38, s76, 1
	s_mov_b32 s86, 14
	s_mov_b64 s[12:13], 0
	s_movk_i32 s39, 0x3c00
	v_mov_b32_e32 v33, 0xffff
	v_mov_b32_e32 v34, 0x8000
	;; [unrolled: 1-line block ×3, first 2 shown]
	v_mov_b32_e32 v36, -1
	v_mov_b32_e32 v37, 0x5040100
	v_mov_b32_e32 v39, 0
	s_mov_b32 s88, 0
	v_mov_b32_e32 v30, 0
	v_mov_b32_e32 v38, 0
	v_add_co_u32_e32 v18, vcc, v16, v0
	v_writelane_b32 v52, s78, 55
	s_mov_b32 s89, s81
                                        ; implicit-def: $sgpr90_sgpr91
                                        ; implicit-def: $sgpr72_sgpr73
                                        ; implicit-def: $sgpr10_sgpr11
                                        ; implicit-def: $sgpr84_sgpr85
                                        ; implicit-def: $sgpr58_sgpr59
                                        ; implicit-def: $sgpr74_sgpr75
	v_writelane_b32 v52, s79, 56
	s_branch .LBB134_32
.LBB134_29:                             ;   in Loop: Header=BB134_32 Depth=1
	s_or_b64 exec, exec, s[18:19]
	s_and_b64 s[8:9], s[8:9], exec
	s_andn2_b64 s[24:25], s[24:25], exec
	s_andn2_b64 s[6:7], s[6:7], exec
	s_orn2_b64 s[18:19], s[14:15], exec
.LBB134_30:                             ;   in Loop: Header=BB134_32 Depth=1
	s_or_b64 exec, exec, s[0:1]
	s_andn2_b64 s[0:1], s[74:75], exec
	s_and_b64 s[8:9], s[8:9], exec
	s_or_b64 s[74:75], s[0:1], s[8:9]
	s_andn2_b64 s[0:1], s[58:59], exec
	s_and_b64 s[8:9], s[24:25], exec
	s_or_b64 s[58:59], s[0:1], s[8:9]
	;; [unrolled: 3-line block ×3, first 2 shown]
	s_orn2_b64 s[6:7], s[18:19], exec
.LBB134_31:                             ;   in Loop: Header=BB134_32 Depth=1
	s_or_b64 exec, exec, s[16:17]
	s_and_b64 s[0:1], exec, s[6:7]
	s_or_b64 s[12:13], s[0:1], s[12:13]
	s_andn2_b64 s[0:1], s[10:11], exec
	s_and_b64 s[6:7], s[74:75], exec
	s_or_b64 s[10:11], s[0:1], s[6:7]
	s_andn2_b64 s[0:1], s[72:73], exec
	s_and_b64 s[6:7], s[58:59], exec
	;; [unrolled: 3-line block ×3, first 2 shown]
	v_mov_b32_e32 v20, v9
	s_or_b64 s[90:91], s[0:1], s[6:7]
	v_mov_b32_e32 v19, v8
	s_andn2_b64 exec, exec, s[12:13]
	s_cbranch_execz .LBB134_303
.LBB134_32:                             ; =>This Loop Header: Depth=1
                                        ;     Child Loop BB134_37 Depth 2
                                        ;     Child Loop BB134_51 Depth 2
	;; [unrolled: 1-line block ×17, first 2 shown]
	ds_read_b128 v[4:7], v3 offset:5120
	s_waitcnt lgkmcnt(0)
	v_readfirstlane_b32 s83, v5
	v_readfirstlane_b32 s82, v4
	s_cmp_lg_u64 s[82:83], 0
	s_cbranch_scc1 .LBB134_64
; %bb.33:                               ;   in Loop: Header=BB134_32 Depth=1
	v_readlane_b32 s0, v52, 40
	v_readlane_b32 s1, v52, 41
	s_and_b64 vcc, exec, s[0:1]
	s_cbranch_vccz .LBB134_45
; %bb.34:                               ;   in Loop: Header=BB134_32 Depth=1
	s_mov_b64 s[0:1], 0x601
	v_cmp_gt_u64_e32 vcc, s[0:1], v[6:7]
	s_mov_b64 s[0:1], 0
	s_mov_b64 s[6:7], 0
	s_cbranch_vccz .LBB134_46
; %bb.35:                               ;   in Loop: Header=BB134_32 Depth=1
	global_load_ushort v6, v[12:13], off
	global_load_ushort v2, v3, s[70:71]
	v_mov_b32_e32 v5, v1
	s_mov_b64 s[8:9], 0
	v_mov_b32_e32 v4, v0
	s_branch .LBB134_37
.LBB134_36:                             ;   in Loop: Header=BB134_37 Depth=2
	s_or_b64 exec, exec, s[6:7]
	s_waitcnt vmcnt(0)
	v_mov_b32_e32 v6, v7
	s_andn2_b64 exec, exec, s[8:9]
	s_cbranch_execz .LBB134_165
.LBB134_37:                             ;   Parent Loop BB134_32 Depth=1
                                        ; =>  This Inner Loop Header: Depth=2
	s_waitcnt vmcnt(0)
	v_add_co_u32_sdwa v4, vcc, v4, v2 dst_sel:DWORD dst_unused:UNUSED_PAD src0_sel:DWORD src1_sel:WORD_0
	v_addc_co_u32_e32 v5, vcc, 0, v5, vcc
	v_cmp_gt_u64_e64 s[6:7], s[56:57], v[4:5]
	v_cmp_le_u64_e32 vcc, s[56:57], v[4:5]
	s_waitcnt lgkmcnt(0)
	v_mov_b32_e32 v8, 0
	v_mov_b32_e32 v7, 0
	s_and_saveexec_b64 s[14:15], s[6:7]
	s_cbranch_execz .LBB134_39
; %bb.38:                               ;   in Loop: Header=BB134_37 Depth=2
	v_mul_lo_u32 v7, v5, s80
	v_mul_lo_u32 v11, v4, s81
	v_mad_u64_u32 v[9:10], s[6:7], v4, s80, 0
	v_add3_u32 v10, v10, v11, v7
	v_lshlrev_b64 v[9:10], 1, v[9:10]
	v_mov_b32_e32 v7, s77
	v_add_co_u32_e64 v9, s[6:7], s33, v9
	v_addc_co_u32_e64 v10, s[6:7], v7, v10, s[6:7]
	global_load_ushort v7, v[9:10], off
.LBB134_39:                             ;   in Loop: Header=BB134_37 Depth=2
	s_or_b64 exec, exec, s[14:15]
	v_cmp_lt_i16_e64 s[6:7], -1, v6
	v_cndmask_b32_e64 v9, v33, v34, s[6:7]
	v_xor_b32_sdwa v9, v9, v6 dst_sel:DWORD dst_unused:UNUSED_PAD src0_sel:DWORD src1_sel:WORD_0
	v_cmp_o_f16_e64 s[6:7], v6, v6
	v_cndmask_b32_e64 v9, v33, v9, s[6:7]
	v_and_b32_e32 v9, v9, v38
	v_cmp_eq_u32_e64 s[14:15], v9, v30
	s_cmp_lg_u64 s[14:15], 0
	s_cselect_b64 s[6:7], -1, 0
	s_and_b64 s[6:7], s[4:5], s[6:7]
	s_and_saveexec_b64 s[16:17], s[6:7]
	s_cbranch_execz .LBB134_43
; %bb.40:                               ;   in Loop: Header=BB134_37 Depth=2
	s_mov_b64 s[20:21], exec
	v_mbcnt_lo_u32_b32 v8, s20, 0
	v_mbcnt_hi_u32_b32 v8, s21, v8
	s_bcnt1_i32_b64 s22, s[14:15]
	v_cmp_eq_u32_e64 s[6:7], 0, v8
                                        ; implicit-def: $vgpr9
	s_and_saveexec_b64 s[18:19], s[6:7]
; %bb.41:                               ;   in Loop: Header=BB134_37 Depth=2
	s_bcnt1_i32_b64 s6, s[20:21]
	s_mul_i32 s6, s22, s6
	v_mov_b32_e32 v9, s6
	ds_add_rtn_u32 v9, v3, v9 offset:5144
; %bb.42:                               ;   in Loop: Header=BB134_37 Depth=2
	s_or_b64 exec, exec, s[18:19]
	s_waitcnt lgkmcnt(0)
	v_readfirstlane_b32 s6, v9
	v_mov_b32_e32 v9, s6
	v_mad_u32_u24 v8, s22, v8, v9
.LBB134_43:                             ;   in Loop: Header=BB134_37 Depth=2
	s_or_b64 exec, exec, s[16:17]
	ds_bpermute_b32 v8, v26, v8
	s_and_b64 s[6:7], exec, vcc
	s_or_b64 s[8:9], s[6:7], s[8:9]
	s_and_saveexec_b64 s[6:7], s[14:15]
	s_cbranch_execz .LBB134_36
; %bb.44:                               ;   in Loop: Header=BB134_37 Depth=2
	v_and_b32_e32 v10, s14, v28
	v_and_b32_e32 v9, s15, v27
	v_bcnt_u32_b32 v10, v10, 0
	v_bcnt_u32_b32 v9, v9, v10
	v_lshlrev_b32_e32 v9, 1, v9
	s_waitcnt lgkmcnt(0)
	v_lshl_add_u32 v8, v8, 1, v9
	ds_write_b16 v8, v6
	s_branch .LBB134_36
.LBB134_45:                             ;   in Loop: Header=BB134_32 Depth=1
	s_mov_b64 s[0:1], -1
	s_mov_b64 s[6:7], 0
.LBB134_46:                             ;   in Loop: Header=BB134_32 Depth=1
	s_and_b64 vcc, exec, s[0:1]
	s_cbranch_vccz .LBB134_62
.LBB134_47:                             ;   in Loop: Header=BB134_32 Depth=1
	s_mov_b64 s[0:1], exec
	v_readlane_b32 s6, v52, 34
	v_readlane_b32 s7, v52, 35
	s_and_b64 s[6:7], s[0:1], s[6:7]
	s_mov_b64 exec, s[6:7]
	s_cbranch_execz .LBB134_59
; %bb.48:                               ;   in Loop: Header=BB134_32 Depth=1
	global_load_ushort v2, v3, s[70:71]
	global_load_ushort v10, v[12:13], off
	v_mov_b32_e32 v6, v0
	s_waitcnt vmcnt(1)
	v_readfirstlane_b32 s8, v2
	v_add_u32_sdwa v2, v2, v0 dst_sel:DWORD dst_unused:UNUSED_PAD src0_sel:WORD_0 src1_sel:DWORD
	v_cmp_gt_u64_e32 vcc, s[56:57], v[2:3]
	s_and_saveexec_b64 s[6:7], vcc
	s_cbranch_execz .LBB134_58
; %bb.49:                               ;   in Loop: Header=BB134_32 Depth=1
	s_and_b32 s16, s8, 0xffff
	s_cmp_eq_u32 s16, 1
	v_readlane_b32 s14, v52, 46
                                        ; implicit-def: $vgpr6_vgpr7
	s_cselect_b64 s[8:9], -1, 0
	v_readlane_b32 s15, v52, 47
	v_mov_b32_e32 v5, v1
	v_mov_b32_e32 v8, v3
	s_and_b64 s[18:19], s[14:15], s[8:9]
	s_mov_b64 s[14:15], -1
	v_mov_b32_e32 v4, v0
	v_mov_b32_e32 v7, v2
	s_and_saveexec_b64 s[8:9], s[18:19]
	s_cbranch_execz .LBB134_53
; %bb.50:                               ;   in Loop: Header=BB134_32 Depth=1
	v_add_co_u32_e32 v4, vcc, 1, v2
	v_addc_co_u32_e64 v5, s[14:15], 0, 0, vcc
	v_mov_b32_e32 v8, v16
	v_mov_b32_e32 v7, v5
	s_waitcnt vmcnt(0)
	v_lshlrev_b32_e32 v21, 16, v10
	s_mov_b64 s[14:15], 0
	v_mov_b32_e32 v9, v17
	v_mov_b32_e32 v11, v24
	;; [unrolled: 1-line block ×5, first 2 shown]
.LBB134_51:                             ;   Parent Loop BB134_32 Depth=1
                                        ; =>  This Inner Loop Header: Depth=2
	v_mul_lo_u32 v44, v5, s80
	v_mul_lo_u32 v45, v4, s81
	v_mad_u64_u32 v[42:43], s[18:19], v4, s80, 0
	v_mul_lo_u32 v10, v7, s3
	v_mul_lo_u32 v22, v6, s65
	v_mad_u64_u32 v[40:41], s[18:19], v6, s3, 0
	v_add3_u32 v43, v43, v45, v44
	v_lshlrev_b64 v[42:43], 1, v[42:43]
	v_add3_u32 v41, v41, v22, v10
	v_mov_b32_e32 v46, s77
	v_lshlrev_b64 v[40:41], 1, v[40:41]
	v_add_co_u32_e32 v42, vcc, s33, v42
	v_addc_co_u32_e32 v43, vcc, v46, v43, vcc
	v_add_co_u32_e32 v40, vcc, s33, v40
	v_addc_co_u32_e32 v41, vcc, v46, v41, vcc
	global_load_ushort v22, v[42:43], off
	global_load_ushort v10, v[40:41], off
	v_add_co_u32_e32 v6, vcc, 2, v6
	v_addc_co_u32_e32 v7, vcc, 0, v7, vcc
	v_add_co_u32_e32 v4, vcc, 2, v4
	v_addc_co_u32_e32 v5, vcc, 0, v5, vcc
	v_add_co_u32_e32 v8, vcc, -2, v8
	v_addc_co_u32_e32 v9, vcc, -1, v9, vcc
	s_mov_b32 s17, 0x5040100
	v_cmp_eq_u64_e32 vcc, 0, v[8:9]
	s_or_b64 s[14:15], vcc, s[14:15]
	s_waitcnt vmcnt(1)
	v_alignbit_b32 v21, v22, v21, 16
	s_waitcnt vmcnt(0)
	v_perm_b32 v40, v10, v22, s17
	ds_write_b32 v11, v21
	v_add_u32_e32 v11, 4, v11
	v_mov_b32_e32 v21, v40
	s_andn2_b64 exec, exec, s[14:15]
	s_cbranch_execnz .LBB134_51
; %bb.52:                               ;   in Loop: Header=BB134_32 Depth=1
	s_or_b64 exec, exec, s[14:15]
	v_readlane_b32 s14, v52, 48
	v_add_co_u32_e32 v7, vcc, v2, v16
	v_readlane_b32 s15, v52, 49
	v_addc_co_u32_e32 v8, vcc, 0, v17, vcc
	v_add_co_u32_e32 v6, vcc, -1, v7
	s_orn2_b64 s[14:15], s[14:15], exec
	v_mov_b32_e32 v4, v18
	v_mov_b32_e32 v5, v19
.LBB134_53:                             ;   in Loop: Header=BB134_32 Depth=1
	s_or_b64 exec, exec, s[8:9]
	s_and_saveexec_b64 s[8:9], s[14:15]
	s_cbranch_execz .LBB134_57
; %bb.54:                               ;   in Loop: Header=BB134_32 Depth=1
	s_mov_b64 s[14:15], 0
	s_sub_u32 s17, 0, s16
.LBB134_55:                             ;   Parent Loop BB134_32 Depth=1
                                        ; =>  This Inner Loop Header: Depth=2
	s_waitcnt vmcnt(0)
	v_mov_b32_e32 v2, v10
	v_mul_lo_u32 v9, v8, s80
	v_mul_lo_u32 v10, v7, s81
	v_mad_u64_u32 v[5:6], s[18:19], v7, s80, 0
	v_mov_b32_e32 v11, s77
	v_lshlrev_b32_e32 v4, 1, v4
	v_add3_u32 v6, v6, v10, v9
	v_lshlrev_b64 v[5:6], 1, v[5:6]
	ds_write_b16 v4, v2
	v_add_co_u32_e32 v5, vcc, s33, v5
	v_addc_co_u32_e32 v6, vcc, v11, v6, vcc
	global_load_ushort v10, v[5:6], off
	v_mov_b32_e32 v4, v7
	v_mov_b32_e32 v5, v8
	v_add_co_u32_e32 v7, vcc, s16, v7
	v_addc_co_u32_e32 v8, vcc, 0, v8, vcc
	v_cmp_le_u64_e32 vcc, s[56:57], v[7:8]
	s_or_b64 s[14:15], vcc, s[14:15]
	v_add_co_u32_e32 v6, vcc, s17, v7
	s_andn2_b64 exec, exec, s[14:15]
	s_cbranch_execnz .LBB134_55
; %bb.56:                               ;   in Loop: Header=BB134_32 Depth=1
	s_or_b64 exec, exec, s[14:15]
.LBB134_57:                             ;   in Loop: Header=BB134_32 Depth=1
	s_or_b64 exec, exec, s[8:9]
.LBB134_58:                             ;   in Loop: Header=BB134_32 Depth=1
	s_or_b64 exec, exec, s[6:7]
	v_lshlrev_b32_e32 v2, 1, v6
	s_waitcnt vmcnt(0)
	ds_write_b16 v2, v10
.LBB134_59:                             ;   in Loop: Header=BB134_32 Depth=1
	s_or_b64 exec, exec, s[0:1]
	s_waitcnt lgkmcnt(0)
	s_barrier
	s_mov_b64 s[0:1], exec
	v_readlane_b32 s6, v52, 36
	v_readlane_b32 s7, v52, 37
	s_and_b64 s[6:7], s[0:1], s[6:7]
	s_mov_b64 exec, s[6:7]
; %bb.60:                               ;   in Loop: Header=BB134_32 Depth=1
	v_mov_b32_e32 v4, s56
	v_mov_b32_e32 v5, s57
	ds_write_b64 v3, v[4:5] offset:5120
; %bb.61:                               ;   in Loop: Header=BB134_32 Depth=1
	s_or_b64 exec, exec, s[0:1]
	s_mov_b64 s[6:7], -1
	s_waitcnt lgkmcnt(0)
	s_barrier
.LBB134_62:                             ;   in Loop: Header=BB134_32 Depth=1
	s_mov_b64 s[82:83], 0
	s_and_b64 vcc, exec, s[6:7]
	s_cbranch_vccz .LBB134_64
; %bb.63:                               ;   in Loop: Header=BB134_32 Depth=1
	ds_read_b64 v[4:5], v3 offset:5120
	s_waitcnt lgkmcnt(0)
	v_readfirstlane_b32 s82, v4
.LBB134_64:                             ;   in Loop: Header=BB134_32 Depth=1
	s_cmp_lt_i32 s82, 1
	s_mov_b64 s[0:1], -1
                                        ; implicit-def: $vgpr4_vgpr5
                                        ; implicit-def: $vgpr8_vgpr9
	s_cbranch_scc1 .LBB134_74
; %bb.65:                               ;   in Loop: Header=BB134_32 Depth=1
	s_and_b64 vcc, exec, s[0:1]
	s_cbranch_vccnz .LBB134_88
.LBB134_66:                             ;   in Loop: Header=BB134_32 Depth=1
	s_lshl_b32 s6, s88, 6
	s_and_saveexec_b64 s[0:1], s[4:5]
	s_cbranch_execz .LBB134_68
.LBB134_67:                             ;   in Loop: Header=BB134_32 Depth=1
	v_lshl_add_u32 v2, s6, 3, v29
	ds_write_b128 v2, v[4:7]
	ds_write_b128 v2, v[8:11] offset:16
.LBB134_68:                             ;   in Loop: Header=BB134_32 Depth=1
	s_or_b64 exec, exec, s[0:1]
	s_waitcnt lgkmcnt(0)
	s_barrier
	s_and_saveexec_b64 s[0:1], s[78:79]
	s_cbranch_execz .LBB134_103
; %bb.69:                               ;   in Loop: Header=BB134_32 Depth=1
	v_readlane_b32 s8, v52, 42
	v_mov_b32_e32 v4, 0
	v_readlane_b32 s9, v52, 43
	v_mov_b32_e32 v5, 0
	s_andn2_b64 vcc, exec, s[8:9]
	s_cbranch_vccnz .LBB134_102
; %bb.70:                               ;   in Loop: Header=BB134_32 Depth=1
	v_readlane_b32 s8, v52, 50
	v_readlane_b32 s9, v52, 51
	s_andn2_b64 vcc, exec, s[8:9]
	s_cbranch_vccnz .LBB134_98
; %bb.71:                               ;   in Loop: Header=BB134_32 Depth=1
	v_mov_b32_e32 v4, 0
	v_lshl_add_u32 v2, s88, 9, v32
	v_mov_b32_e32 v5, 0
	s_mov_b32 s7, 0
.LBB134_72:                             ;   Parent Loop BB134_32 Depth=1
                                        ; =>  This Inner Loop Header: Depth=2
	ds_read2_b64 v[6:9], v2 offset1:4
	ds_read2_b64 v[40:43], v2 offset0:8 offset1:12
	ds_read2_b64 v[44:47], v2 offset0:16 offset1:20
	;; [unrolled: 1-line block ×3, first 2 shown]
	s_add_i32 s7, s7, 8
	s_waitcnt lgkmcnt(3)
	v_add_co_u32_e32 v4, vcc, v6, v4
	v_addc_co_u32_e32 v5, vcc, v7, v5, vcc
	v_add_co_u32_e32 v4, vcc, v8, v4
	v_addc_co_u32_e32 v5, vcc, v9, v5, vcc
	s_waitcnt lgkmcnt(2)
	v_add_co_u32_e32 v4, vcc, v40, v4
	v_addc_co_u32_e32 v5, vcc, v41, v5, vcc
	v_add_co_u32_e32 v4, vcc, v42, v4
	v_addc_co_u32_e32 v5, vcc, v43, v5, vcc
	;; [unrolled: 5-line block ×3, first 2 shown]
	s_waitcnt lgkmcnt(0)
	v_add_co_u32_e32 v4, vcc, v48, v4
	v_addc_co_u32_e32 v5, vcc, v49, v5, vcc
	v_add_co_u32_e32 v4, vcc, v50, v4
	v_add_u32_e32 v2, 0x100, v2
	s_cmp_eq_u32 s87, s7
	v_addc_co_u32_e32 v5, vcc, v51, v5, vcc
	s_cbranch_scc0 .LBB134_72
; %bb.73:                               ;   in Loop: Header=BB134_32 Depth=1
	s_mov_b32 s7, s87
	s_branch .LBB134_99
.LBB134_74:                             ;   in Loop: Header=BB134_32 Depth=1
	global_load_ushort v2, v3, s[70:71]
	s_mov_b32 s0, s95
	s_waitcnt vmcnt(0)
	v_readfirstlane_b32 s1, v2
	s_and_b32 s1, 0xffff, s1
	s_lshl_b32 s66, s1, 2
	s_mov_b32 s1, s57
	s_cmp_lg_u64 s[0:1], 0
	s_cbranch_scc0 .LBB134_97
; %bb.75:                               ;   in Loop: Header=BB134_32 Depth=1
	v_cvt_f32_u32_e32 v4, s66
	s_sub_u32 s6, 0, s66
	s_subb_u32 s7, 0, 0
	v_mac_f32_e32 v4, 0, v35
	v_rcp_f32_e32 v4, v4
	v_mul_f32_e32 v4, 0x5f7ffffc, v4
	v_mul_f32_e32 v5, 0x2f800000, v4
	v_trunc_f32_e32 v5, v5
	v_mac_f32_e32 v4, 0xcf800000, v5
	v_cvt_u32_f32_e32 v5, v5
	v_cvt_u32_f32_e32 v4, v4
	v_readfirstlane_b32 s8, v5
	v_readfirstlane_b32 s0, v4
	s_mul_i32 s1, s6, s8
	s_mul_hi_u32 s14, s6, s0
	s_mul_i32 s9, s7, s0
	s_add_i32 s1, s14, s1
	s_mul_i32 s15, s6, s0
	s_add_i32 s1, s1, s9
	s_mul_hi_u32 s14, s0, s15
	s_mul_i32 s16, s0, s1
	s_mul_hi_u32 s9, s0, s1
	s_add_u32 s14, s14, s16
	s_addc_u32 s9, 0, s9
	s_mul_hi_u32 s17, s8, s15
	s_mul_i32 s15, s8, s15
	s_add_u32 s14, s14, s15
	s_mul_hi_u32 s16, s8, s1
	s_addc_u32 s9, s9, s17
	s_addc_u32 s14, s16, 0
	s_mul_i32 s1, s8, s1
	s_add_u32 s1, s9, s1
	s_addc_u32 s9, 0, s14
	s_add_u32 s14, s0, s1
	s_cselect_b64 s[0:1], -1, 0
	s_cmp_lg_u64 s[0:1], 0
	s_addc_u32 s8, s8, s9
	s_mul_i32 s0, s6, s8
	s_mul_hi_u32 s1, s6, s14
	s_add_i32 s0, s1, s0
	s_mul_i32 s7, s7, s14
	s_add_i32 s0, s0, s7
	s_mul_i32 s6, s6, s14
	s_mul_hi_u32 s7, s8, s6
	s_mul_i32 s9, s8, s6
	s_mul_i32 s16, s14, s0
	s_mul_hi_u32 s6, s14, s6
	s_mul_hi_u32 s15, s14, s0
	s_add_u32 s6, s6, s16
	s_addc_u32 s15, 0, s15
	s_add_u32 s6, s6, s9
	s_mul_hi_u32 s1, s8, s0
	s_addc_u32 s6, s15, s7
	s_addc_u32 s1, s1, 0
	s_mul_i32 s0, s8, s0
	s_add_u32 s0, s6, s0
	s_addc_u32 s6, 0, s1
	s_add_u32 s7, s14, s0
	s_cselect_b64 s[0:1], -1, 0
	s_cmp_lg_u64 s[0:1], 0
	s_addc_u32 s0, s8, s6
	s_mul_i32 s6, s56, s0
	s_mul_hi_u32 s8, s56, s7
	s_mul_hi_u32 s1, s56, s0
	s_add_u32 s6, s8, s6
	s_addc_u32 s1, 0, s1
	s_mul_hi_u32 s9, s57, s7
	s_mul_i32 s7, s57, s7
	s_add_u32 s6, s6, s7
	s_mul_hi_u32 s8, s57, s0
	s_addc_u32 s1, s1, s9
	s_addc_u32 s6, s8, 0
	s_mul_i32 s0, s57, s0
	s_add_u32 s0, s1, s0
	s_addc_u32 s1, 0, s6
	s_mul_i32 s1, s66, s1
	s_mul_hi_u32 s6, s66, s0
	s_add_i32 s6, s6, s1
	s_mul_i32 s0, s66, s0
	s_sub_u32 s7, s56, s0
	s_cselect_b64 s[0:1], -1, 0
	s_cmp_lg_u64 s[0:1], 0
	s_subb_u32 s6, s57, s6
	s_sub_u32 s8, s7, s66
	s_cselect_b64 s[0:1], -1, 0
	s_cmp_lg_u64 s[0:1], 0
	s_subb_u32 s9, s6, 0
	;; [unrolled: 4-line block ×3, first 2 shown]
	s_cmp_ge_u32 s8, s66
	s_cselect_b32 s1, -1, 0
	s_cmp_eq_u32 s9, 0
	s_cselect_b32 s1, s1, -1
	s_cmp_lg_u32 s1, 0
	s_cselect_b32 s0, s0, s9
	s_cselect_b32 s8, s14, s8
	s_cmp_ge_u32 s7, s66
	s_cselect_b32 s1, -1, 0
	s_cmp_eq_u32 s6, 0
	s_cselect_b32 s1, s1, -1
	s_cmp_lg_u32 s1, 0
	s_cselect_b32 s1, s0, s6
	s_cselect_b32 s0, s8, s7
	s_cbranch_execnz .LBB134_77
.LBB134_76:                             ;   in Loop: Header=BB134_32 Depth=1
	v_cvt_f32_u32_e32 v4, s66
	s_sub_i32 s0, 0, s66
	v_rcp_iflag_f32_e32 v4, v4
	v_mul_f32_e32 v4, 0x4f7ffffe, v4
	v_cvt_u32_f32_e32 v4, v4
	v_readfirstlane_b32 s1, v4
	s_mul_i32 s0, s0, s1
	s_mul_hi_u32 s0, s1, s0
	s_add_i32 s1, s1, s0
	s_mul_hi_u32 s0, s56, s1
	s_mul_i32 s0, s0, s66
	s_sub_i32 s0, s56, s0
	s_sub_i32 s1, s0, s66
	s_cmp_ge_u32 s0, s66
	s_cselect_b32 s0, s1, s0
	s_sub_i32 s1, s0, s66
	s_cmp_ge_u32 s0, s66
	s_cselect_b32 s94, s1, s0
	s_mov_b64 s[0:1], s[94:95]
.LBB134_77:                             ;   in Loop: Header=BB134_32 Depth=1
	s_sub_u32 s54, s56, s0
	s_subb_u32 s55, s57, s1
	v_cmp_gt_u64_e32 vcc, s[54:55], v[14:15]
	v_mov_b32_e32 v4, 0
	v_mov_b32_e32 v6, 0
	;; [unrolled: 1-line block ×8, first 2 shown]
	s_and_saveexec_b64 s[0:1], vcc
	s_cbranch_execz .LBB134_81
; %bb.78:                               ;   in Loop: Header=BB134_32 Depth=1
	v_mov_b32_e32 v22, v15
	s_mov_b64 s[60:61], 0
	s_mov_b64 s[62:63], 0
	;; [unrolled: 1-line block ×5, first 2 shown]
	v_mov_b32_e32 v21, v14
.LBB134_79:                             ;   Parent Loop BB134_32 Depth=1
                                        ; =>  This Inner Loop Header: Depth=2
	v_mul_lo_u32 v6, v22, s80
	v_mul_lo_u32 v7, v21, s81
	v_mad_u64_u32 v[4:5], s[6:7], v21, s80, 0
	v_mov_b32_e32 v8, s77
	s_lshl_b64 s[8:9], s[80:81], 1
	v_add3_u32 v5, v5, v7, v6
	v_lshlrev_b64 v[4:5], 1, v[4:5]
	v_mov_b32_e32 v9, s9
	v_add_co_u32_e64 v4, s[6:7], s33, v4
	v_addc_co_u32_e64 v5, s[6:7], v8, v5, s[6:7]
	global_load_ushort v6, v[4:5], off
	v_add_co_u32_e64 v4, s[6:7], s8, v4
	v_addc_co_u32_e64 v5, s[6:7], v5, v9, s[6:7]
	global_load_ushort v7, v[4:5], off
	;; [unrolled: 3-line block ×4, first 2 shown]
	v_add_co_u32_e32 v21, vcc, s66, v21
	v_addc_co_u32_e32 v22, vcc, 0, v22, vcc
	v_cmp_le_u64_e32 vcc, s[54:55], v[21:22]
	s_waitcnt vmcnt(3)
	v_cmp_lt_i16_e64 s[6:7], -1, v6
	v_cndmask_b32_e64 v5, v33, v34, s[6:7]
	v_xor_b32_sdwa v5, v5, v6 dst_sel:DWORD dst_unused:UNUSED_PAD src0_sel:DWORD src1_sel:WORD_0
	s_waitcnt vmcnt(2)
	v_cmp_lt_i16_e64 s[6:7], -1, v7
	v_cndmask_b32_e64 v9, v33, v34, s[6:7]
	v_cmp_o_f16_e64 s[6:7], v6, v6
	v_cndmask_b32_e64 v5, v33, v5, s[6:7]
	v_xor_b32_sdwa v6, v9, v7 dst_sel:DWORD dst_unused:UNUSED_PAD src0_sel:DWORD src1_sel:WORD_0
	s_waitcnt vmcnt(1)
	v_cmp_lt_i16_e64 s[6:7], -1, v8
	v_cndmask_b32_e64 v9, v33, v34, s[6:7]
	v_cmp_o_f16_e64 s[6:7], v7, v7
	v_cndmask_b32_e64 v6, v33, v6, s[6:7]
	v_xor_b32_sdwa v7, v9, v8 dst_sel:DWORD dst_unused:UNUSED_PAD src0_sel:DWORD src1_sel:WORD_0
	s_waitcnt vmcnt(0)
	v_cmp_lt_i16_e64 s[6:7], -1, v4
	v_cndmask_b32_e64 v9, v33, v34, s[6:7]
	v_and_b32_e32 v10, v5, v38
	v_bfe_u32 v5, v5, s86, 2
	v_cmp_o_f16_e64 s[6:7], v8, v8
	v_cndmask_b32_e64 v7, v33, v7, s[6:7]
	v_xor_b32_sdwa v8, v9, v4 dst_sel:DWORD dst_unused:UNUSED_PAD src0_sel:DWORD src1_sel:WORD_0
	v_cmp_eq_u32_e64 s[16:17], v10, v30
	v_cmp_eq_u32_e64 s[6:7], 0, v5
	v_cmp_o_f16_e64 s[14:15], v4, v4
	v_and_b32_e32 v9, v6, v38
	v_bfe_u32 v6, v6, s86, 2
	v_cmp_eq_u32_e64 s[40:41], 1, v5
	v_cmp_eq_u32_e64 s[30:31], 2, v5
	v_cmp_eq_u32_e64 s[18:19], 3, v5
	v_cndmask_b32_e64 v4, v33, v8, s[14:15]
	v_and_b32_e32 v5, v7, v38
	v_bfe_u32 v7, v7, s86, 2
	s_and_b64 s[6:7], s[16:17], s[6:7]
	v_cmp_eq_u32_e64 s[14:15], v9, v30
	v_cmp_eq_u32_e64 s[26:27], 0, v6
	;; [unrolled: 1-line block ×5, first 2 shown]
	v_cndmask_b32_e64 v6, 0, 1, s[6:7]
	v_cmp_eq_u32_e64 s[22:23], v5, v30
	v_and_b32_e32 v5, v4, v38
	v_bfe_u32 v4, v4, s86, 2
	v_cmp_eq_u32_e64 s[6:7], 0, v7
	s_and_b64 s[8:9], s[14:15], s[26:27]
	v_cmp_eq_u32_e64 s[26:27], v5, v30
	v_cmp_eq_u32_e64 s[48:49], 0, v4
	s_and_b64 s[6:7], s[22:23], s[6:7]
	v_cmp_ne_u32_e64 s[46:47], 0, v6
	v_cndmask_b32_e64 v6, 0, 1, s[8:9]
	v_cmp_eq_u32_e64 s[50:51], 1, v4
	v_cmp_eq_u32_e64 s[52:53], 2, v4
	;; [unrolled: 1-line block ×3, first 2 shown]
	v_cndmask_b32_e64 v4, 0, 1, s[6:7]
	s_and_b64 s[8:9], s[26:27], s[48:49]
	v_cmp_ne_u32_e64 s[6:7], 0, v4
	v_cndmask_b32_e64 v4, 0, 1, s[8:9]
	s_bcnt1_i32_b64 s67, s[46:47]
	v_cmp_ne_u32_e64 s[46:47], 0, v6
	s_bcnt1_i32_b64 s8, s[6:7]
	v_cmp_ne_u32_e64 s[6:7], 0, v4
	s_bcnt1_i32_b64 s46, s[46:47]
	s_bcnt1_i32_b64 s6, s[6:7]
	s_add_u32 s7, s67, s64
	s_addc_u32 s9, 0, s65
	s_add_u32 s7, s7, s46
	s_addc_u32 s9, s9, 0
	;; [unrolled: 2-line block ×4, first 2 shown]
	s_and_b64 s[6:7], s[16:17], s[40:41]
	v_cmp_eq_u32_e64 s[44:45], 1, v7
	v_cndmask_b32_e64 v6, 0, 1, s[6:7]
	s_and_b64 s[6:7], s[14:15], s[42:43]
	v_cmp_eq_u32_e64 s[36:37], 2, v7
	v_cmp_eq_u32_e64 s[24:25], 3, v7
	v_cndmask_b32_e64 v7, 0, 1, s[6:7]
	s_and_b64 s[6:7], s[22:23], s[44:45]
	v_cndmask_b32_e64 v8, 0, 1, s[6:7]
	s_and_b64 s[6:7], s[26:27], s[50:51]
	v_cndmask_b32_e64 v9, 0, 1, s[6:7]
	v_cmp_ne_u32_e64 s[6:7], 0, v6
	v_cmp_ne_u32_e64 s[40:41], 0, v7
	;; [unrolled: 1-line block ×4, first 2 shown]
	s_bcnt1_i32_b64 s6, s[6:7]
	s_bcnt1_i32_b64 s7, s[40:41]
	;; [unrolled: 1-line block ×4, first 2 shown]
	s_add_u32 s6, s6, s78
	s_addc_u32 s40, 0, s79
	s_add_u32 s6, s6, s7
	s_addc_u32 s7, s40, 0
	;; [unrolled: 2-line block ×4, first 2 shown]
	s_and_b64 s[6:7], s[16:17], s[30:31]
	v_cndmask_b32_e64 v8, 0, 1, s[6:7]
	s_and_b64 s[6:7], s[14:15], s[34:35]
	v_cndmask_b32_e64 v9, 0, 1, s[6:7]
	;; [unrolled: 2-line block ×4, first 2 shown]
	v_cmp_ne_u32_e64 s[6:7], 0, v8
	v_cmp_ne_u32_e64 s[30:31], 0, v9
	;; [unrolled: 1-line block ×4, first 2 shown]
	s_bcnt1_i32_b64 s6, s[6:7]
	s_bcnt1_i32_b64 s7, s[30:31]
	;; [unrolled: 1-line block ×4, first 2 shown]
	s_add_u32 s6, s6, s92
	s_addc_u32 s30, 0, s93
	s_add_u32 s6, s6, s7
	s_addc_u32 s7, s30, 0
	;; [unrolled: 2-line block ×4, first 2 shown]
	s_and_b64 s[6:7], s[16:17], s[18:19]
	v_cndmask_b32_e64 v10, 0, 1, s[6:7]
	s_and_b64 s[6:7], s[14:15], s[20:21]
	v_cndmask_b32_e64 v11, 0, 1, s[6:7]
	;; [unrolled: 2-line block ×4, first 2 shown]
	v_cmp_ne_u32_e64 s[6:7], 0, v10
	v_cmp_ne_u32_e64 s[14:15], 0, v11
	;; [unrolled: 1-line block ×4, first 2 shown]
	s_bcnt1_i32_b64 s6, s[6:7]
	s_bcnt1_i32_b64 s7, s[14:15]
	;; [unrolled: 1-line block ×4, first 2 shown]
	s_add_u32 s6, s6, s62
	s_addc_u32 s14, 0, s63
	s_add_u32 s6, s6, s7
	s_addc_u32 s7, s14, 0
	;; [unrolled: 2-line block ×3, first 2 shown]
	s_add_u32 s62, s6, s9
	v_mov_b32_e32 v4, s64
	v_mov_b32_e32 v6, s78
	;; [unrolled: 1-line block ×3, first 2 shown]
	s_addc_u32 s63, s7, 0
	v_mov_b32_e32 v10, s62
	v_mov_b32_e32 v5, s65
	;; [unrolled: 1-line block ×4, first 2 shown]
	s_or_b64 s[60:61], vcc, s[60:61]
	v_mov_b32_e32 v11, s63
	s_andn2_b64 exec, exec, s[60:61]
	s_cbranch_execnz .LBB134_79
; %bb.80:                               ;   in Loop: Header=BB134_32 Depth=1
	s_or_b64 exec, exec, s[60:61]
	v_readlane_b32 s78, v52, 55
	v_readlane_b32 s79, v52, 56
	s_mov_b32 s65, s89
.LBB134_81:                             ;   in Loop: Header=BB134_32 Depth=1
	s_or_b64 exec, exec, s[0:1]
	v_mov_b32_e32 v22, s55
	v_add_co_u32_e32 v21, vcc, s54, v0
	v_addc_co_u32_e32 v22, vcc, 0, v22, vcc
	v_cmp_gt_u64_e32 vcc, s[56:57], v[21:22]
	s_and_saveexec_b64 s[0:1], vcc
	s_cbranch_execz .LBB134_87
; %bb.82:                               ;   in Loop: Header=BB134_32 Depth=1
	v_mul_lo_u32 v42, v22, s80
	v_mul_lo_u32 v43, v21, s81
	v_mad_u64_u32 v[40:41], s[6:7], v21, s80, 0
	s_mov_b64 s[8:9], 0
	v_add3_u32 v41, v41, v43, v42
	v_lshlrev_b64 v[40:41], 1, v[40:41]
	v_mov_b32_e32 v42, s77
	v_add_co_u32_e32 v40, vcc, s33, v40
	v_addc_co_u32_e32 v41, vcc, v42, v41, vcc
	global_load_ushort v41, v[40:41], off
	s_branch .LBB134_84
.LBB134_83:                             ;   in Loop: Header=BB134_84 Depth=2
	s_or_b64 exec, exec, s[14:15]
	s_and_b64 s[6:7], exec, vcc
	s_waitcnt vmcnt(0)
	v_cmp_lt_i16_e32 vcc, -1, v41
	v_cndmask_b32_e32 v42, v33, v34, vcc
	v_xor_b32_sdwa v42, v42, v41 dst_sel:DWORD dst_unused:UNUSED_PAD src0_sel:DWORD src1_sel:WORD_0
	v_cmp_o_f16_e32 vcc, v41, v41
	v_cndmask_b32_e32 v41, v33, v42, vcc
	v_and_b32_e32 v42, v41, v38
	v_bfe_u32 v41, v41, s86, 2
	s_or_b64 s[8:9], s[6:7], s[8:9]
	v_cmp_eq_u32_e32 vcc, v42, v30
	v_cmp_eq_u32_e64 s[6:7], 0, v41
	s_and_b64 s[6:7], vcc, s[6:7]
	v_cndmask_b32_e64 v42, 0, 1, s[6:7]
	v_cmp_ne_u32_e64 s[6:7], 0, v42
	s_bcnt1_i32_b64 s6, s[6:7]
	v_add_co_u32_e64 v4, s[6:7], s6, v4
	v_addc_co_u32_e64 v5, s[6:7], 0, v5, s[6:7]
	v_cmp_eq_u32_e64 s[6:7], 1, v41
	s_and_b64 s[6:7], vcc, s[6:7]
	v_cndmask_b32_e64 v42, 0, 1, s[6:7]
	v_cmp_ne_u32_e64 s[6:7], 0, v42
	s_bcnt1_i32_b64 s6, s[6:7]
	v_add_co_u32_e64 v6, s[6:7], s6, v6
	v_addc_co_u32_e64 v7, s[6:7], 0, v7, s[6:7]
	;; [unrolled: 7-line block ×3, first 2 shown]
	v_cmp_eq_u32_e64 s[6:7], 3, v41
	s_and_b64 s[6:7], vcc, s[6:7]
	v_cndmask_b32_e64 v41, 0, 1, s[6:7]
	v_cmp_ne_u32_e32 vcc, 0, v41
	s_bcnt1_i32_b64 s6, vcc
	v_add_co_u32_e32 v10, vcc, s6, v10
	v_addc_co_u32_e32 v11, vcc, 0, v11, vcc
	v_mov_b32_e32 v41, v40
	s_andn2_b64 exec, exec, s[8:9]
	s_cbranch_execz .LBB134_86
.LBB134_84:                             ;   Parent Loop BB134_32 Depth=1
                                        ; =>  This Inner Loop Header: Depth=2
	v_add_co_u32_sdwa v21, vcc, v21, v2 dst_sel:DWORD dst_unused:UNUSED_PAD src0_sel:DWORD src1_sel:WORD_0
	v_addc_co_u32_e32 v22, vcc, 0, v22, vcc
	v_cmp_gt_u64_e64 s[6:7], s[56:57], v[21:22]
	v_cmp_le_u64_e32 vcc, s[56:57], v[21:22]
	v_mov_b32_e32 v40, 0
	s_and_saveexec_b64 s[14:15], s[6:7]
	s_cbranch_execz .LBB134_83
; %bb.85:                               ;   in Loop: Header=BB134_84 Depth=2
	v_mul_lo_u32 v40, v22, s80
	v_mul_lo_u32 v44, v21, s81
	v_mad_u64_u32 v[42:43], s[6:7], v21, s80, 0
	v_add3_u32 v43, v43, v44, v40
	v_lshlrev_b64 v[42:43], 1, v[42:43]
	v_mov_b32_e32 v40, s77
	v_add_co_u32_e64 v42, s[6:7], s33, v42
	v_addc_co_u32_e64 v43, s[6:7], v40, v43, s[6:7]
	global_load_ushort v40, v[42:43], off
	s_branch .LBB134_83
.LBB134_86:                             ;   in Loop: Header=BB134_32 Depth=1
	s_or_b64 exec, exec, s[8:9]
.LBB134_87:                             ;   in Loop: Header=BB134_32 Depth=1
	s_or_b64 exec, exec, s[0:1]
	s_branch .LBB134_66
.LBB134_88:                             ;   in Loop: Header=BB134_32 Depth=1
	global_load_ushort v2, v3, s[70:71]
	v_mov_b32_e32 v8, 0
	v_mov_b32_e32 v9, 0
	s_waitcnt vmcnt(0)
	v_readfirstlane_b32 s0, v2
	s_and_b32 s68, 0xffff, s0
	s_lshl_b32 s83, s68, 2
	v_cvt_f32_u32_e32 v4, s83
	s_sub_i32 s0, 0, s83
	v_rcp_iflag_f32_e32 v6, v4
	v_mov_b32_e32 v4, 0
	v_mov_b32_e32 v5, 0
	v_mul_f32_e32 v6, 0x4f7ffffe, v6
	v_cvt_u32_f32_e32 v10, v6
	v_mov_b32_e32 v6, 0
	v_mov_b32_e32 v7, 0
	v_readfirstlane_b32 s1, v10
	s_mul_i32 s0, s0, s1
	s_mul_hi_u32 s0, s1, s0
	s_add_i32 s1, s1, s0
	s_mul_hi_u32 s0, s82, s1
	s_mul_i32 s1, s0, s83
	s_sub_i32 s1, s82, s1
	s_add_i32 s6, s0, 1
	s_sub_i32 s7, s1, s83
	s_cmp_ge_u32 s1, s83
	s_cselect_b32 s0, s6, s0
	s_cselect_b32 s1, s7, s1
	s_add_i32 s6, s0, 1
	s_cmp_ge_u32 s1, s83
	s_cselect_b32 s0, s6, s0
	s_mul_hi_u32 s1, s68, s0
	s_mul_i32 s0, s68, s0
	s_lshl_b64 s[60:61], s[0:1], 2
	v_cmp_gt_u64_e32 vcc, s[60:61], v[14:15]
	v_mov_b32_e32 v10, 0
	v_mov_b32_e32 v11, 0
	s_and_saveexec_b64 s[62:63], vcc
	s_cbranch_execz .LBB134_92
; %bb.89:                               ;   in Loop: Header=BB134_32 Depth=1
	v_mov_b32_e32 v22, v15
	s_lshl_b32 s1, s68, 3
	s_mov_b64 s[64:65], 0
	v_mov_b32_e32 v40, v31
	s_mov_b64 s[66:67], 0
	s_mov_b64 s[78:79], 0
	;; [unrolled: 1-line block ×4, first 2 shown]
	v_mov_b32_e32 v21, v14
.LBB134_90:                             ;   Parent Loop BB134_32 Depth=1
                                        ; =>  This Inner Loop Header: Depth=2
	ds_read_b64 v[4:5], v40
	v_add_co_u32_e32 v21, vcc, s83, v21
	v_addc_co_u32_e32 v22, vcc, 0, v22, vcc
	s_waitcnt lgkmcnt(0)
	v_cmp_lt_i16_e64 s[6:7], -1, v4
	v_cndmask_b32_e64 v6, v33, v34, s[6:7]
	v_cmp_gt_i16_sdwa s[6:7], v4, v36 src0_sel:WORD_1 src1_sel:DWORD
	v_cndmask_b32_e64 v7, v33, v34, s[6:7]
	v_cmp_lt_i16_e64 s[6:7], -1, v5
	v_cndmask_b32_e64 v8, v33, v34, s[6:7]
	v_cmp_gt_i16_sdwa s[6:7], v5, v36 src0_sel:WORD_1 src1_sel:DWORD
	v_cndmask_b32_e64 v9, v33, v34, s[6:7]
	v_xor_b32_sdwa v8, v8, v5 dst_sel:DWORD dst_unused:UNUSED_PAD src0_sel:DWORD src1_sel:WORD_0
	v_cmp_o_f16_e64 s[14:15], v5, v5
	v_xor_b32_sdwa v9, v9, v5 dst_sel:DWORD dst_unused:UNUSED_PAD src0_sel:DWORD src1_sel:WORD_1
	v_cmp_o_f16_sdwa s[16:17], v5, v5 src0_sel:WORD_1 src1_sel:WORD_1
	v_xor_b32_sdwa v5, v6, v4 dst_sel:DWORD dst_unused:UNUSED_PAD src0_sel:DWORD src1_sel:WORD_0
	v_cmp_o_f16_e64 s[18:19], v4, v4
	v_xor_b32_sdwa v7, v7, v4 dst_sel:DWORD dst_unused:UNUSED_PAD src0_sel:DWORD src1_sel:WORD_1
	v_cmp_o_f16_sdwa s[6:7], v4, v4 src0_sel:WORD_1 src1_sel:WORD_1
	v_cndmask_b32_e64 v4, v33, v5, s[18:19]
	v_cndmask_b32_e64 v5, v33, v7, s[6:7]
	;; [unrolled: 1-line block ×3, first 2 shown]
	v_and_b32_e32 v8, v4, v38
	v_bfe_u32 v4, v4, s86, 2
	v_cndmask_b32_e64 v7, v33, v9, s[16:17]
	v_and_b32_e32 v9, v5, v38
	v_bfe_u32 v5, v5, s86, 2
	v_cmp_eq_u32_e64 s[20:21], v8, v30
	v_cmp_eq_u32_e64 s[6:7], 0, v4
	v_and_b32_e32 v10, v6, v38
	v_bfe_u32 v6, v6, s86, 2
	v_cmp_eq_u32_e64 s[18:19], v9, v30
	v_cmp_eq_u32_e64 s[30:31], 0, v5
	s_and_b64 s[6:7], s[20:21], s[6:7]
	v_and_b32_e32 v11, v7, v38
	v_bfe_u32 v7, v7, s86, 2
	v_cmp_eq_u32_e64 s[16:17], v10, v30
	v_cmp_eq_u32_e64 s[34:35], 0, v6
	;; [unrolled: 1-line block ×5, first 2 shown]
	v_cndmask_b32_e64 v4, 0, 1, s[6:7]
	s_and_b64 s[6:7], s[18:19], s[30:31]
	v_cmp_eq_u32_e64 s[14:15], v11, v30
	v_cmp_eq_u32_e64 s[36:37], 0, v7
	;; [unrolled: 1-line block ×5, first 2 shown]
	v_cndmask_b32_e64 v5, 0, 1, s[6:7]
	s_and_b64 s[6:7], s[16:17], s[34:35]
	v_cmp_eq_u32_e64 s[44:45], 1, v6
	v_cmp_eq_u32_e64 s[52:53], 2, v6
	;; [unrolled: 1-line block ×3, first 2 shown]
	v_cndmask_b32_e64 v6, 0, 1, s[6:7]
	s_and_b64 s[6:7], s[14:15], s[36:37]
	v_cmp_eq_u32_e64 s[46:47], 1, v7
	v_cmp_eq_u32_e64 s[54:55], 2, v7
	;; [unrolled: 1-line block ×3, first 2 shown]
	v_cndmask_b32_e64 v7, 0, 1, s[6:7]
	v_cmp_ne_u32_e64 s[6:7], 0, v4
	v_cmp_ne_u32_e64 s[30:31], 0, v5
	v_cmp_ne_u32_e64 s[34:35], 0, v6
	v_cmp_ne_u32_e64 s[36:37], 0, v7
	s_bcnt1_i32_b64 s6, s[6:7]
	s_bcnt1_i32_b64 s7, s[30:31]
	s_bcnt1_i32_b64 s30, s[34:35]
	s_bcnt1_i32_b64 s31, s[36:37]
	s_add_u32 s6, s6, s8
	s_addc_u32 s8, 0, s9
	s_add_u32 s6, s6, s7
	s_addc_u32 s7, s8, 0
	s_add_u32 s6, s6, s30
	s_addc_u32 s7, s7, 0
	s_add_u32 s8, s6, s31
	s_addc_u32 s9, s7, 0
	s_and_b64 s[6:7], s[20:21], s[40:41]
	v_cndmask_b32_e64 v6, 0, 1, s[6:7]
	s_and_b64 s[6:7], s[18:19], s[42:43]
	v_cndmask_b32_e64 v7, 0, 1, s[6:7]
	s_and_b64 s[6:7], s[16:17], s[44:45]
	v_cndmask_b32_e64 v8, 0, 1, s[6:7]
	s_and_b64 s[6:7], s[14:15], s[46:47]
	v_cndmask_b32_e64 v9, 0, 1, s[6:7]
	v_cmp_ne_u32_e64 s[6:7], 0, v6
	v_cmp_ne_u32_e64 s[30:31], 0, v7
	v_cmp_ne_u32_e64 s[34:35], 0, v8
	v_cmp_ne_u32_e64 s[36:37], 0, v9
	s_bcnt1_i32_b64 s6, s[6:7]
	s_bcnt1_i32_b64 s7, s[30:31]
	s_bcnt1_i32_b64 s30, s[34:35]
	s_bcnt1_i32_b64 s31, s[36:37]
	s_add_u32 s6, s6, s92
	s_addc_u32 s34, 0, s93
	s_add_u32 s6, s6, s7
	s_addc_u32 s7, s34, 0
	s_add_u32 s6, s6, s30
	s_addc_u32 s7, s7, 0
	s_add_u32 s92, s6, s31
	s_addc_u32 s93, s7, 0
	s_and_b64 s[6:7], s[20:21], s[48:49]
	v_cndmask_b32_e64 v8, 0, 1, s[6:7]
	s_and_b64 s[6:7], s[18:19], s[50:51]
	v_cndmask_b32_e64 v9, 0, 1, s[6:7]
	s_and_b64 s[6:7], s[16:17], s[52:53]
	v_cndmask_b32_e64 v10, 0, 1, s[6:7]
	s_and_b64 s[6:7], s[14:15], s[54:55]
	;; [unrolled: 24-line block ×3, first 2 shown]
	v_cndmask_b32_e64 v42, 0, 1, s[6:7]
	v_cmp_ne_u32_e64 s[6:7], 0, v10
	v_cmp_ne_u32_e64 s[14:15], 0, v11
	;; [unrolled: 1-line block ×4, first 2 shown]
	s_bcnt1_i32_b64 s6, s[6:7]
	s_bcnt1_i32_b64 s7, s[14:15]
	;; [unrolled: 1-line block ×4, first 2 shown]
	s_add_u32 s6, s6, s66
	s_addc_u32 s16, 0, s67
	s_add_u32 s6, s6, s7
	s_addc_u32 s7, s16, 0
	;; [unrolled: 2-line block ×3, first 2 shown]
	v_cmp_le_u64_e32 vcc, s[60:61], v[21:22]
	s_add_u32 s66, s6, s15
	v_mov_b32_e32 v4, s8
	v_mov_b32_e32 v6, s92
	;; [unrolled: 1-line block ×3, first 2 shown]
	s_addc_u32 s67, s7, 0
	v_mov_b32_e32 v10, s66
	v_add_u32_e32 v40, s1, v40
	v_mov_b32_e32 v5, s9
	v_mov_b32_e32 v7, s93
	v_mov_b32_e32 v9, s79
	s_or_b64 s[64:65], vcc, s[64:65]
	v_mov_b32_e32 v11, s67
	s_andn2_b64 exec, exec, s[64:65]
	s_cbranch_execnz .LBB134_90
; %bb.91:                               ;   in Loop: Header=BB134_32 Depth=1
	s_or_b64 exec, exec, s[64:65]
	v_readlane_b32 s78, v52, 55
	v_readlane_b32 s79, v52, 56
	s_mov_b32 s65, s89
.LBB134_92:                             ;   in Loop: Header=BB134_32 Depth=1
	s_or_b64 exec, exec, s[62:63]
	v_mov_b32_e32 v22, s61
	v_add_co_u32_e32 v21, vcc, s60, v0
	s_and_b32 s94, s82, 0x7fffffff
	v_addc_co_u32_e32 v22, vcc, 0, v22, vcc
	v_cmp_gt_u64_e32 vcc, s[94:95], v[21:22]
	s_and_saveexec_b64 s[8:9], vcc
	s_cbranch_execz .LBB134_96
; %bb.93:                               ;   in Loop: Header=BB134_32 Depth=1
	v_lshl_add_u32 v40, s0, 3, v24
	s_lshl_b32 s22, s68, 1
	s_mov_b64 s[0:1], 0
.LBB134_94:                             ;   Parent Loop BB134_32 Depth=1
                                        ; =>  This Inner Loop Header: Depth=2
	ds_read_u16 v41, v40
	v_add_co_u32_sdwa v21, vcc, v21, v2 dst_sel:DWORD dst_unused:UNUSED_PAD src0_sel:DWORD src1_sel:WORD_0
	v_addc_co_u32_e32 v22, vcc, 0, v22, vcc
	s_waitcnt lgkmcnt(0)
	v_cmp_lt_i16_e64 s[6:7], -1, v41
	v_cndmask_b32_e64 v42, v33, v34, s[6:7]
	v_xor_b32_sdwa v42, v42, v41 dst_sel:DWORD dst_unused:UNUSED_PAD src0_sel:DWORD src1_sel:WORD_0
	v_cmp_o_f16_e64 s[6:7], v41, v41
	v_cndmask_b32_e64 v41, v33, v42, s[6:7]
	v_and_b32_e32 v42, v41, v38
	v_bfe_u32 v41, v41, s86, 2
	v_cmp_eq_u32_e64 s[6:7], v42, v30
	v_cmp_eq_u32_e64 s[14:15], 0, v41
	;; [unrolled: 1-line block ×3, first 2 shown]
	s_and_b64 s[14:15], s[6:7], s[14:15]
	v_cmp_eq_u32_e64 s[18:19], 2, v41
	v_cmp_eq_u32_e64 s[20:21], 3, v41
	v_cndmask_b32_e64 v41, 0, 1, s[14:15]
	s_and_b64 s[14:15], s[6:7], s[16:17]
	v_cndmask_b32_e64 v42, 0, 1, s[14:15]
	s_and_b64 s[14:15], s[6:7], s[18:19]
	s_and_b64 s[6:7], s[6:7], s[20:21]
	v_cndmask_b32_e64 v43, 0, 1, s[14:15]
	v_cndmask_b32_e64 v44, 0, 1, s[6:7]
	v_cmp_le_u64_e32 vcc, s[94:95], v[21:22]
	v_cmp_ne_u32_e64 s[6:7], 0, v41
	v_cmp_ne_u32_e64 s[14:15], 0, v42
	v_cmp_ne_u32_e64 s[16:17], 0, v43
	v_cmp_ne_u32_e64 s[18:19], 0, v44
	s_bcnt1_i32_b64 s6, s[6:7]
	s_bcnt1_i32_b64 s7, s[14:15]
	;; [unrolled: 1-line block ×4, first 2 shown]
	s_or_b64 s[0:1], vcc, s[0:1]
	v_add_co_u32_e32 v4, vcc, s6, v4
	v_addc_co_u32_e32 v5, vcc, 0, v5, vcc
	v_add_co_u32_e32 v6, vcc, s7, v6
	v_addc_co_u32_e32 v7, vcc, 0, v7, vcc
	;; [unrolled: 2-line block ×3, first 2 shown]
	v_add_co_u32_e32 v10, vcc, s15, v10
	v_add_u32_e32 v40, s22, v40
	v_addc_co_u32_e32 v11, vcc, 0, v11, vcc
	s_andn2_b64 exec, exec, s[0:1]
	s_cbranch_execnz .LBB134_94
; %bb.95:                               ;   in Loop: Header=BB134_32 Depth=1
	s_or_b64 exec, exec, s[0:1]
.LBB134_96:                             ;   in Loop: Header=BB134_32 Depth=1
	s_or_b64 exec, exec, s[8:9]
	s_lshl_b32 s6, s88, 6
	s_and_saveexec_b64 s[0:1], s[4:5]
	s_cbranch_execnz .LBB134_67
	s_branch .LBB134_68
.LBB134_97:                             ;   in Loop: Header=BB134_32 Depth=1
                                        ; implicit-def: $sgpr0_sgpr1
	s_branch .LBB134_76
.LBB134_98:                             ;   in Loop: Header=BB134_32 Depth=1
	v_mov_b32_e32 v4, 0
	v_mov_b32_e32 v5, 0
	s_mov_b32 s7, 0
.LBB134_99:                             ;   in Loop: Header=BB134_32 Depth=1
	v_readlane_b32 s8, v52, 53
	v_readlane_b32 s9, v52, 54
	s_andn2_b64 vcc, exec, s[8:9]
	s_cbranch_vccnz .LBB134_102
; %bb.100:                              ;   in Loop: Header=BB134_32 Depth=1
	s_lshl_b32 s8, s88, 9
	s_lshl_b32 s7, s7, 5
	s_add_i32 s8, s8, s7
	v_add_u32_e32 v2, s8, v32
	v_readlane_b32 s7, v52, 52
.LBB134_101:                            ;   Parent Loop BB134_32 Depth=1
                                        ; =>  This Inner Loop Header: Depth=2
	ds_read_b64 v[6:7], v2
	s_add_i32 s7, s7, -1
	v_add_u32_e32 v2, 32, v2
	s_cmp_lg_u32 s7, 0
	s_waitcnt lgkmcnt(0)
	v_add_co_u32_e32 v4, vcc, v6, v4
	v_addc_co_u32_e32 v5, vcc, v7, v5, vcc
	s_cbranch_scc1 .LBB134_101
.LBB134_102:                            ;   in Loop: Header=BB134_32 Depth=1
	v_add_lshl_u32 v2, s6, v23, 3
	ds_write_b64 v2, v[4:5] offset:3072
.LBB134_103:                            ;   in Loop: Header=BB134_32 Depth=1
	s_or_b64 exec, exec, s[0:1]
	s_lshl_b32 s0, s6, 3
	v_mov_b32_e32 v2, s0
	s_waitcnt lgkmcnt(0)
	s_barrier
	ds_read_b128 v[8:11], v2 offset:3088
	ds_read_b128 v[4:7], v2 offset:3072
	v_cmp_eq_u64_e64 s[6:7], 1, v[19:20]
	s_lshl_b32 s64, 3, s86
	s_not_b32 s54, s64
	s_waitcnt lgkmcnt(1)
	v_readfirstlane_b32 s22, v8
	s_waitcnt lgkmcnt(0)
	v_cmp_eq_u64_e32 vcc, 1, v[4:5]
	v_readfirstlane_b32 s23, v9
	v_readfirstlane_b32 s14, v10
	;; [unrolled: 1-line block ×3, first 2 shown]
	s_and_b64 s[18:19], vcc, s[6:7]
	s_mov_b64 s[6:7], -1
	s_mov_b64 s[20:21], -1
                                        ; implicit-def: $sgpr8_sgpr9
                                        ; implicit-def: $sgpr0_sgpr1
	s_and_saveexec_b64 s[16:17], s[18:19]
	s_cbranch_execz .LBB134_137
; %bb.104:                              ;   in Loop: Header=BB134_32 Depth=1
	ds_read_b64 v[8:9], v3 offset:5120
	s_waitcnt lgkmcnt(0)
	s_barrier
	v_readfirstlane_b32 s24, v8
	v_readfirstlane_b32 s25, v9
	s_mov_b64 s[0:1], exec
	v_readlane_b32 s8, v52, 38
	v_readlane_b32 s9, v52, 39
	s_and_b64 s[8:9], s[0:1], s[8:9]
	s_mov_b64 exec, s[8:9]
; %bb.105:                              ;   in Loop: Header=BB134_32 Depth=1
	ds_write_b16 v25, v3
; %bb.106:                              ;   in Loop: Header=BB134_32 Depth=1
	s_or_b64 exec, exec, s[0:1]
	v_and_b32_e32 v30, s54, v30
	v_or_b32_e32 v38, s64, v38
	s_mov_b64 s[0:1], -1
	s_mov_b64 s[8:9], 0
	s_cmp_eq_u64 s[24:25], 0
	s_mov_b64 s[20:21], 0
	s_mov_b64 s[26:27], -1
	s_waitcnt lgkmcnt(0)
	s_barrier
                                        ; implicit-def: $vgpr39
	s_cbranch_scc1 .LBB134_121
; %bb.107:                              ;   in Loop: Header=BB134_32 Depth=1
	v_readlane_b32 s20, v52, 44
	s_add_u32 s30, s24, s20
	v_readlane_b32 s20, v52, 45
	s_addc_u32 s21, s25, s20
	s_mov_b32 s20, s95
	s_cmp_lg_u64 s[20:21], 0
	s_cbranch_scc0 .LBB134_164
; %bb.108:                              ;   in Loop: Header=BB134_32 Depth=1
	v_cvt_f32_u32_e32 v2, s76
	s_sub_u32 s20, 0, s76
	s_subb_u32 s28, 0, 0
	v_mac_f32_e32 v2, 0, v35
	v_rcp_f32_e32 v2, v2
	v_mul_f32_e32 v2, 0x5f7ffffc, v2
	v_mul_f32_e32 v8, 0x2f800000, v2
	v_trunc_f32_e32 v8, v8
	v_mac_f32_e32 v2, 0xcf800000, v8
	v_cvt_u32_f32_e32 v8, v8
	v_cvt_u32_f32_e32 v2, v2
	v_readfirstlane_b32 s29, v8
	v_readfirstlane_b32 s26, v2
	s_mul_i32 s27, s20, s29
	s_mul_hi_u32 s34, s20, s26
	s_mul_i32 s31, s28, s26
	s_add_i32 s27, s34, s27
	s_mul_i32 s35, s20, s26
	s_add_i32 s27, s27, s31
	s_mul_hi_u32 s34, s26, s35
	s_mul_i32 s36, s26, s27
	s_mul_hi_u32 s31, s26, s27
	s_add_u32 s34, s34, s36
	s_addc_u32 s31, 0, s31
	s_mul_hi_u32 s37, s29, s35
	s_mul_i32 s35, s29, s35
	s_add_u32 s34, s34, s35
	s_mul_hi_u32 s36, s29, s27
	s_addc_u32 s31, s31, s37
	s_addc_u32 s34, s36, 0
	s_mul_i32 s27, s29, s27
	s_add_u32 s27, s31, s27
	s_addc_u32 s31, 0, s34
	s_add_u32 s34, s26, s27
	s_cselect_b64 s[26:27], -1, 0
	s_cmp_lg_u64 s[26:27], 0
	s_addc_u32 s29, s29, s31
	s_mul_i32 s26, s20, s29
	s_mul_hi_u32 s27, s20, s34
	s_add_i32 s26, s27, s26
	s_mul_i32 s28, s28, s34
	s_add_i32 s26, s26, s28
	s_mul_i32 s20, s20, s34
	s_mul_hi_u32 s28, s29, s20
	s_mul_i32 s31, s29, s20
	s_mul_i32 s36, s34, s26
	s_mul_hi_u32 s20, s34, s20
	s_mul_hi_u32 s35, s34, s26
	s_add_u32 s20, s20, s36
	s_addc_u32 s35, 0, s35
	s_add_u32 s20, s20, s31
	s_mul_hi_u32 s27, s29, s26
	s_addc_u32 s20, s35, s28
	s_addc_u32 s27, s27, 0
	s_mul_i32 s26, s29, s26
	s_add_u32 s20, s20, s26
	s_addc_u32 s28, 0, s27
	s_add_u32 s20, s34, s20
	s_cselect_b64 s[26:27], -1, 0
	s_cmp_lg_u64 s[26:27], 0
	s_addc_u32 s26, s29, s28
	s_mul_i32 s28, s30, s26
	s_mul_hi_u32 s29, s30, s20
	s_mul_hi_u32 s27, s30, s26
	s_add_u32 s28, s29, s28
	s_addc_u32 s27, 0, s27
	s_mul_hi_u32 s31, s21, s20
	s_mul_i32 s20, s21, s20
	s_add_u32 s20, s28, s20
	s_mul_hi_u32 s29, s21, s26
	s_addc_u32 s20, s27, s31
	s_addc_u32 s27, s29, 0
	s_mul_i32 s26, s21, s26
	s_add_u32 s20, s20, s26
	s_addc_u32 s26, 0, s27
	s_mul_i32 s26, s76, s26
	s_mul_hi_u32 s27, s76, s20
	s_add_i32 s28, s27, s26
	s_mul_i32 s20, s76, s20
	s_sub_u32 s20, s30, s20
	s_cselect_b64 s[26:27], -1, 0
	s_cmp_lg_u64 s[26:27], 0
	s_subb_u32 s28, s21, s28
	s_sub_u32 s29, s20, s76
	s_cselect_b64 s[26:27], -1, 0
	s_cmp_lg_u64 s[26:27], 0
	s_subb_u32 s31, s28, 0
	;; [unrolled: 4-line block ×3, first 2 shown]
	s_cmp_ge_u32 s29, s76
	s_cselect_b32 s27, -1, 0
	s_cmp_eq_u32 s31, 0
	s_cselect_b32 s27, s27, -1
	s_cmp_lg_u32 s27, 0
	s_cselect_b32 s26, s26, s31
	s_cselect_b32 s29, s34, s29
	s_cmp_ge_u32 s20, s76
	s_cselect_b32 s27, -1, 0
	s_cmp_eq_u32 s28, 0
	s_cselect_b32 s27, s27, -1
	s_cmp_lg_u32 s27, 0
	s_cselect_b32 s27, s26, s28
	s_cselect_b32 s26, s29, s20
	s_cbranch_execnz .LBB134_110
.LBB134_109:                            ;   in Loop: Header=BB134_32 Depth=1
	v_cvt_f32_u32_e32 v2, s76
	s_sub_i32 s20, 0, s76
	v_rcp_iflag_f32_e32 v2, v2
	v_mul_f32_e32 v2, 0x4f7ffffe, v2
	v_cvt_u32_f32_e32 v2, v2
	v_readfirstlane_b32 s26, v2
	s_mul_i32 s20, s20, s26
	s_mul_hi_u32 s20, s26, s20
	s_add_i32 s26, s26, s20
	s_mul_hi_u32 s20, s30, s26
	s_mul_i32 s20, s20, s76
	s_sub_i32 s20, s30, s20
	s_sub_i32 s26, s20, s76
	s_cmp_ge_u32 s20, s76
	s_cselect_b32 s20, s26, s20
	s_sub_i32 s26, s20, s76
	s_cmp_ge_u32 s20, s76
	s_cselect_b32 s94, s26, s20
	s_mov_b64 s[26:27], s[94:95]
.LBB134_110:                            ;   in Loop: Header=BB134_32 Depth=1
	s_sub_u32 s30, s30, s26
	s_subb_u32 s31, s21, s27
	v_cmp_gt_u64_e32 vcc, s[30:31], v[0:1]
	s_mov_b64 s[26:27], 0
	s_mov_b64 s[20:21], 0
                                        ; implicit-def: $vgpr39
	s_and_saveexec_b64 s[28:29], vcc
	s_cbranch_execz .LBB134_120
; %bb.111:                              ;   in Loop: Header=BB134_32 Depth=1
	v_mov_b32_e32 v9, v1
	v_mov_b32_e32 v2, v24
	;; [unrolled: 1-line block ×3, first 2 shown]
                                        ; implicit-def: $sgpr34_sgpr35
	s_branch .LBB134_115
.LBB134_112:                            ;   in Loop: Header=BB134_115 Depth=2
	s_or_b64 exec, exec, s[36:37]
	s_waitcnt lgkmcnt(0)
	s_barrier
	ds_read_b32 v10, v3 offset:3072
	s_waitcnt lgkmcnt(0)
	s_barrier
	v_cmp_neq_f16_e32 vcc, 0, v10
	s_cbranch_vccnz .LBB134_118
; %bb.113:                              ;   in Loop: Header=BB134_115 Depth=2
	v_add_co_u32_e32 v8, vcc, s76, v8
	v_addc_co_u32_e32 v9, vcc, 0, v9, vcc
	v_cmp_le_u64_e32 vcc, s[30:31], v[8:9]
	v_add_u32_e32 v2, s38, v2
	s_mov_b64 s[36:37], 0
	s_orn2_b64 s[40:41], vcc, exec
.LBB134_114:                            ;   in Loop: Header=BB134_115 Depth=2
	s_and_b64 s[40:41], exec, s[40:41]
	s_or_b64 s[20:21], s[40:41], s[20:21]
	s_andn2_b64 s[34:35], s[34:35], exec
	s_and_b64 s[36:37], s[36:37], exec
	s_or_b64 s[34:35], s[34:35], s[36:37]
	s_andn2_b64 exec, exec, s[20:21]
	s_cbranch_execz .LBB134_119
.LBB134_115:                            ;   Parent Loop BB134_32 Depth=1
                                        ; =>  This Inner Loop Header: Depth=2
	v_cmp_gt_u64_e32 vcc, s[24:25], v[8:9]
	s_and_saveexec_b64 s[36:37], vcc
	s_cbranch_execz .LBB134_112
; %bb.116:                              ;   in Loop: Header=BB134_115 Depth=2
	ds_read_u16 v10, v2
	s_waitcnt lgkmcnt(0)
	v_cmp_lt_i16_e32 vcc, -1, v10
	v_cndmask_b32_e32 v11, v33, v34, vcc
	v_xor_b32_sdwa v11, v11, v10 dst_sel:DWORD dst_unused:UNUSED_PAD src0_sel:DWORD src1_sel:WORD_0
	v_cmp_o_f16_e32 vcc, v10, v10
	v_cndmask_b32_e32 v11, v33, v11, vcc
	v_and_b32_e32 v11, v11, v38
	v_cmp_eq_u32_e32 vcc, v11, v30
	s_and_b64 exec, exec, vcc
	s_cbranch_execz .LBB134_112
; %bb.117:                              ;   in Loop: Header=BB134_115 Depth=2
	v_perm_b32 v10, v10, s39, v37
	ds_write_b32 v3, v10 offset:3072
	s_branch .LBB134_112
.LBB134_118:                            ;   in Loop: Header=BB134_115 Depth=2
	s_mov_b64 s[40:41], -1
                                        ; implicit-def: $vgpr8_vgpr9
                                        ; implicit-def: $vgpr2
	s_mov_b64 s[36:37], -1
	s_branch .LBB134_114
.LBB134_119:                            ;   in Loop: Header=BB134_32 Depth=1
	s_or_b64 exec, exec, s[20:21]
	v_lshrrev_b32_e32 v39, 16, v10
	s_and_b64 s[20:21], s[34:35], exec
.LBB134_120:                            ;   in Loop: Header=BB134_32 Depth=1
	s_or_b64 exec, exec, s[28:29]
.LBB134_121:                            ;   in Loop: Header=BB134_32 Depth=1
	s_and_b64 vcc, exec, s[26:27]
	s_cbranch_vccz .LBB134_136
; %bb.122:                              ;   in Loop: Header=BB134_32 Depth=1
	s_mov_b32 s68, s95
	s_cmp_lg_u64 s[68:69], 0
	s_cbranch_scc0 .LBB134_168
; %bb.123:                              ;   in Loop: Header=BB134_32 Depth=1
	v_cvt_f32_u32_e32 v2, s76
	s_sub_u32 s8, 0, s76
	s_subb_u32 s9, 0, 0
	v_mac_f32_e32 v2, 0, v35
	v_rcp_f32_e32 v2, v2
	v_mul_f32_e32 v2, 0x5f7ffffc, v2
	v_mul_f32_e32 v8, 0x2f800000, v2
	v_trunc_f32_e32 v8, v8
	v_mac_f32_e32 v2, 0xcf800000, v8
	v_cvt_u32_f32_e32 v8, v8
	v_cvt_u32_f32_e32 v2, v2
	v_readfirstlane_b32 s24, v8
	v_readfirstlane_b32 s0, v2
	s_mul_i32 s1, s8, s24
	s_mul_hi_u32 s26, s8, s0
	s_mul_i32 s25, s9, s0
	s_add_i32 s1, s26, s1
	s_mul_i32 s27, s8, s0
	s_add_i32 s1, s1, s25
	s_mul_hi_u32 s26, s0, s27
	s_mul_i32 s28, s0, s1
	s_mul_hi_u32 s25, s0, s1
	s_add_u32 s26, s26, s28
	s_addc_u32 s25, 0, s25
	s_mul_hi_u32 s29, s24, s27
	s_mul_i32 s27, s24, s27
	s_add_u32 s26, s26, s27
	s_mul_hi_u32 s28, s24, s1
	s_addc_u32 s25, s25, s29
	s_addc_u32 s26, s28, 0
	s_mul_i32 s1, s24, s1
	s_add_u32 s1, s25, s1
	s_addc_u32 s25, 0, s26
	s_add_u32 s26, s0, s1
	s_cselect_b64 s[0:1], -1, 0
	s_cmp_lg_u64 s[0:1], 0
	s_addc_u32 s24, s24, s25
	s_mul_i32 s0, s8, s24
	s_mul_hi_u32 s1, s8, s26
	s_add_i32 s0, s1, s0
	s_mul_i32 s9, s9, s26
	s_add_i32 s0, s0, s9
	s_mul_i32 s8, s8, s26
	s_mul_hi_u32 s9, s24, s8
	s_mul_i32 s25, s24, s8
	s_mul_i32 s28, s26, s0
	s_mul_hi_u32 s8, s26, s8
	s_mul_hi_u32 s27, s26, s0
	s_add_u32 s8, s8, s28
	s_addc_u32 s27, 0, s27
	s_add_u32 s8, s8, s25
	s_mul_hi_u32 s1, s24, s0
	s_addc_u32 s8, s27, s9
	s_addc_u32 s1, s1, 0
	s_mul_i32 s0, s24, s0
	s_add_u32 s0, s8, s0
	s_addc_u32 s8, 0, s1
	s_add_u32 s9, s26, s0
	s_cselect_b64 s[0:1], -1, 0
	s_cmp_lg_u64 s[0:1], 0
	s_addc_u32 s0, s24, s8
	s_mul_i32 s8, s2, s0
	s_mul_hi_u32 s24, s2, s9
	s_mul_hi_u32 s1, s2, s0
	s_add_u32 s8, s24, s8
	s_addc_u32 s1, 0, s1
	s_mul_hi_u32 s25, s69, s9
	s_mul_i32 s9, s69, s9
	s_add_u32 s8, s8, s9
	s_mul_hi_u32 s24, s69, s0
	s_addc_u32 s1, s1, s25
	s_addc_u32 s8, s24, 0
	s_mul_i32 s0, s69, s0
	s_add_u32 s0, s1, s0
	s_addc_u32 s1, 0, s8
	s_mul_i32 s1, s76, s1
	s_mul_hi_u32 s8, s76, s0
	s_add_i32 s8, s8, s1
	s_mul_i32 s0, s76, s0
	s_sub_u32 s9, s2, s0
	s_cselect_b64 s[0:1], -1, 0
	s_cmp_lg_u64 s[0:1], 0
	s_subb_u32 s8, s69, s8
	s_sub_u32 s24, s9, s76
	s_cselect_b64 s[0:1], -1, 0
	s_cmp_lg_u64 s[0:1], 0
	s_subb_u32 s25, s8, 0
	;; [unrolled: 4-line block ×3, first 2 shown]
	s_cmp_ge_u32 s24, s76
	s_cselect_b32 s1, -1, 0
	s_cmp_eq_u32 s25, 0
	s_cselect_b32 s1, s1, -1
	s_cmp_lg_u32 s1, 0
	s_cselect_b32 s0, s0, s25
	s_cselect_b32 s24, s26, s24
	s_cmp_ge_u32 s9, s76
	s_cselect_b32 s1, -1, 0
	s_cmp_eq_u32 s8, 0
	s_cselect_b32 s1, s1, -1
	s_cmp_lg_u32 s1, 0
	s_cselect_b32 s1, s0, s8
	s_cselect_b32 s0, s24, s9
	s_cbranch_execnz .LBB134_125
.LBB134_124:                            ;   in Loop: Header=BB134_32 Depth=1
	v_cvt_f32_u32_e32 v2, s76
	s_sub_i32 s0, 0, s76
	v_rcp_iflag_f32_e32 v2, v2
	v_mul_f32_e32 v2, 0x4f7ffffe, v2
	v_cvt_u32_f32_e32 v2, v2
	v_readfirstlane_b32 s1, v2
	s_mul_i32 s0, s0, s1
	s_mul_hi_u32 s0, s1, s0
	s_add_i32 s1, s1, s0
	s_mul_hi_u32 s0, s2, s1
	s_mul_i32 s0, s0, s76
	s_sub_i32 s0, s2, s0
	s_sub_i32 s1, s0, s76
	s_cmp_ge_u32 s0, s76
	s_cselect_b32 s0, s1, s0
	s_sub_i32 s1, s0, s76
	s_cmp_ge_u32 s0, s76
	s_cselect_b32 s94, s1, s0
	s_mov_b64 s[0:1], s[94:95]
.LBB134_125:                            ;   in Loop: Header=BB134_32 Depth=1
	s_sub_u32 s8, s2, s0
	s_subb_u32 s9, s69, s1
	v_cmp_gt_u64_e32 vcc, s[8:9], v[0:1]
                                        ; implicit-def: $vgpr39
	s_and_saveexec_b64 s[0:1], vcc
	s_cbranch_execz .LBB134_135
; %bb.126:                              ;   in Loop: Header=BB134_32 Depth=1
	v_mov_b32_e32 v9, v1
	s_mov_b64 s[24:25], 0
	v_mov_b32_e32 v8, v0
                                        ; implicit-def: $sgpr26_sgpr27
	s_branch .LBB134_130
.LBB134_127:                            ;   in Loop: Header=BB134_130 Depth=2
	s_or_b64 exec, exec, s[28:29]
	s_waitcnt lgkmcnt(0)
	s_barrier
	ds_read_b32 v2, v3 offset:3072
	s_waitcnt lgkmcnt(0)
	s_barrier
	v_cmp_neq_f16_e32 vcc, 0, v2
	s_cbranch_vccnz .LBB134_133
; %bb.128:                              ;   in Loop: Header=BB134_130 Depth=2
	v_add_co_u32_e32 v8, vcc, s76, v8
	v_addc_co_u32_e32 v9, vcc, 0, v9, vcc
	v_cmp_le_u64_e32 vcc, s[8:9], v[8:9]
	s_mov_b64 s[28:29], 0
	s_orn2_b64 s[30:31], vcc, exec
.LBB134_129:                            ;   in Loop: Header=BB134_130 Depth=2
	s_and_b64 s[30:31], exec, s[30:31]
	s_or_b64 s[24:25], s[30:31], s[24:25]
	s_andn2_b64 s[26:27], s[26:27], exec
	s_and_b64 s[28:29], s[28:29], exec
	s_or_b64 s[26:27], s[26:27], s[28:29]
	s_andn2_b64 exec, exec, s[24:25]
	s_cbranch_execz .LBB134_134
.LBB134_130:                            ;   Parent Loop BB134_32 Depth=1
                                        ; =>  This Inner Loop Header: Depth=2
	v_cmp_gt_u64_e32 vcc, s[56:57], v[8:9]
	s_and_saveexec_b64 s[28:29], vcc
	s_cbranch_execz .LBB134_127
; %bb.131:                              ;   in Loop: Header=BB134_130 Depth=2
	v_mul_lo_u32 v2, v9, s80
	v_mul_lo_u32 v21, v8, s81
	v_mad_u64_u32 v[10:11], s[30:31], v8, s80, 0
	v_add3_u32 v11, v11, v21, v2
	v_lshlrev_b64 v[10:11], 1, v[10:11]
	v_mov_b32_e32 v2, s77
	v_add_co_u32_e32 v10, vcc, s33, v10
	v_addc_co_u32_e32 v11, vcc, v2, v11, vcc
	global_load_ushort v2, v[10:11], off
	s_waitcnt vmcnt(0)
	v_cmp_lt_i16_e32 vcc, -1, v2
	v_cndmask_b32_e32 v10, v33, v34, vcc
	v_xor_b32_sdwa v10, v10, v2 dst_sel:DWORD dst_unused:UNUSED_PAD src0_sel:DWORD src1_sel:WORD_0
	v_cmp_o_f16_e32 vcc, v2, v2
	v_cndmask_b32_e32 v10, v33, v10, vcc
	v_and_b32_e32 v10, v10, v38
	v_cmp_eq_u32_e32 vcc, v10, v30
	s_and_b64 exec, exec, vcc
	s_cbranch_execz .LBB134_127
; %bb.132:                              ;   in Loop: Header=BB134_130 Depth=2
	v_perm_b32 v2, v2, s39, v37
	ds_write_b32 v3, v2 offset:3072
	s_branch .LBB134_127
.LBB134_133:                            ;   in Loop: Header=BB134_130 Depth=2
	s_mov_b64 s[30:31], -1
                                        ; implicit-def: $vgpr8_vgpr9
	s_mov_b64 s[28:29], -1
	s_branch .LBB134_129
.LBB134_134:                            ;   in Loop: Header=BB134_32 Depth=1
	s_or_b64 exec, exec, s[24:25]
	s_andn2_b64 s[8:9], s[20:21], exec
	s_and_b64 s[20:21], s[26:27], exec
	v_lshrrev_b32_e32 v39, 16, v2
	s_or_b64 s[20:21], s[8:9], s[20:21]
.LBB134_135:                            ;   in Loop: Header=BB134_32 Depth=1
	s_or_b64 exec, exec, s[0:1]
	s_mov_b64 s[0:1], 0
	s_mov_b64 s[8:9], -1
.LBB134_136:                            ;   in Loop: Header=BB134_32 Depth=1
	s_orn2_b64 s[20:21], s[20:21], exec
.LBB134_137:                            ;   in Loop: Header=BB134_32 Depth=1
	s_or_b64 exec, exec, s[16:17]
	s_andn2_b64 s[16:17], s[58:59], exec
	s_and_b64 s[8:9], s[8:9], exec
	s_or_b64 s[58:59], s[16:17], s[8:9]
	s_andn2_b64 s[8:9], s[84:85], exec
	s_and_b64 s[0:1], s[0:1], exec
	s_andn2_b64 s[74:75], s[74:75], exec
	s_or_b64 s[84:85], s[8:9], s[0:1]
                                        ; implicit-def: $vgpr8_vgpr9
	s_and_saveexec_b64 s[16:17], s[20:21]
	s_cbranch_execz .LBB134_31
; %bb.138:                              ;   in Loop: Header=BB134_32 Depth=1
	v_mov_b32_e32 v8, 1
	s_xor_b64 s[6:7], s[18:19], -1
	v_mov_b32_e32 v2, 1
	v_mov_b32_e32 v9, 0
	s_mov_b64 s[8:9], 0
	s_and_saveexec_b64 s[0:1], s[6:7]
	s_cbranch_execz .LBB134_147
; %bb.139:                              ;   in Loop: Header=BB134_32 Depth=1
	v_cmp_le_u64_e32 vcc, v[19:20], v[4:5]
	s_and_saveexec_b64 s[6:7], vcc
	s_xor_b64 s[6:7], exec, s[6:7]
	s_cbranch_execz .LBB134_144
; %bb.140:                              ;   in Loop: Header=BB134_32 Depth=1
	ds_read_b64 v[8:9], v3 offset:5120
	v_and_b32_e32 v30, s54, v30
	v_or_b32_e32 v38, s64, v38
	s_waitcnt lgkmcnt(0)
	v_cmp_ne_u64_e32 vcc, 0, v[8:9]
	s_cbranch_vccnz .LBB134_144
; %bb.141:                              ;   in Loop: Header=BB134_32 Depth=1
	s_mov_b64 s[8:9], exec
	v_readlane_b32 s18, v52, 36
	v_readlane_b32 s19, v52, 37
	s_and_b64 s[18:19], s[8:9], s[18:19]
	s_mov_b64 exec, s[18:19]
; %bb.142:                              ;   in Loop: Header=BB134_32 Depth=1
	ds_write_b64 v3, v[4:5] offset:5128
; %bb.143:                              ;   in Loop: Header=BB134_32 Depth=1
	s_or_b64 exec, exec, s[8:9]
	s_waitcnt lgkmcnt(0)
	s_barrier
.LBB134_144:                            ;   in Loop: Header=BB134_32 Depth=1
	s_or_saveexec_b64 s[6:7], s[6:7]
	s_mov_b64 s[8:9], 0
	v_mov_b32_e32 v2, 8
	s_xor_b64 exec, exec, s[6:7]
; %bb.145:                              ;   in Loop: Header=BB134_32 Depth=1
	v_sub_co_u32_e32 v19, vcc, v19, v4
	v_subb_co_u32_e32 v20, vcc, v20, v5, vcc
	v_mov_b32_e32 v2, 0
	s_mov_b64 s[8:9], exec
; %bb.146:                              ;   in Loop: Header=BB134_32 Depth=1
	s_or_b64 exec, exec, s[6:7]
	v_mov_b32_e32 v8, v19
	s_and_b64 s[8:9], s[8:9], exec
	v_mov_b32_e32 v9, v20
.LBB134_147:                            ;   in Loop: Header=BB134_32 Depth=1
	s_or_b64 exec, exec, s[0:1]
	s_mov_b64 s[18:19], -1
	s_mov_b64 s[0:1], -1
                                        ; implicit-def: $sgpr6_sgpr7
                                        ; implicit-def: $sgpr24_sgpr25
	s_and_saveexec_b64 s[20:21], s[8:9]
	s_xor_b64 s[20:21], exec, s[20:21]
	s_cbranch_execz .LBB134_298
; %bb.148:                              ;   in Loop: Header=BB134_32 Depth=1
	v_cmp_eq_u64_e32 vcc, 1, v[6:7]
	v_cmp_eq_u64_e64 s[6:7], 1, v[8:9]
                                        ; implicit-def: $sgpr24_sgpr25
	s_and_b64 s[28:29], vcc, s[6:7]
                                        ; implicit-def: $sgpr6_sgpr7
	s_and_saveexec_b64 s[26:27], s[28:29]
	s_cbranch_execz .LBB134_187
; %bb.149:                              ;   in Loop: Header=BB134_32 Depth=1
	ds_read_b64 v[4:5], v3 offset:5120
	s_waitcnt lgkmcnt(0)
	s_barrier
	v_readfirstlane_b32 s8, v4
	v_readfirstlane_b32 s9, v5
	s_mov_b64 s[0:1], exec
	v_readlane_b32 s6, v52, 38
	v_readlane_b32 s7, v52, 39
	s_and_b64 s[6:7], s[0:1], s[6:7]
	s_mov_b64 exec, s[6:7]
; %bb.150:                              ;   in Loop: Header=BB134_32 Depth=1
	ds_write_b16 v25, v3
; %bb.151:                              ;   in Loop: Header=BB134_32 Depth=1
	s_or_b64 exec, exec, s[0:1]
	v_and_b32_e32 v4, s54, v30
	v_lshl_or_b32 v30, 1, s86, v4
	v_or_b32_e32 v38, s64, v38
	s_mov_b64 s[6:7], -1
	s_mov_b64 s[24:25], 0
	s_cmp_eq_u64 s[8:9], 0
	s_mov_b64 s[0:1], 0
	s_mov_b64 s[30:31], -1
	s_waitcnt lgkmcnt(0)
	s_barrier
                                        ; implicit-def: $vgpr39
	s_cbranch_scc1 .LBB134_171
; %bb.152:                              ;   in Loop: Header=BB134_32 Depth=1
	v_readlane_b32 s0, v52, 44
	s_add_u32 s36, s8, s0
	v_readlane_b32 s0, v52, 45
	s_addc_u32 s1, s9, s0
	s_mov_b32 s0, s95
	s_cmp_lg_u64 s[0:1], 0
	s_cbranch_scc0 .LBB134_215
; %bb.153:                              ;   in Loop: Header=BB134_32 Depth=1
	v_cvt_f32_u32_e32 v4, s76
	s_sub_u32 s0, 0, s76
	s_subb_u32 s34, 0, 0
	v_mac_f32_e32 v4, 0, v35
	v_rcp_f32_e32 v4, v4
	v_mul_f32_e32 v4, 0x5f7ffffc, v4
	v_mul_f32_e32 v5, 0x2f800000, v4
	v_trunc_f32_e32 v5, v5
	v_mac_f32_e32 v4, 0xcf800000, v5
	v_cvt_u32_f32_e32 v5, v5
	v_cvt_u32_f32_e32 v4, v4
	v_readfirstlane_b32 s35, v5
	v_readfirstlane_b32 s30, v4
	s_mul_i32 s31, s0, s35
	s_mul_hi_u32 s40, s0, s30
	s_mul_i32 s37, s34, s30
	s_add_i32 s31, s40, s31
	s_mul_i32 s41, s0, s30
	s_add_i32 s31, s31, s37
	s_mul_hi_u32 s40, s30, s41
	s_mul_i32 s42, s30, s31
	s_mul_hi_u32 s37, s30, s31
	s_add_u32 s40, s40, s42
	s_addc_u32 s37, 0, s37
	s_mul_hi_u32 s43, s35, s41
	s_mul_i32 s41, s35, s41
	s_add_u32 s40, s40, s41
	s_mul_hi_u32 s42, s35, s31
	s_addc_u32 s37, s37, s43
	s_addc_u32 s40, s42, 0
	s_mul_i32 s31, s35, s31
	s_add_u32 s31, s37, s31
	s_addc_u32 s37, 0, s40
	s_add_u32 s40, s30, s31
	s_cselect_b64 s[30:31], -1, 0
	s_cmp_lg_u64 s[30:31], 0
	s_addc_u32 s35, s35, s37
	s_mul_i32 s30, s0, s35
	s_mul_hi_u32 s31, s0, s40
	s_add_i32 s30, s31, s30
	s_mul_i32 s34, s34, s40
	s_add_i32 s30, s30, s34
	s_mul_i32 s0, s0, s40
	s_mul_hi_u32 s34, s35, s0
	s_mul_i32 s37, s35, s0
	s_mul_i32 s42, s40, s30
	s_mul_hi_u32 s0, s40, s0
	s_mul_hi_u32 s41, s40, s30
	s_add_u32 s0, s0, s42
	s_addc_u32 s41, 0, s41
	s_add_u32 s0, s0, s37
	s_mul_hi_u32 s31, s35, s30
	s_addc_u32 s0, s41, s34
	s_addc_u32 s31, s31, 0
	s_mul_i32 s30, s35, s30
	s_add_u32 s0, s0, s30
	s_addc_u32 s34, 0, s31
	s_add_u32 s0, s40, s0
	s_cselect_b64 s[30:31], -1, 0
	s_cmp_lg_u64 s[30:31], 0
	s_addc_u32 s30, s35, s34
	s_mul_i32 s34, s36, s30
	s_mul_hi_u32 s35, s36, s0
	s_mul_hi_u32 s31, s36, s30
	s_add_u32 s34, s35, s34
	s_addc_u32 s31, 0, s31
	s_mul_hi_u32 s37, s1, s0
	s_mul_i32 s0, s1, s0
	s_add_u32 s0, s34, s0
	s_mul_hi_u32 s35, s1, s30
	s_addc_u32 s0, s31, s37
	s_addc_u32 s31, s35, 0
	s_mul_i32 s30, s1, s30
	s_add_u32 s0, s0, s30
	s_addc_u32 s30, 0, s31
	s_mul_i32 s30, s76, s30
	s_mul_hi_u32 s31, s76, s0
	s_add_i32 s34, s31, s30
	s_mul_i32 s0, s76, s0
	s_sub_u32 s0, s36, s0
	s_cselect_b64 s[30:31], -1, 0
	s_cmp_lg_u64 s[30:31], 0
	s_subb_u32 s34, s1, s34
	s_sub_u32 s35, s0, s76
	s_cselect_b64 s[30:31], -1, 0
	s_cmp_lg_u64 s[30:31], 0
	s_subb_u32 s37, s34, 0
	;; [unrolled: 4-line block ×3, first 2 shown]
	s_cmp_ge_u32 s35, s76
	s_cselect_b32 s31, -1, 0
	s_cmp_eq_u32 s37, 0
	s_cselect_b32 s31, s31, -1
	s_cmp_lg_u32 s31, 0
	s_cselect_b32 s30, s30, s37
	s_cselect_b32 s35, s40, s35
	s_cmp_ge_u32 s0, s76
	s_cselect_b32 s31, -1, 0
	s_cmp_eq_u32 s34, 0
	s_cselect_b32 s31, s31, -1
	s_cmp_lg_u32 s31, 0
	s_cselect_b32 s31, s30, s34
	s_cselect_b32 s30, s35, s0
	s_cbranch_execnz .LBB134_155
.LBB134_154:                            ;   in Loop: Header=BB134_32 Depth=1
	v_cvt_f32_u32_e32 v4, s76
	s_sub_i32 s0, 0, s76
	v_rcp_iflag_f32_e32 v4, v4
	v_mul_f32_e32 v4, 0x4f7ffffe, v4
	v_cvt_u32_f32_e32 v4, v4
	v_readfirstlane_b32 s30, v4
	s_mul_i32 s0, s0, s30
	s_mul_hi_u32 s0, s30, s0
	s_add_i32 s30, s30, s0
	s_mul_hi_u32 s0, s36, s30
	s_mul_i32 s0, s0, s76
	s_sub_i32 s0, s36, s0
	s_sub_i32 s30, s0, s76
	s_cmp_ge_u32 s0, s76
	s_cselect_b32 s0, s30, s0
	s_sub_i32 s30, s0, s76
	s_cmp_ge_u32 s0, s76
	s_cselect_b32 s94, s30, s0
	s_mov_b64 s[30:31], s[94:95]
.LBB134_155:                            ;   in Loop: Header=BB134_32 Depth=1
	s_sub_u32 s36, s36, s30
	s_subb_u32 s37, s1, s31
	v_cmp_gt_u64_e32 vcc, s[36:37], v[0:1]
	s_mov_b64 s[30:31], 0
	s_mov_b64 s[0:1], 0
                                        ; implicit-def: $vgpr39
	s_and_saveexec_b64 s[34:35], vcc
	s_cbranch_execz .LBB134_170
; %bb.156:                              ;   in Loop: Header=BB134_32 Depth=1
	v_mov_b32_e32 v5, v1
	v_mov_b32_e32 v10, v24
	;; [unrolled: 1-line block ×3, first 2 shown]
                                        ; implicit-def: $sgpr40_sgpr41
	s_branch .LBB134_160
.LBB134_157:                            ;   in Loop: Header=BB134_160 Depth=2
	s_or_b64 exec, exec, s[42:43]
	s_waitcnt lgkmcnt(0)
	s_barrier
	ds_read_b32 v11, v3 offset:3072
	s_waitcnt lgkmcnt(0)
	s_barrier
	v_cmp_neq_f16_e32 vcc, 0, v11
	s_cbranch_vccnz .LBB134_163
; %bb.158:                              ;   in Loop: Header=BB134_160 Depth=2
	v_add_co_u32_e32 v4, vcc, s76, v4
	v_addc_co_u32_e32 v5, vcc, 0, v5, vcc
	v_cmp_le_u64_e32 vcc, s[36:37], v[4:5]
	v_add_u32_e32 v10, s38, v10
	s_mov_b64 s[42:43], 0
	s_orn2_b64 s[44:45], vcc, exec
.LBB134_159:                            ;   in Loop: Header=BB134_160 Depth=2
	s_and_b64 s[44:45], exec, s[44:45]
	s_or_b64 s[0:1], s[44:45], s[0:1]
	s_andn2_b64 s[40:41], s[40:41], exec
	s_and_b64 s[42:43], s[42:43], exec
	s_or_b64 s[40:41], s[40:41], s[42:43]
	s_andn2_b64 exec, exec, s[0:1]
	s_cbranch_execz .LBB134_169
.LBB134_160:                            ;   Parent Loop BB134_32 Depth=1
                                        ; =>  This Inner Loop Header: Depth=2
	v_cmp_gt_u64_e32 vcc, s[8:9], v[4:5]
	s_and_saveexec_b64 s[42:43], vcc
	s_cbranch_execz .LBB134_157
; %bb.161:                              ;   in Loop: Header=BB134_160 Depth=2
	ds_read_u16 v11, v10
	s_waitcnt lgkmcnt(0)
	v_cmp_lt_i16_e32 vcc, -1, v11
	v_cndmask_b32_e32 v19, v33, v34, vcc
	v_xor_b32_sdwa v19, v19, v11 dst_sel:DWORD dst_unused:UNUSED_PAD src0_sel:DWORD src1_sel:WORD_0
	v_cmp_o_f16_e32 vcc, v11, v11
	v_cndmask_b32_e32 v19, v33, v19, vcc
	v_and_b32_e32 v19, v19, v38
	v_cmp_eq_u32_e32 vcc, v19, v30
	s_and_b64 exec, exec, vcc
	s_cbranch_execz .LBB134_157
; %bb.162:                              ;   in Loop: Header=BB134_160 Depth=2
	v_perm_b32 v11, v11, s39, v37
	ds_write_b32 v3, v11 offset:3072
	s_branch .LBB134_157
.LBB134_163:                            ;   in Loop: Header=BB134_160 Depth=2
	s_mov_b64 s[44:45], -1
                                        ; implicit-def: $vgpr4_vgpr5
                                        ; implicit-def: $vgpr10
	s_mov_b64 s[42:43], -1
	s_branch .LBB134_159
.LBB134_164:                            ;   in Loop: Header=BB134_32 Depth=1
                                        ; implicit-def: $sgpr26_sgpr27
	s_branch .LBB134_109
.LBB134_165:                            ;   in Loop: Header=BB134_32 Depth=1
	s_or_b64 exec, exec, s[8:9]
	s_waitcnt lgkmcnt(0)
	s_barrier
	s_mov_b64 s[6:7], exec
	v_readlane_b32 s8, v52, 36
	v_readlane_b32 s9, v52, 37
	s_and_b64 s[8:9], s[6:7], s[8:9]
	s_mov_b64 exec, s[8:9]
	s_cbranch_execz .LBB134_167
; %bb.166:                              ;   in Loop: Header=BB134_32 Depth=1
	ds_read_b32 v4, v3 offset:5144
	s_waitcnt lgkmcnt(0)
	v_ashrrev_i32_e32 v5, 31, v4
	ds_write_b64 v3, v[4:5] offset:5120
.LBB134_167:                            ;   in Loop: Header=BB134_32 Depth=1
	s_or_b64 exec, exec, s[6:7]
	s_waitcnt lgkmcnt(0)
	s_barrier
	s_mov_b64 s[6:7], -1
	s_and_b64 vcc, exec, s[0:1]
	s_cbranch_vccnz .LBB134_47
	s_branch .LBB134_62
.LBB134_168:                            ;   in Loop: Header=BB134_32 Depth=1
                                        ; implicit-def: $sgpr0_sgpr1
	s_branch .LBB134_124
.LBB134_169:                            ;   in Loop: Header=BB134_32 Depth=1
	s_or_b64 exec, exec, s[0:1]
	v_lshrrev_b32_e32 v39, 16, v11
	s_and_b64 s[0:1], s[40:41], exec
.LBB134_170:                            ;   in Loop: Header=BB134_32 Depth=1
	s_or_b64 exec, exec, s[34:35]
.LBB134_171:                            ;   in Loop: Header=BB134_32 Depth=1
	s_and_b64 vcc, exec, s[30:31]
	s_cbranch_vccz .LBB134_186
; %bb.172:                              ;   in Loop: Header=BB134_32 Depth=1
	s_mov_b32 s68, s95
	s_cmp_lg_u64 s[68:69], 0
	s_cbranch_scc0 .LBB134_216
; %bb.173:                              ;   in Loop: Header=BB134_32 Depth=1
	v_cvt_f32_u32_e32 v4, s76
	s_sub_u32 s8, 0, s76
	s_subb_u32 s9, 0, 0
	v_mac_f32_e32 v4, 0, v35
	v_rcp_f32_e32 v4, v4
	v_mul_f32_e32 v4, 0x5f7ffffc, v4
	v_mul_f32_e32 v5, 0x2f800000, v4
	v_trunc_f32_e32 v5, v5
	v_mac_f32_e32 v4, 0xcf800000, v5
	v_cvt_u32_f32_e32 v5, v5
	v_cvt_u32_f32_e32 v4, v4
	v_readfirstlane_b32 s24, v5
	v_readfirstlane_b32 s6, v4
	s_mul_i32 s7, s8, s24
	s_mul_hi_u32 s30, s8, s6
	s_mul_i32 s25, s9, s6
	s_add_i32 s7, s30, s7
	s_mul_i32 s31, s8, s6
	s_add_i32 s7, s7, s25
	s_mul_hi_u32 s30, s6, s31
	s_mul_i32 s34, s6, s7
	s_mul_hi_u32 s25, s6, s7
	s_add_u32 s30, s30, s34
	s_addc_u32 s25, 0, s25
	s_mul_hi_u32 s35, s24, s31
	s_mul_i32 s31, s24, s31
	s_add_u32 s30, s30, s31
	s_mul_hi_u32 s34, s24, s7
	s_addc_u32 s25, s25, s35
	s_addc_u32 s30, s34, 0
	s_mul_i32 s7, s24, s7
	s_add_u32 s7, s25, s7
	s_addc_u32 s25, 0, s30
	s_add_u32 s30, s6, s7
	s_cselect_b64 s[6:7], -1, 0
	s_cmp_lg_u64 s[6:7], 0
	s_addc_u32 s24, s24, s25
	s_mul_i32 s6, s8, s24
	s_mul_hi_u32 s7, s8, s30
	s_add_i32 s6, s7, s6
	s_mul_i32 s9, s9, s30
	s_add_i32 s6, s6, s9
	s_mul_i32 s8, s8, s30
	s_mul_hi_u32 s9, s24, s8
	s_mul_i32 s25, s24, s8
	s_mul_i32 s34, s30, s6
	s_mul_hi_u32 s8, s30, s8
	s_mul_hi_u32 s31, s30, s6
	s_add_u32 s8, s8, s34
	s_addc_u32 s31, 0, s31
	s_add_u32 s8, s8, s25
	s_mul_hi_u32 s7, s24, s6
	s_addc_u32 s8, s31, s9
	s_addc_u32 s7, s7, 0
	s_mul_i32 s6, s24, s6
	s_add_u32 s6, s8, s6
	s_addc_u32 s8, 0, s7
	s_add_u32 s9, s30, s6
	s_cselect_b64 s[6:7], -1, 0
	s_cmp_lg_u64 s[6:7], 0
	s_addc_u32 s6, s24, s8
	s_mul_i32 s8, s2, s6
	s_mul_hi_u32 s24, s2, s9
	s_mul_hi_u32 s7, s2, s6
	s_add_u32 s8, s24, s8
	s_addc_u32 s7, 0, s7
	s_mul_hi_u32 s25, s69, s9
	s_mul_i32 s9, s69, s9
	s_add_u32 s8, s8, s9
	s_mul_hi_u32 s24, s69, s6
	s_addc_u32 s7, s7, s25
	s_addc_u32 s8, s24, 0
	s_mul_i32 s6, s69, s6
	s_add_u32 s6, s7, s6
	s_addc_u32 s7, 0, s8
	s_mul_i32 s7, s76, s7
	s_mul_hi_u32 s8, s76, s6
	s_add_i32 s8, s8, s7
	s_mul_i32 s6, s76, s6
	s_sub_u32 s9, s2, s6
	s_cselect_b64 s[6:7], -1, 0
	s_cmp_lg_u64 s[6:7], 0
	s_subb_u32 s8, s69, s8
	s_sub_u32 s24, s9, s76
	s_cselect_b64 s[6:7], -1, 0
	s_cmp_lg_u64 s[6:7], 0
	s_subb_u32 s25, s8, 0
	;; [unrolled: 4-line block ×3, first 2 shown]
	s_cmp_ge_u32 s24, s76
	s_cselect_b32 s7, -1, 0
	s_cmp_eq_u32 s25, 0
	s_cselect_b32 s7, s7, -1
	s_cmp_lg_u32 s7, 0
	s_cselect_b32 s6, s6, s25
	s_cselect_b32 s24, s30, s24
	s_cmp_ge_u32 s9, s76
	s_cselect_b32 s7, -1, 0
	s_cmp_eq_u32 s8, 0
	s_cselect_b32 s7, s7, -1
	s_cmp_lg_u32 s7, 0
	s_cselect_b32 s7, s6, s8
	s_cselect_b32 s6, s24, s9
	s_cbranch_execnz .LBB134_175
.LBB134_174:                            ;   in Loop: Header=BB134_32 Depth=1
	v_cvt_f32_u32_e32 v4, s76
	s_sub_i32 s6, 0, s76
	v_rcp_iflag_f32_e32 v4, v4
	v_mul_f32_e32 v4, 0x4f7ffffe, v4
	v_cvt_u32_f32_e32 v4, v4
	v_readfirstlane_b32 s7, v4
	s_mul_i32 s6, s6, s7
	s_mul_hi_u32 s6, s7, s6
	s_add_i32 s7, s7, s6
	s_mul_hi_u32 s6, s2, s7
	s_mul_i32 s6, s6, s76
	s_sub_i32 s6, s2, s6
	s_sub_i32 s7, s6, s76
	s_cmp_ge_u32 s6, s76
	s_cselect_b32 s6, s7, s6
	s_sub_i32 s7, s6, s76
	s_cmp_ge_u32 s6, s76
	s_cselect_b32 s94, s7, s6
	s_mov_b64 s[6:7], s[94:95]
.LBB134_175:                            ;   in Loop: Header=BB134_32 Depth=1
	s_sub_u32 s8, s2, s6
	s_subb_u32 s9, s69, s7
	v_cmp_gt_u64_e32 vcc, s[8:9], v[0:1]
                                        ; implicit-def: $vgpr39
	s_and_saveexec_b64 s[6:7], vcc
	s_cbranch_execz .LBB134_185
; %bb.176:                              ;   in Loop: Header=BB134_32 Depth=1
	v_mov_b32_e32 v5, v1
	s_mov_b64 s[24:25], 0
	v_mov_b32_e32 v4, v0
                                        ; implicit-def: $sgpr30_sgpr31
	s_branch .LBB134_180
.LBB134_177:                            ;   in Loop: Header=BB134_180 Depth=2
	s_or_b64 exec, exec, s[34:35]
	s_waitcnt lgkmcnt(0)
	s_barrier
	ds_read_b32 v10, v3 offset:3072
	s_waitcnt lgkmcnt(0)
	s_barrier
	v_cmp_eq_f16_e32 vcc, 0, v10
	s_cbranch_vccz .LBB134_183
; %bb.178:                              ;   in Loop: Header=BB134_180 Depth=2
	v_add_co_u32_e32 v4, vcc, s76, v4
	v_addc_co_u32_e32 v5, vcc, 0, v5, vcc
	v_cmp_le_u64_e32 vcc, s[8:9], v[4:5]
	s_mov_b64 s[34:35], 0
	s_orn2_b64 s[36:37], vcc, exec
.LBB134_179:                            ;   in Loop: Header=BB134_180 Depth=2
	s_and_b64 s[36:37], exec, s[36:37]
	s_or_b64 s[24:25], s[36:37], s[24:25]
	s_andn2_b64 s[30:31], s[30:31], exec
	s_and_b64 s[34:35], s[34:35], exec
	s_or_b64 s[30:31], s[30:31], s[34:35]
	s_andn2_b64 exec, exec, s[24:25]
	s_cbranch_execz .LBB134_184
.LBB134_180:                            ;   Parent Loop BB134_32 Depth=1
                                        ; =>  This Inner Loop Header: Depth=2
	v_cmp_gt_u64_e32 vcc, s[56:57], v[4:5]
	s_and_saveexec_b64 s[34:35], vcc
	s_cbranch_execz .LBB134_177
; %bb.181:                              ;   in Loop: Header=BB134_180 Depth=2
	v_mul_lo_u32 v19, v5, s80
	v_mul_lo_u32 v20, v4, s81
	v_mad_u64_u32 v[10:11], s[36:37], v4, s80, 0
	v_add3_u32 v11, v11, v20, v19
	v_lshlrev_b64 v[10:11], 1, v[10:11]
	v_mov_b32_e32 v19, s77
	v_add_co_u32_e32 v10, vcc, s33, v10
	v_addc_co_u32_e32 v11, vcc, v19, v11, vcc
	global_load_ushort v10, v[10:11], off
	s_waitcnt vmcnt(0)
	v_cmp_lt_i16_e32 vcc, -1, v10
	v_cndmask_b32_e32 v11, v33, v34, vcc
	v_xor_b32_sdwa v11, v11, v10 dst_sel:DWORD dst_unused:UNUSED_PAD src0_sel:DWORD src1_sel:WORD_0
	v_cmp_o_f16_e32 vcc, v10, v10
	v_cndmask_b32_e32 v11, v33, v11, vcc
	v_and_b32_e32 v11, v11, v38
	v_cmp_eq_u32_e32 vcc, v11, v30
	s_and_b64 exec, exec, vcc
	s_cbranch_execz .LBB134_177
; %bb.182:                              ;   in Loop: Header=BB134_180 Depth=2
	v_perm_b32 v10, v10, s39, v37
	ds_write_b32 v3, v10 offset:3072
	s_branch .LBB134_177
.LBB134_183:                            ;   in Loop: Header=BB134_180 Depth=2
	s_mov_b64 s[36:37], -1
                                        ; implicit-def: $vgpr4_vgpr5
	s_mov_b64 s[34:35], -1
	s_branch .LBB134_179
.LBB134_184:                            ;   in Loop: Header=BB134_32 Depth=1
	s_or_b64 exec, exec, s[24:25]
	s_andn2_b64 s[0:1], s[0:1], exec
	s_and_b64 s[8:9], s[30:31], exec
	v_lshrrev_b32_e32 v39, 16, v10
	s_or_b64 s[0:1], s[0:1], s[8:9]
.LBB134_185:                            ;   in Loop: Header=BB134_32 Depth=1
	s_or_b64 exec, exec, s[6:7]
	s_mov_b64 s[6:7], 0
	s_mov_b64 s[24:25], -1
.LBB134_186:                            ;   in Loop: Header=BB134_32 Depth=1
	s_orn2_b64 s[0:1], s[0:1], exec
.LBB134_187:                            ;   in Loop: Header=BB134_32 Depth=1
	s_or_b64 exec, exec, s[26:27]
	s_mov_b64 s[8:9], 0
	s_and_saveexec_b64 s[26:27], s[0:1]
	s_cbranch_execz .LBB134_297
; %bb.188:                              ;   in Loop: Header=BB134_32 Depth=1
	v_mov_b32_e32 v4, 1
	s_xor_b64 s[28:29], s[28:29], -1
	v_mov_b32_e32 v2, 1
	v_mov_b32_e32 v5, 0
	s_and_saveexec_b64 s[0:1], s[28:29]
	s_cbranch_execz .LBB134_198
; %bb.189:                              ;   in Loop: Header=BB134_32 Depth=1
	v_cmp_le_u64_e32 vcc, v[8:9], v[6:7]
	s_and_saveexec_b64 s[8:9], vcc
	s_xor_b64 s[8:9], exec, s[8:9]
	s_cbranch_execz .LBB134_195
; %bb.190:                              ;   in Loop: Header=BB134_32 Depth=1
	ds_read_b64 v[4:5], v3 offset:5120
	v_and_b32_e32 v2, s54, v30
	v_lshl_or_b32 v30, 1, s86, v2
	v_or_b32_e32 v38, s64, v38
	s_waitcnt lgkmcnt(0)
	v_cmp_ne_u64_e32 vcc, 0, v[4:5]
	s_cbranch_vccnz .LBB134_194
; %bb.191:                              ;   in Loop: Header=BB134_32 Depth=1
	s_mov_b64 s[28:29], exec
	v_readlane_b32 s30, v52, 36
	v_readlane_b32 s31, v52, 37
	s_and_b64 s[30:31], s[28:29], s[30:31]
	s_mov_b64 exec, s[30:31]
; %bb.192:                              ;   in Loop: Header=BB134_32 Depth=1
	ds_write_b64 v3, v[6:7] offset:5128
; %bb.193:                              ;   in Loop: Header=BB134_32 Depth=1
	s_or_b64 exec, exec, s[28:29]
	s_waitcnt lgkmcnt(0)
	s_barrier
.LBB134_194:                            ;   in Loop: Header=BB134_32 Depth=1
                                        ; implicit-def: $vgpr4_vgpr5_vgpr6_vgpr7
.LBB134_195:                            ;   in Loop: Header=BB134_32 Depth=1
	s_or_saveexec_b64 s[8:9], s[8:9]
	s_mov_b64 s[28:29], 0
	v_mov_b32_e32 v2, 8
	s_xor_b64 exec, exec, s[8:9]
; %bb.196:                              ;   in Loop: Header=BB134_32 Depth=1
	v_sub_co_u32_e32 v8, vcc, v8, v6
	v_subb_co_u32_e32 v9, vcc, v9, v7, vcc
	v_mov_b32_e32 v2, 0
	s_mov_b64 s[28:29], exec
; %bb.197:                              ;   in Loop: Header=BB134_32 Depth=1
	s_or_b64 exec, exec, s[8:9]
	v_mov_b32_e32 v4, v8
	s_and_b64 s[8:9], s[28:29], exec
	v_mov_b32_e32 v5, v9
.LBB134_198:                            ;   in Loop: Header=BB134_32 Depth=1
	s_or_b64 exec, exec, s[0:1]
	s_mov_b64 s[0:1], -1
                                        ; implicit-def: $sgpr30_sgpr31
                                        ; implicit-def: $sgpr34_sgpr35
	s_and_saveexec_b64 s[28:29], s[8:9]
	s_cbranch_execz .LBB134_296
; %bb.199:                              ;   in Loop: Header=BB134_32 Depth=1
	s_cmp_eq_u64 s[22:23], 1
	v_cmp_eq_u64_e32 vcc, 1, v[4:5]
	s_cselect_b64 s[0:1], -1, 0
	s_and_b64 s[40:41], s[0:1], vcc
	s_mov_b64 s[0:1], -1
                                        ; implicit-def: $sgpr34_sgpr35
                                        ; implicit-def: $sgpr30_sgpr31
	s_and_saveexec_b64 s[36:37], s[40:41]
	s_cbranch_execz .LBB134_235
; %bb.200:                              ;   in Loop: Header=BB134_32 Depth=1
	ds_read_b64 v[6:7], v3 offset:5120
	s_waitcnt lgkmcnt(0)
	s_barrier
	v_readfirstlane_b32 s8, v6
	v_readfirstlane_b32 s9, v7
	s_mov_b64 s[0:1], exec
	v_readlane_b32 s30, v52, 38
	v_readlane_b32 s31, v52, 39
	s_and_b64 s[30:31], s[0:1], s[30:31]
	s_mov_b64 exec, s[30:31]
; %bb.201:                              ;   in Loop: Header=BB134_32 Depth=1
	ds_write_b16 v25, v3
; %bb.202:                              ;   in Loop: Header=BB134_32 Depth=1
	s_or_b64 exec, exec, s[0:1]
	v_and_b32_e32 v6, s54, v30
	v_lshl_or_b32 v30, 2, s86, v6
	v_or_b32_e32 v38, s64, v38
	s_mov_b64 s[30:31], -1
	s_mov_b64 s[34:35], 0
	s_cmp_eq_u64 s[8:9], 0
	s_mov_b64 s[0:1], 0
	s_mov_b64 s[42:43], -1
	s_waitcnt lgkmcnt(0)
	s_barrier
                                        ; implicit-def: $vgpr39
	s_cbranch_scc1 .LBB134_219
; %bb.203:                              ;   in Loop: Header=BB134_32 Depth=1
	v_readlane_b32 s0, v52, 44
	s_add_u32 s46, s8, s0
	v_readlane_b32 s0, v52, 45
	s_addc_u32 s1, s9, s0
	s_mov_b32 s0, s95
	s_cmp_lg_u64 s[0:1], 0
	s_cbranch_scc0 .LBB134_262
; %bb.204:                              ;   in Loop: Header=BB134_32 Depth=1
	v_cvt_f32_u32_e32 v6, s76
	s_sub_u32 s0, 0, s76
	s_subb_u32 s44, 0, 0
	v_mac_f32_e32 v6, 0, v35
	v_rcp_f32_e32 v6, v6
	v_mul_f32_e32 v6, 0x5f7ffffc, v6
	v_mul_f32_e32 v7, 0x2f800000, v6
	v_trunc_f32_e32 v7, v7
	v_mac_f32_e32 v6, 0xcf800000, v7
	v_cvt_u32_f32_e32 v7, v7
	v_cvt_u32_f32_e32 v6, v6
	v_readfirstlane_b32 s45, v7
	v_readfirstlane_b32 s42, v6
	s_mul_i32 s43, s0, s45
	s_mul_hi_u32 s48, s0, s42
	s_mul_i32 s47, s44, s42
	s_add_i32 s43, s48, s43
	s_mul_i32 s49, s0, s42
	s_add_i32 s43, s43, s47
	s_mul_hi_u32 s48, s42, s49
	s_mul_i32 s50, s42, s43
	s_mul_hi_u32 s47, s42, s43
	s_add_u32 s48, s48, s50
	s_addc_u32 s47, 0, s47
	s_mul_hi_u32 s51, s45, s49
	s_mul_i32 s49, s45, s49
	s_add_u32 s48, s48, s49
	s_mul_hi_u32 s50, s45, s43
	s_addc_u32 s47, s47, s51
	s_addc_u32 s48, s50, 0
	s_mul_i32 s43, s45, s43
	s_add_u32 s43, s47, s43
	s_addc_u32 s47, 0, s48
	s_add_u32 s48, s42, s43
	s_cselect_b64 s[42:43], -1, 0
	s_cmp_lg_u64 s[42:43], 0
	s_addc_u32 s45, s45, s47
	s_mul_i32 s42, s0, s45
	s_mul_hi_u32 s43, s0, s48
	s_add_i32 s42, s43, s42
	s_mul_i32 s44, s44, s48
	s_add_i32 s42, s42, s44
	s_mul_i32 s0, s0, s48
	s_mul_hi_u32 s44, s45, s0
	s_mul_i32 s47, s45, s0
	s_mul_i32 s50, s48, s42
	s_mul_hi_u32 s0, s48, s0
	s_mul_hi_u32 s49, s48, s42
	s_add_u32 s0, s0, s50
	s_addc_u32 s49, 0, s49
	s_add_u32 s0, s0, s47
	s_mul_hi_u32 s43, s45, s42
	s_addc_u32 s0, s49, s44
	s_addc_u32 s43, s43, 0
	s_mul_i32 s42, s45, s42
	s_add_u32 s0, s0, s42
	s_addc_u32 s44, 0, s43
	s_add_u32 s0, s48, s0
	s_cselect_b64 s[42:43], -1, 0
	s_cmp_lg_u64 s[42:43], 0
	s_addc_u32 s42, s45, s44
	s_mul_i32 s44, s46, s42
	s_mul_hi_u32 s45, s46, s0
	s_mul_hi_u32 s43, s46, s42
	s_add_u32 s44, s45, s44
	s_addc_u32 s43, 0, s43
	s_mul_hi_u32 s47, s1, s0
	s_mul_i32 s0, s1, s0
	s_add_u32 s0, s44, s0
	s_mul_hi_u32 s45, s1, s42
	s_addc_u32 s0, s43, s47
	s_addc_u32 s43, s45, 0
	s_mul_i32 s42, s1, s42
	s_add_u32 s0, s0, s42
	s_addc_u32 s42, 0, s43
	s_mul_i32 s42, s76, s42
	s_mul_hi_u32 s43, s76, s0
	s_add_i32 s44, s43, s42
	s_mul_i32 s0, s76, s0
	s_sub_u32 s0, s46, s0
	s_cselect_b64 s[42:43], -1, 0
	s_cmp_lg_u64 s[42:43], 0
	s_subb_u32 s44, s1, s44
	s_sub_u32 s45, s0, s76
	s_cselect_b64 s[42:43], -1, 0
	s_cmp_lg_u64 s[42:43], 0
	s_subb_u32 s47, s44, 0
	;; [unrolled: 4-line block ×3, first 2 shown]
	s_cmp_ge_u32 s45, s76
	s_cselect_b32 s43, -1, 0
	s_cmp_eq_u32 s47, 0
	s_cselect_b32 s43, s43, -1
	s_cmp_lg_u32 s43, 0
	s_cselect_b32 s42, s42, s47
	s_cselect_b32 s45, s48, s45
	s_cmp_ge_u32 s0, s76
	s_cselect_b32 s43, -1, 0
	s_cmp_eq_u32 s44, 0
	s_cselect_b32 s43, s43, -1
	s_cmp_lg_u32 s43, 0
	s_cselect_b32 s43, s42, s44
	s_cselect_b32 s42, s45, s0
	s_cbranch_execnz .LBB134_206
.LBB134_205:                            ;   in Loop: Header=BB134_32 Depth=1
	v_cvt_f32_u32_e32 v6, s76
	s_sub_i32 s0, 0, s76
	v_rcp_iflag_f32_e32 v6, v6
	v_mul_f32_e32 v6, 0x4f7ffffe, v6
	v_cvt_u32_f32_e32 v6, v6
	v_readfirstlane_b32 s42, v6
	s_mul_i32 s0, s0, s42
	s_mul_hi_u32 s0, s42, s0
	s_add_i32 s42, s42, s0
	s_mul_hi_u32 s0, s46, s42
	s_mul_i32 s0, s0, s76
	s_sub_i32 s0, s46, s0
	s_sub_i32 s42, s0, s76
	s_cmp_ge_u32 s0, s76
	s_cselect_b32 s0, s42, s0
	s_sub_i32 s42, s0, s76
	s_cmp_ge_u32 s0, s76
	s_cselect_b32 s94, s42, s0
	s_mov_b64 s[42:43], s[94:95]
.LBB134_206:                            ;   in Loop: Header=BB134_32 Depth=1
	s_sub_u32 s46, s46, s42
	s_subb_u32 s47, s1, s43
	v_cmp_gt_u64_e32 vcc, s[46:47], v[0:1]
	s_mov_b64 s[42:43], 0
	s_mov_b64 s[0:1], 0
                                        ; implicit-def: $vgpr39
	s_and_saveexec_b64 s[44:45], vcc
	s_cbranch_execz .LBB134_218
; %bb.207:                              ;   in Loop: Header=BB134_32 Depth=1
	v_mov_b32_e32 v7, v1
	v_mov_b32_e32 v8, v24
	;; [unrolled: 1-line block ×3, first 2 shown]
                                        ; implicit-def: $sgpr48_sgpr49
	s_branch .LBB134_211
.LBB134_208:                            ;   in Loop: Header=BB134_211 Depth=2
	s_or_b64 exec, exec, s[50:51]
	s_waitcnt lgkmcnt(0)
	s_barrier
	ds_read_b32 v9, v3 offset:3072
	s_waitcnt lgkmcnt(0)
	s_barrier
	v_cmp_neq_f16_e32 vcc, 0, v9
	s_cbranch_vccnz .LBB134_214
; %bb.209:                              ;   in Loop: Header=BB134_211 Depth=2
	v_add_co_u32_e32 v6, vcc, s76, v6
	v_addc_co_u32_e32 v7, vcc, 0, v7, vcc
	v_cmp_le_u64_e32 vcc, s[46:47], v[6:7]
	v_add_u32_e32 v8, s38, v8
	s_mov_b64 s[50:51], 0
	s_orn2_b64 s[52:53], vcc, exec
.LBB134_210:                            ;   in Loop: Header=BB134_211 Depth=2
	s_and_b64 s[52:53], exec, s[52:53]
	s_or_b64 s[0:1], s[52:53], s[0:1]
	s_andn2_b64 s[48:49], s[48:49], exec
	s_and_b64 s[50:51], s[50:51], exec
	s_or_b64 s[48:49], s[48:49], s[50:51]
	s_andn2_b64 exec, exec, s[0:1]
	s_cbranch_execz .LBB134_217
.LBB134_211:                            ;   Parent Loop BB134_32 Depth=1
                                        ; =>  This Inner Loop Header: Depth=2
	v_cmp_gt_u64_e32 vcc, s[8:9], v[6:7]
	s_and_saveexec_b64 s[50:51], vcc
	s_cbranch_execz .LBB134_208
; %bb.212:                              ;   in Loop: Header=BB134_211 Depth=2
	ds_read_u16 v9, v8
	s_waitcnt lgkmcnt(0)
	v_cmp_lt_i16_e32 vcc, -1, v9
	v_cndmask_b32_e32 v10, v33, v34, vcc
	v_xor_b32_sdwa v10, v10, v9 dst_sel:DWORD dst_unused:UNUSED_PAD src0_sel:DWORD src1_sel:WORD_0
	v_cmp_o_f16_e32 vcc, v9, v9
	v_cndmask_b32_e32 v10, v33, v10, vcc
	v_and_b32_e32 v10, v10, v38
	v_cmp_eq_u32_e32 vcc, v10, v30
	s_and_b64 exec, exec, vcc
	s_cbranch_execz .LBB134_208
; %bb.213:                              ;   in Loop: Header=BB134_211 Depth=2
	v_perm_b32 v9, v9, s39, v37
	ds_write_b32 v3, v9 offset:3072
	s_branch .LBB134_208
.LBB134_214:                            ;   in Loop: Header=BB134_211 Depth=2
	s_mov_b64 s[52:53], -1
                                        ; implicit-def: $vgpr6_vgpr7
                                        ; implicit-def: $vgpr8
	s_mov_b64 s[50:51], -1
	s_branch .LBB134_210
.LBB134_215:                            ;   in Loop: Header=BB134_32 Depth=1
                                        ; implicit-def: $sgpr30_sgpr31
	s_branch .LBB134_154
.LBB134_216:                            ;   in Loop: Header=BB134_32 Depth=1
                                        ; implicit-def: $sgpr6_sgpr7
	s_branch .LBB134_174
.LBB134_217:                            ;   in Loop: Header=BB134_32 Depth=1
	s_or_b64 exec, exec, s[0:1]
	v_lshrrev_b32_e32 v39, 16, v9
	s_and_b64 s[0:1], s[48:49], exec
.LBB134_218:                            ;   in Loop: Header=BB134_32 Depth=1
	s_or_b64 exec, exec, s[44:45]
.LBB134_219:                            ;   in Loop: Header=BB134_32 Depth=1
	s_and_b64 vcc, exec, s[42:43]
	s_cbranch_vccz .LBB134_234
; %bb.220:                              ;   in Loop: Header=BB134_32 Depth=1
	s_mov_b32 s68, s95
	s_cmp_lg_u64 s[68:69], 0
	s_cbranch_scc0 .LBB134_263
; %bb.221:                              ;   in Loop: Header=BB134_32 Depth=1
	v_cvt_f32_u32_e32 v6, s76
	s_sub_u32 s30, 0, s76
	s_subb_u32 s31, 0, 0
	v_mac_f32_e32 v6, 0, v35
	v_rcp_f32_e32 v6, v6
	v_mul_f32_e32 v6, 0x5f7ffffc, v6
	v_mul_f32_e32 v7, 0x2f800000, v6
	v_trunc_f32_e32 v7, v7
	v_mac_f32_e32 v6, 0xcf800000, v7
	v_cvt_u32_f32_e32 v7, v7
	v_cvt_u32_f32_e32 v6, v6
	v_readfirstlane_b32 s34, v7
	v_readfirstlane_b32 s8, v6
	s_mul_i32 s9, s30, s34
	s_mul_hi_u32 s42, s30, s8
	s_mul_i32 s35, s31, s8
	s_add_i32 s9, s42, s9
	s_mul_i32 s43, s30, s8
	s_add_i32 s9, s9, s35
	s_mul_hi_u32 s42, s8, s43
	s_mul_i32 s44, s8, s9
	s_mul_hi_u32 s35, s8, s9
	s_add_u32 s42, s42, s44
	s_addc_u32 s35, 0, s35
	s_mul_hi_u32 s45, s34, s43
	s_mul_i32 s43, s34, s43
	s_add_u32 s42, s42, s43
	s_mul_hi_u32 s44, s34, s9
	s_addc_u32 s35, s35, s45
	s_addc_u32 s42, s44, 0
	s_mul_i32 s9, s34, s9
	s_add_u32 s9, s35, s9
	s_addc_u32 s35, 0, s42
	s_add_u32 s42, s8, s9
	s_cselect_b64 s[8:9], -1, 0
	s_cmp_lg_u64 s[8:9], 0
	s_addc_u32 s34, s34, s35
	s_mul_i32 s8, s30, s34
	s_mul_hi_u32 s9, s30, s42
	s_add_i32 s8, s9, s8
	s_mul_i32 s31, s31, s42
	s_add_i32 s8, s8, s31
	s_mul_i32 s30, s30, s42
	s_mul_hi_u32 s31, s34, s30
	s_mul_i32 s35, s34, s30
	s_mul_i32 s44, s42, s8
	s_mul_hi_u32 s30, s42, s30
	s_mul_hi_u32 s43, s42, s8
	s_add_u32 s30, s30, s44
	s_addc_u32 s43, 0, s43
	s_add_u32 s30, s30, s35
	s_mul_hi_u32 s9, s34, s8
	s_addc_u32 s30, s43, s31
	s_addc_u32 s9, s9, 0
	s_mul_i32 s8, s34, s8
	s_add_u32 s8, s30, s8
	s_addc_u32 s30, 0, s9
	s_add_u32 s31, s42, s8
	s_cselect_b64 s[8:9], -1, 0
	s_cmp_lg_u64 s[8:9], 0
	s_addc_u32 s8, s34, s30
	s_mul_i32 s30, s2, s8
	s_mul_hi_u32 s34, s2, s31
	s_mul_hi_u32 s9, s2, s8
	s_add_u32 s30, s34, s30
	s_addc_u32 s9, 0, s9
	s_mul_hi_u32 s35, s69, s31
	s_mul_i32 s31, s69, s31
	s_add_u32 s30, s30, s31
	s_mul_hi_u32 s34, s69, s8
	s_addc_u32 s9, s9, s35
	s_addc_u32 s30, s34, 0
	s_mul_i32 s8, s69, s8
	s_add_u32 s8, s9, s8
	s_addc_u32 s9, 0, s30
	s_mul_i32 s9, s76, s9
	s_mul_hi_u32 s30, s76, s8
	s_add_i32 s30, s30, s9
	s_mul_i32 s8, s76, s8
	s_sub_u32 s31, s2, s8
	s_cselect_b64 s[8:9], -1, 0
	s_cmp_lg_u64 s[8:9], 0
	s_subb_u32 s30, s69, s30
	s_sub_u32 s34, s31, s76
	s_cselect_b64 s[8:9], -1, 0
	s_cmp_lg_u64 s[8:9], 0
	s_subb_u32 s35, s30, 0
	;; [unrolled: 4-line block ×3, first 2 shown]
	s_cmp_ge_u32 s34, s76
	s_cselect_b32 s9, -1, 0
	s_cmp_eq_u32 s35, 0
	s_cselect_b32 s9, s9, -1
	s_cmp_lg_u32 s9, 0
	s_cselect_b32 s8, s8, s35
	s_cselect_b32 s34, s42, s34
	s_cmp_ge_u32 s31, s76
	s_cselect_b32 s9, -1, 0
	s_cmp_eq_u32 s30, 0
	s_cselect_b32 s9, s9, -1
	s_cmp_lg_u32 s9, 0
	s_cselect_b32 s9, s8, s30
	s_cselect_b32 s8, s34, s31
	s_cbranch_execnz .LBB134_223
.LBB134_222:                            ;   in Loop: Header=BB134_32 Depth=1
	v_cvt_f32_u32_e32 v6, s76
	s_sub_i32 s8, 0, s76
	v_rcp_iflag_f32_e32 v6, v6
	v_mul_f32_e32 v6, 0x4f7ffffe, v6
	v_cvt_u32_f32_e32 v6, v6
	v_readfirstlane_b32 s9, v6
	s_mul_i32 s8, s8, s9
	s_mul_hi_u32 s8, s9, s8
	s_add_i32 s9, s9, s8
	s_mul_hi_u32 s8, s2, s9
	s_mul_i32 s8, s8, s76
	s_sub_i32 s8, s2, s8
	s_sub_i32 s9, s8, s76
	s_cmp_ge_u32 s8, s76
	s_cselect_b32 s8, s9, s8
	s_sub_i32 s9, s8, s76
	s_cmp_ge_u32 s8, s76
	s_cselect_b32 s94, s9, s8
	s_mov_b64 s[8:9], s[94:95]
.LBB134_223:                            ;   in Loop: Header=BB134_32 Depth=1
	s_sub_u32 s30, s2, s8
	s_subb_u32 s31, s69, s9
	v_cmp_gt_u64_e32 vcc, s[30:31], v[0:1]
                                        ; implicit-def: $vgpr39
	s_and_saveexec_b64 s[8:9], vcc
	s_cbranch_execz .LBB134_233
; %bb.224:                              ;   in Loop: Header=BB134_32 Depth=1
	v_mov_b32_e32 v7, v1
	s_mov_b64 s[34:35], 0
	v_mov_b32_e32 v6, v0
                                        ; implicit-def: $sgpr42_sgpr43
	s_branch .LBB134_228
.LBB134_225:                            ;   in Loop: Header=BB134_228 Depth=2
	s_or_b64 exec, exec, s[44:45]
	s_waitcnt lgkmcnt(0)
	s_barrier
	ds_read_b32 v8, v3 offset:3072
	s_waitcnt lgkmcnt(0)
	s_barrier
	v_cmp_eq_f16_e32 vcc, 0, v8
	s_cbranch_vccz .LBB134_231
; %bb.226:                              ;   in Loop: Header=BB134_228 Depth=2
	v_add_co_u32_e32 v6, vcc, s76, v6
	v_addc_co_u32_e32 v7, vcc, 0, v7, vcc
	v_cmp_le_u64_e32 vcc, s[30:31], v[6:7]
	s_mov_b64 s[44:45], 0
	s_orn2_b64 s[46:47], vcc, exec
.LBB134_227:                            ;   in Loop: Header=BB134_228 Depth=2
	s_and_b64 s[46:47], exec, s[46:47]
	s_or_b64 s[34:35], s[46:47], s[34:35]
	s_andn2_b64 s[42:43], s[42:43], exec
	s_and_b64 s[44:45], s[44:45], exec
	s_or_b64 s[42:43], s[42:43], s[44:45]
	s_andn2_b64 exec, exec, s[34:35]
	s_cbranch_execz .LBB134_232
.LBB134_228:                            ;   Parent Loop BB134_32 Depth=1
                                        ; =>  This Inner Loop Header: Depth=2
	v_cmp_gt_u64_e32 vcc, s[56:57], v[6:7]
	s_and_saveexec_b64 s[44:45], vcc
	s_cbranch_execz .LBB134_225
; %bb.229:                              ;   in Loop: Header=BB134_228 Depth=2
	v_mul_lo_u32 v10, v7, s80
	v_mul_lo_u32 v11, v6, s81
	v_mad_u64_u32 v[8:9], s[46:47], v6, s80, 0
	v_add3_u32 v9, v9, v11, v10
	v_lshlrev_b64 v[8:9], 1, v[8:9]
	v_mov_b32_e32 v10, s77
	v_add_co_u32_e32 v8, vcc, s33, v8
	v_addc_co_u32_e32 v9, vcc, v10, v9, vcc
	global_load_ushort v8, v[8:9], off
	s_waitcnt vmcnt(0)
	v_cmp_lt_i16_e32 vcc, -1, v8
	v_cndmask_b32_e32 v9, v33, v34, vcc
	v_xor_b32_sdwa v9, v9, v8 dst_sel:DWORD dst_unused:UNUSED_PAD src0_sel:DWORD src1_sel:WORD_0
	v_cmp_o_f16_e32 vcc, v8, v8
	v_cndmask_b32_e32 v9, v33, v9, vcc
	v_and_b32_e32 v9, v9, v38
	v_cmp_eq_u32_e32 vcc, v9, v30
	s_and_b64 exec, exec, vcc
	s_cbranch_execz .LBB134_225
; %bb.230:                              ;   in Loop: Header=BB134_228 Depth=2
	v_perm_b32 v8, v8, s39, v37
	ds_write_b32 v3, v8 offset:3072
	s_branch .LBB134_225
.LBB134_231:                            ;   in Loop: Header=BB134_228 Depth=2
	s_mov_b64 s[46:47], -1
                                        ; implicit-def: $vgpr6_vgpr7
	s_mov_b64 s[44:45], -1
	s_branch .LBB134_227
.LBB134_232:                            ;   in Loop: Header=BB134_32 Depth=1
	s_or_b64 exec, exec, s[34:35]
	s_andn2_b64 s[0:1], s[0:1], exec
	s_and_b64 s[30:31], s[42:43], exec
	v_lshrrev_b32_e32 v39, 16, v8
	s_or_b64 s[0:1], s[0:1], s[30:31]
.LBB134_233:                            ;   in Loop: Header=BB134_32 Depth=1
	s_or_b64 exec, exec, s[8:9]
	s_mov_b64 s[30:31], 0
	s_mov_b64 s[34:35], -1
.LBB134_234:                            ;   in Loop: Header=BB134_32 Depth=1
	s_orn2_b64 s[0:1], s[0:1], exec
.LBB134_235:                            ;   in Loop: Header=BB134_32 Depth=1
	s_or_b64 exec, exec, s[36:37]
	s_mov_b64 s[8:9], 0
	s_and_saveexec_b64 s[36:37], s[0:1]
	s_cbranch_execz .LBB134_295
; %bb.236:                              ;   in Loop: Header=BB134_32 Depth=1
	v_mov_b32_e32 v6, 1
	s_xor_b64 s[40:41], s[40:41], -1
	v_mov_b32_e32 v2, 1
	v_mov_b32_e32 v7, 0
	s_and_saveexec_b64 s[0:1], s[40:41]
	s_cbranch_execz .LBB134_245
; %bb.237:                              ;   in Loop: Header=BB134_32 Depth=1
	v_cmp_ge_u64_e32 vcc, s[22:23], v[4:5]
	s_and_saveexec_b64 s[8:9], vcc
	s_xor_b64 s[8:9], exec, s[8:9]
	s_cbranch_execz .LBB134_242
; %bb.238:                              ;   in Loop: Header=BB134_32 Depth=1
	ds_read_b64 v[6:7], v3 offset:5120
	v_and_b32_e32 v2, s54, v30
	v_lshl_or_b32 v30, 2, s86, v2
	v_or_b32_e32 v38, s64, v38
	s_waitcnt lgkmcnt(0)
	v_cmp_ne_u64_e32 vcc, 0, v[6:7]
	s_cbranch_vccnz .LBB134_242
; %bb.239:                              ;   in Loop: Header=BB134_32 Depth=1
	s_mov_b64 s[40:41], exec
	v_readlane_b32 s42, v52, 36
	v_readlane_b32 s43, v52, 37
	s_and_b64 s[42:43], s[40:41], s[42:43]
	s_mov_b64 exec, s[42:43]
; %bb.240:                              ;   in Loop: Header=BB134_32 Depth=1
	v_mov_b32_e32 v6, s22
	v_mov_b32_e32 v7, s23
	ds_write_b64 v3, v[6:7] offset:5128
; %bb.241:                              ;   in Loop: Header=BB134_32 Depth=1
	s_or_b64 exec, exec, s[40:41]
	s_waitcnt lgkmcnt(0)
	s_barrier
.LBB134_242:                            ;   in Loop: Header=BB134_32 Depth=1
	s_or_saveexec_b64 s[8:9], s[8:9]
	s_mov_b64 s[40:41], 0
	v_mov_b32_e32 v2, 8
	s_xor_b64 exec, exec, s[8:9]
; %bb.243:                              ;   in Loop: Header=BB134_32 Depth=1
	v_subrev_co_u32_e32 v4, vcc, s22, v4
	v_mov_b32_e32 v2, s23
	v_subb_co_u32_e32 v5, vcc, v5, v2, vcc
	v_mov_b32_e32 v2, 0
	s_mov_b64 s[40:41], exec
; %bb.244:                              ;   in Loop: Header=BB134_32 Depth=1
	s_or_b64 exec, exec, s[8:9]
	v_mov_b32_e32 v7, v5
	s_and_b64 s[8:9], s[40:41], exec
	v_mov_b32_e32 v6, v4
.LBB134_245:                            ;   in Loop: Header=BB134_32 Depth=1
	s_or_b64 exec, exec, s[0:1]
	s_mov_b64 s[0:1], -1
                                        ; implicit-def: $sgpr46_sgpr47
                                        ; implicit-def: $sgpr44_sgpr45
	s_and_saveexec_b64 s[22:23], s[8:9]
	s_cbranch_execz .LBB134_294
; %bb.246:                              ;   in Loop: Header=BB134_32 Depth=1
	s_cmp_eq_u64 s[14:15], 1
	v_cmp_eq_u64_e32 vcc, 1, v[6:7]
	s_cselect_b64 s[0:1], -1, 0
	s_and_b64 s[40:41], s[0:1], vcc
	s_mov_b64 s[8:9], -1
                                        ; implicit-def: $sgpr46_sgpr47
                                        ; implicit-def: $sgpr44_sgpr45
	s_and_saveexec_b64 s[42:43], s[40:41]
	s_cbranch_execz .LBB134_282
; %bb.247:                              ;   in Loop: Header=BB134_32 Depth=1
	ds_read_b64 v[4:5], v3 offset:5120
	s_waitcnt lgkmcnt(0)
	s_barrier
	v_readfirstlane_b32 s8, v4
	v_readfirstlane_b32 s9, v5
	s_mov_b64 s[0:1], exec
	v_readlane_b32 s44, v52, 38
	v_readlane_b32 s45, v52, 39
	s_and_b64 s[44:45], s[0:1], s[44:45]
	s_mov_b64 exec, s[44:45]
; %bb.248:                              ;   in Loop: Header=BB134_32 Depth=1
	ds_write_b16 v25, v3
; %bb.249:                              ;   in Loop: Header=BB134_32 Depth=1
	s_or_b64 exec, exec, s[0:1]
	v_or_b32_e32 v30, s64, v30
	v_or_b32_e32 v38, s64, v38
	s_mov_b64 s[44:45], -1
	s_mov_b64 s[46:47], 0
	s_cmp_eq_u64 s[8:9], 0
	s_mov_b64 s[0:1], 0
	s_mov_b64 s[48:49], -1
	s_waitcnt lgkmcnt(0)
	s_barrier
                                        ; implicit-def: $vgpr39
	s_cbranch_scc1 .LBB134_266
; %bb.250:                              ;   in Loop: Header=BB134_32 Depth=1
	v_readlane_b32 s0, v52, 44
	s_add_u32 s52, s8, s0
	v_readlane_b32 s0, v52, 45
	s_addc_u32 s1, s9, s0
	s_mov_b32 s0, s95
	s_cmp_lg_u64 s[0:1], 0
	s_cbranch_scc0 .LBB134_301
; %bb.251:                              ;   in Loop: Header=BB134_32 Depth=1
	v_cvt_f32_u32_e32 v4, s76
	s_sub_u32 s0, 0, s76
	s_subb_u32 s50, 0, 0
	v_mac_f32_e32 v4, 0, v35
	v_rcp_f32_e32 v4, v4
	v_mul_f32_e32 v4, 0x5f7ffffc, v4
	v_mul_f32_e32 v5, 0x2f800000, v4
	v_trunc_f32_e32 v5, v5
	v_mac_f32_e32 v4, 0xcf800000, v5
	v_cvt_u32_f32_e32 v5, v5
	v_cvt_u32_f32_e32 v4, v4
	v_readfirstlane_b32 s51, v5
	v_readfirstlane_b32 s48, v4
	s_mul_i32 s49, s0, s51
	s_mul_hi_u32 s54, s0, s48
	s_mul_i32 s53, s50, s48
	s_add_i32 s49, s54, s49
	s_mul_i32 s55, s0, s48
	s_add_i32 s49, s49, s53
	s_mul_hi_u32 s54, s48, s55
	s_mul_i32 s60, s48, s49
	s_mul_hi_u32 s53, s48, s49
	s_add_u32 s54, s54, s60
	s_addc_u32 s53, 0, s53
	s_mul_hi_u32 s61, s51, s55
	s_mul_i32 s55, s51, s55
	s_add_u32 s54, s54, s55
	s_mul_hi_u32 s60, s51, s49
	s_addc_u32 s53, s53, s61
	s_addc_u32 s54, s60, 0
	s_mul_i32 s49, s51, s49
	s_add_u32 s49, s53, s49
	s_addc_u32 s53, 0, s54
	s_add_u32 s54, s48, s49
	s_cselect_b64 s[48:49], -1, 0
	s_cmp_lg_u64 s[48:49], 0
	s_addc_u32 s51, s51, s53
	s_mul_i32 s48, s0, s51
	s_mul_hi_u32 s49, s0, s54
	s_add_i32 s48, s49, s48
	s_mul_i32 s50, s50, s54
	s_add_i32 s48, s48, s50
	s_mul_i32 s0, s0, s54
	s_mul_hi_u32 s50, s51, s0
	s_mul_i32 s53, s51, s0
	s_mul_i32 s60, s54, s48
	s_mul_hi_u32 s0, s54, s0
	s_mul_hi_u32 s55, s54, s48
	s_add_u32 s0, s0, s60
	s_addc_u32 s55, 0, s55
	s_add_u32 s0, s0, s53
	s_mul_hi_u32 s49, s51, s48
	s_addc_u32 s0, s55, s50
	s_addc_u32 s49, s49, 0
	s_mul_i32 s48, s51, s48
	s_add_u32 s0, s0, s48
	s_addc_u32 s50, 0, s49
	s_add_u32 s0, s54, s0
	s_cselect_b64 s[48:49], -1, 0
	s_cmp_lg_u64 s[48:49], 0
	s_addc_u32 s48, s51, s50
	s_mul_i32 s50, s52, s48
	s_mul_hi_u32 s51, s52, s0
	s_mul_hi_u32 s49, s52, s48
	s_add_u32 s50, s51, s50
	s_addc_u32 s49, 0, s49
	s_mul_hi_u32 s53, s1, s0
	s_mul_i32 s0, s1, s0
	s_add_u32 s0, s50, s0
	s_mul_hi_u32 s51, s1, s48
	s_addc_u32 s0, s49, s53
	s_addc_u32 s49, s51, 0
	s_mul_i32 s48, s1, s48
	s_add_u32 s0, s0, s48
	s_addc_u32 s48, 0, s49
	s_mul_i32 s48, s76, s48
	s_mul_hi_u32 s49, s76, s0
	s_add_i32 s50, s49, s48
	s_mul_i32 s0, s76, s0
	s_sub_u32 s0, s52, s0
	s_cselect_b64 s[48:49], -1, 0
	s_cmp_lg_u64 s[48:49], 0
	s_subb_u32 s50, s1, s50
	s_sub_u32 s51, s0, s76
	s_cselect_b64 s[48:49], -1, 0
	s_cmp_lg_u64 s[48:49], 0
	s_subb_u32 s53, s50, 0
	;; [unrolled: 4-line block ×3, first 2 shown]
	s_cmp_ge_u32 s51, s76
	s_cselect_b32 s49, -1, 0
	s_cmp_eq_u32 s53, 0
	s_cselect_b32 s49, s49, -1
	s_cmp_lg_u32 s49, 0
	s_cselect_b32 s48, s48, s53
	s_cselect_b32 s51, s54, s51
	s_cmp_ge_u32 s0, s76
	s_cselect_b32 s49, -1, 0
	s_cmp_eq_u32 s50, 0
	s_cselect_b32 s49, s49, -1
	s_cmp_lg_u32 s49, 0
	s_cselect_b32 s49, s48, s50
	s_cselect_b32 s48, s51, s0
	s_cbranch_execnz .LBB134_253
.LBB134_252:                            ;   in Loop: Header=BB134_32 Depth=1
	v_cvt_f32_u32_e32 v4, s76
	s_sub_i32 s0, 0, s76
	v_rcp_iflag_f32_e32 v4, v4
	v_mul_f32_e32 v4, 0x4f7ffffe, v4
	v_cvt_u32_f32_e32 v4, v4
	v_readfirstlane_b32 s48, v4
	s_mul_i32 s0, s0, s48
	s_mul_hi_u32 s0, s48, s0
	s_add_i32 s48, s48, s0
	s_mul_hi_u32 s0, s52, s48
	s_mul_i32 s0, s0, s76
	s_sub_i32 s0, s52, s0
	s_sub_i32 s48, s0, s76
	s_cmp_ge_u32 s0, s76
	s_cselect_b32 s0, s48, s0
	s_sub_i32 s48, s0, s76
	s_cmp_ge_u32 s0, s76
	s_cselect_b32 s94, s48, s0
	s_mov_b64 s[48:49], s[94:95]
.LBB134_253:                            ;   in Loop: Header=BB134_32 Depth=1
	s_sub_u32 s52, s52, s48
	s_subb_u32 s53, s1, s49
	v_cmp_gt_u64_e32 vcc, s[52:53], v[0:1]
	s_mov_b64 s[48:49], 0
	s_mov_b64 s[0:1], 0
                                        ; implicit-def: $vgpr39
	s_and_saveexec_b64 s[50:51], vcc
	s_cbranch_execz .LBB134_265
; %bb.254:                              ;   in Loop: Header=BB134_32 Depth=1
	v_mov_b32_e32 v5, v1
	v_mov_b32_e32 v8, v24
	;; [unrolled: 1-line block ×3, first 2 shown]
                                        ; implicit-def: $sgpr54_sgpr55
	s_branch .LBB134_258
.LBB134_255:                            ;   in Loop: Header=BB134_258 Depth=2
	s_or_b64 exec, exec, s[60:61]
	s_waitcnt lgkmcnt(0)
	s_barrier
	ds_read_b32 v9, v3 offset:3072
	s_waitcnt lgkmcnt(0)
	s_barrier
	v_cmp_neq_f16_e32 vcc, 0, v9
	s_cbranch_vccnz .LBB134_261
; %bb.256:                              ;   in Loop: Header=BB134_258 Depth=2
	v_add_co_u32_e32 v4, vcc, s76, v4
	v_addc_co_u32_e32 v5, vcc, 0, v5, vcc
	v_cmp_le_u64_e32 vcc, s[52:53], v[4:5]
	v_add_u32_e32 v8, s38, v8
	s_mov_b64 s[60:61], 0
	s_orn2_b64 s[62:63], vcc, exec
.LBB134_257:                            ;   in Loop: Header=BB134_258 Depth=2
	s_and_b64 s[62:63], exec, s[62:63]
	s_or_b64 s[0:1], s[62:63], s[0:1]
	s_andn2_b64 s[54:55], s[54:55], exec
	s_and_b64 s[60:61], s[60:61], exec
	s_or_b64 s[54:55], s[54:55], s[60:61]
	s_andn2_b64 exec, exec, s[0:1]
	s_cbranch_execz .LBB134_264
.LBB134_258:                            ;   Parent Loop BB134_32 Depth=1
                                        ; =>  This Inner Loop Header: Depth=2
	v_cmp_gt_u64_e32 vcc, s[8:9], v[4:5]
	s_and_saveexec_b64 s[60:61], vcc
	s_cbranch_execz .LBB134_255
; %bb.259:                              ;   in Loop: Header=BB134_258 Depth=2
	ds_read_u16 v9, v8
	s_waitcnt lgkmcnt(0)
	v_cmp_lt_i16_e32 vcc, -1, v9
	v_cndmask_b32_e32 v10, v33, v34, vcc
	v_xor_b32_sdwa v10, v10, v9 dst_sel:DWORD dst_unused:UNUSED_PAD src0_sel:DWORD src1_sel:WORD_0
	v_cmp_o_f16_e32 vcc, v9, v9
	v_cndmask_b32_e32 v10, v33, v10, vcc
	v_and_b32_e32 v10, v10, v38
	v_cmp_eq_u32_e32 vcc, v10, v30
	s_and_b64 exec, exec, vcc
	s_cbranch_execz .LBB134_255
; %bb.260:                              ;   in Loop: Header=BB134_258 Depth=2
	v_perm_b32 v9, v9, s39, v37
	ds_write_b32 v3, v9 offset:3072
	s_branch .LBB134_255
.LBB134_261:                            ;   in Loop: Header=BB134_258 Depth=2
	s_mov_b64 s[62:63], -1
                                        ; implicit-def: $vgpr4_vgpr5
                                        ; implicit-def: $vgpr8
	s_mov_b64 s[60:61], -1
	s_branch .LBB134_257
.LBB134_262:                            ;   in Loop: Header=BB134_32 Depth=1
                                        ; implicit-def: $sgpr42_sgpr43
	s_branch .LBB134_205
.LBB134_263:                            ;   in Loop: Header=BB134_32 Depth=1
                                        ; implicit-def: $sgpr8_sgpr9
	s_branch .LBB134_222
.LBB134_264:                            ;   in Loop: Header=BB134_32 Depth=1
	s_or_b64 exec, exec, s[0:1]
	v_lshrrev_b32_e32 v39, 16, v9
	s_and_b64 s[0:1], s[54:55], exec
.LBB134_265:                            ;   in Loop: Header=BB134_32 Depth=1
	s_or_b64 exec, exec, s[50:51]
.LBB134_266:                            ;   in Loop: Header=BB134_32 Depth=1
	s_and_b64 vcc, exec, s[48:49]
	s_cbranch_vccz .LBB134_281
; %bb.267:                              ;   in Loop: Header=BB134_32 Depth=1
	s_mov_b32 s68, s95
	s_cmp_lg_u64 s[68:69], 0
	s_cbranch_scc0 .LBB134_302
; %bb.268:                              ;   in Loop: Header=BB134_32 Depth=1
	v_cvt_f32_u32_e32 v4, s76
	s_sub_u32 s44, 0, s76
	s_subb_u32 s45, 0, 0
	v_mac_f32_e32 v4, 0, v35
	v_rcp_f32_e32 v4, v4
	v_mul_f32_e32 v4, 0x5f7ffffc, v4
	v_mul_f32_e32 v5, 0x2f800000, v4
	v_trunc_f32_e32 v5, v5
	v_mac_f32_e32 v4, 0xcf800000, v5
	v_cvt_u32_f32_e32 v5, v5
	v_cvt_u32_f32_e32 v4, v4
	v_readfirstlane_b32 s46, v5
	v_readfirstlane_b32 s8, v4
	s_mul_i32 s9, s44, s46
	s_mul_hi_u32 s48, s44, s8
	s_mul_i32 s47, s45, s8
	s_add_i32 s9, s48, s9
	s_mul_i32 s49, s44, s8
	s_add_i32 s9, s9, s47
	s_mul_hi_u32 s48, s8, s49
	s_mul_i32 s50, s8, s9
	s_mul_hi_u32 s47, s8, s9
	s_add_u32 s48, s48, s50
	s_addc_u32 s47, 0, s47
	s_mul_hi_u32 s51, s46, s49
	s_mul_i32 s49, s46, s49
	s_add_u32 s48, s48, s49
	s_mul_hi_u32 s50, s46, s9
	s_addc_u32 s47, s47, s51
	s_addc_u32 s48, s50, 0
	s_mul_i32 s9, s46, s9
	s_add_u32 s9, s47, s9
	s_addc_u32 s47, 0, s48
	s_add_u32 s48, s8, s9
	s_cselect_b64 s[8:9], -1, 0
	s_cmp_lg_u64 s[8:9], 0
	s_addc_u32 s46, s46, s47
	s_mul_i32 s8, s44, s46
	s_mul_hi_u32 s9, s44, s48
	s_add_i32 s8, s9, s8
	s_mul_i32 s45, s45, s48
	s_add_i32 s8, s8, s45
	s_mul_i32 s44, s44, s48
	s_mul_hi_u32 s45, s46, s44
	s_mul_i32 s47, s46, s44
	s_mul_i32 s50, s48, s8
	s_mul_hi_u32 s44, s48, s44
	s_mul_hi_u32 s49, s48, s8
	s_add_u32 s44, s44, s50
	s_addc_u32 s49, 0, s49
	s_add_u32 s44, s44, s47
	s_mul_hi_u32 s9, s46, s8
	s_addc_u32 s44, s49, s45
	s_addc_u32 s9, s9, 0
	s_mul_i32 s8, s46, s8
	s_add_u32 s8, s44, s8
	s_addc_u32 s44, 0, s9
	s_add_u32 s45, s48, s8
	s_cselect_b64 s[8:9], -1, 0
	s_cmp_lg_u64 s[8:9], 0
	s_addc_u32 s8, s46, s44
	s_mul_i32 s44, s2, s8
	s_mul_hi_u32 s46, s2, s45
	s_mul_hi_u32 s9, s2, s8
	s_add_u32 s44, s46, s44
	s_addc_u32 s9, 0, s9
	s_mul_hi_u32 s47, s69, s45
	s_mul_i32 s45, s69, s45
	s_add_u32 s44, s44, s45
	s_mul_hi_u32 s46, s69, s8
	s_addc_u32 s9, s9, s47
	s_addc_u32 s44, s46, 0
	s_mul_i32 s8, s69, s8
	s_add_u32 s8, s9, s8
	s_addc_u32 s9, 0, s44
	s_mul_i32 s9, s76, s9
	s_mul_hi_u32 s44, s76, s8
	s_add_i32 s44, s44, s9
	s_mul_i32 s8, s76, s8
	s_sub_u32 s45, s2, s8
	s_cselect_b64 s[8:9], -1, 0
	s_cmp_lg_u64 s[8:9], 0
	s_subb_u32 s44, s69, s44
	s_sub_u32 s46, s45, s76
	s_cselect_b64 s[8:9], -1, 0
	s_cmp_lg_u64 s[8:9], 0
	s_subb_u32 s47, s44, 0
	;; [unrolled: 4-line block ×3, first 2 shown]
	s_cmp_ge_u32 s46, s76
	s_cselect_b32 s9, -1, 0
	s_cmp_eq_u32 s47, 0
	s_cselect_b32 s9, s9, -1
	s_cmp_lg_u32 s9, 0
	s_cselect_b32 s8, s8, s47
	s_cselect_b32 s46, s48, s46
	s_cmp_ge_u32 s45, s76
	s_cselect_b32 s9, -1, 0
	s_cmp_eq_u32 s44, 0
	s_cselect_b32 s9, s9, -1
	s_cmp_lg_u32 s9, 0
	s_cselect_b32 s9, s8, s44
	s_cselect_b32 s8, s46, s45
	s_cbranch_execnz .LBB134_270
.LBB134_269:                            ;   in Loop: Header=BB134_32 Depth=1
	v_cvt_f32_u32_e32 v4, s76
	s_sub_i32 s8, 0, s76
	v_rcp_iflag_f32_e32 v4, v4
	v_mul_f32_e32 v4, 0x4f7ffffe, v4
	v_cvt_u32_f32_e32 v4, v4
	v_readfirstlane_b32 s9, v4
	s_mul_i32 s8, s8, s9
	s_mul_hi_u32 s8, s9, s8
	s_add_i32 s9, s9, s8
	s_mul_hi_u32 s8, s2, s9
	s_mul_i32 s8, s8, s76
	s_sub_i32 s8, s2, s8
	s_sub_i32 s9, s8, s76
	s_cmp_ge_u32 s8, s76
	s_cselect_b32 s8, s9, s8
	s_sub_i32 s9, s8, s76
	s_cmp_ge_u32 s8, s76
	s_cselect_b32 s94, s9, s8
	s_mov_b64 s[8:9], s[94:95]
.LBB134_270:                            ;   in Loop: Header=BB134_32 Depth=1
	s_sub_u32 s44, s2, s8
	s_subb_u32 s45, s69, s9
	v_cmp_gt_u64_e32 vcc, s[44:45], v[0:1]
                                        ; implicit-def: $vgpr39
	s_and_saveexec_b64 s[8:9], vcc
	s_cbranch_execz .LBB134_280
; %bb.271:                              ;   in Loop: Header=BB134_32 Depth=1
	v_mov_b32_e32 v5, v1
	s_mov_b64 s[46:47], 0
	v_mov_b32_e32 v4, v0
                                        ; implicit-def: $sgpr48_sgpr49
	s_branch .LBB134_275
.LBB134_272:                            ;   in Loop: Header=BB134_275 Depth=2
	s_or_b64 exec, exec, s[50:51]
	s_waitcnt lgkmcnt(0)
	s_barrier
	ds_read_b32 v8, v3 offset:3072
	s_waitcnt lgkmcnt(0)
	s_barrier
	v_cmp_eq_f16_e32 vcc, 0, v8
	s_cbranch_vccz .LBB134_278
; %bb.273:                              ;   in Loop: Header=BB134_275 Depth=2
	v_add_co_u32_e32 v4, vcc, s76, v4
	v_addc_co_u32_e32 v5, vcc, 0, v5, vcc
	v_cmp_le_u64_e32 vcc, s[44:45], v[4:5]
	s_mov_b64 s[50:51], 0
	s_orn2_b64 s[52:53], vcc, exec
.LBB134_274:                            ;   in Loop: Header=BB134_275 Depth=2
	s_and_b64 s[52:53], exec, s[52:53]
	s_or_b64 s[46:47], s[52:53], s[46:47]
	s_andn2_b64 s[48:49], s[48:49], exec
	s_and_b64 s[50:51], s[50:51], exec
	s_or_b64 s[48:49], s[48:49], s[50:51]
	s_andn2_b64 exec, exec, s[46:47]
	s_cbranch_execz .LBB134_279
.LBB134_275:                            ;   Parent Loop BB134_32 Depth=1
                                        ; =>  This Inner Loop Header: Depth=2
	v_cmp_gt_u64_e32 vcc, s[56:57], v[4:5]
	s_and_saveexec_b64 s[50:51], vcc
	s_cbranch_execz .LBB134_272
; %bb.276:                              ;   in Loop: Header=BB134_275 Depth=2
	v_mul_lo_u32 v10, v5, s80
	v_mul_lo_u32 v11, v4, s81
	v_mad_u64_u32 v[8:9], s[52:53], v4, s80, 0
	v_add3_u32 v9, v9, v11, v10
	v_lshlrev_b64 v[8:9], 1, v[8:9]
	v_mov_b32_e32 v10, s77
	v_add_co_u32_e32 v8, vcc, s33, v8
	v_addc_co_u32_e32 v9, vcc, v10, v9, vcc
	global_load_ushort v8, v[8:9], off
	s_waitcnt vmcnt(0)
	v_cmp_lt_i16_e32 vcc, -1, v8
	v_cndmask_b32_e32 v9, v33, v34, vcc
	v_xor_b32_sdwa v9, v9, v8 dst_sel:DWORD dst_unused:UNUSED_PAD src0_sel:DWORD src1_sel:WORD_0
	v_cmp_o_f16_e32 vcc, v8, v8
	v_cndmask_b32_e32 v9, v33, v9, vcc
	v_and_b32_e32 v9, v9, v38
	v_cmp_eq_u32_e32 vcc, v9, v30
	s_and_b64 exec, exec, vcc
	s_cbranch_execz .LBB134_272
; %bb.277:                              ;   in Loop: Header=BB134_275 Depth=2
	v_perm_b32 v8, v8, s39, v37
	ds_write_b32 v3, v8 offset:3072
	s_branch .LBB134_272
.LBB134_278:                            ;   in Loop: Header=BB134_275 Depth=2
	s_mov_b64 s[52:53], -1
                                        ; implicit-def: $vgpr4_vgpr5
	s_mov_b64 s[50:51], -1
	s_branch .LBB134_274
.LBB134_279:                            ;   in Loop: Header=BB134_32 Depth=1
	s_or_b64 exec, exec, s[46:47]
	s_andn2_b64 s[0:1], s[0:1], exec
	s_and_b64 s[44:45], s[48:49], exec
	v_lshrrev_b32_e32 v39, 16, v8
	s_or_b64 s[0:1], s[0:1], s[44:45]
.LBB134_280:                            ;   in Loop: Header=BB134_32 Depth=1
	s_or_b64 exec, exec, s[8:9]
	s_mov_b64 s[44:45], 0
	s_mov_b64 s[46:47], -1
.LBB134_281:                            ;   in Loop: Header=BB134_32 Depth=1
	s_orn2_b64 s[8:9], s[0:1], exec
.LBB134_282:                            ;   in Loop: Header=BB134_32 Depth=1
	s_or_b64 exec, exec, s[42:43]
	s_mov_b64 s[42:43], 0
	s_and_saveexec_b64 s[0:1], s[8:9]
	s_cbranch_execz .LBB134_293
; %bb.283:                              ;   in Loop: Header=BB134_32 Depth=1
	v_mov_b32_e32 v4, 1
	s_xor_b64 s[40:41], s[40:41], -1
	v_mov_b32_e32 v5, 0
	v_mov_b32_e32 v2, 1
	s_and_saveexec_b64 s[8:9], s[40:41]
	s_cbranch_execz .LBB134_292
; %bb.284:                              ;   in Loop: Header=BB134_32 Depth=1
	v_cmp_ge_u64_e32 vcc, s[14:15], v[6:7]
	s_and_saveexec_b64 s[40:41], vcc
	s_xor_b64 s[40:41], exec, s[40:41]
	s_cbranch_execz .LBB134_289
; %bb.285:                              ;   in Loop: Header=BB134_32 Depth=1
	ds_read_b64 v[4:5], v3 offset:5120
	v_or_b32_e32 v30, s64, v30
	v_or_b32_e32 v38, s64, v38
	s_waitcnt lgkmcnt(0)
	v_cmp_ne_u64_e32 vcc, 0, v[4:5]
	s_cbranch_vccnz .LBB134_289
; %bb.286:                              ;   in Loop: Header=BB134_32 Depth=1
	s_mov_b64 s[42:43], exec
	v_readlane_b32 s48, v52, 36
	v_readlane_b32 s49, v52, 37
	s_and_b64 s[48:49], s[42:43], s[48:49]
	s_mov_b64 exec, s[48:49]
; %bb.287:                              ;   in Loop: Header=BB134_32 Depth=1
	v_mov_b32_e32 v4, s14
	v_mov_b32_e32 v5, s15
	ds_write_b64 v3, v[4:5] offset:5128
; %bb.288:                              ;   in Loop: Header=BB134_32 Depth=1
	s_or_b64 exec, exec, s[42:43]
	s_waitcnt lgkmcnt(0)
	s_barrier
.LBB134_289:                            ;   in Loop: Header=BB134_32 Depth=1
	s_andn2_saveexec_b64 s[40:41], s[40:41]
; %bb.290:                              ;   in Loop: Header=BB134_32 Depth=1
	v_mov_b32_e32 v2, s15
	v_subrev_co_u32_e32 v6, vcc, s14, v6
	v_subb_co_u32_e32 v7, vcc, v7, v2, vcc
; %bb.291:                              ;   in Loop: Header=BB134_32 Depth=1
	s_or_b64 exec, exec, s[40:41]
	v_mov_b32_e32 v4, v6
	v_mov_b32_e32 v2, 8
	;; [unrolled: 1-line block ×3, first 2 shown]
.LBB134_292:                            ;   in Loop: Header=BB134_32 Depth=1
	s_or_b64 exec, exec, s[8:9]
	v_mov_b32_e32 v7, v5
	s_mov_b64 s[42:43], exec
	v_mov_b32_e32 v6, v4
.LBB134_293:                            ;   in Loop: Header=BB134_32 Depth=1
	s_or_b64 exec, exec, s[0:1]
	s_orn2_b64 s[0:1], s[42:43], exec
.LBB134_294:                            ;   in Loop: Header=BB134_32 Depth=1
	s_or_b64 exec, exec, s[22:23]
	s_andn2_b64 s[8:9], s[34:35], exec
	s_and_b64 s[14:15], s[46:47], exec
	s_or_b64 s[34:35], s[8:9], s[14:15]
	s_andn2_b64 s[8:9], s[30:31], exec
	s_and_b64 s[14:15], s[44:45], exec
	v_mov_b32_e32 v4, v6
	s_or_b64 s[30:31], s[8:9], s[14:15]
	s_and_b64 s[8:9], s[0:1], exec
	v_mov_b32_e32 v5, v7
.LBB134_295:                            ;   in Loop: Header=BB134_32 Depth=1
	s_or_b64 exec, exec, s[36:37]
	s_orn2_b64 s[0:1], s[8:9], exec
.LBB134_296:                            ;   in Loop: Header=BB134_32 Depth=1
	s_or_b64 exec, exec, s[28:29]
	s_andn2_b64 s[8:9], s[24:25], exec
	s_and_b64 s[14:15], s[34:35], exec
	s_or_b64 s[24:25], s[8:9], s[14:15]
	s_andn2_b64 s[6:7], s[6:7], exec
	s_and_b64 s[8:9], s[30:31], exec
	v_mov_b32_e32 v9, v5
	s_or_b64 s[6:7], s[6:7], s[8:9]
	s_and_b64 s[8:9], s[0:1], exec
	v_mov_b32_e32 v8, v4
.LBB134_297:                            ;   in Loop: Header=BB134_32 Depth=1
	s_or_b64 exec, exec, s[26:27]
	s_orn2_b64 s[0:1], s[8:9], exec
.LBB134_298:                            ;   in Loop: Header=BB134_32 Depth=1
	s_or_b64 exec, exec, s[20:21]
	s_mov_b64 s[8:9], 0
	s_and_saveexec_b64 s[14:15], s[0:1]
	s_xor_b64 s[0:1], exec, s[14:15]
	s_cbranch_execz .LBB134_30
; %bb.299:                              ;   in Loop: Header=BB134_32 Depth=1
	v_and_b32_e32 v2, 7, v2
	v_cmp_eq_u32_e32 vcc, 0, v2
	s_mov_b64 s[14:15], -1
	s_mov_b64 s[8:9], -1
	s_and_saveexec_b64 s[18:19], vcc
	s_cbranch_execz .LBB134_29
; %bb.300:                              ;   in Loop: Header=BB134_32 Depth=1
	s_xor_b32 s88, s88, 1
	s_add_i32 s20, s86, -2
	s_cmp_eq_u32 s86, 0
	s_cselect_b64 s[14:15], -1, 0
	s_xor_b64 s[8:9], exec, -1
	s_orn2_b64 s[14:15], s[14:15], exec
	s_mov_b32 s86, s20
	s_branch .LBB134_29
.LBB134_301:                            ;   in Loop: Header=BB134_32 Depth=1
                                        ; implicit-def: $sgpr48_sgpr49
	s_branch .LBB134_252
.LBB134_302:                            ;   in Loop: Header=BB134_32 Depth=1
                                        ; implicit-def: $sgpr8_sgpr9
	s_branch .LBB134_269
.LBB134_303:
	s_or_b64 exec, exec, s[12:13]
	s_xor_b64 s[4:5], s[72:73], -1
	s_xor_b64 s[2:3], s[90:91], -1
	s_xor_b64 s[6:7], s[10:11], -1
	s_mov_b64 s[0:1], 0
	s_and_saveexec_b64 s[8:9], s[2:3]
	s_xor_b64 s[2:3], exec, s[8:9]
	s_cbranch_execnz .LBB134_308
; %bb.304:
	s_andn2_saveexec_b64 s[2:3], s[2:3]
	s_cbranch_execnz .LBB134_321
.LBB134_305:
	s_or_b64 exec, exec, s[2:3]
	s_and_saveexec_b64 s[2:3], s[0:1]
.LBB134_306:
	; divergent unreachable
.LBB134_307:
	s_endpgm
.LBB134_308:
	s_and_saveexec_b64 s[0:1], s[4:5]
	s_xor_b64 s[4:5], exec, s[0:1]
	s_cbranch_execz .LBB134_319
; %bb.309:
	s_and_saveexec_b64 s[0:1], s[6:7]
	s_xor_b64 s[0:1], exec, s[0:1]
; %bb.310:
	v_and_b32_e32 v2, 0x8000, v30
	v_mov_b32_e32 v3, 0x8000
	v_mov_b32_e32 v4, 0xffff
	v_cmp_eq_u32_e32 vcc, 0, v2
	v_cndmask_b32_e32 v2, v3, v4, vcc
	v_xor_b32_e32 v39, v2, v30
; %bb.311:
	s_or_b64 exec, exec, s[0:1]
	v_readlane_b32 s8, v52, 12
	v_readlane_b32 s0, v52, 4
	;; [unrolled: 1-line block ×4, first 2 shown]
	s_mov_b32 s14, s0
	s_mul_i32 s0, s0, s9
	s_mul_hi_u32 s1, s14, s8
	s_add_i32 s1, s1, s0
	s_mul_i32 s0, s14, s8
	v_readlane_b32 s12, v52, 6
	v_readlane_b32 s16, v52, 24
	;; [unrolled: 1-line block ×3, first 2 shown]
	s_sub_u32 s0, s12, s0
	v_readlane_b32 s18, v52, 26
	v_readlane_b32 s19, v52, 27
	s_subb_u32 s1, s13, s1
	s_mul_i32 s6, s0, s19
	s_mul_hi_u32 s7, s0, s18
	v_readlane_b32 s10, v52, 14
	v_readlane_b32 s11, v52, 15
	v_readlane_b32 s17, v52, 25
	s_add_i32 s6, s7, s6
	s_mul_i32 s1, s1, s18
	s_add_i32 s1, s6, s1
	s_mul_i32 s6, s14, s17
	s_mul_hi_u32 s7, s14, s16
	s_mul_i32 s8, s12, s11
	s_mul_hi_u32 s9, s12, s10
	s_add_i32 s7, s7, s6
	s_add_i32 s9, s9, s8
	s_mul_i32 s8, s12, s10
	v_readlane_b32 s10, v52, 32
	v_readlane_b32 s12, v52, 22
	;; [unrolled: 1-line block ×3, first 2 shown]
	s_sub_u32 s8, s10, s8
	v_readlane_b32 s13, v52, 23
	s_subb_u32 s9, 0, s9
	s_mul_i32 s10, s8, s13
	s_mul_hi_u32 s11, s8, s12
	s_mul_i32 s6, s14, s16
	s_add_i32 s10, s11, s10
	s_mul_i32 s9, s9, s12
	s_add_i32 s9, s10, s9
	s_lshl_b64 s[6:7], s[6:7], 1
	v_readlane_b32 s10, v52, 30
	s_mul_i32 s0, s0, s18
	v_readlane_b32 s11, v52, 31
	s_add_u32 s6, s10, s6
	s_addc_u32 s7, s11, s7
	s_lshl_b64 s[0:1], s[0:1], 1
	s_mul_i32 s8, s8, s12
	s_add_u32 s6, s6, s0
	s_addc_u32 s7, s7, s1
	s_lshl_b64 s[0:1], s[8:9], 1
	s_add_u32 s0, s6, s0
	s_addc_u32 s1, s7, s1
	v_mov_b32_e32 v2, 0
	global_store_short v2, v39, s[0:1]
	s_mov_b64 s[6:7], exec
	v_readlane_b32 s0, v52, 34
	v_readlane_b32 s1, v52, 35
	s_and_b64 s[0:1], s[6:7], s[0:1]
	s_mov_b64 exec, s[0:1]
	s_cbranch_execz .LBB134_318
; %bb.312:
	v_cmp_u_f16_e32 vcc, v39, v39
	s_mov_b64 s[8:9], 0
	v_mov_b32_e32 v4, s77
	s_xor_b64 s[12:13], vcc, -1
                                        ; implicit-def: $sgpr10_sgpr11
                                        ; implicit-def: $sgpr16_sgpr17
                                        ; implicit-def: $sgpr14_sgpr15
	s_branch .LBB134_314
.LBB134_313:                            ;   in Loop: Header=BB134_314 Depth=1
	s_or_b64 exec, exec, s[0:1]
	s_and_b64 s[0:1], exec, s[16:17]
	s_or_b64 s[8:9], s[0:1], s[8:9]
	s_andn2_b64 s[0:1], s[10:11], exec
	s_and_b64 s[10:11], s[14:15], exec
	s_or_b64 s[10:11], s[0:1], s[10:11]
	s_andn2_b64 exec, exec, s[8:9]
	s_cbranch_execz .LBB134_316
.LBB134_314:                            ; =>This Inner Loop Header: Depth=1
	v_mov_b32_e32 v3, v1
	v_mov_b32_e32 v2, v0
	v_mul_lo_u32 v5, v3, s80
	v_mul_lo_u32 v6, v2, s81
	v_mad_u64_u32 v[0:1], s[0:1], v2, s80, 0
	s_or_b64 s[14:15], s[14:15], exec
	s_or_b64 s[16:17], s[16:17], exec
	v_add3_u32 v1, v1, v6, v5
	v_lshlrev_b64 v[0:1], 1, v[0:1]
	v_add_co_u32_e32 v0, vcc, s33, v0
	v_addc_co_u32_e32 v1, vcc, v4, v1, vcc
	global_load_ushort v0, v[0:1], off
	s_waitcnt vmcnt(0)
	v_cmp_o_f16_e64 s[0:1], v0, v0
	v_cmp_neq_f16_e32 vcc, v0, v39
	s_or_b64 s[0:1], s[12:13], s[0:1]
	s_and_b64 s[18:19], vcc, s[0:1]
                                        ; implicit-def: $vgpr0_vgpr1
	s_and_saveexec_b64 s[0:1], s[18:19]
	s_cbranch_execz .LBB134_313
; %bb.315:                              ;   in Loop: Header=BB134_314 Depth=1
	v_add_co_u32_e32 v0, vcc, s76, v2
	v_addc_co_u32_e32 v1, vcc, 0, v3, vcc
	v_cmp_le_u64_e32 vcc, s[56:57], v[0:1]
	s_andn2_b64 s[16:17], s[16:17], exec
	s_and_b64 s[18:19], vcc, exec
	s_andn2_b64 s[14:15], s[14:15], exec
	s_or_b64 s[16:17], s[16:17], s[18:19]
	s_branch .LBB134_313
.LBB134_316:
	s_or_b64 exec, exec, s[8:9]
	s_and_saveexec_b64 s[0:1], s[10:11]
	s_xor_b64 s[0:1], exec, s[0:1]
	s_cbranch_execz .LBB134_318
; %bb.317:
	v_readlane_b32 s12, v52, 0
	v_readlane_b32 s0, v52, 8
	;; [unrolled: 1-line block ×4, first 2 shown]
	s_mov_b32 s10, s0
	s_mul_i32 s0, s0, s13
	s_mul_hi_u32 s1, s10, s12
	s_add_i32 s1, s1, s0
	s_mul_i32 s0, s10, s12
	v_readlane_b32 s12, v52, 10
	v_readlane_b32 s16, v52, 18
	;; [unrolled: 1-line block ×3, first 2 shown]
	s_sub_u32 s0, s12, s0
	v_readlane_b32 s18, v52, 20
	v_readlane_b32 s19, v52, 21
	s_subb_u32 s1, s13, s1
	s_mul_i32 s8, s0, s19
	s_mul_hi_u32 s9, s0, s18
	v_readlane_b32 s17, v52, 19
	s_add_i32 s8, s9, s8
	s_mul_i32 s1, s1, s18
	v_readlane_b32 s14, v52, 2
	v_readlane_b32 s15, v52, 3
	s_add_i32 s1, s8, s1
	s_mul_i32 s8, s10, s17
	s_mul_hi_u32 s9, s10, s16
	s_add_i32 s9, s9, s8
	s_mul_i32 s8, s10, s16
	s_mul_i32 s10, s12, s15
	s_mul_hi_u32 s11, s12, s14
	s_add_i32 s11, s11, s10
	s_mul_i32 s10, s12, s14
	v_readlane_b32 s12, v52, 32
	v_readlane_b32 s14, v52, 16
	;; [unrolled: 1-line block ×3, first 2 shown]
	s_sub_u32 s10, s12, s10
	v_readlane_b32 s15, v52, 17
	s_subb_u32 s11, 0, s11
	s_mul_i32 s12, s10, s15
	s_mul_hi_u32 s13, s10, s14
	s_add_i32 s12, s13, s12
	s_mul_i32 s11, s11, s14
	s_add_i32 s11, s12, s11
	s_lshl_b64 s[8:9], s[8:9], 3
	v_readlane_b32 s12, v52, 28
	s_mul_i32 s0, s0, s18
	v_readlane_b32 s13, v52, 29
	s_add_u32 s8, s12, s8
	s_addc_u32 s9, s13, s9
	s_lshl_b64 s[0:1], s[0:1], 3
	s_mul_i32 s10, s10, s14
	s_add_u32 s8, s8, s0
	s_addc_u32 s9, s9, s1
	s_lshl_b64 s[0:1], s[10:11], 3
	s_add_u32 s0, s8, s0
	s_addc_u32 s1, s9, s1
	v_mov_b32_e32 v0, 0
	global_store_dwordx2 v0, v[2:3], s[0:1]
.LBB134_318:
	s_or_b64 exec, exec, s[6:7]
.LBB134_319:
	s_or_saveexec_b64 s[0:1], s[4:5]
	s_mov_b64 s[4:5], 0
	s_xor_b64 exec, exec, s[0:1]
	s_cbranch_execnz .LBB134_322
.LBB134_320:
	s_or_b64 exec, exec, s[0:1]
	s_and_b64 s[0:1], s[4:5], exec
	s_andn2_saveexec_b64 s[2:3], s[2:3]
	s_cbranch_execz .LBB134_305
.LBB134_321:
	s_or_b64 s[0:1], s[0:1], exec
	s_trap 2
	s_or_b64 exec, exec, s[2:3]
	s_and_saveexec_b64 s[2:3], s[0:1]
	s_cbranch_execnz .LBB134_306
	s_branch .LBB134_307
.LBB134_322:
	s_mov_b64 s[4:5], exec
	s_trap 2
	s_branch .LBB134_320
	.section	.rodata,"a",@progbits
	.p2align	6, 0x0
	.amdhsa_kernel _ZN2at6native12_GLOBAL__N_112gatherMedianIN3c104HalfEmLi3EEEvNS_4cuda6detail10TensorInfoIT_T0_EENS7_IlS9_EENS7_IKS8_S9_EES9_S9_S9_b
		.amdhsa_group_segment_fixed_size 5152
		.amdhsa_private_segment_fixed_size 0
		.amdhsa_kernarg_size 1536
		.amdhsa_user_sgpr_count 6
		.amdhsa_user_sgpr_private_segment_buffer 1
		.amdhsa_user_sgpr_dispatch_ptr 0
		.amdhsa_user_sgpr_queue_ptr 0
		.amdhsa_user_sgpr_kernarg_segment_ptr 1
		.amdhsa_user_sgpr_dispatch_id 0
		.amdhsa_user_sgpr_flat_scratch_init 0
		.amdhsa_user_sgpr_private_segment_size 0
		.amdhsa_uses_dynamic_stack 0
		.amdhsa_system_sgpr_private_segment_wavefront_offset 0
		.amdhsa_system_sgpr_workgroup_id_x 1
		.amdhsa_system_sgpr_workgroup_id_y 1
		.amdhsa_system_sgpr_workgroup_id_z 1
		.amdhsa_system_sgpr_workgroup_info 0
		.amdhsa_system_vgpr_workitem_id 0
		.amdhsa_next_free_vgpr 53
		.amdhsa_next_free_sgpr 96
		.amdhsa_reserve_vcc 1
		.amdhsa_reserve_flat_scratch 0
		.amdhsa_float_round_mode_32 0
		.amdhsa_float_round_mode_16_64 0
		.amdhsa_float_denorm_mode_32 3
		.amdhsa_float_denorm_mode_16_64 3
		.amdhsa_dx10_clamp 1
		.amdhsa_ieee_mode 1
		.amdhsa_fp16_overflow 0
		.amdhsa_exception_fp_ieee_invalid_op 0
		.amdhsa_exception_fp_denorm_src 0
		.amdhsa_exception_fp_ieee_div_zero 0
		.amdhsa_exception_fp_ieee_overflow 0
		.amdhsa_exception_fp_ieee_underflow 0
		.amdhsa_exception_fp_ieee_inexact 0
		.amdhsa_exception_int_div_zero 0
	.end_amdhsa_kernel
	.section	.text._ZN2at6native12_GLOBAL__N_112gatherMedianIN3c104HalfEmLi3EEEvNS_4cuda6detail10TensorInfoIT_T0_EENS7_IlS9_EENS7_IKS8_S9_EES9_S9_S9_b,"axG",@progbits,_ZN2at6native12_GLOBAL__N_112gatherMedianIN3c104HalfEmLi3EEEvNS_4cuda6detail10TensorInfoIT_T0_EENS7_IlS9_EENS7_IKS8_S9_EES9_S9_S9_b,comdat
.Lfunc_end134:
	.size	_ZN2at6native12_GLOBAL__N_112gatherMedianIN3c104HalfEmLi3EEEvNS_4cuda6detail10TensorInfoIT_T0_EENS7_IlS9_EENS7_IKS8_S9_EES9_S9_S9_b, .Lfunc_end134-_ZN2at6native12_GLOBAL__N_112gatherMedianIN3c104HalfEmLi3EEEvNS_4cuda6detail10TensorInfoIT_T0_EENS7_IlS9_EENS7_IKS8_S9_EES9_S9_S9_b
                                        ; -- End function
	.set _ZN2at6native12_GLOBAL__N_112gatherMedianIN3c104HalfEmLi3EEEvNS_4cuda6detail10TensorInfoIT_T0_EENS7_IlS9_EENS7_IKS8_S9_EES9_S9_S9_b.num_vgpr, 53
	.set _ZN2at6native12_GLOBAL__N_112gatherMedianIN3c104HalfEmLi3EEEvNS_4cuda6detail10TensorInfoIT_T0_EENS7_IlS9_EENS7_IKS8_S9_EES9_S9_S9_b.num_agpr, 0
	.set _ZN2at6native12_GLOBAL__N_112gatherMedianIN3c104HalfEmLi3EEEvNS_4cuda6detail10TensorInfoIT_T0_EENS7_IlS9_EENS7_IKS8_S9_EES9_S9_S9_b.numbered_sgpr, 96
	.set _ZN2at6native12_GLOBAL__N_112gatherMedianIN3c104HalfEmLi3EEEvNS_4cuda6detail10TensorInfoIT_T0_EENS7_IlS9_EENS7_IKS8_S9_EES9_S9_S9_b.num_named_barrier, 0
	.set _ZN2at6native12_GLOBAL__N_112gatherMedianIN3c104HalfEmLi3EEEvNS_4cuda6detail10TensorInfoIT_T0_EENS7_IlS9_EENS7_IKS8_S9_EES9_S9_S9_b.private_seg_size, 0
	.set _ZN2at6native12_GLOBAL__N_112gatherMedianIN3c104HalfEmLi3EEEvNS_4cuda6detail10TensorInfoIT_T0_EENS7_IlS9_EENS7_IKS8_S9_EES9_S9_S9_b.uses_vcc, 1
	.set _ZN2at6native12_GLOBAL__N_112gatherMedianIN3c104HalfEmLi3EEEvNS_4cuda6detail10TensorInfoIT_T0_EENS7_IlS9_EENS7_IKS8_S9_EES9_S9_S9_b.uses_flat_scratch, 0
	.set _ZN2at6native12_GLOBAL__N_112gatherMedianIN3c104HalfEmLi3EEEvNS_4cuda6detail10TensorInfoIT_T0_EENS7_IlS9_EENS7_IKS8_S9_EES9_S9_S9_b.has_dyn_sized_stack, 0
	.set _ZN2at6native12_GLOBAL__N_112gatherMedianIN3c104HalfEmLi3EEEvNS_4cuda6detail10TensorInfoIT_T0_EENS7_IlS9_EENS7_IKS8_S9_EES9_S9_S9_b.has_recursion, 0
	.set _ZN2at6native12_GLOBAL__N_112gatherMedianIN3c104HalfEmLi3EEEvNS_4cuda6detail10TensorInfoIT_T0_EENS7_IlS9_EENS7_IKS8_S9_EES9_S9_S9_b.has_indirect_call, 0
	.section	.AMDGPU.csdata,"",@progbits
; Kernel info:
; codeLenInByte = 17324
; TotalNumSgprs: 100
; NumVgprs: 53
; ScratchSize: 0
; MemoryBound: 0
; FloatMode: 240
; IeeeMode: 1
; LDSByteSize: 5152 bytes/workgroup (compile time only)
; SGPRBlocks: 12
; VGPRBlocks: 13
; NumSGPRsForWavesPerEU: 100
; NumVGPRsForWavesPerEU: 53
; Occupancy: 4
; WaveLimiterHint : 1
; COMPUTE_PGM_RSRC2:SCRATCH_EN: 0
; COMPUTE_PGM_RSRC2:USER_SGPR: 6
; COMPUTE_PGM_RSRC2:TRAP_HANDLER: 0
; COMPUTE_PGM_RSRC2:TGID_X_EN: 1
; COMPUTE_PGM_RSRC2:TGID_Y_EN: 1
; COMPUTE_PGM_RSRC2:TGID_Z_EN: 1
; COMPUTE_PGM_RSRC2:TIDIG_COMP_CNT: 0
	.section	.text._ZN2at6native12_GLOBAL__N_112gatherMedianIN3c104HalfEmLin1EEEvNS_4cuda6detail10TensorInfoIT_T0_EENS7_IlS9_EENS7_IKS8_S9_EES9_S9_S9_b,"axG",@progbits,_ZN2at6native12_GLOBAL__N_112gatherMedianIN3c104HalfEmLin1EEEvNS_4cuda6detail10TensorInfoIT_T0_EENS7_IlS9_EENS7_IKS8_S9_EES9_S9_S9_b,comdat
	.globl	_ZN2at6native12_GLOBAL__N_112gatherMedianIN3c104HalfEmLin1EEEvNS_4cuda6detail10TensorInfoIT_T0_EENS7_IlS9_EENS7_IKS8_S9_EES9_S9_S9_b ; -- Begin function _ZN2at6native12_GLOBAL__N_112gatherMedianIN3c104HalfEmLin1EEEvNS_4cuda6detail10TensorInfoIT_T0_EENS7_IlS9_EENS7_IKS8_S9_EES9_S9_S9_b
	.p2align	8
	.type	_ZN2at6native12_GLOBAL__N_112gatherMedianIN3c104HalfEmLin1EEEvNS_4cuda6detail10TensorInfoIT_T0_EENS7_IlS9_EENS7_IKS8_S9_EES9_S9_S9_b,@function
_ZN2at6native12_GLOBAL__N_112gatherMedianIN3c104HalfEmLin1EEEvNS_4cuda6detail10TensorInfoIT_T0_EENS7_IlS9_EENS7_IKS8_S9_EES9_S9_S9_b: ; @_ZN2at6native12_GLOBAL__N_112gatherMedianIN3c104HalfEmLin1EEEvNS_4cuda6detail10TensorInfoIT_T0_EENS7_IlS9_EENS7_IKS8_S9_EES9_S9_S9_b
; %bb.0:
	s_load_dwordx2 s[10:11], s[4:5], 0x500
	s_load_dwordx4 s[24:27], s[4:5], 0x4e0
	s_add_u32 s12, s4, 0x500
	s_addc_u32 s13, s5, 0
	s_mov_b32 s1, 0
	s_waitcnt lgkmcnt(0)
	s_mul_i32 s0, s11, s8
	s_add_i32 s0, s0, s7
	s_mul_i32 s0, s0, s10
	s_add_i32 s0, s0, s6
	v_mov_b32_e32 v2, s1
	v_mov_b32_e32 v1, s0
	v_cmp_le_u64_e32 vcc, s[26:27], v[1:2]
	s_cbranch_vccnz .LBB135_322
; %bb.1:
	s_load_dword s2, s[4:5], 0x198
	s_load_dwordx2 s[26:27], s[4:5], 0x4f0
	s_mov_b64 s[22:23], 0
	s_mov_b64 s[30:31], s[0:1]
	s_waitcnt lgkmcnt(0)
	s_cmp_lt_i32 s2, 2
	s_cbranch_scc1 .LBB135_9
; %bb.2:
	s_add_i32 s7, s2, 1
	s_add_i32 s8, s2, -1
	s_mov_b32 s2, 0
	s_mov_b32 s9, s2
	s_lshl_b64 s[8:9], s[8:9], 3
	s_add_u32 s3, s4, s8
	s_addc_u32 s9, s5, s9
	s_add_u32 s8, s3, 8
	s_addc_u32 s9, s9, 0
	s_mov_b64 s[14:15], s[0:1]
.LBB135_3:                              ; =>This Inner Loop Header: Depth=1
	s_load_dwordx2 s[16:17], s[8:9], 0x0
	s_waitcnt lgkmcnt(0)
	s_or_b64 s[18:19], s[14:15], s[16:17]
	s_mov_b32 s3, s19
	s_cmp_lg_u64 s[2:3], 0
	s_cbranch_scc0 .LBB135_8
; %bb.4:                                ;   in Loop: Header=BB135_3 Depth=1
	v_cvt_f32_u32_e32 v1, s16
	v_cvt_f32_u32_e32 v2, s17
	s_sub_u32 s3, 0, s16
	s_subb_u32 s11, 0, s17
	v_mac_f32_e32 v1, 0x4f800000, v2
	v_rcp_f32_e32 v1, v1
	v_mul_f32_e32 v1, 0x5f7ffffc, v1
	v_mul_f32_e32 v2, 0x2f800000, v1
	v_trunc_f32_e32 v2, v2
	v_mac_f32_e32 v1, 0xcf800000, v2
	v_cvt_u32_f32_e32 v2, v2
	v_cvt_u32_f32_e32 v1, v1
	v_readfirstlane_b32 s20, v2
	v_readfirstlane_b32 s18, v1
	s_mul_i32 s19, s3, s20
	s_mul_hi_u32 s28, s3, s18
	s_mul_i32 s21, s11, s18
	s_add_i32 s19, s28, s19
	s_mul_i32 s29, s3, s18
	s_add_i32 s19, s19, s21
	s_mul_i32 s28, s18, s19
	s_mul_hi_u32 s30, s18, s29
	s_mul_hi_u32 s21, s18, s19
	s_add_u32 s28, s30, s28
	s_addc_u32 s21, 0, s21
	s_mul_hi_u32 s31, s20, s29
	s_mul_i32 s29, s20, s29
	s_add_u32 s28, s28, s29
	s_mul_hi_u32 s30, s20, s19
	s_addc_u32 s21, s21, s31
	s_addc_u32 s28, s30, 0
	s_mul_i32 s19, s20, s19
	s_add_u32 s19, s21, s19
	s_addc_u32 s21, 0, s28
	s_add_u32 s28, s18, s19
	s_cselect_b64 s[18:19], -1, 0
	s_cmp_lg_u64 s[18:19], 0
	s_addc_u32 s20, s20, s21
	s_mul_i32 s18, s3, s20
	s_mul_hi_u32 s19, s3, s28
	s_add_i32 s18, s19, s18
	s_mul_i32 s11, s11, s28
	s_add_i32 s18, s18, s11
	s_mul_i32 s3, s3, s28
	s_mul_hi_u32 s19, s20, s3
	s_mul_i32 s21, s20, s3
	s_mul_i32 s30, s28, s18
	s_mul_hi_u32 s3, s28, s3
	s_mul_hi_u32 s29, s28, s18
	s_add_u32 s3, s3, s30
	s_addc_u32 s29, 0, s29
	s_add_u32 s3, s3, s21
	s_mul_hi_u32 s11, s20, s18
	s_addc_u32 s3, s29, s19
	s_addc_u32 s11, s11, 0
	s_mul_i32 s18, s20, s18
	s_add_u32 s3, s3, s18
	s_addc_u32 s11, 0, s11
	s_add_u32 s3, s28, s3
	s_cselect_b64 s[18:19], -1, 0
	s_cmp_lg_u64 s[18:19], 0
	s_addc_u32 s11, s20, s11
	s_mul_i32 s19, s14, s11
	s_mul_hi_u32 s20, s14, s3
	s_mul_hi_u32 s18, s14, s11
	s_add_u32 s19, s20, s19
	s_addc_u32 s18, 0, s18
	s_mul_hi_u32 s21, s15, s3
	s_mul_i32 s3, s15, s3
	s_add_u32 s3, s19, s3
	s_mul_hi_u32 s20, s15, s11
	s_addc_u32 s3, s18, s21
	s_addc_u32 s18, s20, 0
	s_mul_i32 s11, s15, s11
	s_add_u32 s3, s3, s11
	s_addc_u32 s11, 0, s18
	s_mul_i32 s18, s16, s11
	s_mul_hi_u32 s19, s16, s3
	s_add_i32 s18, s19, s18
	s_mul_i32 s19, s17, s3
	s_add_i32 s28, s18, s19
	s_sub_i32 s20, s15, s28
	s_mul_i32 s18, s16, s3
	s_sub_u32 s29, s14, s18
	s_cselect_b64 s[18:19], -1, 0
	s_cmp_lg_u64 s[18:19], 0
	s_subb_u32 s30, s20, s17
	s_sub_u32 s31, s29, s16
	s_cselect_b64 s[20:21], -1, 0
	s_cmp_lg_u64 s[20:21], 0
	s_subb_u32 s20, s30, 0
	s_cmp_ge_u32 s20, s17
	s_cselect_b32 s21, -1, 0
	s_cmp_ge_u32 s31, s16
	s_cselect_b32 s30, -1, 0
	s_cmp_eq_u32 s20, s17
	s_cselect_b32 s20, s30, s21
	s_add_u32 s21, s3, 1
	s_addc_u32 s30, s11, 0
	s_add_u32 s31, s3, 2
	s_addc_u32 s33, s11, 0
	s_cmp_lg_u32 s20, 0
	s_cselect_b32 s20, s31, s21
	s_cselect_b32 s21, s33, s30
	s_cmp_lg_u64 s[18:19], 0
	s_subb_u32 s18, s15, s28
	s_cmp_ge_u32 s18, s17
	s_cselect_b32 s19, -1, 0
	s_cmp_ge_u32 s29, s16
	s_cselect_b32 s28, -1, 0
	s_cmp_eq_u32 s18, s17
	s_cselect_b32 s18, s28, s19
	s_cmp_lg_u32 s18, 0
	s_cselect_b32 s31, s21, s11
	s_cselect_b32 s30, s20, s3
	s_cbranch_execnz .LBB135_6
.LBB135_5:                              ;   in Loop: Header=BB135_3 Depth=1
	v_cvt_f32_u32_e32 v1, s16
	s_sub_i32 s3, 0, s16
	s_mov_b32 s31, s2
	v_rcp_iflag_f32_e32 v1, v1
	v_mul_f32_e32 v1, 0x4f7ffffe, v1
	v_cvt_u32_f32_e32 v1, v1
	v_readfirstlane_b32 s11, v1
	s_mul_i32 s3, s3, s11
	s_mul_hi_u32 s3, s11, s3
	s_add_i32 s11, s11, s3
	s_mul_hi_u32 s3, s14, s11
	s_mul_i32 s18, s3, s16
	s_sub_i32 s18, s14, s18
	s_add_i32 s11, s3, 1
	s_sub_i32 s19, s18, s16
	s_cmp_ge_u32 s18, s16
	s_cselect_b32 s3, s11, s3
	s_cselect_b32 s18, s19, s18
	s_add_i32 s11, s3, 1
	s_cmp_ge_u32 s18, s16
	s_cselect_b32 s30, s11, s3
.LBB135_6:                              ;   in Loop: Header=BB135_3 Depth=1
	s_mul_i32 s3, s30, s17
	s_mul_hi_u32 s11, s30, s16
	s_load_dwordx2 s[18:19], s[8:9], 0xc8
	s_add_i32 s3, s11, s3
	s_mul_i32 s11, s31, s16
	s_add_i32 s3, s3, s11
	s_mul_i32 s11, s30, s16
	s_sub_u32 s11, s14, s11
	s_subb_u32 s3, s15, s3
	s_waitcnt lgkmcnt(0)
	s_mul_i32 s3, s18, s3
	s_mul_hi_u32 s14, s18, s11
	s_add_i32 s3, s14, s3
	s_mul_i32 s14, s19, s11
	s_add_i32 s3, s3, s14
	s_mul_i32 s11, s18, s11
	s_add_u32 s22, s11, s22
	s_addc_u32 s23, s3, s23
	s_add_i32 s7, s7, -1
	s_add_u32 s8, s8, -8
	s_addc_u32 s9, s9, -1
	s_cmp_gt_u32 s7, 2
	s_cbranch_scc0 .LBB135_9
; %bb.7:                                ;   in Loop: Header=BB135_3 Depth=1
	s_mov_b64 s[14:15], s[30:31]
	s_branch .LBB135_3
.LBB135_8:                              ;   in Loop: Header=BB135_3 Depth=1
                                        ; implicit-def: $sgpr30_sgpr31
	s_branch .LBB135_5
.LBB135_9:
	s_load_dword s8, s[4:5], 0x338
	s_load_dwordx2 s[2:3], s[4:5], 0xd0
                                        ; implicit-def: $vgpr62 : SGPR spill to VGPR lane
	s_mov_b64 s[28:29], 0
	s_mov_b64 s[36:37], s[0:1]
	s_waitcnt lgkmcnt(0)
	v_writelane_b32 v62, s2, 0
	v_writelane_b32 v62, s3, 1
	s_add_u32 s2, s4, 0x1a0
	s_addc_u32 s3, s5, 0
	s_cmp_lt_i32 s8, 2
	s_cbranch_scc1 .LBB135_17
; %bb.10:
	s_add_i32 s7, s8, 1
	s_add_i32 s14, s8, -1
	s_mov_b32 s8, 0
	s_mov_b32 s15, s8
	s_lshl_b64 s[14:15], s[14:15], 3
	s_add_u32 s9, s2, s14
	s_addc_u32 s11, s3, s15
	s_add_u32 s14, s9, 8
	s_addc_u32 s15, s11, 0
	s_mov_b64 s[16:17], s[0:1]
.LBB135_11:                             ; =>This Inner Loop Header: Depth=1
	s_load_dwordx2 s[18:19], s[14:15], 0x0
	s_waitcnt lgkmcnt(0)
	s_or_b64 s[20:21], s[16:17], s[18:19]
	s_mov_b32 s9, s21
	s_cmp_lg_u64 s[8:9], 0
	s_cbranch_scc0 .LBB135_16
; %bb.12:                               ;   in Loop: Header=BB135_11 Depth=1
	v_cvt_f32_u32_e32 v1, s18
	v_cvt_f32_u32_e32 v2, s19
	s_sub_u32 s9, 0, s18
	s_subb_u32 s11, 0, s19
	v_mac_f32_e32 v1, 0x4f800000, v2
	v_rcp_f32_e32 v1, v1
	v_mul_f32_e32 v1, 0x5f7ffffc, v1
	v_mul_f32_e32 v2, 0x2f800000, v1
	v_trunc_f32_e32 v2, v2
	v_mac_f32_e32 v1, 0xcf800000, v2
	v_cvt_u32_f32_e32 v2, v2
	v_cvt_u32_f32_e32 v1, v1
	v_readfirstlane_b32 s33, v2
	v_readfirstlane_b32 s20, v1
	s_mul_i32 s21, s9, s33
	s_mul_hi_u32 s35, s9, s20
	s_mul_i32 s34, s11, s20
	s_add_i32 s21, s35, s21
	s_mul_i32 s36, s9, s20
	s_add_i32 s21, s21, s34
	s_mul_i32 s35, s20, s21
	s_mul_hi_u32 s37, s20, s36
	s_mul_hi_u32 s34, s20, s21
	s_add_u32 s35, s37, s35
	s_addc_u32 s34, 0, s34
	s_mul_hi_u32 s38, s33, s36
	s_mul_i32 s36, s33, s36
	s_add_u32 s35, s35, s36
	s_mul_hi_u32 s37, s33, s21
	s_addc_u32 s34, s34, s38
	s_addc_u32 s35, s37, 0
	s_mul_i32 s21, s33, s21
	s_add_u32 s21, s34, s21
	s_addc_u32 s34, 0, s35
	s_add_u32 s35, s20, s21
	s_cselect_b64 s[20:21], -1, 0
	s_cmp_lg_u64 s[20:21], 0
	s_addc_u32 s33, s33, s34
	s_mul_i32 s20, s9, s33
	s_mul_hi_u32 s21, s9, s35
	s_add_i32 s20, s21, s20
	s_mul_i32 s11, s11, s35
	s_add_i32 s20, s20, s11
	s_mul_i32 s9, s9, s35
	s_mul_hi_u32 s21, s33, s9
	s_mul_i32 s34, s33, s9
	s_mul_i32 s37, s35, s20
	s_mul_hi_u32 s9, s35, s9
	s_mul_hi_u32 s36, s35, s20
	s_add_u32 s9, s9, s37
	s_addc_u32 s36, 0, s36
	s_add_u32 s9, s9, s34
	s_mul_hi_u32 s11, s33, s20
	s_addc_u32 s9, s36, s21
	s_addc_u32 s11, s11, 0
	s_mul_i32 s20, s33, s20
	s_add_u32 s9, s9, s20
	s_addc_u32 s11, 0, s11
	s_add_u32 s9, s35, s9
	s_cselect_b64 s[20:21], -1, 0
	s_cmp_lg_u64 s[20:21], 0
	s_addc_u32 s11, s33, s11
	s_mul_i32 s21, s16, s11
	s_mul_hi_u32 s33, s16, s9
	s_mul_hi_u32 s20, s16, s11
	s_add_u32 s21, s33, s21
	s_addc_u32 s20, 0, s20
	s_mul_hi_u32 s34, s17, s9
	s_mul_i32 s9, s17, s9
	s_add_u32 s9, s21, s9
	s_mul_hi_u32 s33, s17, s11
	s_addc_u32 s9, s20, s34
	s_addc_u32 s20, s33, 0
	s_mul_i32 s11, s17, s11
	s_add_u32 s9, s9, s11
	s_addc_u32 s11, 0, s20
	s_mul_i32 s20, s18, s11
	s_mul_hi_u32 s21, s18, s9
	s_add_i32 s20, s21, s20
	s_mul_i32 s21, s19, s9
	s_add_i32 s33, s20, s21
	s_sub_i32 s34, s17, s33
	s_mul_i32 s20, s18, s9
	s_sub_u32 s36, s16, s20
	s_cselect_b64 s[20:21], -1, 0
	s_cmp_lg_u64 s[20:21], 0
	s_subb_u32 s37, s34, s19
	s_sub_u32 s38, s36, s18
	s_cselect_b64 s[34:35], -1, 0
	s_cmp_lg_u64 s[34:35], 0
	s_subb_u32 s34, s37, 0
	s_cmp_ge_u32 s34, s19
	s_cselect_b32 s35, -1, 0
	s_cmp_ge_u32 s38, s18
	s_cselect_b32 s37, -1, 0
	s_cmp_eq_u32 s34, s19
	s_cselect_b32 s34, s37, s35
	s_add_u32 s35, s9, 1
	s_addc_u32 s37, s11, 0
	s_add_u32 s38, s9, 2
	s_addc_u32 s39, s11, 0
	s_cmp_lg_u32 s34, 0
	s_cselect_b32 s34, s38, s35
	s_cselect_b32 s35, s39, s37
	s_cmp_lg_u64 s[20:21], 0
	s_subb_u32 s20, s17, s33
	s_cmp_ge_u32 s20, s19
	s_cselect_b32 s21, -1, 0
	s_cmp_ge_u32 s36, s18
	s_cselect_b32 s33, -1, 0
	s_cmp_eq_u32 s20, s19
	s_cselect_b32 s20, s33, s21
	s_cmp_lg_u32 s20, 0
	s_cselect_b32 s37, s35, s11
	s_cselect_b32 s36, s34, s9
	s_cbranch_execnz .LBB135_14
.LBB135_13:                             ;   in Loop: Header=BB135_11 Depth=1
	v_cvt_f32_u32_e32 v1, s18
	s_sub_i32 s9, 0, s18
	s_mov_b32 s37, s8
	v_rcp_iflag_f32_e32 v1, v1
	v_mul_f32_e32 v1, 0x4f7ffffe, v1
	v_cvt_u32_f32_e32 v1, v1
	v_readfirstlane_b32 s11, v1
	s_mul_i32 s9, s9, s11
	s_mul_hi_u32 s9, s11, s9
	s_add_i32 s11, s11, s9
	s_mul_hi_u32 s9, s16, s11
	s_mul_i32 s20, s9, s18
	s_sub_i32 s20, s16, s20
	s_add_i32 s11, s9, 1
	s_sub_i32 s21, s20, s18
	s_cmp_ge_u32 s20, s18
	s_cselect_b32 s9, s11, s9
	s_cselect_b32 s20, s21, s20
	s_add_i32 s11, s9, 1
	s_cmp_ge_u32 s20, s18
	s_cselect_b32 s36, s11, s9
.LBB135_14:                             ;   in Loop: Header=BB135_11 Depth=1
	s_mul_i32 s9, s36, s19
	s_mul_hi_u32 s11, s36, s18
	s_load_dwordx2 s[20:21], s[14:15], 0xc8
	s_add_i32 s9, s11, s9
	s_mul_i32 s11, s37, s18
	s_add_i32 s9, s9, s11
	s_mul_i32 s11, s36, s18
	s_sub_u32 s11, s16, s11
	s_subb_u32 s9, s17, s9
	s_waitcnt lgkmcnt(0)
	s_mul_i32 s9, s20, s9
	s_mul_hi_u32 s16, s20, s11
	s_add_i32 s9, s16, s9
	s_mul_i32 s16, s21, s11
	s_add_i32 s9, s9, s16
	s_mul_i32 s11, s20, s11
	s_add_u32 s28, s11, s28
	s_addc_u32 s29, s9, s29
	s_add_i32 s7, s7, -1
	s_add_u32 s14, s14, -8
	s_addc_u32 s15, s15, -1
	s_cmp_gt_u32 s7, 2
	s_cbranch_scc0 .LBB135_17
; %bb.15:                               ;   in Loop: Header=BB135_11 Depth=1
	s_mov_b64 s[16:17], s[36:37]
	s_branch .LBB135_11
.LBB135_16:                             ;   in Loop: Header=BB135_11 Depth=1
                                        ; implicit-def: $sgpr36_sgpr37
	s_branch .LBB135_13
.LBB135_17:
	s_load_dword s14, s[4:5], 0x4d8
	s_load_dwordx2 s[8:9], s[2:3], 0xd0
                                        ; kill: killed $sgpr2 killed $sgpr3
	s_add_u32 s3, s4, 0x340
	s_addc_u32 s11, s5, 0
	s_waitcnt lgkmcnt(0)
	s_cmp_lt_i32 s14, 2
	v_writelane_b32 v62, s8, 2
	v_writelane_b32 v62, s9, 3
	s_mov_b64 s[8:9], 0
	s_cbranch_scc1 .LBB135_25
; %bb.18:
	s_mov_b32 s2, 0
	s_add_i32 s8, s14, -1
	s_mov_b32 s9, s2
	s_add_i32 s7, s14, 1
	s_lshl_b64 s[8:9], s[8:9], 3
	s_add_u32 s3, s3, s8
	s_addc_u32 s8, s11, s9
	s_add_u32 s14, s3, 8
	s_addc_u32 s15, s8, 0
	s_mov_b64 s[8:9], 0
.LBB135_19:                             ; =>This Inner Loop Header: Depth=1
	s_load_dwordx2 s[16:17], s[14:15], 0x0
	s_waitcnt lgkmcnt(0)
	s_or_b64 s[18:19], s[0:1], s[16:17]
	s_mov_b32 s3, s19
	s_cmp_lg_u64 s[2:3], 0
	s_cbranch_scc0 .LBB135_24
; %bb.20:                               ;   in Loop: Header=BB135_19 Depth=1
	v_cvt_f32_u32_e32 v1, s16
	v_cvt_f32_u32_e32 v2, s17
	s_sub_u32 s3, 0, s16
	s_subb_u32 s11, 0, s17
	v_mac_f32_e32 v1, 0x4f800000, v2
	v_rcp_f32_e32 v1, v1
	v_mul_f32_e32 v1, 0x5f7ffffc, v1
	v_mul_f32_e32 v2, 0x2f800000, v1
	v_trunc_f32_e32 v2, v2
	v_mac_f32_e32 v1, 0xcf800000, v2
	v_cvt_u32_f32_e32 v2, v2
	v_cvt_u32_f32_e32 v1, v1
	v_readfirstlane_b32 s20, v2
	v_readfirstlane_b32 s18, v1
	s_mul_i32 s19, s3, s20
	s_mul_hi_u32 s33, s3, s18
	s_mul_i32 s21, s11, s18
	s_add_i32 s19, s33, s19
	s_mul_i32 s34, s3, s18
	s_add_i32 s19, s19, s21
	s_mul_i32 s33, s18, s19
	s_mul_hi_u32 s35, s18, s34
	s_mul_hi_u32 s21, s18, s19
	s_add_u32 s33, s35, s33
	s_addc_u32 s21, 0, s21
	s_mul_hi_u32 s38, s20, s34
	s_mul_i32 s34, s20, s34
	s_add_u32 s33, s33, s34
	s_mul_hi_u32 s35, s20, s19
	s_addc_u32 s21, s21, s38
	s_addc_u32 s33, s35, 0
	s_mul_i32 s19, s20, s19
	s_add_u32 s19, s21, s19
	s_addc_u32 s21, 0, s33
	s_add_u32 s33, s18, s19
	s_cselect_b64 s[18:19], -1, 0
	s_cmp_lg_u64 s[18:19], 0
	s_addc_u32 s20, s20, s21
	s_mul_i32 s18, s3, s20
	s_mul_hi_u32 s19, s3, s33
	s_add_i32 s18, s19, s18
	s_mul_i32 s11, s11, s33
	s_add_i32 s18, s18, s11
	s_mul_i32 s3, s3, s33
	s_mul_hi_u32 s19, s20, s3
	s_mul_i32 s21, s20, s3
	s_mul_i32 s35, s33, s18
	s_mul_hi_u32 s3, s33, s3
	s_mul_hi_u32 s34, s33, s18
	s_add_u32 s3, s3, s35
	s_addc_u32 s34, 0, s34
	s_add_u32 s3, s3, s21
	s_mul_hi_u32 s11, s20, s18
	s_addc_u32 s3, s34, s19
	s_addc_u32 s11, s11, 0
	s_mul_i32 s18, s20, s18
	s_add_u32 s3, s3, s18
	s_addc_u32 s11, 0, s11
	s_add_u32 s3, s33, s3
	s_cselect_b64 s[18:19], -1, 0
	s_cmp_lg_u64 s[18:19], 0
	s_addc_u32 s11, s20, s11
	s_mul_i32 s19, s0, s11
	s_mul_hi_u32 s20, s0, s3
	s_mul_hi_u32 s18, s0, s11
	s_add_u32 s19, s20, s19
	s_addc_u32 s18, 0, s18
	s_mul_hi_u32 s21, s1, s3
	s_mul_i32 s3, s1, s3
	s_add_u32 s3, s19, s3
	s_mul_hi_u32 s20, s1, s11
	s_addc_u32 s3, s18, s21
	s_addc_u32 s18, s20, 0
	s_mul_i32 s11, s1, s11
	s_add_u32 s3, s3, s11
	s_addc_u32 s11, 0, s18
	s_mul_i32 s18, s16, s11
	s_mul_hi_u32 s19, s16, s3
	s_add_i32 s18, s19, s18
	s_mul_i32 s19, s17, s3
	s_add_i32 s33, s18, s19
	s_sub_i32 s20, s1, s33
	s_mul_i32 s18, s16, s3
	s_sub_u32 s34, s0, s18
	s_cselect_b64 s[18:19], -1, 0
	s_cmp_lg_u64 s[18:19], 0
	s_subb_u32 s35, s20, s17
	s_sub_u32 s38, s34, s16
	s_cselect_b64 s[20:21], -1, 0
	s_cmp_lg_u64 s[20:21], 0
	s_subb_u32 s20, s35, 0
	s_cmp_ge_u32 s20, s17
	s_cselect_b32 s21, -1, 0
	s_cmp_ge_u32 s38, s16
	s_cselect_b32 s35, -1, 0
	s_cmp_eq_u32 s20, s17
	s_cselect_b32 s20, s35, s21
	s_add_u32 s21, s3, 1
	s_addc_u32 s35, s11, 0
	s_add_u32 s38, s3, 2
	s_addc_u32 s39, s11, 0
	s_cmp_lg_u32 s20, 0
	s_cselect_b32 s20, s38, s21
	s_cselect_b32 s21, s39, s35
	s_cmp_lg_u64 s[18:19], 0
	s_subb_u32 s18, s1, s33
	s_cmp_ge_u32 s18, s17
	s_cselect_b32 s19, -1, 0
	s_cmp_ge_u32 s34, s16
	s_cselect_b32 s33, -1, 0
	s_cmp_eq_u32 s18, s17
	s_cselect_b32 s18, s33, s19
	s_cmp_lg_u32 s18, 0
	s_cselect_b32 s19, s21, s11
	s_cselect_b32 s18, s20, s3
	s_cbranch_execnz .LBB135_22
.LBB135_21:                             ;   in Loop: Header=BB135_19 Depth=1
	v_cvt_f32_u32_e32 v1, s16
	s_sub_i32 s3, 0, s16
	v_rcp_iflag_f32_e32 v1, v1
	v_mul_f32_e32 v1, 0x4f7ffffe, v1
	v_cvt_u32_f32_e32 v1, v1
	v_readfirstlane_b32 s11, v1
	s_mul_i32 s3, s3, s11
	s_mul_hi_u32 s3, s11, s3
	s_add_i32 s11, s11, s3
	s_mul_hi_u32 s3, s0, s11
	s_mul_i32 s18, s3, s16
	s_sub_i32 s18, s0, s18
	s_add_i32 s11, s3, 1
	s_sub_i32 s19, s18, s16
	s_cmp_ge_u32 s18, s16
	s_cselect_b32 s3, s11, s3
	s_cselect_b32 s18, s19, s18
	s_add_i32 s11, s3, 1
	s_cmp_ge_u32 s18, s16
	s_cselect_b32 s18, s11, s3
	s_mov_b32 s19, s2
.LBB135_22:                             ;   in Loop: Header=BB135_19 Depth=1
	s_mul_i32 s3, s18, s17
	s_mul_hi_u32 s11, s18, s16
	s_load_dwordx2 s[20:21], s[14:15], 0xc8
	s_add_i32 s3, s11, s3
	s_mul_i32 s11, s19, s16
	s_add_i32 s3, s3, s11
	s_mul_i32 s11, s18, s16
	s_sub_u32 s0, s0, s11
	s_subb_u32 s1, s1, s3
	s_waitcnt lgkmcnt(0)
	s_mul_i32 s1, s20, s1
	s_mul_hi_u32 s3, s20, s0
	s_add_i32 s1, s3, s1
	s_mul_i32 s3, s21, s0
	s_add_i32 s1, s1, s3
	s_mul_i32 s0, s20, s0
	s_add_u32 s8, s0, s8
	s_addc_u32 s9, s1, s9
	s_add_i32 s7, s7, -1
	s_add_u32 s14, s14, -8
	s_addc_u32 s15, s15, -1
	s_cmp_gt_u32 s7, 2
	s_cbranch_scc0 .LBB135_26
; %bb.23:                               ;   in Loop: Header=BB135_19 Depth=1
	s_mov_b64 s[0:1], s[18:19]
	s_branch .LBB135_19
.LBB135_24:                             ;   in Loop: Header=BB135_19 Depth=1
                                        ; implicit-def: $sgpr18_sgpr19
	s_branch .LBB135_21
.LBB135_25:
	s_mov_b64 s[18:19], s[0:1]
.LBB135_26:
	s_load_dwordx2 s[0:1], s[4:5], 0x410
	s_load_dwordx2 s[2:3], s[4:5], 0x0
	v_mov_b32_e32 v2, 0
	v_mov_b32_e32 v1, 0
	;; [unrolled: 1-line block ×3, first 2 shown]
	s_waitcnt lgkmcnt(0)
	s_mul_i32 s1, s1, s18
	v_writelane_b32 v62, s2, 4
	v_writelane_b32 v62, s3, 5
	s_load_dwordx2 s[2:3], s[4:5], 0x1a0
	s_load_dwordx2 s[14:15], s[4:5], 0x340
	s_mul_i32 s16, s0, s18
	s_waitcnt lgkmcnt(0)
	v_writelane_b32 v62, s2, 6
	v_writelane_b32 v62, s3, 7
	s_mul_i32 s2, s0, s19
	s_mul_hi_u32 s3, s0, s18
	s_add_i32 s2, s3, s2
	s_add_i32 s17, s2, s1
	v_cmp_gt_u64_e64 s[2:3], s[24:25], v[0:1]
	s_mov_b64 s[0:1], exec
	v_writelane_b32 v62, s2, 8
	v_writelane_b32 v62, s3, 9
	s_and_b64 s[2:3], s[0:1], s[2:3]
	s_mov_b64 exec, s[2:3]
	s_cbranch_execz .LBB135_30
; %bb.27:
	v_mad_u64_u32 v[2:3], s[2:3], s26, v0, 0
	s_load_dword s7, s[12:13], 0xc
	s_lshl_b64 s[18:19], s[8:9], 1
	v_mad_u64_u32 v[3:4], s[2:3], s27, v0, v[3:4]
	s_lshl_b64 s[2:3], s[16:17], 1
	s_waitcnt lgkmcnt(0)
	s_and_b32 s7, s7, 0xffff
	s_add_u32 s11, s14, s18
	s_addc_u32 s18, s15, s19
	v_lshlrev_b64 v[2:3], 1, v[2:3]
	s_add_u32 s2, s11, s2
	s_addc_u32 s3, s18, s3
	v_mov_b32_e32 v5, s3
	v_add_co_u32_e32 v4, vcc, s2, v2
	s_mul_i32 s2, s27, s7
	s_mul_hi_u32 s3, s26, s7
	s_add_i32 s3, s3, s2
	s_mul_i32 s2, s26, s7
	v_addc_co_u32_e32 v5, vcc, v5, v3, vcc
	s_lshl_b64 s[18:19], s[2:3], 1
	v_mov_b32_e32 v2, 0
	v_mov_b32_e32 v7, v1
	s_mov_b64 s[2:3], 0
	v_mov_b32_e32 v3, 0
	v_mov_b32_e32 v8, s19
	;; [unrolled: 1-line block ×3, first 2 shown]
.LBB135_28:                             ; =>This Inner Loop Header: Depth=1
	global_load_ushort v9, v[4:5], off
	v_add_co_u32_e32 v6, vcc, s7, v6
	v_addc_co_u32_e32 v7, vcc, 0, v7, vcc
	v_add_co_u32_e32 v4, vcc, s18, v4
	v_addc_co_u32_e32 v5, vcc, v5, v8, vcc
	v_cmp_le_u64_e32 vcc, s[24:25], v[6:7]
	s_or_b64 s[2:3], vcc, s[2:3]
	s_waitcnt vmcnt(0)
	v_cmp_u_f16_e32 vcc, v9, v9
	v_cndmask_b32_e64 v9, 0, 1, vcc
	v_add_co_u32_e32 v2, vcc, v2, v9
	v_addc_co_u32_e32 v3, vcc, 0, v3, vcc
	s_andn2_b64 exec, exec, s[2:3]
	s_cbranch_execnz .LBB135_28
; %bb.29:
	s_or_b64 exec, exec, s[2:3]
.LBB135_30:
	s_or_b64 exec, exec, s[0:1]
	v_cmp_eq_u32_e64 s[2:3], 0, v0
	s_mov_b64 s[0:1], exec
	v_writelane_b32 v62, s2, 10
	v_writelane_b32 v62, s3, 11
	s_and_b64 s[2:3], s[0:1], s[2:3]
	s_mov_b64 exec, s[2:3]
; %bb.31:
	v_mov_b32_e32 v4, 0
	v_mov_b32_e32 v5, v4
	ds_write_b64 v4, v[4:5] offset:5136
; %bb.32:
	s_or_b64 exec, exec, s[0:1]
	v_cmp_ne_u64_e32 vcc, 0, v[2:3]
	s_mov_b64 s[18:19], 0
	s_waitcnt lgkmcnt(0)
	s_barrier
	s_and_saveexec_b64 s[0:1], vcc
	s_cbranch_execz .LBB135_37
; %bb.33:
	s_mov_b64 s[2:3], exec
.LBB135_34:                             ; =>This Inner Loop Header: Depth=1
	s_ff1_i32_b64 s7, s[2:3]
	v_readlane_b32 s20, v2, s7
	v_readlane_b32 s11, v3, s7
	s_add_u32 s18, s18, s20
	s_addc_u32 s19, s19, s11
	s_lshl_b64 s[20:21], 1, s7
	s_andn2_b64 s[2:3], s[2:3], s[20:21]
	s_cmp_lg_u64 s[2:3], 0
	s_cbranch_scc1 .LBB135_34
; %bb.35:
	v_mbcnt_lo_u32_b32 v2, exec_lo, 0
	v_mbcnt_hi_u32_b32 v2, exec_hi, v2
	v_cmp_eq_u32_e32 vcc, 0, v2
	s_and_saveexec_b64 s[2:3], vcc
	s_xor_b64 s[2:3], exec, s[2:3]
; %bb.36:
	v_mov_b32_e32 v2, s18
	v_mov_b32_e32 v4, 0
	;; [unrolled: 1-line block ×3, first 2 shown]
	ds_add_u64 v4, v[2:3] offset:5136
.LBB135_37:
	s_or_b64 exec, exec, s[0:1]
	v_mov_b32_e32 v2, 0
	s_load_dword s0, s[4:5], 0x4f8
	s_waitcnt lgkmcnt(0)
	s_barrier
	ds_read_b64 v[2:3], v2 offset:5136
	s_bitcmp1_b32 s0, 0
	s_cselect_b64 s[0:1], -1, 0
	v_mov_b32_e32 v30, s25
	v_mov_b32_e32 v29, s24
	s_waitcnt lgkmcnt(0)
	v_cmp_gt_i64_e32 vcc, 1, v[2:3]
	s_or_b64 s[0:1], s[0:1], vcc
	s_andn2_b64 vcc, exec, s[0:1]
	s_cbranch_vccnz .LBB135_39
; %bb.38:
	v_not_b32_e32 v2, v2
	v_not_b32_e32 v3, v3
	v_mov_b32_e32 v4, s25
	v_add_co_u32_e32 v2, vcc, s24, v2
	v_addc_co_u32_e32 v3, vcc, v4, v3, vcc
	v_lshrrev_b64 v[2:3], 1, v[2:3]
	v_add_co_u32_e32 v29, vcc, 1, v2
	v_addc_co_u32_e32 v30, vcc, 0, v3, vcc
.LBB135_39:
	s_mov_b64 s[0:1], exec
	v_readlane_b32 s2, v62, 10
	v_readlane_b32 s3, v62, 11
	s_and_b64 s[2:3], s[0:1], s[2:3]
	s_mov_b64 exec, s[2:3]
	s_cbranch_execz .LBB135_41
; %bb.40:
	v_mov_b32_e32 v2, 0
	v_mov_b32_e32 v4, s24
	v_mov_b32_e32 v5, s25
	v_mov_b32_e32 v3, v2
	ds_write_b32 v2, v2 offset:5144
	ds_write_b128 v2, v[2:5] offset:5120
.LBB135_41:
	s_or_b64 exec, exec, s[0:1]
	s_lshl_b64 s[18:19], s[16:17], 1
	s_add_u32 s20, s14, s18
	v_mbcnt_lo_u32_b32 v2, -1, 0
	v_mad_u64_u32 v[6:7], s[0:1], s26, v0, 0
	s_addc_u32 s21, s15, s19
	s_lshl_b64 s[44:45], s[8:9], 1
	v_mbcnt_hi_u32_b32 v41, -1, v2
	s_add_u32 s52, s20, s44
	v_cmp_gt_u32_e32 vcc, 64, v0
	v_cmp_gt_i32_e64 s[8:9], 4, v41
	s_addc_u32 s53, s21, s45
	s_and_b64 s[0:1], vcc, s[8:9]
	v_writelane_b32 v62, s0, 12
	v_mov_b32_e32 v2, v7
	v_writelane_b32 v62, s1, 13
	v_mad_u64_u32 v[2:3], s[0:1], s27, v0, v[2:3]
	v_mov_b32_e32 v3, 0x600
	v_cmp_gt_u32_e64 s[0:1], 2, v0
	v_mov_b32_e32 v4, 0
	v_writelane_b32 v62, s0, 14
	v_writelane_b32 v62, s1, 15
	v_cmp_gt_u64_e64 s[0:1], s[24:25], v[3:4]
	v_mov_b32_e32 v7, v2
	v_writelane_b32 v62, s0, 16
	v_lshlrev_b64 v[4:5], 1, v[6:7]
	s_waitcnt lgkmcnt(0)
	s_barrier
	v_writelane_b32 v62, s1, 17
	s_load_dword s0, s[12:13], 0xc
	v_mov_b32_e32 v2, s53
	v_add_co_u32_e32 v14, vcc, s52, v4
	v_addc_co_u32_e32 v15, vcc, v2, v5, vcc
	v_mov_b32_e32 v3, 0
	v_add_u32_e32 v2, 2, v0
	v_cmp_gt_u64_e32 vcc, s[24:25], v[2:3]
	v_mov_b32_e32 v8, s25
	s_waitcnt lgkmcnt(0)
	s_and_b32 s33, s0, 0xffff
	s_bfe_u32 s0, s0, 0xa0006
	v_cndmask_b32_e32 v9, 0, v8, vcc
	v_mov_b32_e32 v8, s24
	s_cmp_gt_u32 s33, 63
	v_cndmask_b32_e32 v2, v2, v8, vcc
	v_not_b32_e32 v8, v0
	s_cselect_b64 s[2:3], -1, 0
	s_add_u32 s61, s33, -1
	v_add_co_u32_e32 v8, vcc, v2, v8
	v_writelane_b32 v62, s2, 18
	s_addc_u32 s62, 0, -1
	v_addc_co_u32_e32 v9, vcc, -1, v9, vcc
	v_writelane_b32 v62, s3, 19
	s_add_u32 s64, s61, s24
	v_cmp_lt_u64_e64 s[2:3], 1, v[8:9]
	s_addc_u32 s55, s62, s25
	s_cmp_lt_u32 s6, s10
	v_writelane_b32 v62, s2, 20
	v_and_b32_e32 v16, -2, v8
	v_mov_b32_e32 v17, v9
	s_cselect_b32 s1, 12, 18
	v_writelane_b32 v62, s3, 21
	v_cmp_ne_u64_e64 s[2:3], v[8:9], v[16:17]
	s_add_u32 s56, s12, s1
	s_addc_u32 s57, s13, 0
	v_writelane_b32 v62, s2, 22
	s_add_i32 s1, s0, -1
	v_writelane_b32 v62, s3, 23
	s_bfe_u32 s2, s33, 0x30006
	s_and_b32 s1, s1, 0xffff
	s_cmp_gt_u32 s1, 6
	s_cselect_b64 s[6:7], -1, 0
	v_writelane_b32 v62, s6, 24
	s_and_b32 s65, s0, 0x3f8
	v_writelane_b32 v62, s7, 25
	s_cmp_lg_u32 s2, 0
	v_writelane_b32 v62, s2, 26
	s_cselect_b64 s[0:1], -1, 0
	v_lshlrev_b32_e32 v26, 3, v0
	v_mov_b32_e32 v8, s20
	v_writelane_b32 v62, s0, 27
	s_add_u32 s2, s18, s44
	v_or_b32_e32 v10, 6, v26
	v_mov_b32_e32 v9, s21
	v_writelane_b32 v62, s1, 28
	s_addc_u32 s3, s19, s45
	v_mad_u64_u32 v[18:19], s[0:1], s26, v10, v[8:9]
	s_add_u32 s0, s14, s2
	s_addc_u32 s1, s15, s3
	v_writelane_b32 v62, s0, 29
	v_writelane_b32 v62, s1, 30
	s_lshl_b64 s[0:1], s[26:27], 1
	v_writelane_b32 v62, s0, 31
	v_mov_b32_e32 v2, v19
	v_writelane_b32 v62, s1, 32
	v_mad_u64_u32 v[10:11], s[0:1], s27, v10, v[2:3]
	s_lshl_b64 s[0:1], s[26:27], 3
	v_writelane_b32 v62, s0, 33
	v_or_b32_e32 v11, 4, v26
	v_writelane_b32 v62, s1, 34
	v_mad_u64_u32 v[20:21], s[0:1], s26, v11, v[8:9]
	s_lshl_b32 s16, s33, 1
	v_lshlrev_b64 v[6:7], 3, v[6:7]
	s_add_u32 s0, s14, s44
	s_addc_u32 s1, s15, s45
	v_mov_b32_e32 v2, s21
	v_add_co_u32_e32 v22, vcc, s20, v6
	s_add_u32 s0, s0, s18
	v_addc_co_u32_e32 v23, vcc, v2, v7, vcc
	s_addc_u32 s1, s1, s19
	v_or_b32_e32 v7, 2, v26
	v_mov_b32_e32 v2, s1
	v_add_co_u32_e32 v12, vcc, s0, v4
	v_mad_u64_u32 v[26:27], s[0:1], s26, v7, v[8:9]
	v_addc_co_u32_e32 v13, vcc, v2, v5, vcc
	v_mov_b32_e32 v2, v21
	v_mad_u64_u32 v[4:5], s[0:1], s27, v11, v[2:3]
	v_mov_b32_e32 v2, v27
	v_mad_u64_u32 v[7:8], s[0:1], s27, v7, v[2:3]
	v_lshlrev_b32_e32 v2, 2, v41
	v_and_b32_e32 v44, 0x100, v2
	v_lshrrev_b32_e32 v2, 1, v0
	v_lshlrev_b64 v[5:6], v41, -1
	v_and_b32_e32 v2, 0x1e0, v2
	s_mul_i32 s0, s27, s33
	s_mul_hi_u32 s1, s26, s33
	v_or_b32_e32 v45, 0xc00, v2
	v_mov_b32_e32 v2, 0xc00
	s_add_i32 s1, s1, s0
	s_mul_i32 s0, s26, s33
	v_lshlrev_b32_e32 v48, 1, v0
	s_mov_b32 s47, 0
	v_cmp_eq_u32_e64 s[4:5], 0, v41
	v_lshlrev_b32_e32 v24, 2, v0
	v_mov_b32_e32 v25, v3
	v_mov_b32_e32 v19, v10
	;; [unrolled: 1-line block ×3, first 2 shown]
	v_not_b32_e32 v42, v6
	v_not_b32_e32 v43, v5
	v_mov_b32_e32 v27, v7
	s_mov_b32 s17, s26
	s_mov_b32 s46, s27
	v_lshl_or_b32 v46, v41, 3, v2
	s_lshl_b64 s[50:51], s[0:1], 1
	s_mov_b32 s66, 14
	s_mov_b64 s[68:69], 0
	s_movk_i32 s67, 0x3c00
	s_mov_b32 s48, 0
	v_add_u32_e32 v49, 0xc00, v48
	v_lshlrev_b32_e32 v50, 3, v0
	v_mov_b32_e32 v51, 0xffff
	v_mov_b32_e32 v52, 0x8000
	;; [unrolled: 1-line block ×3, first 2 shown]
	v_mov_b32_e32 v54, -1
	v_mov_b32_e32 v55, 0x5040100
	v_mov_b32_e32 v57, 0
	v_mov_b32_e32 v47, 0
	v_mov_b32_e32 v56, 0
	v_add_co_u32_e32 v28, vcc, v16, v0
                                        ; implicit-def: $sgpr70_sgpr71
                                        ; implicit-def: $sgpr74_sgpr75
                                        ; implicit-def: $sgpr72_sgpr73
                                        ; implicit-def: $sgpr78_sgpr79
                                        ; implicit-def: $sgpr80_sgpr81
                                        ; implicit-def: $sgpr76_sgpr77
	v_writelane_b32 v62, s46, 35
	s_branch .LBB135_45
.LBB135_42:                             ;   in Loop: Header=BB135_45 Depth=1
	s_or_b64 exec, exec, s[8:9]
	s_and_b64 s[8:9], s[2:3], exec
	s_andn2_b64 s[86:87], s[86:87], exec
	s_andn2_b64 s[6:7], s[6:7], exec
	s_orn2_b64 s[20:21], s[10:11], exec
.LBB135_43:                             ;   in Loop: Header=BB135_45 Depth=1
	s_or_b64 exec, exec, s[0:1]
	s_andn2_b64 s[0:1], s[76:77], exec
	s_and_b64 s[2:3], s[8:9], exec
	s_or_b64 s[76:77], s[0:1], s[2:3]
	s_andn2_b64 s[0:1], s[80:81], exec
	s_and_b64 s[2:3], s[86:87], exec
	s_or_b64 s[80:81], s[0:1], s[2:3]
	s_andn2_b64 s[0:1], s[78:79], exec
	s_and_b64 s[2:3], s[6:7], exec
	s_or_b64 s[78:79], s[0:1], s[2:3]
	s_orn2_b64 s[6:7], s[20:21], exec
.LBB135_44:                             ;   in Loop: Header=BB135_45 Depth=1
	s_or_b64 exec, exec, s[18:19]
	s_and_b64 s[0:1], exec, s[6:7]
	s_or_b64 s[68:69], s[0:1], s[68:69]
	s_andn2_b64 s[0:1], s[72:73], exec
	s_and_b64 s[2:3], s[76:77], exec
	s_or_b64 s[72:73], s[0:1], s[2:3]
	s_andn2_b64 s[0:1], s[74:75], exec
	s_and_b64 s[2:3], s[80:81], exec
	;; [unrolled: 3-line block ×3, first 2 shown]
	v_mov_b32_e32 v30, v9
	s_or_b64 s[70:71], s[0:1], s[2:3]
	v_mov_b32_e32 v29, v8
	s_andn2_b64 exec, exec, s[68:69]
	s_cbranch_execz .LBB135_318
.LBB135_45:                             ; =>This Loop Header: Depth=1
                                        ;     Child Loop BB135_50 Depth 2
                                        ;     Child Loop BB135_64 Depth 2
	;; [unrolled: 1-line block ×17, first 2 shown]
	ds_read_b128 v[4:7], v3 offset:5120
	s_waitcnt lgkmcnt(0)
	v_readfirstlane_b32 s83, v5
	v_readfirstlane_b32 s82, v4
	s_cmp_lg_u64 s[82:83], 0
	s_cbranch_scc1 .LBB135_77
; %bb.46:                               ;   in Loop: Header=BB135_45 Depth=1
	v_readlane_b32 s0, v62, 16
	v_readlane_b32 s1, v62, 17
	s_and_b64 vcc, exec, s[0:1]
	s_cbranch_vccz .LBB135_58
; %bb.47:                               ;   in Loop: Header=BB135_45 Depth=1
	s_mov_b64 s[0:1], 0x601
	v_cmp_gt_u64_e32 vcc, s[0:1], v[6:7]
	s_mov_b64 s[10:11], 0
	s_mov_b64 s[0:1], 0
	s_cbranch_vccz .LBB135_59
; %bb.48:                               ;   in Loop: Header=BB135_45 Depth=1
	global_load_ushort v2, v3, s[56:57]
	global_load_ushort v8, v[14:15], off
	v_readlane_b32 s0, v62, 29
	v_readlane_b32 s1, v62, 30
	v_mov_b32_e32 v5, s1
	v_mov_b32_e32 v4, s0
	v_readlane_b32 s6, v62, 31
	v_readlane_b32 s7, v62, 32
	s_mov_b64 s[12:13], 0
	s_waitcnt vmcnt(1)
	v_readfirstlane_b32 s0, v2
	s_and_b32 s2, 0xffff, s0
	v_add_u32_e32 v6, s2, v0
	v_mad_u64_u32 v[4:5], s[0:1], s6, v6, v[4:5]
	s_mul_i32 s3, s7, s2
	s_mul_i32 s18, s6, s2
	v_mad_u64_u32 v[5:6], s[0:1], s7, v6, v[5:6]
	s_mul_hi_u32 s0, s6, s2
	v_mov_b32_e32 v7, v1
	s_add_i32 s19, s0, s3
	v_mov_b32_e32 v6, v0
	s_branch .LBB135_50
.LBB135_49:                             ;   in Loop: Header=BB135_50 Depth=2
	s_or_b64 exec, exec, s[0:1]
	v_mov_b32_e32 v8, s19
	v_add_co_u32_e32 v4, vcc, s18, v4
	v_addc_co_u32_e32 v5, vcc, v5, v8, vcc
	v_mov_b32_e32 v8, v9
	s_andn2_b64 exec, exec, s[12:13]
	s_cbranch_execz .LBB135_178
.LBB135_50:                             ;   Parent Loop BB135_45 Depth=1
                                        ; =>  This Inner Loop Header: Depth=2
	v_add_co_u32_sdwa v6, vcc, v6, v2 dst_sel:DWORD dst_unused:UNUSED_PAD src0_sel:DWORD src1_sel:WORD_0
	v_addc_co_u32_e32 v7, vcc, 0, v7, vcc
	v_cmp_gt_u64_e64 s[6:7], s[24:25], v[6:7]
	v_cmp_le_u64_e32 vcc, s[24:25], v[6:7]
	s_waitcnt lgkmcnt(0)
	v_mov_b32_e32 v10, 0
	v_mov_b32_e32 v9, 0
	s_and_saveexec_b64 s[0:1], s[6:7]
	s_cbranch_execz .LBB135_52
; %bb.51:                               ;   in Loop: Header=BB135_50 Depth=2
	global_load_ushort v9, v[4:5], off
.LBB135_52:                             ;   in Loop: Header=BB135_50 Depth=2
	s_or_b64 exec, exec, s[0:1]
	s_waitcnt vmcnt(0)
	v_cmp_lt_i16_e64 s[6:7], -1, v8
	v_cndmask_b32_e64 v11, v51, v52, s[6:7]
	v_xor_b32_sdwa v11, v11, v8 dst_sel:DWORD dst_unused:UNUSED_PAD src0_sel:DWORD src1_sel:WORD_0
	v_cmp_o_f16_e64 s[6:7], v8, v8
	v_cndmask_b32_e64 v11, v51, v11, s[6:7]
	v_and_b32_e32 v11, v11, v56
	v_cmp_eq_u32_e64 s[14:15], v11, v47
	s_cmp_lg_u64 s[14:15], 0
	s_cselect_b64 s[0:1], -1, 0
	s_and_b64 s[2:3], s[4:5], s[0:1]
	s_and_saveexec_b64 s[0:1], s[2:3]
	s_cbranch_execz .LBB135_56
; %bb.53:                               ;   in Loop: Header=BB135_50 Depth=2
	s_mov_b64 s[8:9], exec
	v_mbcnt_lo_u32_b32 v10, s8, 0
	v_mbcnt_hi_u32_b32 v10, s9, v10
	s_bcnt1_i32_b64 s20, s[14:15]
	v_cmp_eq_u32_e64 s[6:7], 0, v10
                                        ; implicit-def: $vgpr11
	s_and_saveexec_b64 s[2:3], s[6:7]
; %bb.54:                               ;   in Loop: Header=BB135_50 Depth=2
	s_bcnt1_i32_b64 s6, s[8:9]
	s_mul_i32 s6, s20, s6
	v_mov_b32_e32 v11, s6
	ds_add_rtn_u32 v11, v3, v11 offset:5144
; %bb.55:                               ;   in Loop: Header=BB135_50 Depth=2
	s_or_b64 exec, exec, s[2:3]
	s_waitcnt lgkmcnt(0)
	v_readfirstlane_b32 s2, v11
	v_mov_b32_e32 v11, s2
	v_mad_u32_u24 v10, s20, v10, v11
.LBB135_56:                             ;   in Loop: Header=BB135_50 Depth=2
	s_or_b64 exec, exec, s[0:1]
	ds_bpermute_b32 v10, v44, v10
	s_and_b64 s[0:1], exec, vcc
	s_or_b64 s[12:13], s[0:1], s[12:13]
	s_and_saveexec_b64 s[0:1], s[14:15]
	s_cbranch_execz .LBB135_49
; %bb.57:                               ;   in Loop: Header=BB135_50 Depth=2
	v_and_b32_e32 v31, s14, v43
	v_and_b32_e32 v11, s15, v42
	v_bcnt_u32_b32 v31, v31, 0
	v_bcnt_u32_b32 v11, v11, v31
	v_lshlrev_b32_e32 v11, 1, v11
	s_waitcnt lgkmcnt(0)
	v_lshl_add_u32 v10, v10, 1, v11
	ds_write_b16 v10, v8
	s_branch .LBB135_49
.LBB135_58:                             ;   in Loop: Header=BB135_45 Depth=1
	s_mov_b64 s[10:11], -1
	s_mov_b64 s[0:1], 0
.LBB135_59:                             ;   in Loop: Header=BB135_45 Depth=1
	s_and_b64 vcc, exec, s[10:11]
	s_cbranch_vccz .LBB135_75
.LBB135_60:                             ;   in Loop: Header=BB135_45 Depth=1
	s_mov_b64 s[10:11], exec
	v_readlane_b32 s0, v62, 8
	v_readlane_b32 s1, v62, 9
	s_and_b64 s[0:1], s[10:11], s[0:1]
	s_mov_b64 exec, s[0:1]
	s_cbranch_execz .LBB135_72
; %bb.61:                               ;   in Loop: Header=BB135_45 Depth=1
	global_load_ushort v2, v3, s[56:57]
	global_load_ushort v11, v[14:15], off
	v_mov_b32_e32 v6, v0
	s_waitcnt vmcnt(1)
	v_readfirstlane_b32 s0, v2
	v_add_u32_sdwa v2, v2, v0 dst_sel:DWORD dst_unused:UNUSED_PAD src0_sel:WORD_0 src1_sel:DWORD
	v_cmp_gt_u64_e32 vcc, s[24:25], v[2:3]
	s_and_saveexec_b64 s[12:13], vcc
	s_cbranch_execz .LBB135_71
; %bb.62:                               ;   in Loop: Header=BB135_45 Depth=1
	s_and_b32 s2, s0, 0xffff
	s_cmp_eq_u32 s2, 1
	v_readlane_b32 s6, v62, 20
                                        ; implicit-def: $vgpr6_vgpr7
	s_cselect_b64 s[0:1], -1, 0
	v_readlane_b32 s7, v62, 21
	v_mov_b32_e32 v8, v1
	v_mov_b32_e32 v5, v3
	s_and_b64 s[8:9], s[6:7], s[0:1]
	s_mov_b64 s[6:7], -1
	v_mov_b32_e32 v7, v0
	v_mov_b32_e32 v4, v2
	s_and_saveexec_b64 s[0:1], s[8:9]
	s_cbranch_execz .LBB135_66
; %bb.63:                               ;   in Loop: Header=BB135_45 Depth=1
	v_add_co_u32_e32 v4, vcc, 1, v2
	v_addc_co_u32_e64 v5, s[6:7], 0, 0, vcc
	v_mov_b32_e32 v8, v16
	v_mov_b32_e32 v7, v5
	s_waitcnt vmcnt(0)
	v_lshlrev_b32_e32 v31, 16, v11
	s_mov_b64 s[6:7], 0
	v_mov_b32_e32 v9, v17
	v_mov_b32_e32 v10, v48
	;; [unrolled: 1-line block ×5, first 2 shown]
.LBB135_64:                             ;   Parent Loop BB135_45 Depth=1
                                        ; =>  This Inner Loop Header: Depth=2
	v_mul_lo_u32 v37, v5, s26
	v_mul_lo_u32 v38, v4, s27
	v_mad_u64_u32 v[34:35], s[8:9], v4, s26, 0
	v_mul_lo_u32 v11, v7, s17
	v_mul_lo_u32 v36, v6, s46
	v_mad_u64_u32 v[32:33], s[8:9], v6, s17, 0
	v_add3_u32 v35, v35, v38, v37
	v_lshlrev_b64 v[34:35], 1, v[34:35]
	v_add3_u32 v33, v33, v36, v11
	v_mov_b32_e32 v39, s53
	v_lshlrev_b64 v[32:33], 1, v[32:33]
	v_add_co_u32_e32 v34, vcc, s52, v34
	v_addc_co_u32_e32 v35, vcc, v39, v35, vcc
	v_add_co_u32_e32 v32, vcc, s52, v32
	v_addc_co_u32_e32 v33, vcc, v39, v33, vcc
	global_load_ushort v34, v[34:35], off
	s_nop 0
	global_load_ushort v11, v[32:33], off
	v_add_co_u32_e32 v6, vcc, 2, v6
	v_addc_co_u32_e32 v7, vcc, 0, v7, vcc
	v_add_co_u32_e32 v4, vcc, 2, v4
	v_addc_co_u32_e32 v5, vcc, 0, v5, vcc
	v_add_co_u32_e32 v8, vcc, -2, v8
	v_addc_co_u32_e32 v9, vcc, -1, v9, vcc
	s_mov_b32 s3, 0x5040100
	v_cmp_eq_u64_e32 vcc, 0, v[8:9]
	s_or_b64 s[6:7], vcc, s[6:7]
	s_waitcnt vmcnt(1)
	v_alignbit_b32 v31, v34, v31, 16
	s_waitcnt vmcnt(0)
	v_perm_b32 v32, v11, v34, s3
	ds_write_b32 v10, v31
	v_add_u32_e32 v10, 4, v10
	v_mov_b32_e32 v31, v32
	s_andn2_b64 exec, exec, s[6:7]
	s_cbranch_execnz .LBB135_64
; %bb.65:                               ;   in Loop: Header=BB135_45 Depth=1
	s_or_b64 exec, exec, s[6:7]
	v_readlane_b32 s6, v62, 22
	v_add_co_u32_e32 v4, vcc, v2, v16
	v_readlane_b32 s7, v62, 23
	v_addc_co_u32_e32 v5, vcc, 0, v17, vcc
	v_add_co_u32_e32 v6, vcc, -1, v4
	s_orn2_b64 s[6:7], s[6:7], exec
	v_mov_b32_e32 v7, v28
	v_mov_b32_e32 v8, v29
.LBB135_66:                             ;   in Loop: Header=BB135_45 Depth=1
	s_or_b64 exec, exec, s[0:1]
	s_and_saveexec_b64 s[0:1], s[6:7]
	s_cbranch_execz .LBB135_70
; %bb.67:                               ;   in Loop: Header=BB135_45 Depth=1
	v_readlane_b32 s6, v62, 29
	v_readlane_b32 s7, v62, 30
	v_mov_b32_e32 v9, s7
	v_readlane_b32 s18, v62, 31
	v_mov_b32_e32 v8, s6
	v_readlane_b32 s19, v62, 32
	v_mad_u64_u32 v[9:10], s[6:7], s18, v4, v[8:9]
	v_mul_lo_u32 v2, s18, v5
	v_mul_lo_u32 v6, s19, v4
	s_mul_i32 s6, s19, s2
	s_mul_hi_u32 s7, s18, s2
	s_mov_b64 s[8:9], 0
	s_sub_u32 s3, 0, s2
	v_add3_u32 v10, v6, v10, v2
	s_add_i32 s14, s7, s6
	s_mul_i32 s15, s18, s2
.LBB135_68:                             ;   Parent Loop BB135_45 Depth=1
                                        ; =>  This Inner Loop Header: Depth=2
	s_waitcnt vmcnt(0)
	v_mov_b32_e32 v2, v11
	global_load_ushort v11, v[9:10], off
	v_mov_b32_e32 v32, v5
	v_mov_b32_e32 v31, v4
	v_lshlrev_b32_e32 v4, 1, v7
	ds_write_b16 v4, v2
	v_add_co_u32_e32 v4, vcc, s2, v31
	v_addc_co_u32_e32 v5, vcc, 0, v32, vcc
	v_mov_b32_e32 v2, s14
	v_add_co_u32_e32 v9, vcc, s15, v9
	v_addc_co_u32_e32 v10, vcc, v10, v2, vcc
	v_cmp_le_u64_e32 vcc, s[24:25], v[4:5]
	v_add_co_u32_e64 v6, s[6:7], s3, v4
	s_or_b64 s[8:9], vcc, s[8:9]
	v_mov_b32_e32 v7, v31
	v_mov_b32_e32 v8, v32
	s_andn2_b64 exec, exec, s[8:9]
	s_cbranch_execnz .LBB135_68
; %bb.69:                               ;   in Loop: Header=BB135_45 Depth=1
	s_or_b64 exec, exec, s[8:9]
.LBB135_70:                             ;   in Loop: Header=BB135_45 Depth=1
	s_or_b64 exec, exec, s[0:1]
.LBB135_71:                             ;   in Loop: Header=BB135_45 Depth=1
	s_or_b64 exec, exec, s[12:13]
	v_lshlrev_b32_e32 v2, 1, v6
	s_waitcnt vmcnt(0)
	ds_write_b16 v2, v11
.LBB135_72:                             ;   in Loop: Header=BB135_45 Depth=1
	s_or_b64 exec, exec, s[10:11]
	s_waitcnt lgkmcnt(0)
	s_barrier
	s_mov_b64 s[0:1], exec
	v_readlane_b32 s2, v62, 10
	v_readlane_b32 s3, v62, 11
	s_and_b64 s[2:3], s[0:1], s[2:3]
	s_mov_b64 exec, s[2:3]
; %bb.73:                               ;   in Loop: Header=BB135_45 Depth=1
	v_mov_b32_e32 v4, s24
	v_mov_b32_e32 v5, s25
	ds_write_b64 v3, v[4:5] offset:5120
; %bb.74:                               ;   in Loop: Header=BB135_45 Depth=1
	s_or_b64 exec, exec, s[0:1]
	s_mov_b64 s[0:1], -1
	s_waitcnt lgkmcnt(0)
	s_barrier
.LBB135_75:                             ;   in Loop: Header=BB135_45 Depth=1
	s_mov_b64 s[82:83], 0
	s_and_b64 vcc, exec, s[0:1]
	s_cbranch_vccz .LBB135_77
; %bb.76:                               ;   in Loop: Header=BB135_45 Depth=1
	ds_read_b64 v[4:5], v3 offset:5120
	s_waitcnt lgkmcnt(0)
	v_readfirstlane_b32 s82, v4
.LBB135_77:                             ;   in Loop: Header=BB135_45 Depth=1
	s_cmp_lt_i32 s82, 1
	s_mov_b64 s[0:1], -1
                                        ; implicit-def: $vgpr4_vgpr5
                                        ; implicit-def: $vgpr8_vgpr9
	s_cbranch_scc1 .LBB135_87
; %bb.78:                               ;   in Loop: Header=BB135_45 Depth=1
	s_and_b64 vcc, exec, s[0:1]
	s_cbranch_vccnz .LBB135_101
.LBB135_79:                             ;   in Loop: Header=BB135_45 Depth=1
	s_lshl_b32 s2, s48, 6
	s_and_saveexec_b64 s[0:1], s[4:5]
	s_cbranch_execz .LBB135_81
.LBB135_80:                             ;   in Loop: Header=BB135_45 Depth=1
	v_lshl_add_u32 v2, s2, 3, v45
	ds_write_b128 v2, v[4:7]
	ds_write_b128 v2, v[8:11] offset:16
.LBB135_81:                             ;   in Loop: Header=BB135_45 Depth=1
	s_or_b64 exec, exec, s[0:1]
	s_waitcnt lgkmcnt(0)
	s_barrier
	s_mov_b64 s[6:7], exec
	v_readlane_b32 s0, v62, 12
	v_readlane_b32 s1, v62, 13
	s_and_b64 s[0:1], s[6:7], s[0:1]
	s_mov_b64 exec, s[0:1]
	s_cbranch_execz .LBB135_116
; %bb.82:                               ;   in Loop: Header=BB135_45 Depth=1
	v_readlane_b32 s0, v62, 18
	v_mov_b32_e32 v4, 0
	v_readlane_b32 s1, v62, 19
	v_mov_b32_e32 v5, 0
	s_andn2_b64 vcc, exec, s[0:1]
	s_cbranch_vccnz .LBB135_115
; %bb.83:                               ;   in Loop: Header=BB135_45 Depth=1
	v_readlane_b32 s0, v62, 24
	v_readlane_b32 s1, v62, 25
	s_andn2_b64 vcc, exec, s[0:1]
	s_cbranch_vccnz .LBB135_111
; %bb.84:                               ;   in Loop: Header=BB135_45 Depth=1
	v_mov_b32_e32 v4, 0
	v_lshl_add_u32 v2, s48, 9, v46
	v_mov_b32_e32 v5, 0
	s_mov_b32 s0, 0
.LBB135_85:                             ;   Parent Loop BB135_45 Depth=1
                                        ; =>  This Inner Loop Header: Depth=2
	ds_read2_b64 v[6:9], v2 offset1:4
	ds_read2_b64 v[31:34], v2 offset0:8 offset1:12
	ds_read2_b64 v[35:38], v2 offset0:16 offset1:20
	;; [unrolled: 1-line block ×3, first 2 shown]
	s_add_i32 s0, s0, 8
	s_waitcnt lgkmcnt(3)
	v_add_co_u32_e32 v4, vcc, v6, v4
	v_addc_co_u32_e32 v5, vcc, v7, v5, vcc
	v_add_co_u32_e32 v4, vcc, v8, v4
	v_addc_co_u32_e32 v5, vcc, v9, v5, vcc
	s_waitcnt lgkmcnt(2)
	v_add_co_u32_e32 v4, vcc, v31, v4
	v_addc_co_u32_e32 v5, vcc, v32, v5, vcc
	v_add_co_u32_e32 v4, vcc, v33, v4
	v_addc_co_u32_e32 v5, vcc, v34, v5, vcc
	;; [unrolled: 5-line block ×3, first 2 shown]
	s_waitcnt lgkmcnt(0)
	v_add_co_u32_e32 v4, vcc, v58, v4
	v_addc_co_u32_e32 v5, vcc, v59, v5, vcc
	v_add_co_u32_e32 v4, vcc, v60, v4
	v_add_u32_e32 v2, 0x100, v2
	s_cmp_eq_u32 s65, s0
	v_addc_co_u32_e32 v5, vcc, v61, v5, vcc
	s_cbranch_scc0 .LBB135_85
; %bb.86:                               ;   in Loop: Header=BB135_45 Depth=1
	s_mov_b32 s0, s65
	s_branch .LBB135_112
.LBB135_87:                             ;   in Loop: Header=BB135_45 Depth=1
	global_load_ushort v2, v3, s[56:57]
	s_mov_b32 s0, s47
	s_waitcnt vmcnt(0)
	v_readfirstlane_b32 s1, v2
	s_and_b32 s8, s1, 0xffff
	s_lshl_b32 s9, s8, 2
	s_mov_b32 s1, s25
	s_cmp_lg_u64 s[0:1], 0
	s_cbranch_scc0 .LBB135_110
; %bb.88:                               ;   in Loop: Header=BB135_45 Depth=1
	v_cvt_f32_u32_e32 v2, s9
	s_sub_u32 s2, 0, s9
	s_subb_u32 s3, 0, 0
	v_mac_f32_e32 v2, 0, v53
	v_rcp_f32_e32 v2, v2
	v_mul_f32_e32 v2, 0x5f7ffffc, v2
	v_mul_f32_e32 v4, 0x2f800000, v2
	v_trunc_f32_e32 v4, v4
	v_mac_f32_e32 v2, 0xcf800000, v4
	v_cvt_u32_f32_e32 v4, v4
	v_cvt_u32_f32_e32 v2, v2
	v_readfirstlane_b32 s6, v4
	v_readfirstlane_b32 s0, v2
	s_mul_i32 s1, s2, s6
	s_mul_hi_u32 s10, s2, s0
	s_mul_i32 s7, s3, s0
	s_add_i32 s1, s10, s1
	s_mul_i32 s11, s2, s0
	s_add_i32 s1, s1, s7
	s_mul_hi_u32 s10, s0, s11
	s_mul_i32 s12, s0, s1
	s_mul_hi_u32 s7, s0, s1
	s_add_u32 s10, s10, s12
	s_addc_u32 s7, 0, s7
	s_mul_hi_u32 s13, s6, s11
	s_mul_i32 s11, s6, s11
	s_add_u32 s10, s10, s11
	s_mul_hi_u32 s12, s6, s1
	s_addc_u32 s7, s7, s13
	s_addc_u32 s10, s12, 0
	s_mul_i32 s1, s6, s1
	s_add_u32 s1, s7, s1
	s_addc_u32 s7, 0, s10
	s_add_u32 s10, s0, s1
	s_cselect_b64 s[0:1], -1, 0
	s_cmp_lg_u64 s[0:1], 0
	s_addc_u32 s6, s6, s7
	s_mul_i32 s0, s2, s6
	s_mul_hi_u32 s1, s2, s10
	s_add_i32 s0, s1, s0
	s_mul_i32 s3, s3, s10
	s_add_i32 s0, s0, s3
	s_mul_i32 s2, s2, s10
	s_mul_hi_u32 s3, s6, s2
	s_mul_i32 s7, s6, s2
	s_mul_i32 s12, s10, s0
	s_mul_hi_u32 s2, s10, s2
	s_mul_hi_u32 s11, s10, s0
	s_add_u32 s2, s2, s12
	s_addc_u32 s11, 0, s11
	s_add_u32 s2, s2, s7
	s_mul_hi_u32 s1, s6, s0
	s_addc_u32 s2, s11, s3
	s_addc_u32 s1, s1, 0
	s_mul_i32 s0, s6, s0
	s_add_u32 s0, s2, s0
	s_addc_u32 s2, 0, s1
	s_add_u32 s3, s10, s0
	s_cselect_b64 s[0:1], -1, 0
	s_cmp_lg_u64 s[0:1], 0
	s_addc_u32 s0, s6, s2
	s_mul_i32 s2, s24, s0
	s_mul_hi_u32 s6, s24, s3
	s_mul_hi_u32 s1, s24, s0
	s_add_u32 s2, s6, s2
	s_addc_u32 s1, 0, s1
	s_mul_hi_u32 s7, s25, s3
	s_mul_i32 s3, s25, s3
	s_add_u32 s2, s2, s3
	s_mul_hi_u32 s6, s25, s0
	s_addc_u32 s1, s1, s7
	s_addc_u32 s2, s6, 0
	s_mul_i32 s0, s25, s0
	s_add_u32 s0, s1, s0
	s_addc_u32 s1, 0, s2
	s_mul_i32 s1, s9, s1
	s_mul_hi_u32 s2, s9, s0
	s_add_i32 s2, s2, s1
	s_mul_i32 s0, s9, s0
	s_sub_u32 s3, s24, s0
	s_cselect_b64 s[0:1], -1, 0
	s_cmp_lg_u64 s[0:1], 0
	s_subb_u32 s2, s25, s2
	s_sub_u32 s6, s3, s9
	s_cselect_b64 s[0:1], -1, 0
	s_cmp_lg_u64 s[0:1], 0
	s_subb_u32 s7, s2, 0
	;; [unrolled: 4-line block ×3, first 2 shown]
	s_cmp_ge_u32 s6, s9
	s_cselect_b32 s1, -1, 0
	s_cmp_eq_u32 s7, 0
	s_cselect_b32 s1, s1, -1
	s_cmp_lg_u32 s1, 0
	s_cselect_b32 s0, s0, s7
	s_cselect_b32 s6, s10, s6
	s_cmp_ge_u32 s3, s9
	s_cselect_b32 s1, -1, 0
	s_cmp_eq_u32 s2, 0
	s_cselect_b32 s1, s1, -1
	s_cmp_lg_u32 s1, 0
	s_cselect_b32 s1, s0, s2
	s_cselect_b32 s0, s6, s3
	s_cbranch_execnz .LBB135_90
.LBB135_89:                             ;   in Loop: Header=BB135_45 Depth=1
	v_cvt_f32_u32_e32 v2, s9
	s_sub_i32 s0, 0, s9
	v_rcp_iflag_f32_e32 v2, v2
	v_mul_f32_e32 v2, 0x4f7ffffe, v2
	v_cvt_u32_f32_e32 v2, v2
	v_readfirstlane_b32 s1, v2
	s_mul_i32 s0, s0, s1
	s_mul_hi_u32 s0, s1, s0
	s_add_i32 s1, s1, s0
	s_mul_hi_u32 s0, s24, s1
	s_mul_i32 s0, s0, s9
	s_sub_i32 s0, s24, s0
	s_sub_i32 s1, s0, s9
	s_cmp_ge_u32 s0, s9
	s_cselect_b32 s0, s1, s0
	s_sub_i32 s1, s0, s9
	s_cmp_ge_u32 s0, s9
	s_cselect_b32 s46, s1, s0
	s_mov_b64 s[0:1], s[46:47]
	v_readlane_b32 s46, v62, 35
.LBB135_90:                             ;   in Loop: Header=BB135_45 Depth=1
	s_sub_u32 s84, s24, s0
	s_subb_u32 s85, s25, s1
	v_cmp_gt_u64_e32 vcc, s[84:85], v[24:25]
	v_mov_b32_e32 v4, 0
	v_mov_b32_e32 v6, 0
	;; [unrolled: 1-line block ×8, first 2 shown]
	s_and_saveexec_b64 s[86:87], vcc
	s_cbranch_execz .LBB135_94
; %bb.91:                               ;   in Loop: Header=BB135_45 Depth=1
	v_readlane_b32 s2, v62, 33
	v_readlane_b32 s3, v62, 34
	s_mul_i32 s0, s3, s8
	s_mul_hi_u32 s1, s2, s8
	v_mov_b32_e32 v32, v23
	v_mov_b32_e32 v34, v27
	;; [unrolled: 1-line block ×5, first 2 shown]
	s_add_i32 s0, s1, s0
	s_mul_i32 s1, s2, s8
	s_mov_b64 s[88:89], 0
	v_mov_b32_e32 v31, v22
	v_mov_b32_e32 v33, v26
	;; [unrolled: 1-line block ×4, first 2 shown]
	s_mov_b64 s[90:91], 0
	s_mov_b64 s[92:93], 0
	;; [unrolled: 1-line block ×4, first 2 shown]
	v_mov_b32_e32 v39, v24
.LBB135_92:                             ;   Parent Loop BB135_45 Depth=1
                                        ; =>  This Inner Loop Header: Depth=2
	v_add_co_u32_e32 v4, vcc, s44, v31
	v_mov_b32_e32 v2, s45
	v_addc_co_u32_e32 v5, vcc, v32, v2, vcc
	global_load_ushort v6, v[4:5], off
	v_add_co_u32_e32 v4, vcc, s44, v33
	v_addc_co_u32_e32 v5, vcc, v34, v2, vcc
	global_load_ushort v7, v[4:5], off
	v_add_co_u32_e32 v4, vcc, s44, v35
	;; [unrolled: 3-line block ×3, first 2 shown]
	v_addc_co_u32_e32 v5, vcc, v38, v2, vcc
	global_load_ushort v2, v[4:5], off
	s_waitcnt vmcnt(3)
	v_cmp_lt_i16_e32 vcc, -1, v6
	v_cndmask_b32_e32 v4, v51, v52, vcc
	v_cmp_o_f16_e32 vcc, v6, v6
	v_xor_b32_sdwa v4, v4, v6 dst_sel:DWORD dst_unused:UNUSED_PAD src0_sel:DWORD src1_sel:WORD_0
	v_cndmask_b32_e32 v4, v51, v4, vcc
	s_waitcnt vmcnt(2)
	v_cmp_lt_i16_e32 vcc, -1, v7
	v_cndmask_b32_e32 v5, v51, v52, vcc
	v_cmp_o_f16_e32 vcc, v7, v7
	v_xor_b32_sdwa v5, v5, v7 dst_sel:DWORD dst_unused:UNUSED_PAD src0_sel:DWORD src1_sel:WORD_0
	v_cndmask_b32_e32 v5, v51, v5, vcc
	;; [unrolled: 6-line block ×3, first 2 shown]
	s_waitcnt vmcnt(0)
	v_cmp_lt_i16_e32 vcc, -1, v2
	v_cndmask_b32_e32 v7, v51, v52, vcc
	v_cmp_o_f16_e32 vcc, v2, v2
	v_xor_b32_sdwa v2, v7, v2 dst_sel:DWORD dst_unused:UNUSED_PAD src0_sel:DWORD src1_sel:WORD_0
	v_and_b32_e32 v7, v4, v56
	v_bfe_u32 v4, v4, s66, 2
	v_cndmask_b32_e32 v2, v51, v2, vcc
	v_cmp_eq_u32_e32 vcc, v7, v47
	v_and_b32_e32 v7, v5, v56
	v_bfe_u32 v5, v5, s66, 2
	v_cmp_eq_u32_e64 s[20:21], 0, v4
	v_cmp_eq_u32_e64 s[6:7], v7, v47
	v_and_b32_e32 v7, v6, v56
	v_bfe_u32 v6, v6, s66, 2
	s_and_b64 s[2:3], vcc, s[20:21]
	v_cmp_eq_u32_e64 s[20:21], 0, v5
	v_cmp_eq_u32_e64 s[14:15], v7, v47
	v_and_b32_e32 v7, v2, v56
	v_bfe_u32 v2, v2, s66, 2
	s_and_b64 s[10:11], s[6:7], s[20:21]
	v_cmp_eq_u32_e64 s[20:21], 0, v6
	v_cmp_eq_u32_e64 s[18:19], v7, v47
	s_and_b64 s[12:13], s[14:15], s[20:21]
	v_cmp_eq_u32_e64 s[20:21], 0, v2
	v_cndmask_b32_e64 v7, 0, 1, s[2:3]
	s_and_b64 s[34:35], s[18:19], s[20:21]
	v_cmp_ne_u32_e64 s[20:21], 0, v7
	v_cndmask_b32_e64 v7, 0, 1, s[10:11]
	s_bcnt1_i32_b64 s2, s[20:21]
	v_cmp_ne_u32_e64 s[20:21], 0, v7
	v_cndmask_b32_e64 v7, 0, 1, s[12:13]
	s_bcnt1_i32_b64 s3, s[20:21]
	;; [unrolled: 3-line block ×3, first 2 shown]
	v_cmp_ne_u32_e64 s[20:21], 0, v7
	s_bcnt1_i32_b64 s11, s[20:21]
	s_add_u32 s2, s2, s40
	s_addc_u32 s12, 0, s41
	s_add_u32 s2, s2, s3
	s_addc_u32 s3, s12, 0
	;; [unrolled: 2-line block ×3, first 2 shown]
	s_add_u32 s40, s2, s11
	v_cmp_eq_u32_e64 s[20:21], 1, v4
	s_addc_u32 s41, s3, 0
	s_and_b64 s[2:3], vcc, s[20:21]
	v_cmp_eq_u32_e64 s[20:21], 1, v5
	s_and_b64 s[10:11], s[6:7], s[20:21]
	v_cmp_eq_u32_e64 s[20:21], 1, v6
	s_and_b64 s[12:13], s[14:15], s[20:21]
	v_cmp_eq_u32_e64 s[20:21], 1, v2
	v_cndmask_b32_e64 v7, 0, 1, s[2:3]
	s_and_b64 s[34:35], s[18:19], s[20:21]
	v_cmp_ne_u32_e64 s[20:21], 0, v7
	v_cndmask_b32_e64 v7, 0, 1, s[10:11]
	s_bcnt1_i32_b64 s2, s[20:21]
	v_cmp_ne_u32_e64 s[20:21], 0, v7
	v_cndmask_b32_e64 v7, 0, 1, s[12:13]
	s_bcnt1_i32_b64 s3, s[20:21]
	;; [unrolled: 3-line block ×3, first 2 shown]
	v_cmp_ne_u32_e64 s[20:21], 0, v7
	s_bcnt1_i32_b64 s11, s[20:21]
	s_add_u32 s2, s2, s94
	s_addc_u32 s12, 0, s95
	s_add_u32 s2, s2, s3
	s_addc_u32 s3, s12, 0
	s_add_u32 s2, s2, s10
	s_addc_u32 s3, s3, 0
	s_add_u32 s94, s2, s11
	v_cmp_eq_u32_e64 s[20:21], 2, v4
	s_addc_u32 s95, s3, 0
	s_and_b64 s[2:3], vcc, s[20:21]
	v_cmp_eq_u32_e64 s[20:21], 2, v5
	s_and_b64 s[10:11], s[6:7], s[20:21]
	v_cmp_eq_u32_e64 s[20:21], 2, v6
	s_and_b64 s[12:13], s[14:15], s[20:21]
	v_cmp_eq_u32_e64 s[20:21], 2, v2
	v_cndmask_b32_e64 v7, 0, 1, s[2:3]
	s_and_b64 s[34:35], s[18:19], s[20:21]
	v_cmp_ne_u32_e64 s[20:21], 0, v7
	v_cndmask_b32_e64 v7, 0, 1, s[10:11]
	s_bcnt1_i32_b64 s2, s[20:21]
	v_cmp_ne_u32_e64 s[20:21], 0, v7
	v_cndmask_b32_e64 v7, 0, 1, s[12:13]
	s_bcnt1_i32_b64 s3, s[20:21]
	;; [unrolled: 3-line block ×3, first 2 shown]
	v_cmp_ne_u32_e64 s[20:21], 0, v7
	s_bcnt1_i32_b64 s11, s[20:21]
	s_add_u32 s2, s2, s92
	s_addc_u32 s12, 0, s93
	s_add_u32 s2, s2, s3
	s_addc_u32 s3, s12, 0
	;; [unrolled: 2-line block ×3, first 2 shown]
	s_add_u32 s92, s2, s11
	v_cmp_eq_u32_e64 s[20:21], 3, v4
	s_addc_u32 s93, s3, 0
	s_and_b64 s[2:3], vcc, s[20:21]
	v_cmp_eq_u32_e32 vcc, 3, v5
	s_and_b64 s[6:7], s[6:7], vcc
	v_cmp_eq_u32_e32 vcc, 3, v6
	s_and_b64 s[10:11], s[14:15], vcc
	v_cmp_eq_u32_e32 vcc, 3, v2
	v_cndmask_b32_e64 v2, 0, 1, s[2:3]
	s_and_b64 s[12:13], s[18:19], vcc
	v_cmp_ne_u32_e32 vcc, 0, v2
	v_cndmask_b32_e64 v2, 0, 1, s[6:7]
	s_bcnt1_i32_b64 s2, vcc
	v_cmp_ne_u32_e32 vcc, 0, v2
	v_cndmask_b32_e64 v2, 0, 1, s[10:11]
	s_bcnt1_i32_b64 s3, vcc
	;; [unrolled: 3-line block ×3, first 2 shown]
	v_cmp_ne_u32_e32 vcc, 0, v2
	s_bcnt1_i32_b64 s7, vcc
	v_add_co_u32_e32 v39, vcc, s9, v39
	v_addc_co_u32_e32 v40, vcc, 0, v40, vcc
	v_add_co_u32_e32 v37, vcc, s1, v37
	v_mov_b32_e32 v2, s0
	v_addc_co_u32_e32 v38, vcc, v38, v2, vcc
	s_add_u32 s2, s2, s90
	v_add_co_u32_e32 v35, vcc, s1, v35
	s_addc_u32 s10, 0, s91
	v_addc_co_u32_e32 v36, vcc, v36, v2, vcc
	s_add_u32 s2, s2, s3
	v_add_co_u32_e32 v33, vcc, s1, v33
	s_addc_u32 s3, s10, 0
	;; [unrolled: 4-line block ×3, first 2 shown]
	v_addc_co_u32_e32 v32, vcc, v32, v2, vcc
	s_add_u32 s90, s2, s7
	v_cmp_le_u64_e32 vcc, s[84:85], v[39:40]
	s_addc_u32 s91, s3, 0
	v_mov_b32_e32 v4, s40
	v_mov_b32_e32 v6, s94
	;; [unrolled: 1-line block ×4, first 2 shown]
	s_or_b64 s[88:89], vcc, s[88:89]
	v_mov_b32_e32 v5, s41
	v_mov_b32_e32 v7, s95
	;; [unrolled: 1-line block ×4, first 2 shown]
	s_andn2_b64 exec, exec, s[88:89]
	s_cbranch_execnz .LBB135_92
; %bb.93:                               ;   in Loop: Header=BB135_45 Depth=1
	s_or_b64 exec, exec, s[88:89]
.LBB135_94:                             ;   in Loop: Header=BB135_45 Depth=1
	s_or_b64 exec, exec, s[86:87]
	v_mov_b32_e32 v2, s85
	v_add_co_u32_e32 v31, vcc, s84, v0
	v_addc_co_u32_e32 v32, vcc, 0, v2, vcc
	v_cmp_gt_u64_e32 vcc, s[24:25], v[31:32]
	s_and_saveexec_b64 s[10:11], vcc
	s_cbranch_execz .LBB135_100
; %bb.95:                               ;   in Loop: Header=BB135_45 Depth=1
	v_mul_lo_u32 v2, v32, s26
	v_mul_lo_u32 v35, v31, s27
	v_mad_u64_u32 v[33:34], s[0:1], v31, s26, 0
	s_mov_b64 s[0:1], 0
	v_add3_u32 v34, v34, v35, v2
	v_lshlrev_b64 v[33:34], 1, v[33:34]
	v_mov_b32_e32 v2, s53
	v_add_co_u32_e32 v33, vcc, s52, v33
	v_addc_co_u32_e32 v34, vcc, v2, v34, vcc
	global_load_ushort v33, v[33:34], off
	s_branch .LBB135_97
.LBB135_96:                             ;   in Loop: Header=BB135_97 Depth=2
	s_or_b64 exec, exec, s[2:3]
	s_and_b64 s[2:3], exec, vcc
	s_waitcnt vmcnt(0)
	v_cmp_lt_i16_e32 vcc, -1, v33
	v_cndmask_b32_e32 v34, v51, v52, vcc
	v_xor_b32_sdwa v34, v34, v33 dst_sel:DWORD dst_unused:UNUSED_PAD src0_sel:DWORD src1_sel:WORD_0
	v_cmp_o_f16_e32 vcc, v33, v33
	v_cndmask_b32_e32 v33, v51, v34, vcc
	v_and_b32_e32 v34, v33, v56
	v_bfe_u32 v33, v33, s66, 2
	s_or_b64 s[0:1], s[2:3], s[0:1]
	v_cmp_eq_u32_e32 vcc, v34, v47
	v_cmp_eq_u32_e64 s[6:7], 0, v33
	s_and_b64 s[2:3], vcc, s[6:7]
	v_cndmask_b32_e64 v34, 0, 1, s[2:3]
	v_cmp_ne_u32_e64 s[6:7], 0, v34
	s_bcnt1_i32_b64 s2, s[6:7]
	v_add_co_u32_e64 v4, s[6:7], s2, v4
	v_addc_co_u32_e64 v5, s[6:7], 0, v5, s[6:7]
	v_cmp_eq_u32_e64 s[6:7], 1, v33
	s_and_b64 s[2:3], vcc, s[6:7]
	v_cndmask_b32_e64 v34, 0, 1, s[2:3]
	v_cmp_ne_u32_e64 s[6:7], 0, v34
	s_bcnt1_i32_b64 s2, s[6:7]
	v_add_co_u32_e64 v6, s[6:7], s2, v6
	v_addc_co_u32_e64 v7, s[6:7], 0, v7, s[6:7]
	;; [unrolled: 7-line block ×3, first 2 shown]
	v_cmp_eq_u32_e64 s[6:7], 3, v33
	s_and_b64 s[2:3], vcc, s[6:7]
	v_cndmask_b32_e64 v33, 0, 1, s[2:3]
	v_cmp_ne_u32_e32 vcc, 0, v33
	s_bcnt1_i32_b64 s2, vcc
	v_add_co_u32_e32 v10, vcc, s2, v10
	v_addc_co_u32_e32 v11, vcc, 0, v11, vcc
	v_mov_b32_e32 v33, v2
	s_andn2_b64 exec, exec, s[0:1]
	s_cbranch_execz .LBB135_99
.LBB135_97:                             ;   Parent Loop BB135_45 Depth=1
                                        ; =>  This Inner Loop Header: Depth=2
	v_add_co_u32_e32 v31, vcc, s8, v31
	v_addc_co_u32_e32 v32, vcc, 0, v32, vcc
	v_cmp_gt_u64_e64 s[6:7], s[24:25], v[31:32]
	v_cmp_le_u64_e32 vcc, s[24:25], v[31:32]
	v_mov_b32_e32 v2, 0
	s_and_saveexec_b64 s[2:3], s[6:7]
	s_cbranch_execz .LBB135_96
; %bb.98:                               ;   in Loop: Header=BB135_97 Depth=2
	v_mul_lo_u32 v2, v32, s26
	v_mul_lo_u32 v36, v31, s27
	v_mad_u64_u32 v[34:35], s[6:7], v31, s26, 0
	v_add3_u32 v35, v35, v36, v2
	v_lshlrev_b64 v[34:35], 1, v[34:35]
	v_mov_b32_e32 v2, s53
	v_add_co_u32_e64 v34, s[6:7], s52, v34
	v_addc_co_u32_e64 v35, s[6:7], v2, v35, s[6:7]
	global_load_ushort v2, v[34:35], off
	s_branch .LBB135_96
.LBB135_99:                             ;   in Loop: Header=BB135_45 Depth=1
	s_or_b64 exec, exec, s[0:1]
.LBB135_100:                            ;   in Loop: Header=BB135_45 Depth=1
	s_or_b64 exec, exec, s[10:11]
	s_branch .LBB135_79
.LBB135_101:                            ;   in Loop: Header=BB135_45 Depth=1
	global_load_ushort v2, v3, s[56:57]
	v_mov_b32_e32 v8, 0
	v_mov_b32_e32 v9, 0
	s_waitcnt vmcnt(0)
	v_readfirstlane_b32 s0, v2
	s_and_b32 s0, 0xffff, s0
	s_lshl_b32 s1, s0, 2
	v_cvt_f32_u32_e32 v4, s1
	s_sub_i32 s2, 0, s1
	v_rcp_iflag_f32_e32 v6, v4
	v_mov_b32_e32 v4, 0
	v_mov_b32_e32 v5, 0
	v_mul_f32_e32 v6, 0x4f7ffffe, v6
	v_cvt_u32_f32_e32 v10, v6
	v_mov_b32_e32 v6, 0
	v_mov_b32_e32 v7, 0
	v_readfirstlane_b32 s3, v10
	s_mul_i32 s2, s2, s3
	s_mul_hi_u32 s2, s3, s2
	s_add_i32 s3, s3, s2
	s_mul_hi_u32 s2, s82, s3
	s_mul_i32 s3, s2, s1
	s_sub_i32 s3, s82, s3
	s_add_i32 s6, s2, 1
	s_sub_i32 s7, s3, s1
	s_cmp_ge_u32 s3, s1
	s_cselect_b32 s2, s6, s2
	s_cselect_b32 s3, s7, s3
	s_add_i32 s6, s2, 1
	s_cmp_ge_u32 s3, s1
	s_cselect_b32 s2, s6, s2
	s_mul_hi_u32 s41, s0, s2
	s_mul_i32 s40, s0, s2
	s_lshl_b64 s[84:85], s[40:41], 2
	v_cmp_gt_u64_e32 vcc, s[84:85], v[24:25]
	v_mov_b32_e32 v10, 0
	v_mov_b32_e32 v11, 0
	s_and_saveexec_b64 s[86:87], vcc
	s_cbranch_execz .LBB135_105
; %bb.102:                              ;   in Loop: Header=BB135_45 Depth=1
	v_mov_b32_e32 v32, v25
	s_lshl_b32 s2, s0, 3
	s_mov_b64 s[88:89], 0
	v_mov_b32_e32 v33, v50
	s_mov_b64 s[90:91], 0
	s_mov_b64 s[92:93], 0
	;; [unrolled: 1-line block ×4, first 2 shown]
	v_mov_b32_e32 v31, v24
.LBB135_103:                            ;   Parent Loop BB135_45 Depth=1
                                        ; =>  This Inner Loop Header: Depth=2
	ds_read_b64 v[4:5], v33
	v_add_u32_e32 v33, s2, v33
	s_waitcnt lgkmcnt(0)
	v_cmp_lt_i16_e32 vcc, -1, v4
	v_cndmask_b32_e32 v6, v51, v52, vcc
	v_cmp_o_f16_e32 vcc, v4, v4
	v_xor_b32_sdwa v6, v6, v4 dst_sel:DWORD dst_unused:UNUSED_PAD src0_sel:DWORD src1_sel:WORD_0
	v_cndmask_b32_e32 v6, v51, v6, vcc
	v_cmp_gt_i16_sdwa vcc, v4, v54 src0_sel:WORD_1 src1_sel:DWORD
	v_cndmask_b32_e32 v7, v51, v52, vcc
	v_cmp_o_f16_sdwa vcc, v4, v4 src0_sel:WORD_1 src1_sel:WORD_1
	v_xor_b32_sdwa v4, v7, v4 dst_sel:DWORD dst_unused:UNUSED_PAD src0_sel:DWORD src1_sel:WORD_1
	v_cndmask_b32_e32 v4, v51, v4, vcc
	v_cmp_lt_i16_e32 vcc, -1, v5
	v_cndmask_b32_e32 v7, v51, v52, vcc
	v_cmp_o_f16_e32 vcc, v5, v5
	v_xor_b32_sdwa v7, v7, v5 dst_sel:DWORD dst_unused:UNUSED_PAD src0_sel:DWORD src1_sel:WORD_0
	v_cndmask_b32_e32 v7, v51, v7, vcc
	v_cmp_gt_i16_sdwa vcc, v5, v54 src0_sel:WORD_1 src1_sel:DWORD
	v_cndmask_b32_e32 v8, v51, v52, vcc
	v_cmp_o_f16_sdwa vcc, v5, v5 src0_sel:WORD_1 src1_sel:WORD_1
	v_xor_b32_sdwa v5, v8, v5 dst_sel:DWORD dst_unused:UNUSED_PAD src0_sel:DWORD src1_sel:WORD_1
	v_and_b32_e32 v8, v6, v56
	v_bfe_u32 v6, v6, s66, 2
	v_cndmask_b32_e32 v5, v51, v5, vcc
	v_cmp_eq_u32_e32 vcc, v8, v47
	v_and_b32_e32 v8, v4, v56
	v_bfe_u32 v4, v4, s66, 2
	v_cmp_eq_u32_e64 s[20:21], 0, v6
	v_cmp_eq_u32_e64 s[6:7], v8, v47
	v_and_b32_e32 v8, v7, v56
	v_bfe_u32 v7, v7, s66, 2
	s_and_b64 s[8:9], vcc, s[20:21]
	v_cmp_eq_u32_e64 s[20:21], 0, v4
	v_cmp_eq_u32_e64 s[14:15], v8, v47
	v_and_b32_e32 v8, v5, v56
	v_bfe_u32 v5, v5, s66, 2
	s_and_b64 s[10:11], s[6:7], s[20:21]
	v_cmp_eq_u32_e64 s[20:21], 0, v7
	v_cmp_eq_u32_e64 s[18:19], v8, v47
	s_and_b64 s[12:13], s[14:15], s[20:21]
	v_cmp_eq_u32_e64 s[20:21], 0, v5
	v_cndmask_b32_e64 v8, 0, 1, s[8:9]
	s_and_b64 s[34:35], s[18:19], s[20:21]
	v_cmp_ne_u32_e64 s[20:21], 0, v8
	v_cndmask_b32_e64 v8, 0, 1, s[10:11]
	s_bcnt1_i32_b64 s3, s[20:21]
	v_cmp_ne_u32_e64 s[20:21], 0, v8
	v_cndmask_b32_e64 v8, 0, 1, s[12:13]
	s_bcnt1_i32_b64 s8, s[20:21]
	;; [unrolled: 3-line block ×3, first 2 shown]
	v_cmp_ne_u32_e64 s[20:21], 0, v8
	s_bcnt1_i32_b64 s10, s[20:21]
	s_add_u32 s3, s3, s38
	s_addc_u32 s11, 0, s39
	s_add_u32 s3, s3, s8
	s_addc_u32 s8, s11, 0
	;; [unrolled: 2-line block ×3, first 2 shown]
	s_add_u32 s38, s3, s10
	v_cmp_eq_u32_e64 s[20:21], 1, v6
	s_addc_u32 s39, s8, 0
	s_and_b64 s[8:9], vcc, s[20:21]
	v_cmp_eq_u32_e64 s[20:21], 1, v4
	s_and_b64 s[10:11], s[6:7], s[20:21]
	v_cmp_eq_u32_e64 s[20:21], 1, v7
	s_and_b64 s[12:13], s[14:15], s[20:21]
	v_cmp_eq_u32_e64 s[20:21], 1, v5
	v_cndmask_b32_e64 v8, 0, 1, s[8:9]
	s_and_b64 s[34:35], s[18:19], s[20:21]
	v_cmp_ne_u32_e64 s[20:21], 0, v8
	v_cndmask_b32_e64 v8, 0, 1, s[10:11]
	s_bcnt1_i32_b64 s3, s[20:21]
	v_cmp_ne_u32_e64 s[20:21], 0, v8
	v_cndmask_b32_e64 v8, 0, 1, s[12:13]
	s_bcnt1_i32_b64 s8, s[20:21]
	;; [unrolled: 3-line block ×3, first 2 shown]
	v_cmp_ne_u32_e64 s[20:21], 0, v8
	s_bcnt1_i32_b64 s10, s[20:21]
	s_add_u32 s3, s3, s94
	s_addc_u32 s11, 0, s95
	s_add_u32 s3, s3, s8
	s_addc_u32 s8, s11, 0
	;; [unrolled: 2-line block ×3, first 2 shown]
	s_add_u32 s94, s3, s10
	v_cmp_eq_u32_e64 s[20:21], 2, v6
	s_addc_u32 s95, s8, 0
	s_and_b64 s[8:9], vcc, s[20:21]
	v_cmp_eq_u32_e64 s[20:21], 2, v4
	s_and_b64 s[10:11], s[6:7], s[20:21]
	v_cmp_eq_u32_e64 s[20:21], 2, v7
	s_and_b64 s[12:13], s[14:15], s[20:21]
	v_cmp_eq_u32_e64 s[20:21], 2, v5
	v_cndmask_b32_e64 v8, 0, 1, s[8:9]
	s_and_b64 s[34:35], s[18:19], s[20:21]
	v_cmp_ne_u32_e64 s[20:21], 0, v8
	v_cndmask_b32_e64 v8, 0, 1, s[10:11]
	s_bcnt1_i32_b64 s3, s[20:21]
	v_cmp_ne_u32_e64 s[20:21], 0, v8
	v_cndmask_b32_e64 v8, 0, 1, s[12:13]
	s_bcnt1_i32_b64 s8, s[20:21]
	;; [unrolled: 3-line block ×3, first 2 shown]
	v_cmp_ne_u32_e64 s[20:21], 0, v8
	s_bcnt1_i32_b64 s10, s[20:21]
	s_add_u32 s3, s3, s92
	s_addc_u32 s11, 0, s93
	s_add_u32 s3, s3, s8
	s_addc_u32 s8, s11, 0
	;; [unrolled: 2-line block ×3, first 2 shown]
	s_add_u32 s92, s3, s10
	v_cmp_eq_u32_e64 s[20:21], 3, v6
	s_addc_u32 s93, s8, 0
	s_and_b64 s[8:9], vcc, s[20:21]
	v_cmp_eq_u32_e32 vcc, 3, v4
	s_and_b64 s[6:7], s[6:7], vcc
	v_cmp_eq_u32_e32 vcc, 3, v7
	s_and_b64 s[10:11], s[14:15], vcc
	v_cmp_eq_u32_e32 vcc, 3, v5
	v_cndmask_b32_e64 v4, 0, 1, s[8:9]
	s_and_b64 s[12:13], s[18:19], vcc
	v_cmp_ne_u32_e32 vcc, 0, v4
	v_cndmask_b32_e64 v4, 0, 1, s[6:7]
	s_bcnt1_i32_b64 s3, vcc
	v_cmp_ne_u32_e32 vcc, 0, v4
	v_cndmask_b32_e64 v4, 0, 1, s[10:11]
	s_bcnt1_i32_b64 s6, vcc
	;; [unrolled: 3-line block ×3, first 2 shown]
	v_cmp_ne_u32_e32 vcc, 0, v4
	s_bcnt1_i32_b64 s8, vcc
	s_add_u32 s3, s3, s90
	s_addc_u32 s9, 0, s91
	s_add_u32 s3, s3, s6
	s_addc_u32 s6, s9, 0
	s_add_u32 s3, s3, s7
	v_add_co_u32_e32 v31, vcc, s1, v31
	s_addc_u32 s6, s6, 0
	v_addc_co_u32_e32 v32, vcc, 0, v32, vcc
	s_add_u32 s90, s3, s8
	v_cmp_le_u64_e32 vcc, s[84:85], v[31:32]
	s_addc_u32 s91, s6, 0
	v_mov_b32_e32 v4, s38
	v_mov_b32_e32 v6, s94
	;; [unrolled: 1-line block ×4, first 2 shown]
	s_or_b64 s[88:89], vcc, s[88:89]
	v_mov_b32_e32 v5, s39
	v_mov_b32_e32 v7, s95
	;; [unrolled: 1-line block ×4, first 2 shown]
	s_andn2_b64 exec, exec, s[88:89]
	s_cbranch_execnz .LBB135_103
; %bb.104:                              ;   in Loop: Header=BB135_45 Depth=1
	s_or_b64 exec, exec, s[88:89]
.LBB135_105:                            ;   in Loop: Header=BB135_45 Depth=1
	s_or_b64 exec, exec, s[86:87]
	v_mov_b32_e32 v32, s85
	v_add_co_u32_e32 v31, vcc, s84, v0
	s_and_b32 s46, s82, 0x7fffffff
	v_addc_co_u32_e32 v32, vcc, 0, v32, vcc
	v_cmp_gt_u64_e32 vcc, s[46:47], v[31:32]
	s_and_saveexec_b64 s[12:13], vcc
	s_cbranch_execz .LBB135_109
; %bb.106:                              ;   in Loop: Header=BB135_45 Depth=1
	v_lshl_add_u32 v33, s40, 3, v48
	s_lshl_b32 s0, s0, 1
	s_mov_b64 s[14:15], 0
.LBB135_107:                            ;   Parent Loop BB135_45 Depth=1
                                        ; =>  This Inner Loop Header: Depth=2
	ds_read_u16 v34, v33
	v_add_u32_e32 v33, s0, v33
	s_waitcnt lgkmcnt(0)
	v_cmp_lt_i16_e32 vcc, -1, v34
	v_cndmask_b32_e32 v35, v51, v52, vcc
	v_cmp_o_f16_e32 vcc, v34, v34
	v_xor_b32_sdwa v34, v35, v34 dst_sel:DWORD dst_unused:UNUSED_PAD src0_sel:DWORD src1_sel:WORD_0
	v_cndmask_b32_e32 v34, v51, v34, vcc
	v_and_b32_e32 v35, v34, v56
	v_bfe_u32 v34, v34, s66, 2
	v_cmp_eq_u32_e32 vcc, v35, v47
	v_cmp_eq_u32_e64 s[6:7], 0, v34
	s_and_b64 s[2:3], vcc, s[6:7]
	v_cndmask_b32_e64 v35, 0, 1, s[2:3]
	v_cmp_ne_u32_e64 s[6:7], 0, v35
	s_bcnt1_i32_b64 s1, s[6:7]
	v_add_co_u32_e64 v4, s[6:7], s1, v4
	v_addc_co_u32_e64 v5, s[6:7], 0, v5, s[6:7]
	v_cmp_eq_u32_e64 s[6:7], 1, v34
	s_and_b64 s[2:3], vcc, s[6:7]
	v_cndmask_b32_e64 v35, 0, 1, s[2:3]
	v_cmp_ne_u32_e64 s[6:7], 0, v35
	s_bcnt1_i32_b64 s1, s[6:7]
	v_add_co_u32_e64 v6, s[6:7], s1, v6
	v_addc_co_u32_e64 v7, s[6:7], 0, v7, s[6:7]
	;; [unrolled: 7-line block ×3, first 2 shown]
	v_cmp_eq_u32_e64 s[6:7], 3, v34
	s_and_b64 s[2:3], vcc, s[6:7]
	v_cndmask_b32_e64 v34, 0, 1, s[2:3]
	v_cmp_ne_u32_e32 vcc, 0, v34
	s_bcnt1_i32_b64 s1, vcc
	v_add_co_u32_e32 v10, vcc, s1, v10
	v_addc_co_u32_e32 v11, vcc, 0, v11, vcc
	v_add_co_u32_sdwa v31, vcc, v31, v2 dst_sel:DWORD dst_unused:UNUSED_PAD src0_sel:DWORD src1_sel:WORD_0
	v_addc_co_u32_e32 v32, vcc, 0, v32, vcc
	v_cmp_le_u64_e32 vcc, s[46:47], v[31:32]
	s_or_b64 s[14:15], vcc, s[14:15]
	s_andn2_b64 exec, exec, s[14:15]
	s_cbranch_execnz .LBB135_107
; %bb.108:                              ;   in Loop: Header=BB135_45 Depth=1
	s_or_b64 exec, exec, s[14:15]
.LBB135_109:                            ;   in Loop: Header=BB135_45 Depth=1
	s_or_b64 exec, exec, s[12:13]
	v_readlane_b32 s46, v62, 35
	s_lshl_b32 s2, s48, 6
	s_and_saveexec_b64 s[0:1], s[4:5]
	s_cbranch_execnz .LBB135_80
	s_branch .LBB135_81
.LBB135_110:                            ;   in Loop: Header=BB135_45 Depth=1
                                        ; implicit-def: $sgpr0_sgpr1
	s_branch .LBB135_89
.LBB135_111:                            ;   in Loop: Header=BB135_45 Depth=1
	v_mov_b32_e32 v4, 0
	v_mov_b32_e32 v5, 0
	s_mov_b32 s0, 0
.LBB135_112:                            ;   in Loop: Header=BB135_45 Depth=1
	v_readlane_b32 s8, v62, 27
	v_readlane_b32 s9, v62, 28
	s_andn2_b64 vcc, exec, s[8:9]
	s_cbranch_vccnz .LBB135_115
; %bb.113:                              ;   in Loop: Header=BB135_45 Depth=1
	s_lshl_b32 s1, s48, 9
	s_lshl_b32 s0, s0, 5
	s_add_i32 s1, s1, s0
	v_add_u32_e32 v2, s1, v46
	v_readlane_b32 s0, v62, 26
.LBB135_114:                            ;   Parent Loop BB135_45 Depth=1
                                        ; =>  This Inner Loop Header: Depth=2
	ds_read_b64 v[6:7], v2
	s_add_i32 s0, s0, -1
	v_add_u32_e32 v2, 32, v2
	s_cmp_lg_u32 s0, 0
	s_waitcnt lgkmcnt(0)
	v_add_co_u32_e32 v4, vcc, v6, v4
	v_addc_co_u32_e32 v5, vcc, v7, v5, vcc
	s_cbranch_scc1 .LBB135_114
.LBB135_115:                            ;   in Loop: Header=BB135_45 Depth=1
	v_add_lshl_u32 v2, s2, v41, 3
	ds_write_b64 v2, v[4:5] offset:3072
.LBB135_116:                            ;   in Loop: Header=BB135_45 Depth=1
	s_or_b64 exec, exec, s[6:7]
	s_lshl_b32 s0, s2, 3
	v_mov_b32_e32 v2, s0
	s_waitcnt lgkmcnt(0)
	s_barrier
	ds_read_b128 v[8:11], v2 offset:3088
	ds_read_b128 v[4:7], v2 offset:3072
	v_cmp_eq_u64_e64 s[6:7], 1, v[29:30]
	s_lshl_b32 s49, 3, s66
	s_not_b32 s60, s49
	s_waitcnt lgkmcnt(1)
	v_readfirstlane_b32 s84, v8
	s_waitcnt lgkmcnt(0)
	v_cmp_eq_u64_e32 vcc, 1, v[4:5]
	v_readfirstlane_b32 s85, v9
	v_readfirstlane_b32 s14, v10
	;; [unrolled: 1-line block ×3, first 2 shown]
	s_and_b64 s[20:21], vcc, s[6:7]
	s_mov_b64 s[6:7], -1
	s_mov_b64 s[0:1], -1
                                        ; implicit-def: $sgpr34_sgpr35
                                        ; implicit-def: $sgpr12_sgpr13
	s_and_saveexec_b64 s[18:19], s[20:21]
	s_cbranch_execz .LBB135_150
; %bb.117:                              ;   in Loop: Header=BB135_45 Depth=1
	ds_read_b64 v[8:9], v3 offset:5120
	s_waitcnt lgkmcnt(0)
	s_barrier
	v_readfirstlane_b32 s38, v8
	v_readfirstlane_b32 s39, v9
	s_mov_b64 s[0:1], exec
	v_readlane_b32 s2, v62, 14
	v_readlane_b32 s3, v62, 15
	s_and_b64 s[2:3], s[0:1], s[2:3]
	s_mov_b64 exec, s[2:3]
; %bb.118:                              ;   in Loop: Header=BB135_45 Depth=1
	ds_write_b16 v49, v3
; %bb.119:                              ;   in Loop: Header=BB135_45 Depth=1
	s_or_b64 exec, exec, s[0:1]
	v_and_b32_e32 v47, s60, v47
	v_or_b32_e32 v56, s49, v56
	s_mov_b64 s[12:13], -1
	s_mov_b64 s[34:35], 0
	s_cmp_eq_u64 s[38:39], 0
	s_mov_b64 s[10:11], 0
	s_mov_b64 s[0:1], -1
	s_waitcnt lgkmcnt(0)
	s_barrier
                                        ; implicit-def: $vgpr57
	s_cbranch_scc1 .LBB135_134
; %bb.120:                              ;   in Loop: Header=BB135_45 Depth=1
	s_add_u32 s8, s38, s61
	s_addc_u32 s11, s39, s62
	s_mov_b32 s10, s47
	s_cmp_lg_u64 s[10:11], 0
	s_cbranch_scc0 .LBB135_177
; %bb.121:                              ;   in Loop: Header=BB135_45 Depth=1
	v_cvt_f32_u32_e32 v2, s33
	s_sub_u32 s2, 0, s33
	s_subb_u32 s3, 0, 0
	v_mac_f32_e32 v2, 0, v53
	v_rcp_f32_e32 v2, v2
	v_mul_f32_e32 v2, 0x5f7ffffc, v2
	v_mul_f32_e32 v8, 0x2f800000, v2
	v_trunc_f32_e32 v8, v8
	v_mac_f32_e32 v2, 0xcf800000, v8
	v_cvt_u32_f32_e32 v8, v8
	v_cvt_u32_f32_e32 v2, v2
	v_readfirstlane_b32 s9, v8
	v_readfirstlane_b32 s0, v2
	s_mul_i32 s1, s2, s9
	s_mul_hi_u32 s40, s2, s0
	s_mul_i32 s10, s3, s0
	s_add_i32 s1, s40, s1
	s_mul_i32 s41, s2, s0
	s_add_i32 s1, s1, s10
	s_mul_hi_u32 s40, s0, s41
	s_mul_i32 s42, s0, s1
	s_mul_hi_u32 s10, s0, s1
	s_add_u32 s40, s40, s42
	s_addc_u32 s10, 0, s10
	s_mul_hi_u32 s43, s9, s41
	s_mul_i32 s41, s9, s41
	s_add_u32 s40, s40, s41
	s_mul_hi_u32 s42, s9, s1
	s_addc_u32 s10, s10, s43
	s_addc_u32 s40, s42, 0
	s_mul_i32 s1, s9, s1
	s_add_u32 s1, s10, s1
	s_addc_u32 s10, 0, s40
	s_add_u32 s40, s0, s1
	s_cselect_b64 s[0:1], -1, 0
	s_cmp_lg_u64 s[0:1], 0
	s_addc_u32 s9, s9, s10
	s_mul_i32 s0, s2, s9
	s_mul_hi_u32 s1, s2, s40
	s_add_i32 s0, s1, s0
	s_mul_i32 s3, s3, s40
	s_add_i32 s0, s0, s3
	s_mul_i32 s2, s2, s40
	s_mul_hi_u32 s3, s9, s2
	s_mul_i32 s10, s9, s2
	s_mul_i32 s42, s40, s0
	s_mul_hi_u32 s2, s40, s2
	s_mul_hi_u32 s41, s40, s0
	s_add_u32 s2, s2, s42
	s_addc_u32 s41, 0, s41
	s_add_u32 s2, s2, s10
	s_mul_hi_u32 s1, s9, s0
	s_addc_u32 s2, s41, s3
	s_addc_u32 s1, s1, 0
	s_mul_i32 s0, s9, s0
	s_add_u32 s0, s2, s0
	s_addc_u32 s2, 0, s1
	s_add_u32 s3, s40, s0
	s_cselect_b64 s[0:1], -1, 0
	s_cmp_lg_u64 s[0:1], 0
	s_addc_u32 s0, s9, s2
	s_mul_i32 s2, s8, s0
	s_mul_hi_u32 s9, s8, s3
	s_mul_hi_u32 s1, s8, s0
	s_add_u32 s2, s9, s2
	s_addc_u32 s1, 0, s1
	s_mul_hi_u32 s10, s11, s3
	s_mul_i32 s3, s11, s3
	s_add_u32 s2, s2, s3
	s_mul_hi_u32 s9, s11, s0
	s_addc_u32 s1, s1, s10
	s_addc_u32 s2, s9, 0
	s_mul_i32 s0, s11, s0
	s_add_u32 s0, s1, s0
	s_addc_u32 s1, 0, s2
	s_mul_i32 s1, s33, s1
	s_mul_hi_u32 s2, s33, s0
	s_add_i32 s2, s2, s1
	s_mul_i32 s0, s33, s0
	s_sub_u32 s3, s8, s0
	s_cselect_b64 s[0:1], -1, 0
	s_cmp_lg_u64 s[0:1], 0
	s_subb_u32 s2, s11, s2
	s_sub_u32 s9, s3, s33
	s_cselect_b64 s[0:1], -1, 0
	s_cmp_lg_u64 s[0:1], 0
	s_subb_u32 s10, s2, 0
	;; [unrolled: 4-line block ×3, first 2 shown]
	s_cmp_ge_u32 s9, s33
	s_cselect_b32 s1, -1, 0
	s_cmp_eq_u32 s10, 0
	s_cselect_b32 s1, s1, -1
	s_cmp_lg_u32 s1, 0
	s_cselect_b32 s0, s0, s10
	s_cselect_b32 s9, s40, s9
	s_cmp_ge_u32 s3, s33
	s_cselect_b32 s1, -1, 0
	s_cmp_eq_u32 s2, 0
	s_cselect_b32 s1, s1, -1
	s_cmp_lg_u32 s1, 0
	s_cselect_b32 s1, s0, s2
	s_cselect_b32 s0, s9, s3
	s_cbranch_execnz .LBB135_123
.LBB135_122:                            ;   in Loop: Header=BB135_45 Depth=1
	v_cvt_f32_u32_e32 v2, s33
	s_sub_i32 s0, 0, s33
	v_rcp_iflag_f32_e32 v2, v2
	v_mul_f32_e32 v2, 0x4f7ffffe, v2
	v_cvt_u32_f32_e32 v2, v2
	v_readfirstlane_b32 s1, v2
	s_mul_i32 s0, s0, s1
	s_mul_hi_u32 s0, s1, s0
	s_add_i32 s1, s1, s0
	s_mul_hi_u32 s0, s8, s1
	s_mul_i32 s0, s0, s33
	s_sub_i32 s0, s8, s0
	s_sub_i32 s1, s0, s33
	s_cmp_ge_u32 s0, s33
	s_cselect_b32 s0, s1, s0
	s_sub_i32 s1, s0, s33
	s_cmp_ge_u32 s0, s33
	s_cselect_b32 s46, s1, s0
	s_mov_b64 s[0:1], s[46:47]
	v_readlane_b32 s46, v62, 35
.LBB135_123:                            ;   in Loop: Header=BB135_45 Depth=1
	s_sub_u32 s42, s8, s0
	s_subb_u32 s43, s11, s1
	v_cmp_gt_u64_e32 vcc, s[42:43], v[0:1]
	s_mov_b64 s[0:1], 0
	s_mov_b64 s[10:11], 0
                                        ; implicit-def: $vgpr57
	s_and_saveexec_b64 s[40:41], vcc
	s_cbranch_execz .LBB135_133
; %bb.124:                              ;   in Loop: Header=BB135_45 Depth=1
	v_mov_b32_e32 v9, v1
	v_mov_b32_e32 v2, v48
	;; [unrolled: 1-line block ×3, first 2 shown]
                                        ; implicit-def: $sgpr8_sgpr9
	s_branch .LBB135_128
.LBB135_125:                            ;   in Loop: Header=BB135_128 Depth=2
	s_or_b64 exec, exec, s[2:3]
	s_waitcnt lgkmcnt(0)
	s_barrier
	ds_read_b32 v10, v3 offset:3072
	s_waitcnt lgkmcnt(0)
	s_barrier
	v_cmp_neq_f16_e32 vcc, 0, v10
	s_cbranch_vccnz .LBB135_131
; %bb.126:                              ;   in Loop: Header=BB135_128 Depth=2
	v_add_co_u32_e32 v8, vcc, s33, v8
	v_addc_co_u32_e32 v9, vcc, 0, v9, vcc
	v_cmp_le_u64_e32 vcc, s[42:43], v[8:9]
	v_add_u32_e32 v2, s16, v2
	s_mov_b64 s[2:3], 0
	s_orn2_b64 s[58:59], vcc, exec
.LBB135_127:                            ;   in Loop: Header=BB135_128 Depth=2
	s_and_b64 s[58:59], exec, s[58:59]
	s_or_b64 s[10:11], s[58:59], s[10:11]
	s_andn2_b64 s[8:9], s[8:9], exec
	s_and_b64 s[2:3], s[2:3], exec
	s_or_b64 s[8:9], s[8:9], s[2:3]
	s_andn2_b64 exec, exec, s[10:11]
	s_cbranch_execz .LBB135_132
.LBB135_128:                            ;   Parent Loop BB135_45 Depth=1
                                        ; =>  This Inner Loop Header: Depth=2
	v_cmp_gt_u64_e32 vcc, s[38:39], v[8:9]
	s_and_saveexec_b64 s[2:3], vcc
	s_cbranch_execz .LBB135_125
; %bb.129:                              ;   in Loop: Header=BB135_128 Depth=2
	ds_read_u16 v10, v2
	s_waitcnt lgkmcnt(0)
	v_cmp_lt_i16_e32 vcc, -1, v10
	v_cndmask_b32_e32 v11, v51, v52, vcc
	v_xor_b32_sdwa v11, v11, v10 dst_sel:DWORD dst_unused:UNUSED_PAD src0_sel:DWORD src1_sel:WORD_0
	v_cmp_o_f16_e32 vcc, v10, v10
	v_cndmask_b32_e32 v11, v51, v11, vcc
	v_and_b32_e32 v11, v11, v56
	v_cmp_eq_u32_e32 vcc, v11, v47
	s_and_b64 exec, exec, vcc
	s_cbranch_execz .LBB135_125
; %bb.130:                              ;   in Loop: Header=BB135_128 Depth=2
	v_perm_b32 v10, v10, s67, v55
	ds_write_b32 v3, v10 offset:3072
	s_branch .LBB135_125
.LBB135_131:                            ;   in Loop: Header=BB135_128 Depth=2
	s_mov_b64 s[58:59], -1
                                        ; implicit-def: $vgpr8_vgpr9
                                        ; implicit-def: $vgpr2
	s_mov_b64 s[2:3], -1
	s_branch .LBB135_127
.LBB135_132:                            ;   in Loop: Header=BB135_45 Depth=1
	s_or_b64 exec, exec, s[10:11]
	v_lshrrev_b32_e32 v57, 16, v10
	s_and_b64 s[10:11], s[8:9], exec
.LBB135_133:                            ;   in Loop: Header=BB135_45 Depth=1
	s_or_b64 exec, exec, s[40:41]
.LBB135_134:                            ;   in Loop: Header=BB135_45 Depth=1
	s_and_b64 vcc, exec, s[0:1]
	s_cbranch_vccz .LBB135_149
; %bb.135:                              ;   in Loop: Header=BB135_45 Depth=1
	s_mov_b32 s54, s47
	s_cmp_lg_u64 s[54:55], 0
	s_cbranch_scc0 .LBB135_181
; %bb.136:                              ;   in Loop: Header=BB135_45 Depth=1
	v_cvt_f32_u32_e32 v2, s33
	s_sub_u32 s2, 0, s33
	s_subb_u32 s3, 0, 0
	v_mac_f32_e32 v2, 0, v53
	v_rcp_f32_e32 v2, v2
	v_mul_f32_e32 v2, 0x5f7ffffc, v2
	v_mul_f32_e32 v8, 0x2f800000, v2
	v_trunc_f32_e32 v8, v8
	v_mac_f32_e32 v2, 0xcf800000, v8
	v_cvt_u32_f32_e32 v8, v8
	v_cvt_u32_f32_e32 v2, v2
	v_readfirstlane_b32 s8, v8
	v_readfirstlane_b32 s0, v2
	s_mul_i32 s1, s2, s8
	s_mul_hi_u32 s12, s2, s0
	s_mul_i32 s9, s3, s0
	s_add_i32 s1, s12, s1
	s_mul_i32 s13, s2, s0
	s_add_i32 s1, s1, s9
	s_mul_hi_u32 s12, s0, s13
	s_mul_i32 s34, s0, s1
	s_mul_hi_u32 s9, s0, s1
	s_add_u32 s12, s12, s34
	s_addc_u32 s9, 0, s9
	s_mul_hi_u32 s35, s8, s13
	s_mul_i32 s13, s8, s13
	s_add_u32 s12, s12, s13
	s_mul_hi_u32 s34, s8, s1
	s_addc_u32 s9, s9, s35
	s_addc_u32 s12, s34, 0
	s_mul_i32 s1, s8, s1
	s_add_u32 s1, s9, s1
	s_addc_u32 s9, 0, s12
	s_add_u32 s12, s0, s1
	s_cselect_b64 s[0:1], -1, 0
	s_cmp_lg_u64 s[0:1], 0
	s_addc_u32 s8, s8, s9
	s_mul_i32 s0, s2, s8
	s_mul_hi_u32 s1, s2, s12
	s_add_i32 s0, s1, s0
	s_mul_i32 s3, s3, s12
	s_add_i32 s0, s0, s3
	s_mul_i32 s2, s2, s12
	s_mul_hi_u32 s3, s8, s2
	s_mul_i32 s9, s8, s2
	s_mul_i32 s34, s12, s0
	s_mul_hi_u32 s2, s12, s2
	s_mul_hi_u32 s13, s12, s0
	s_add_u32 s2, s2, s34
	s_addc_u32 s13, 0, s13
	s_add_u32 s2, s2, s9
	s_mul_hi_u32 s1, s8, s0
	s_addc_u32 s2, s13, s3
	s_addc_u32 s1, s1, 0
	s_mul_i32 s0, s8, s0
	s_add_u32 s0, s2, s0
	s_addc_u32 s2, 0, s1
	s_add_u32 s3, s12, s0
	s_cselect_b64 s[0:1], -1, 0
	s_cmp_lg_u64 s[0:1], 0
	s_addc_u32 s0, s8, s2
	s_mul_i32 s2, s64, s0
	s_mul_hi_u32 s8, s64, s3
	s_mul_hi_u32 s1, s64, s0
	s_add_u32 s2, s8, s2
	s_addc_u32 s1, 0, s1
	s_mul_hi_u32 s9, s55, s3
	s_mul_i32 s3, s55, s3
	s_add_u32 s2, s2, s3
	s_mul_hi_u32 s8, s55, s0
	s_addc_u32 s1, s1, s9
	s_addc_u32 s2, s8, 0
	s_mul_i32 s0, s55, s0
	s_add_u32 s0, s1, s0
	s_addc_u32 s1, 0, s2
	s_mul_i32 s1, s33, s1
	s_mul_hi_u32 s2, s33, s0
	s_add_i32 s2, s2, s1
	s_mul_i32 s0, s33, s0
	s_sub_u32 s3, s64, s0
	s_cselect_b64 s[0:1], -1, 0
	s_cmp_lg_u64 s[0:1], 0
	s_subb_u32 s2, s55, s2
	s_sub_u32 s8, s3, s33
	s_cselect_b64 s[0:1], -1, 0
	s_cmp_lg_u64 s[0:1], 0
	s_subb_u32 s9, s2, 0
	;; [unrolled: 4-line block ×3, first 2 shown]
	s_cmp_ge_u32 s8, s33
	s_cselect_b32 s1, -1, 0
	s_cmp_eq_u32 s9, 0
	s_cselect_b32 s1, s1, -1
	s_cmp_lg_u32 s1, 0
	s_cselect_b32 s0, s0, s9
	s_cselect_b32 s8, s12, s8
	s_cmp_ge_u32 s3, s33
	s_cselect_b32 s1, -1, 0
	s_cmp_eq_u32 s2, 0
	s_cselect_b32 s1, s1, -1
	s_cmp_lg_u32 s1, 0
	s_cselect_b32 s1, s0, s2
	s_cselect_b32 s0, s8, s3
	s_cbranch_execnz .LBB135_138
.LBB135_137:                            ;   in Loop: Header=BB135_45 Depth=1
	v_cvt_f32_u32_e32 v2, s33
	s_sub_i32 s0, 0, s33
	v_rcp_iflag_f32_e32 v2, v2
	v_mul_f32_e32 v2, 0x4f7ffffe, v2
	v_cvt_u32_f32_e32 v2, v2
	v_readfirstlane_b32 s1, v2
	s_mul_i32 s0, s0, s1
	s_mul_hi_u32 s0, s1, s0
	s_add_i32 s1, s1, s0
	s_mul_hi_u32 s0, s64, s1
	s_mul_i32 s0, s0, s33
	s_sub_i32 s0, s64, s0
	s_sub_i32 s1, s0, s33
	s_cmp_ge_u32 s0, s33
	s_cselect_b32 s0, s1, s0
	s_sub_i32 s1, s0, s33
	s_cmp_ge_u32 s0, s33
	s_cselect_b32 s46, s1, s0
	s_mov_b64 s[0:1], s[46:47]
	v_readlane_b32 s46, v62, 35
.LBB135_138:                            ;   in Loop: Header=BB135_45 Depth=1
	s_sub_u32 s12, s64, s0
	s_subb_u32 s13, s55, s1
	v_cmp_gt_u64_e32 vcc, s[12:13], v[0:1]
                                        ; implicit-def: $vgpr57
	s_and_saveexec_b64 s[0:1], vcc
	s_cbranch_execz .LBB135_148
; %bb.139:                              ;   in Loop: Header=BB135_45 Depth=1
	v_mov_b32_e32 v8, v12
	v_mov_b32_e32 v11, v1
	s_mov_b64 s[34:35], 0
	v_mov_b32_e32 v9, v13
	v_mov_b32_e32 v10, v0
                                        ; implicit-def: $sgpr38_sgpr39
	s_branch .LBB135_143
.LBB135_140:                            ;   in Loop: Header=BB135_143 Depth=2
	s_or_b64 exec, exec, s[2:3]
	s_waitcnt lgkmcnt(0)
	s_barrier
	ds_read_b32 v2, v3 offset:3072
	s_waitcnt lgkmcnt(0)
	s_barrier
	v_cmp_neq_f16_e32 vcc, 0, v2
	s_cbranch_vccnz .LBB135_146
; %bb.141:                              ;   in Loop: Header=BB135_143 Depth=2
	v_add_co_u32_e32 v10, vcc, s33, v10
	v_addc_co_u32_e32 v11, vcc, 0, v11, vcc
	v_mov_b32_e32 v31, s51
	v_add_co_u32_e32 v8, vcc, s50, v8
	v_addc_co_u32_e32 v9, vcc, v9, v31, vcc
	v_cmp_le_u64_e32 vcc, s[12:13], v[10:11]
	s_mov_b64 s[2:3], 0
	s_orn2_b64 s[8:9], vcc, exec
.LBB135_142:                            ;   in Loop: Header=BB135_143 Depth=2
	s_and_b64 s[8:9], exec, s[8:9]
	s_or_b64 s[34:35], s[8:9], s[34:35]
	s_andn2_b64 s[8:9], s[38:39], exec
	s_and_b64 s[2:3], s[2:3], exec
	s_or_b64 s[38:39], s[8:9], s[2:3]
	s_andn2_b64 exec, exec, s[34:35]
	s_cbranch_execz .LBB135_147
.LBB135_143:                            ;   Parent Loop BB135_45 Depth=1
                                        ; =>  This Inner Loop Header: Depth=2
	v_cmp_gt_u64_e32 vcc, s[24:25], v[10:11]
	s_and_saveexec_b64 s[2:3], vcc
	s_cbranch_execz .LBB135_140
; %bb.144:                              ;   in Loop: Header=BB135_143 Depth=2
	global_load_ushort v2, v[8:9], off
	s_waitcnt vmcnt(0)
	v_cmp_lt_i16_e32 vcc, -1, v2
	v_cndmask_b32_e32 v31, v51, v52, vcc
	v_xor_b32_sdwa v31, v31, v2 dst_sel:DWORD dst_unused:UNUSED_PAD src0_sel:DWORD src1_sel:WORD_0
	v_cmp_o_f16_e32 vcc, v2, v2
	v_cndmask_b32_e32 v31, v51, v31, vcc
	v_and_b32_e32 v31, v31, v56
	v_cmp_eq_u32_e32 vcc, v31, v47
	s_and_b64 exec, exec, vcc
	s_cbranch_execz .LBB135_140
; %bb.145:                              ;   in Loop: Header=BB135_143 Depth=2
	v_perm_b32 v2, v2, s67, v55
	ds_write_b32 v3, v2 offset:3072
	s_branch .LBB135_140
.LBB135_146:                            ;   in Loop: Header=BB135_143 Depth=2
	s_mov_b64 s[8:9], -1
                                        ; implicit-def: $vgpr10_vgpr11
                                        ; implicit-def: $vgpr8_vgpr9
	s_mov_b64 s[2:3], -1
	s_branch .LBB135_142
.LBB135_147:                            ;   in Loop: Header=BB135_45 Depth=1
	s_or_b64 exec, exec, s[34:35]
	s_andn2_b64 s[2:3], s[10:11], exec
	s_and_b64 s[8:9], s[38:39], exec
	v_lshrrev_b32_e32 v57, 16, v2
	s_or_b64 s[10:11], s[2:3], s[8:9]
.LBB135_148:                            ;   in Loop: Header=BB135_45 Depth=1
	s_or_b64 exec, exec, s[0:1]
	s_mov_b64 s[12:13], 0
	s_mov_b64 s[34:35], -1
.LBB135_149:                            ;   in Loop: Header=BB135_45 Depth=1
	s_orn2_b64 s[0:1], s[10:11], exec
.LBB135_150:                            ;   in Loop: Header=BB135_45 Depth=1
	s_or_b64 exec, exec, s[18:19]
	s_andn2_b64 s[2:3], s[80:81], exec
	s_and_b64 s[8:9], s[34:35], exec
	s_or_b64 s[80:81], s[2:3], s[8:9]
	s_andn2_b64 s[2:3], s[78:79], exec
	s_and_b64 s[8:9], s[12:13], exec
	s_andn2_b64 s[76:77], s[76:77], exec
	s_or_b64 s[78:79], s[2:3], s[8:9]
                                        ; implicit-def: $vgpr8_vgpr9
	s_and_saveexec_b64 s[18:19], s[0:1]
	s_cbranch_execz .LBB135_44
; %bb.151:                              ;   in Loop: Header=BB135_45 Depth=1
	v_mov_b32_e32 v8, 1
	s_xor_b64 s[2:3], s[20:21], -1
	v_mov_b32_e32 v2, 1
	v_mov_b32_e32 v9, 0
	s_mov_b64 s[8:9], 0
	s_and_saveexec_b64 s[0:1], s[2:3]
	s_cbranch_execz .LBB135_160
; %bb.152:                              ;   in Loop: Header=BB135_45 Depth=1
	v_cmp_le_u64_e32 vcc, v[29:30], v[4:5]
	s_and_saveexec_b64 s[2:3], vcc
	s_xor_b64 s[6:7], exec, s[2:3]
	s_cbranch_execz .LBB135_157
; %bb.153:                              ;   in Loop: Header=BB135_45 Depth=1
	ds_read_b64 v[8:9], v3 offset:5120
	v_and_b32_e32 v47, s60, v47
	v_or_b32_e32 v56, s49, v56
	s_waitcnt lgkmcnt(0)
	v_cmp_ne_u64_e32 vcc, 0, v[8:9]
	s_cbranch_vccnz .LBB135_157
; %bb.154:                              ;   in Loop: Header=BB135_45 Depth=1
	s_mov_b64 s[2:3], exec
	v_readlane_b32 s8, v62, 10
	v_readlane_b32 s9, v62, 11
	s_and_b64 s[8:9], s[2:3], s[8:9]
	s_mov_b64 exec, s[8:9]
; %bb.155:                              ;   in Loop: Header=BB135_45 Depth=1
	ds_write_b64 v3, v[4:5] offset:5128
; %bb.156:                              ;   in Loop: Header=BB135_45 Depth=1
	s_or_b64 exec, exec, s[2:3]
	s_waitcnt lgkmcnt(0)
	s_barrier
.LBB135_157:                            ;   in Loop: Header=BB135_45 Depth=1
	s_or_saveexec_b64 s[6:7], s[6:7]
	s_mov_b64 s[8:9], 0
	v_mov_b32_e32 v2, 8
	s_xor_b64 exec, exec, s[6:7]
; %bb.158:                              ;   in Loop: Header=BB135_45 Depth=1
	v_sub_co_u32_e32 v29, vcc, v29, v4
	v_subb_co_u32_e32 v30, vcc, v30, v5, vcc
	v_mov_b32_e32 v2, 0
	s_mov_b64 s[8:9], exec
; %bb.159:                              ;   in Loop: Header=BB135_45 Depth=1
	s_or_b64 exec, exec, s[6:7]
	v_mov_b32_e32 v8, v29
	s_and_b64 s[8:9], s[8:9], exec
	v_mov_b32_e32 v9, v30
.LBB135_160:                            ;   in Loop: Header=BB135_45 Depth=1
	s_or_b64 exec, exec, s[0:1]
	s_mov_b64 s[20:21], -1
	s_mov_b64 s[0:1], -1
                                        ; implicit-def: $sgpr6_sgpr7
                                        ; implicit-def: $sgpr86_sgpr87
	s_and_saveexec_b64 s[2:3], s[8:9]
	s_xor_b64 s[82:83], exec, s[2:3]
	s_cbranch_execz .LBB135_315
; %bb.161:                              ;   in Loop: Header=BB135_45 Depth=1
	v_cmp_eq_u64_e32 vcc, 1, v[6:7]
	v_cmp_eq_u64_e64 s[6:7], 1, v[8:9]
                                        ; implicit-def: $sgpr86_sgpr87
	s_and_b64 s[38:39], vcc, s[6:7]
                                        ; implicit-def: $sgpr6_sgpr7
	s_and_saveexec_b64 s[40:41], s[38:39]
	s_cbranch_execz .LBB135_200
; %bb.162:                              ;   in Loop: Header=BB135_45 Depth=1
	ds_read_b64 v[4:5], v3 offset:5120
	s_waitcnt lgkmcnt(0)
	s_barrier
	v_readfirstlane_b32 s10, v4
	v_readfirstlane_b32 s11, v5
	s_mov_b64 s[0:1], exec
	v_readlane_b32 s2, v62, 14
	v_readlane_b32 s3, v62, 15
	s_and_b64 s[2:3], s[0:1], s[2:3]
	s_mov_b64 exec, s[2:3]
; %bb.163:                              ;   in Loop: Header=BB135_45 Depth=1
	ds_write_b16 v49, v3
; %bb.164:                              ;   in Loop: Header=BB135_45 Depth=1
	s_or_b64 exec, exec, s[0:1]
	v_and_b32_e32 v4, s60, v47
	v_lshl_or_b32 v47, 1, s66, v4
	v_or_b32_e32 v56, s49, v56
	s_mov_b64 s[6:7], -1
	s_mov_b64 s[86:87], 0
	s_cmp_eq_u64 s[10:11], 0
	s_mov_b64 s[12:13], 0
	s_mov_b64 s[34:35], -1
	s_waitcnt lgkmcnt(0)
	s_barrier
                                        ; implicit-def: $vgpr57
	s_cbranch_scc1 .LBB135_184
; %bb.165:                              ;   in Loop: Header=BB135_45 Depth=1
	s_add_u32 s8, s10, s61
	s_addc_u32 s13, s11, s62
	s_mov_b32 s12, s47
	s_cmp_lg_u64 s[12:13], 0
	s_cbranch_scc0 .LBB135_228
; %bb.166:                              ;   in Loop: Header=BB135_45 Depth=1
	v_cvt_f32_u32_e32 v4, s33
	s_sub_u32 s2, 0, s33
	s_subb_u32 s3, 0, 0
	v_mac_f32_e32 v4, 0, v53
	v_rcp_f32_e32 v4, v4
	v_mul_f32_e32 v4, 0x5f7ffffc, v4
	v_mul_f32_e32 v5, 0x2f800000, v4
	v_trunc_f32_e32 v5, v5
	v_mac_f32_e32 v4, 0xcf800000, v5
	v_cvt_u32_f32_e32 v5, v5
	v_cvt_u32_f32_e32 v4, v4
	v_readfirstlane_b32 s9, v5
	v_readfirstlane_b32 s0, v4
	s_mul_i32 s1, s2, s9
	s_mul_hi_u32 s34, s2, s0
	s_mul_i32 s12, s3, s0
	s_add_i32 s1, s34, s1
	s_mul_i32 s35, s2, s0
	s_add_i32 s1, s1, s12
	s_mul_hi_u32 s34, s0, s35
	s_mul_i32 s42, s0, s1
	s_mul_hi_u32 s12, s0, s1
	s_add_u32 s34, s34, s42
	s_addc_u32 s12, 0, s12
	s_mul_hi_u32 s43, s9, s35
	s_mul_i32 s35, s9, s35
	s_add_u32 s34, s34, s35
	s_mul_hi_u32 s42, s9, s1
	s_addc_u32 s12, s12, s43
	s_addc_u32 s34, s42, 0
	s_mul_i32 s1, s9, s1
	s_add_u32 s1, s12, s1
	s_addc_u32 s12, 0, s34
	s_add_u32 s34, s0, s1
	s_cselect_b64 s[0:1], -1, 0
	s_cmp_lg_u64 s[0:1], 0
	s_addc_u32 s9, s9, s12
	s_mul_i32 s0, s2, s9
	s_mul_hi_u32 s1, s2, s34
	s_add_i32 s0, s1, s0
	s_mul_i32 s3, s3, s34
	s_add_i32 s0, s0, s3
	s_mul_i32 s2, s2, s34
	s_mul_hi_u32 s3, s9, s2
	s_mul_i32 s12, s9, s2
	s_mul_i32 s42, s34, s0
	s_mul_hi_u32 s2, s34, s2
	s_mul_hi_u32 s35, s34, s0
	s_add_u32 s2, s2, s42
	s_addc_u32 s35, 0, s35
	s_add_u32 s2, s2, s12
	s_mul_hi_u32 s1, s9, s0
	s_addc_u32 s2, s35, s3
	s_addc_u32 s1, s1, 0
	s_mul_i32 s0, s9, s0
	s_add_u32 s0, s2, s0
	s_addc_u32 s2, 0, s1
	s_add_u32 s3, s34, s0
	s_cselect_b64 s[0:1], -1, 0
	s_cmp_lg_u64 s[0:1], 0
	s_addc_u32 s0, s9, s2
	s_mul_i32 s2, s8, s0
	s_mul_hi_u32 s9, s8, s3
	s_mul_hi_u32 s1, s8, s0
	s_add_u32 s2, s9, s2
	s_addc_u32 s1, 0, s1
	s_mul_hi_u32 s12, s13, s3
	s_mul_i32 s3, s13, s3
	s_add_u32 s2, s2, s3
	s_mul_hi_u32 s9, s13, s0
	s_addc_u32 s1, s1, s12
	s_addc_u32 s2, s9, 0
	s_mul_i32 s0, s13, s0
	s_add_u32 s0, s1, s0
	s_addc_u32 s1, 0, s2
	s_mul_i32 s1, s33, s1
	s_mul_hi_u32 s2, s33, s0
	s_add_i32 s2, s2, s1
	s_mul_i32 s0, s33, s0
	s_sub_u32 s3, s8, s0
	s_cselect_b64 s[0:1], -1, 0
	s_cmp_lg_u64 s[0:1], 0
	s_subb_u32 s2, s13, s2
	s_sub_u32 s9, s3, s33
	s_cselect_b64 s[0:1], -1, 0
	s_cmp_lg_u64 s[0:1], 0
	s_subb_u32 s12, s2, 0
	;; [unrolled: 4-line block ×3, first 2 shown]
	s_cmp_ge_u32 s9, s33
	s_cselect_b32 s1, -1, 0
	s_cmp_eq_u32 s12, 0
	s_cselect_b32 s1, s1, -1
	s_cmp_lg_u32 s1, 0
	s_cselect_b32 s0, s0, s12
	s_cselect_b32 s9, s34, s9
	s_cmp_ge_u32 s3, s33
	s_cselect_b32 s1, -1, 0
	s_cmp_eq_u32 s2, 0
	s_cselect_b32 s1, s1, -1
	s_cmp_lg_u32 s1, 0
	s_cselect_b32 s1, s0, s2
	s_cselect_b32 s0, s9, s3
	s_cbranch_execnz .LBB135_168
.LBB135_167:                            ;   in Loop: Header=BB135_45 Depth=1
	v_cvt_f32_u32_e32 v4, s33
	s_sub_i32 s0, 0, s33
	v_rcp_iflag_f32_e32 v4, v4
	v_mul_f32_e32 v4, 0x4f7ffffe, v4
	v_cvt_u32_f32_e32 v4, v4
	v_readfirstlane_b32 s1, v4
	s_mul_i32 s0, s0, s1
	s_mul_hi_u32 s0, s1, s0
	s_add_i32 s1, s1, s0
	s_mul_hi_u32 s0, s8, s1
	s_mul_i32 s0, s0, s33
	s_sub_i32 s0, s8, s0
	s_sub_i32 s1, s0, s33
	s_cmp_ge_u32 s0, s33
	s_cselect_b32 s0, s1, s0
	s_sub_i32 s1, s0, s33
	s_cmp_ge_u32 s0, s33
	s_cselect_b32 s46, s1, s0
	s_mov_b64 s[0:1], s[46:47]
	v_readlane_b32 s46, v62, 35
.LBB135_168:                            ;   in Loop: Header=BB135_45 Depth=1
	s_sub_u32 s42, s8, s0
	s_subb_u32 s43, s13, s1
	v_cmp_gt_u64_e32 vcc, s[42:43], v[0:1]
	s_mov_b64 s[34:35], 0
	s_mov_b64 s[12:13], 0
                                        ; implicit-def: $vgpr57
	s_and_saveexec_b64 s[0:1], vcc
	s_cbranch_execz .LBB135_183
; %bb.169:                              ;   in Loop: Header=BB135_45 Depth=1
	v_mov_b32_e32 v5, v1
	v_mov_b32_e32 v10, v48
	;; [unrolled: 1-line block ×3, first 2 shown]
                                        ; implicit-def: $sgpr58_sgpr59
	s_branch .LBB135_173
.LBB135_170:                            ;   in Loop: Header=BB135_173 Depth=2
	s_or_b64 exec, exec, s[8:9]
	s_waitcnt lgkmcnt(0)
	s_barrier
	ds_read_b32 v11, v3 offset:3072
	s_waitcnt lgkmcnt(0)
	s_barrier
	v_cmp_neq_f16_e32 vcc, 0, v11
	s_cbranch_vccnz .LBB135_176
; %bb.171:                              ;   in Loop: Header=BB135_173 Depth=2
	v_add_co_u32_e32 v4, vcc, s33, v4
	v_addc_co_u32_e32 v5, vcc, 0, v5, vcc
	v_cmp_le_u64_e32 vcc, s[42:43], v[4:5]
	v_add_u32_e32 v10, s16, v10
	s_mov_b64 s[2:3], 0
	s_orn2_b64 s[8:9], vcc, exec
.LBB135_172:                            ;   in Loop: Header=BB135_173 Depth=2
	s_and_b64 s[8:9], exec, s[8:9]
	s_or_b64 s[12:13], s[8:9], s[12:13]
	s_andn2_b64 s[8:9], s[58:59], exec
	s_and_b64 s[2:3], s[2:3], exec
	s_or_b64 s[58:59], s[8:9], s[2:3]
	s_andn2_b64 exec, exec, s[12:13]
	s_cbranch_execz .LBB135_182
.LBB135_173:                            ;   Parent Loop BB135_45 Depth=1
                                        ; =>  This Inner Loop Header: Depth=2
	v_cmp_gt_u64_e32 vcc, s[10:11], v[4:5]
	s_and_saveexec_b64 s[8:9], vcc
	s_cbranch_execz .LBB135_170
; %bb.174:                              ;   in Loop: Header=BB135_173 Depth=2
	ds_read_u16 v11, v10
	s_waitcnt lgkmcnt(0)
	v_cmp_lt_i16_e32 vcc, -1, v11
	v_cndmask_b32_e32 v29, v51, v52, vcc
	v_xor_b32_sdwa v29, v29, v11 dst_sel:DWORD dst_unused:UNUSED_PAD src0_sel:DWORD src1_sel:WORD_0
	v_cmp_o_f16_e32 vcc, v11, v11
	v_cndmask_b32_e32 v29, v51, v29, vcc
	v_and_b32_e32 v29, v29, v56
	v_cmp_eq_u32_e32 vcc, v29, v47
	s_and_b64 exec, exec, vcc
	s_cbranch_execz .LBB135_170
; %bb.175:                              ;   in Loop: Header=BB135_173 Depth=2
	v_perm_b32 v11, v11, s67, v55
	ds_write_b32 v3, v11 offset:3072
	s_branch .LBB135_170
.LBB135_176:                            ;   in Loop: Header=BB135_173 Depth=2
	s_mov_b64 s[8:9], -1
                                        ; implicit-def: $vgpr4_vgpr5
                                        ; implicit-def: $vgpr10
	s_mov_b64 s[2:3], -1
	s_branch .LBB135_172
.LBB135_177:                            ;   in Loop: Header=BB135_45 Depth=1
                                        ; implicit-def: $sgpr0_sgpr1
	s_branch .LBB135_122
.LBB135_178:                            ;   in Loop: Header=BB135_45 Depth=1
	s_or_b64 exec, exec, s[12:13]
	s_waitcnt lgkmcnt(0)
	s_barrier
	s_mov_b64 s[0:1], exec
	v_readlane_b32 s2, v62, 10
	v_readlane_b32 s3, v62, 11
	s_and_b64 s[2:3], s[0:1], s[2:3]
	s_mov_b64 exec, s[2:3]
	s_cbranch_execz .LBB135_180
; %bb.179:                              ;   in Loop: Header=BB135_45 Depth=1
	ds_read_b32 v4, v3 offset:5144
	s_waitcnt lgkmcnt(0)
	v_ashrrev_i32_e32 v5, 31, v4
	ds_write_b64 v3, v[4:5] offset:5120
.LBB135_180:                            ;   in Loop: Header=BB135_45 Depth=1
	s_or_b64 exec, exec, s[0:1]
	s_waitcnt lgkmcnt(0)
	s_barrier
	s_mov_b64 s[0:1], -1
	s_and_b64 vcc, exec, s[10:11]
	s_cbranch_vccnz .LBB135_60
	s_branch .LBB135_75
.LBB135_181:                            ;   in Loop: Header=BB135_45 Depth=1
                                        ; implicit-def: $sgpr0_sgpr1
	s_branch .LBB135_137
.LBB135_182:                            ;   in Loop: Header=BB135_45 Depth=1
	s_or_b64 exec, exec, s[12:13]
	v_lshrrev_b32_e32 v57, 16, v11
	s_and_b64 s[12:13], s[58:59], exec
.LBB135_183:                            ;   in Loop: Header=BB135_45 Depth=1
	s_or_b64 exec, exec, s[0:1]
.LBB135_184:                            ;   in Loop: Header=BB135_45 Depth=1
	s_and_b64 vcc, exec, s[34:35]
	s_cbranch_vccz .LBB135_199
; %bb.185:                              ;   in Loop: Header=BB135_45 Depth=1
	s_mov_b32 s54, s47
	s_cmp_lg_u64 s[54:55], 0
	s_cbranch_scc0 .LBB135_229
; %bb.186:                              ;   in Loop: Header=BB135_45 Depth=1
	v_cvt_f32_u32_e32 v4, s33
	s_sub_u32 s2, 0, s33
	s_subb_u32 s3, 0, 0
	v_mac_f32_e32 v4, 0, v53
	v_rcp_f32_e32 v4, v4
	v_mul_f32_e32 v4, 0x5f7ffffc, v4
	v_mul_f32_e32 v5, 0x2f800000, v4
	v_trunc_f32_e32 v5, v5
	v_mac_f32_e32 v4, 0xcf800000, v5
	v_cvt_u32_f32_e32 v5, v5
	v_cvt_u32_f32_e32 v4, v4
	v_readfirstlane_b32 s6, v5
	v_readfirstlane_b32 s0, v4
	s_mul_i32 s1, s2, s6
	s_mul_hi_u32 s8, s2, s0
	s_mul_i32 s7, s3, s0
	s_add_i32 s1, s8, s1
	s_mul_i32 s9, s2, s0
	s_add_i32 s1, s1, s7
	s_mul_hi_u32 s8, s0, s9
	s_mul_i32 s10, s0, s1
	s_mul_hi_u32 s7, s0, s1
	s_add_u32 s8, s8, s10
	s_addc_u32 s7, 0, s7
	s_mul_hi_u32 s11, s6, s9
	s_mul_i32 s9, s6, s9
	s_add_u32 s8, s8, s9
	s_mul_hi_u32 s10, s6, s1
	s_addc_u32 s7, s7, s11
	s_addc_u32 s8, s10, 0
	s_mul_i32 s1, s6, s1
	s_add_u32 s1, s7, s1
	s_addc_u32 s7, 0, s8
	s_add_u32 s8, s0, s1
	s_cselect_b64 s[0:1], -1, 0
	s_cmp_lg_u64 s[0:1], 0
	s_addc_u32 s6, s6, s7
	s_mul_i32 s0, s2, s6
	s_mul_hi_u32 s1, s2, s8
	s_add_i32 s0, s1, s0
	s_mul_i32 s3, s3, s8
	s_add_i32 s0, s0, s3
	s_mul_i32 s2, s2, s8
	s_mul_hi_u32 s3, s6, s2
	s_mul_i32 s7, s6, s2
	s_mul_i32 s10, s8, s0
	s_mul_hi_u32 s2, s8, s2
	s_mul_hi_u32 s9, s8, s0
	s_add_u32 s2, s2, s10
	s_addc_u32 s9, 0, s9
	s_add_u32 s2, s2, s7
	s_mul_hi_u32 s1, s6, s0
	s_addc_u32 s2, s9, s3
	s_addc_u32 s1, s1, 0
	s_mul_i32 s0, s6, s0
	s_add_u32 s0, s2, s0
	s_addc_u32 s2, 0, s1
	s_add_u32 s3, s8, s0
	s_cselect_b64 s[0:1], -1, 0
	s_cmp_lg_u64 s[0:1], 0
	s_addc_u32 s0, s6, s2
	s_mul_i32 s2, s64, s0
	s_mul_hi_u32 s6, s64, s3
	s_mul_hi_u32 s1, s64, s0
	s_add_u32 s2, s6, s2
	s_addc_u32 s1, 0, s1
	s_mul_hi_u32 s7, s55, s3
	s_mul_i32 s3, s55, s3
	s_add_u32 s2, s2, s3
	s_mul_hi_u32 s6, s55, s0
	s_addc_u32 s1, s1, s7
	s_addc_u32 s2, s6, 0
	s_mul_i32 s0, s55, s0
	s_add_u32 s0, s1, s0
	s_addc_u32 s1, 0, s2
	s_mul_i32 s1, s33, s1
	s_mul_hi_u32 s2, s33, s0
	s_add_i32 s2, s2, s1
	s_mul_i32 s0, s33, s0
	s_sub_u32 s3, s64, s0
	s_cselect_b64 s[0:1], -1, 0
	s_cmp_lg_u64 s[0:1], 0
	s_subb_u32 s2, s55, s2
	s_sub_u32 s6, s3, s33
	s_cselect_b64 s[0:1], -1, 0
	s_cmp_lg_u64 s[0:1], 0
	s_subb_u32 s7, s2, 0
	;; [unrolled: 4-line block ×3, first 2 shown]
	s_cmp_ge_u32 s6, s33
	s_cselect_b32 s1, -1, 0
	s_cmp_eq_u32 s7, 0
	s_cselect_b32 s1, s1, -1
	s_cmp_lg_u32 s1, 0
	s_cselect_b32 s0, s0, s7
	s_cselect_b32 s6, s8, s6
	s_cmp_ge_u32 s3, s33
	s_cselect_b32 s1, -1, 0
	s_cmp_eq_u32 s2, 0
	s_cselect_b32 s1, s1, -1
	s_cmp_lg_u32 s1, 0
	s_cselect_b32 s1, s0, s2
	s_cselect_b32 s0, s6, s3
	s_cbranch_execnz .LBB135_188
.LBB135_187:                            ;   in Loop: Header=BB135_45 Depth=1
	v_cvt_f32_u32_e32 v4, s33
	s_sub_i32 s0, 0, s33
	v_rcp_iflag_f32_e32 v4, v4
	v_mul_f32_e32 v4, 0x4f7ffffe, v4
	v_cvt_u32_f32_e32 v4, v4
	v_readfirstlane_b32 s1, v4
	s_mul_i32 s0, s0, s1
	s_mul_hi_u32 s0, s1, s0
	s_add_i32 s1, s1, s0
	s_mul_hi_u32 s0, s64, s1
	s_mul_i32 s0, s0, s33
	s_sub_i32 s0, s64, s0
	s_sub_i32 s1, s0, s33
	s_cmp_ge_u32 s0, s33
	s_cselect_b32 s0, s1, s0
	s_sub_i32 s1, s0, s33
	s_cmp_ge_u32 s0, s33
	s_cselect_b32 s46, s1, s0
	s_mov_b64 s[0:1], s[46:47]
	v_readlane_b32 s46, v62, 35
.LBB135_188:                            ;   in Loop: Header=BB135_45 Depth=1
	s_sub_u32 s6, s64, s0
	s_subb_u32 s7, s55, s1
	v_cmp_gt_u64_e32 vcc, s[6:7], v[0:1]
                                        ; implicit-def: $vgpr57
	s_and_saveexec_b64 s[0:1], vcc
	s_cbranch_execz .LBB135_198
; %bb.189:                              ;   in Loop: Header=BB135_45 Depth=1
	v_mov_b32_e32 v4, v12
	v_mov_b32_e32 v11, v1
	s_mov_b64 s[10:11], 0
	v_mov_b32_e32 v5, v13
	v_mov_b32_e32 v10, v0
                                        ; implicit-def: $sgpr34_sgpr35
	s_branch .LBB135_193
.LBB135_190:                            ;   in Loop: Header=BB135_193 Depth=2
	s_or_b64 exec, exec, s[8:9]
	s_waitcnt lgkmcnt(0)
	s_barrier
	ds_read_b32 v29, v3 offset:3072
	s_waitcnt lgkmcnt(0)
	s_barrier
	v_cmp_eq_f16_e32 vcc, 0, v29
	s_cbranch_vccz .LBB135_196
; %bb.191:                              ;   in Loop: Header=BB135_193 Depth=2
	v_add_co_u32_e32 v10, vcc, s33, v10
	v_addc_co_u32_e32 v11, vcc, 0, v11, vcc
	v_mov_b32_e32 v30, s51
	v_add_co_u32_e32 v4, vcc, s50, v4
	v_addc_co_u32_e32 v5, vcc, v5, v30, vcc
	v_cmp_le_u64_e32 vcc, s[6:7], v[10:11]
	s_mov_b64 s[2:3], 0
	s_orn2_b64 s[8:9], vcc, exec
.LBB135_192:                            ;   in Loop: Header=BB135_193 Depth=2
	s_and_b64 s[8:9], exec, s[8:9]
	s_or_b64 s[10:11], s[8:9], s[10:11]
	s_andn2_b64 s[8:9], s[34:35], exec
	s_and_b64 s[2:3], s[2:3], exec
	s_or_b64 s[34:35], s[8:9], s[2:3]
	s_andn2_b64 exec, exec, s[10:11]
	s_cbranch_execz .LBB135_197
.LBB135_193:                            ;   Parent Loop BB135_45 Depth=1
                                        ; =>  This Inner Loop Header: Depth=2
	v_cmp_gt_u64_e32 vcc, s[24:25], v[10:11]
	s_and_saveexec_b64 s[8:9], vcc
	s_cbranch_execz .LBB135_190
; %bb.194:                              ;   in Loop: Header=BB135_193 Depth=2
	global_load_ushort v29, v[4:5], off
	s_waitcnt vmcnt(0)
	v_cmp_lt_i16_e32 vcc, -1, v29
	v_cndmask_b32_e32 v30, v51, v52, vcc
	v_xor_b32_sdwa v30, v30, v29 dst_sel:DWORD dst_unused:UNUSED_PAD src0_sel:DWORD src1_sel:WORD_0
	v_cmp_o_f16_e32 vcc, v29, v29
	v_cndmask_b32_e32 v30, v51, v30, vcc
	v_and_b32_e32 v30, v30, v56
	v_cmp_eq_u32_e32 vcc, v30, v47
	s_and_b64 exec, exec, vcc
	s_cbranch_execz .LBB135_190
; %bb.195:                              ;   in Loop: Header=BB135_193 Depth=2
	v_perm_b32 v29, v29, s67, v55
	ds_write_b32 v3, v29 offset:3072
	s_branch .LBB135_190
.LBB135_196:                            ;   in Loop: Header=BB135_193 Depth=2
	s_mov_b64 s[8:9], -1
                                        ; implicit-def: $vgpr10_vgpr11
                                        ; implicit-def: $vgpr4_vgpr5
	s_mov_b64 s[2:3], -1
	s_branch .LBB135_192
.LBB135_197:                            ;   in Loop: Header=BB135_45 Depth=1
	s_or_b64 exec, exec, s[10:11]
	s_andn2_b64 s[2:3], s[12:13], exec
	s_and_b64 s[6:7], s[34:35], exec
	v_lshrrev_b32_e32 v57, 16, v29
	s_or_b64 s[12:13], s[2:3], s[6:7]
.LBB135_198:                            ;   in Loop: Header=BB135_45 Depth=1
	s_or_b64 exec, exec, s[0:1]
	s_mov_b64 s[6:7], 0
	s_mov_b64 s[86:87], -1
.LBB135_199:                            ;   in Loop: Header=BB135_45 Depth=1
	s_orn2_b64 s[0:1], s[12:13], exec
.LBB135_200:                            ;   in Loop: Header=BB135_45 Depth=1
	s_or_b64 exec, exec, s[40:41]
	s_mov_b64 s[8:9], 0
	s_and_saveexec_b64 s[88:89], s[0:1]
	s_cbranch_execz .LBB135_314
; %bb.201:                              ;   in Loop: Header=BB135_45 Depth=1
	v_mov_b32_e32 v4, 1
	s_xor_b64 s[0:1], s[38:39], -1
	v_mov_b32_e32 v2, 1
	v_mov_b32_e32 v5, 0
	s_and_saveexec_b64 s[10:11], s[0:1]
	s_cbranch_execz .LBB135_211
; %bb.202:                              ;   in Loop: Header=BB135_45 Depth=1
	v_cmp_le_u64_e32 vcc, v[8:9], v[6:7]
	s_and_saveexec_b64 s[0:1], vcc
	s_xor_b64 s[0:1], exec, s[0:1]
	s_cbranch_execz .LBB135_208
; %bb.203:                              ;   in Loop: Header=BB135_45 Depth=1
	ds_read_b64 v[4:5], v3 offset:5120
	v_and_b32_e32 v2, s60, v47
	v_lshl_or_b32 v47, 1, s66, v2
	v_or_b32_e32 v56, s49, v56
	s_waitcnt lgkmcnt(0)
	v_cmp_ne_u64_e32 vcc, 0, v[4:5]
	s_cbranch_vccnz .LBB135_207
; %bb.204:                              ;   in Loop: Header=BB135_45 Depth=1
	s_mov_b64 s[2:3], exec
	v_readlane_b32 s8, v62, 10
	v_readlane_b32 s9, v62, 11
	s_and_b64 s[8:9], s[2:3], s[8:9]
	s_mov_b64 exec, s[8:9]
; %bb.205:                              ;   in Loop: Header=BB135_45 Depth=1
	ds_write_b64 v3, v[6:7] offset:5128
; %bb.206:                              ;   in Loop: Header=BB135_45 Depth=1
	s_or_b64 exec, exec, s[2:3]
	s_waitcnt lgkmcnt(0)
	s_barrier
.LBB135_207:                            ;   in Loop: Header=BB135_45 Depth=1
                                        ; implicit-def: $vgpr4_vgpr5_vgpr6_vgpr7
.LBB135_208:                            ;   in Loop: Header=BB135_45 Depth=1
	s_or_saveexec_b64 s[0:1], s[0:1]
	s_mov_b64 s[8:9], 0
	v_mov_b32_e32 v2, 8
	s_xor_b64 exec, exec, s[0:1]
; %bb.209:                              ;   in Loop: Header=BB135_45 Depth=1
	v_sub_co_u32_e32 v8, vcc, v8, v6
	v_subb_co_u32_e32 v9, vcc, v9, v7, vcc
	v_mov_b32_e32 v2, 0
	s_mov_b64 s[8:9], exec
; %bb.210:                              ;   in Loop: Header=BB135_45 Depth=1
	s_or_b64 exec, exec, s[0:1]
	v_mov_b32_e32 v4, v8
	s_and_b64 s[8:9], s[8:9], exec
	v_mov_b32_e32 v5, v9
.LBB135_211:                            ;   in Loop: Header=BB135_45 Depth=1
	s_or_b64 exec, exec, s[10:11]
	s_mov_b64 s[0:1], -1
                                        ; implicit-def: $sgpr40_sgpr41
                                        ; implicit-def: $sgpr92_sgpr93
	s_and_saveexec_b64 s[90:91], s[8:9]
	s_cbranch_execz .LBB135_313
; %bb.212:                              ;   in Loop: Header=BB135_45 Depth=1
	s_cmp_eq_u64 s[84:85], 1
	v_cmp_eq_u64_e32 vcc, 1, v[4:5]
	s_cselect_b64 s[0:1], -1, 0
	s_and_b64 s[94:95], s[0:1], vcc
	s_mov_b64 s[0:1], -1
                                        ; implicit-def: $sgpr92_sgpr93
                                        ; implicit-def: $sgpr40_sgpr41
	s_and_saveexec_b64 s[38:39], s[94:95]
	s_cbranch_execz .LBB135_248
; %bb.213:                              ;   in Loop: Header=BB135_45 Depth=1
	ds_read_b64 v[6:7], v3 offset:5120
	s_waitcnt lgkmcnt(0)
	s_barrier
	v_readfirstlane_b32 s10, v6
	v_readfirstlane_b32 s11, v7
	s_mov_b64 s[0:1], exec
	v_readlane_b32 s2, v62, 14
	v_readlane_b32 s3, v62, 15
	s_and_b64 s[2:3], s[0:1], s[2:3]
	s_mov_b64 exec, s[2:3]
; %bb.214:                              ;   in Loop: Header=BB135_45 Depth=1
	ds_write_b16 v49, v3
; %bb.215:                              ;   in Loop: Header=BB135_45 Depth=1
	s_or_b64 exec, exec, s[0:1]
	v_and_b32_e32 v6, s60, v47
	v_lshl_or_b32 v47, 2, s66, v6
	v_or_b32_e32 v56, s49, v56
	s_mov_b64 s[40:41], -1
	s_mov_b64 s[92:93], 0
	s_cmp_eq_u64 s[10:11], 0
	s_mov_b64 s[12:13], 0
	s_mov_b64 s[34:35], -1
	s_waitcnt lgkmcnt(0)
	s_barrier
                                        ; implicit-def: $vgpr57
	s_cbranch_scc1 .LBB135_232
; %bb.216:                              ;   in Loop: Header=BB135_45 Depth=1
	s_add_u32 s8, s10, s61
	s_addc_u32 s13, s11, s62
	s_mov_b32 s12, s47
	s_cmp_lg_u64 s[12:13], 0
	s_cbranch_scc0 .LBB135_275
; %bb.217:                              ;   in Loop: Header=BB135_45 Depth=1
	v_cvt_f32_u32_e32 v6, s33
	s_sub_u32 s2, 0, s33
	s_subb_u32 s3, 0, 0
	v_mac_f32_e32 v6, 0, v53
	v_rcp_f32_e32 v6, v6
	v_mul_f32_e32 v6, 0x5f7ffffc, v6
	v_mul_f32_e32 v7, 0x2f800000, v6
	v_trunc_f32_e32 v7, v7
	v_mac_f32_e32 v6, 0xcf800000, v7
	v_cvt_u32_f32_e32 v7, v7
	v_cvt_u32_f32_e32 v6, v6
	v_readfirstlane_b32 s9, v7
	v_readfirstlane_b32 s0, v6
	s_mul_i32 s1, s2, s9
	s_mul_hi_u32 s34, s2, s0
	s_mul_i32 s12, s3, s0
	s_add_i32 s1, s34, s1
	s_mul_i32 s35, s2, s0
	s_add_i32 s1, s1, s12
	s_mul_hi_u32 s34, s0, s35
	s_mul_i32 s42, s0, s1
	s_mul_hi_u32 s12, s0, s1
	s_add_u32 s34, s34, s42
	s_addc_u32 s12, 0, s12
	s_mul_hi_u32 s43, s9, s35
	s_mul_i32 s35, s9, s35
	s_add_u32 s34, s34, s35
	s_mul_hi_u32 s42, s9, s1
	s_addc_u32 s12, s12, s43
	s_addc_u32 s34, s42, 0
	s_mul_i32 s1, s9, s1
	s_add_u32 s1, s12, s1
	s_addc_u32 s12, 0, s34
	s_add_u32 s34, s0, s1
	s_cselect_b64 s[0:1], -1, 0
	s_cmp_lg_u64 s[0:1], 0
	s_addc_u32 s9, s9, s12
	s_mul_i32 s0, s2, s9
	s_mul_hi_u32 s1, s2, s34
	s_add_i32 s0, s1, s0
	s_mul_i32 s3, s3, s34
	s_add_i32 s0, s0, s3
	s_mul_i32 s2, s2, s34
	s_mul_hi_u32 s3, s9, s2
	s_mul_i32 s12, s9, s2
	s_mul_i32 s42, s34, s0
	s_mul_hi_u32 s2, s34, s2
	s_mul_hi_u32 s35, s34, s0
	s_add_u32 s2, s2, s42
	s_addc_u32 s35, 0, s35
	s_add_u32 s2, s2, s12
	s_mul_hi_u32 s1, s9, s0
	s_addc_u32 s2, s35, s3
	s_addc_u32 s1, s1, 0
	s_mul_i32 s0, s9, s0
	s_add_u32 s0, s2, s0
	s_addc_u32 s2, 0, s1
	s_add_u32 s3, s34, s0
	s_cselect_b64 s[0:1], -1, 0
	s_cmp_lg_u64 s[0:1], 0
	s_addc_u32 s0, s9, s2
	s_mul_i32 s2, s8, s0
	s_mul_hi_u32 s9, s8, s3
	s_mul_hi_u32 s1, s8, s0
	s_add_u32 s2, s9, s2
	s_addc_u32 s1, 0, s1
	s_mul_hi_u32 s12, s13, s3
	s_mul_i32 s3, s13, s3
	s_add_u32 s2, s2, s3
	s_mul_hi_u32 s9, s13, s0
	s_addc_u32 s1, s1, s12
	s_addc_u32 s2, s9, 0
	s_mul_i32 s0, s13, s0
	s_add_u32 s0, s1, s0
	s_addc_u32 s1, 0, s2
	s_mul_i32 s1, s33, s1
	s_mul_hi_u32 s2, s33, s0
	s_add_i32 s2, s2, s1
	s_mul_i32 s0, s33, s0
	s_sub_u32 s3, s8, s0
	s_cselect_b64 s[0:1], -1, 0
	s_cmp_lg_u64 s[0:1], 0
	s_subb_u32 s2, s13, s2
	s_sub_u32 s9, s3, s33
	s_cselect_b64 s[0:1], -1, 0
	s_cmp_lg_u64 s[0:1], 0
	s_subb_u32 s12, s2, 0
	;; [unrolled: 4-line block ×3, first 2 shown]
	s_cmp_ge_u32 s9, s33
	s_cselect_b32 s1, -1, 0
	s_cmp_eq_u32 s12, 0
	s_cselect_b32 s1, s1, -1
	s_cmp_lg_u32 s1, 0
	s_cselect_b32 s0, s0, s12
	s_cselect_b32 s9, s34, s9
	s_cmp_ge_u32 s3, s33
	s_cselect_b32 s1, -1, 0
	s_cmp_eq_u32 s2, 0
	s_cselect_b32 s1, s1, -1
	s_cmp_lg_u32 s1, 0
	s_cselect_b32 s1, s0, s2
	s_cselect_b32 s0, s9, s3
	s_cbranch_execnz .LBB135_219
.LBB135_218:                            ;   in Loop: Header=BB135_45 Depth=1
	v_cvt_f32_u32_e32 v6, s33
	s_sub_i32 s0, 0, s33
	v_rcp_iflag_f32_e32 v6, v6
	v_mul_f32_e32 v6, 0x4f7ffffe, v6
	v_cvt_u32_f32_e32 v6, v6
	v_readfirstlane_b32 s1, v6
	s_mul_i32 s0, s0, s1
	s_mul_hi_u32 s0, s1, s0
	s_add_i32 s1, s1, s0
	s_mul_hi_u32 s0, s8, s1
	s_mul_i32 s0, s0, s33
	s_sub_i32 s0, s8, s0
	s_sub_i32 s1, s0, s33
	s_cmp_ge_u32 s0, s33
	s_cselect_b32 s0, s1, s0
	s_sub_i32 s1, s0, s33
	s_cmp_ge_u32 s0, s33
	s_cselect_b32 s46, s1, s0
	s_mov_b64 s[0:1], s[46:47]
	v_readlane_b32 s46, v62, 35
.LBB135_219:                            ;   in Loop: Header=BB135_45 Depth=1
	s_sub_u32 s42, s8, s0
	s_subb_u32 s43, s13, s1
	v_cmp_gt_u64_e32 vcc, s[42:43], v[0:1]
	s_mov_b64 s[34:35], 0
	s_mov_b64 s[12:13], 0
                                        ; implicit-def: $vgpr57
	s_and_saveexec_b64 s[0:1], vcc
	s_cbranch_execz .LBB135_231
; %bb.220:                              ;   in Loop: Header=BB135_45 Depth=1
	v_mov_b32_e32 v7, v1
	v_mov_b32_e32 v8, v48
	;; [unrolled: 1-line block ×3, first 2 shown]
                                        ; implicit-def: $sgpr58_sgpr59
	s_branch .LBB135_224
.LBB135_221:                            ;   in Loop: Header=BB135_224 Depth=2
	s_or_b64 exec, exec, s[8:9]
	s_waitcnt lgkmcnt(0)
	s_barrier
	ds_read_b32 v9, v3 offset:3072
	s_waitcnt lgkmcnt(0)
	s_barrier
	v_cmp_neq_f16_e32 vcc, 0, v9
	s_cbranch_vccnz .LBB135_227
; %bb.222:                              ;   in Loop: Header=BB135_224 Depth=2
	v_add_co_u32_e32 v6, vcc, s33, v6
	v_addc_co_u32_e32 v7, vcc, 0, v7, vcc
	v_cmp_le_u64_e32 vcc, s[42:43], v[6:7]
	v_add_u32_e32 v8, s16, v8
	s_mov_b64 s[2:3], 0
	s_orn2_b64 s[8:9], vcc, exec
.LBB135_223:                            ;   in Loop: Header=BB135_224 Depth=2
	s_and_b64 s[8:9], exec, s[8:9]
	s_or_b64 s[12:13], s[8:9], s[12:13]
	s_andn2_b64 s[8:9], s[58:59], exec
	s_and_b64 s[2:3], s[2:3], exec
	s_or_b64 s[58:59], s[8:9], s[2:3]
	s_andn2_b64 exec, exec, s[12:13]
	s_cbranch_execz .LBB135_230
.LBB135_224:                            ;   Parent Loop BB135_45 Depth=1
                                        ; =>  This Inner Loop Header: Depth=2
	v_cmp_gt_u64_e32 vcc, s[10:11], v[6:7]
	s_and_saveexec_b64 s[8:9], vcc
	s_cbranch_execz .LBB135_221
; %bb.225:                              ;   in Loop: Header=BB135_224 Depth=2
	ds_read_u16 v9, v8
	s_waitcnt lgkmcnt(0)
	v_cmp_lt_i16_e32 vcc, -1, v9
	v_cndmask_b32_e32 v10, v51, v52, vcc
	v_xor_b32_sdwa v10, v10, v9 dst_sel:DWORD dst_unused:UNUSED_PAD src0_sel:DWORD src1_sel:WORD_0
	v_cmp_o_f16_e32 vcc, v9, v9
	v_cndmask_b32_e32 v10, v51, v10, vcc
	v_and_b32_e32 v10, v10, v56
	v_cmp_eq_u32_e32 vcc, v10, v47
	s_and_b64 exec, exec, vcc
	s_cbranch_execz .LBB135_221
; %bb.226:                              ;   in Loop: Header=BB135_224 Depth=2
	v_perm_b32 v9, v9, s67, v55
	ds_write_b32 v3, v9 offset:3072
	s_branch .LBB135_221
.LBB135_227:                            ;   in Loop: Header=BB135_224 Depth=2
	s_mov_b64 s[8:9], -1
                                        ; implicit-def: $vgpr6_vgpr7
                                        ; implicit-def: $vgpr8
	s_mov_b64 s[2:3], -1
	s_branch .LBB135_223
.LBB135_228:                            ;   in Loop: Header=BB135_45 Depth=1
                                        ; implicit-def: $sgpr0_sgpr1
	s_branch .LBB135_167
.LBB135_229:                            ;   in Loop: Header=BB135_45 Depth=1
                                        ; implicit-def: $sgpr0_sgpr1
	s_branch .LBB135_187
.LBB135_230:                            ;   in Loop: Header=BB135_45 Depth=1
	s_or_b64 exec, exec, s[12:13]
	v_lshrrev_b32_e32 v57, 16, v9
	s_and_b64 s[12:13], s[58:59], exec
.LBB135_231:                            ;   in Loop: Header=BB135_45 Depth=1
	s_or_b64 exec, exec, s[0:1]
.LBB135_232:                            ;   in Loop: Header=BB135_45 Depth=1
	s_and_b64 vcc, exec, s[34:35]
	s_cbranch_vccz .LBB135_247
; %bb.233:                              ;   in Loop: Header=BB135_45 Depth=1
	s_mov_b32 s54, s47
	s_cmp_lg_u64 s[54:55], 0
	s_cbranch_scc0 .LBB135_276
; %bb.234:                              ;   in Loop: Header=BB135_45 Depth=1
	v_cvt_f32_u32_e32 v6, s33
	s_sub_u32 s2, 0, s33
	s_subb_u32 s3, 0, 0
	v_mac_f32_e32 v6, 0, v53
	v_rcp_f32_e32 v6, v6
	v_mul_f32_e32 v6, 0x5f7ffffc, v6
	v_mul_f32_e32 v7, 0x2f800000, v6
	v_trunc_f32_e32 v7, v7
	v_mac_f32_e32 v6, 0xcf800000, v7
	v_cvt_u32_f32_e32 v7, v7
	v_cvt_u32_f32_e32 v6, v6
	v_readfirstlane_b32 s8, v7
	v_readfirstlane_b32 s0, v6
	s_mul_i32 s1, s2, s8
	s_mul_hi_u32 s10, s2, s0
	s_mul_i32 s9, s3, s0
	s_add_i32 s1, s10, s1
	s_mul_i32 s11, s2, s0
	s_add_i32 s1, s1, s9
	s_mul_hi_u32 s10, s0, s11
	s_mul_i32 s34, s0, s1
	s_mul_hi_u32 s9, s0, s1
	s_add_u32 s10, s10, s34
	s_addc_u32 s9, 0, s9
	s_mul_hi_u32 s35, s8, s11
	s_mul_i32 s11, s8, s11
	s_add_u32 s10, s10, s11
	s_mul_hi_u32 s34, s8, s1
	s_addc_u32 s9, s9, s35
	s_addc_u32 s10, s34, 0
	s_mul_i32 s1, s8, s1
	s_add_u32 s1, s9, s1
	s_addc_u32 s9, 0, s10
	s_add_u32 s10, s0, s1
	s_cselect_b64 s[0:1], -1, 0
	s_cmp_lg_u64 s[0:1], 0
	s_addc_u32 s8, s8, s9
	s_mul_i32 s0, s2, s8
	s_mul_hi_u32 s1, s2, s10
	s_add_i32 s0, s1, s0
	s_mul_i32 s3, s3, s10
	s_add_i32 s0, s0, s3
	s_mul_i32 s2, s2, s10
	s_mul_hi_u32 s3, s8, s2
	s_mul_i32 s9, s8, s2
	s_mul_i32 s34, s10, s0
	s_mul_hi_u32 s2, s10, s2
	s_mul_hi_u32 s11, s10, s0
	s_add_u32 s2, s2, s34
	s_addc_u32 s11, 0, s11
	s_add_u32 s2, s2, s9
	s_mul_hi_u32 s1, s8, s0
	s_addc_u32 s2, s11, s3
	s_addc_u32 s1, s1, 0
	s_mul_i32 s0, s8, s0
	s_add_u32 s0, s2, s0
	s_addc_u32 s2, 0, s1
	s_add_u32 s3, s10, s0
	s_cselect_b64 s[0:1], -1, 0
	s_cmp_lg_u64 s[0:1], 0
	s_addc_u32 s0, s8, s2
	s_mul_i32 s2, s64, s0
	s_mul_hi_u32 s8, s64, s3
	s_mul_hi_u32 s1, s64, s0
	s_add_u32 s2, s8, s2
	s_addc_u32 s1, 0, s1
	s_mul_hi_u32 s9, s55, s3
	s_mul_i32 s3, s55, s3
	s_add_u32 s2, s2, s3
	s_mul_hi_u32 s8, s55, s0
	s_addc_u32 s1, s1, s9
	s_addc_u32 s2, s8, 0
	s_mul_i32 s0, s55, s0
	s_add_u32 s0, s1, s0
	s_addc_u32 s1, 0, s2
	s_mul_i32 s1, s33, s1
	s_mul_hi_u32 s2, s33, s0
	s_add_i32 s2, s2, s1
	s_mul_i32 s0, s33, s0
	s_sub_u32 s3, s64, s0
	s_cselect_b64 s[0:1], -1, 0
	s_cmp_lg_u64 s[0:1], 0
	s_subb_u32 s2, s55, s2
	s_sub_u32 s8, s3, s33
	s_cselect_b64 s[0:1], -1, 0
	s_cmp_lg_u64 s[0:1], 0
	s_subb_u32 s9, s2, 0
	;; [unrolled: 4-line block ×3, first 2 shown]
	s_cmp_ge_u32 s8, s33
	s_cselect_b32 s1, -1, 0
	s_cmp_eq_u32 s9, 0
	s_cselect_b32 s1, s1, -1
	s_cmp_lg_u32 s1, 0
	s_cselect_b32 s0, s0, s9
	s_cselect_b32 s8, s10, s8
	s_cmp_ge_u32 s3, s33
	s_cselect_b32 s1, -1, 0
	s_cmp_eq_u32 s2, 0
	s_cselect_b32 s1, s1, -1
	s_cmp_lg_u32 s1, 0
	s_cselect_b32 s1, s0, s2
	s_cselect_b32 s0, s8, s3
	s_cbranch_execnz .LBB135_236
.LBB135_235:                            ;   in Loop: Header=BB135_45 Depth=1
	v_cvt_f32_u32_e32 v6, s33
	s_sub_i32 s0, 0, s33
	v_rcp_iflag_f32_e32 v6, v6
	v_mul_f32_e32 v6, 0x4f7ffffe, v6
	v_cvt_u32_f32_e32 v6, v6
	v_readfirstlane_b32 s1, v6
	s_mul_i32 s0, s0, s1
	s_mul_hi_u32 s0, s1, s0
	s_add_i32 s1, s1, s0
	s_mul_hi_u32 s0, s64, s1
	s_mul_i32 s0, s0, s33
	s_sub_i32 s0, s64, s0
	s_sub_i32 s1, s0, s33
	s_cmp_ge_u32 s0, s33
	s_cselect_b32 s0, s1, s0
	s_sub_i32 s1, s0, s33
	s_cmp_ge_u32 s0, s33
	s_cselect_b32 s46, s1, s0
	s_mov_b64 s[0:1], s[46:47]
	v_readlane_b32 s46, v62, 35
.LBB135_236:                            ;   in Loop: Header=BB135_45 Depth=1
	s_sub_u32 s10, s64, s0
	s_subb_u32 s11, s55, s1
	v_cmp_gt_u64_e32 vcc, s[10:11], v[0:1]
                                        ; implicit-def: $vgpr57
	s_and_saveexec_b64 s[0:1], vcc
	s_cbranch_execz .LBB135_246
; %bb.237:                              ;   in Loop: Header=BB135_45 Depth=1
	v_mov_b32_e32 v6, v12
	v_mov_b32_e32 v9, v1
	s_mov_b64 s[34:35], 0
	v_mov_b32_e32 v7, v13
	v_mov_b32_e32 v8, v0
                                        ; implicit-def: $sgpr40_sgpr41
	s_branch .LBB135_241
.LBB135_238:                            ;   in Loop: Header=BB135_241 Depth=2
	s_or_b64 exec, exec, s[8:9]
	s_waitcnt lgkmcnt(0)
	s_barrier
	ds_read_b32 v10, v3 offset:3072
	s_waitcnt lgkmcnt(0)
	s_barrier
	v_cmp_eq_f16_e32 vcc, 0, v10
	s_cbranch_vccz .LBB135_244
; %bb.239:                              ;   in Loop: Header=BB135_241 Depth=2
	v_add_co_u32_e32 v8, vcc, s33, v8
	v_addc_co_u32_e32 v9, vcc, 0, v9, vcc
	v_mov_b32_e32 v11, s51
	v_add_co_u32_e32 v6, vcc, s50, v6
	v_addc_co_u32_e32 v7, vcc, v7, v11, vcc
	v_cmp_le_u64_e32 vcc, s[10:11], v[8:9]
	s_mov_b64 s[2:3], 0
	s_orn2_b64 s[8:9], vcc, exec
.LBB135_240:                            ;   in Loop: Header=BB135_241 Depth=2
	s_and_b64 s[8:9], exec, s[8:9]
	s_or_b64 s[34:35], s[8:9], s[34:35]
	s_andn2_b64 s[8:9], s[40:41], exec
	s_and_b64 s[2:3], s[2:3], exec
	s_or_b64 s[40:41], s[8:9], s[2:3]
	s_andn2_b64 exec, exec, s[34:35]
	s_cbranch_execz .LBB135_245
.LBB135_241:                            ;   Parent Loop BB135_45 Depth=1
                                        ; =>  This Inner Loop Header: Depth=2
	v_cmp_gt_u64_e32 vcc, s[24:25], v[8:9]
	s_and_saveexec_b64 s[8:9], vcc
	s_cbranch_execz .LBB135_238
; %bb.242:                              ;   in Loop: Header=BB135_241 Depth=2
	global_load_ushort v10, v[6:7], off
	s_waitcnt vmcnt(0)
	v_cmp_lt_i16_e32 vcc, -1, v10
	v_cndmask_b32_e32 v11, v51, v52, vcc
	v_xor_b32_sdwa v11, v11, v10 dst_sel:DWORD dst_unused:UNUSED_PAD src0_sel:DWORD src1_sel:WORD_0
	v_cmp_o_f16_e32 vcc, v10, v10
	v_cndmask_b32_e32 v11, v51, v11, vcc
	v_and_b32_e32 v11, v11, v56
	v_cmp_eq_u32_e32 vcc, v11, v47
	s_and_b64 exec, exec, vcc
	s_cbranch_execz .LBB135_238
; %bb.243:                              ;   in Loop: Header=BB135_241 Depth=2
	v_perm_b32 v10, v10, s67, v55
	ds_write_b32 v3, v10 offset:3072
	s_branch .LBB135_238
.LBB135_244:                            ;   in Loop: Header=BB135_241 Depth=2
	s_mov_b64 s[8:9], -1
                                        ; implicit-def: $vgpr8_vgpr9
                                        ; implicit-def: $vgpr6_vgpr7
	s_mov_b64 s[2:3], -1
	s_branch .LBB135_240
.LBB135_245:                            ;   in Loop: Header=BB135_45 Depth=1
	s_or_b64 exec, exec, s[34:35]
	s_andn2_b64 s[2:3], s[12:13], exec
	s_and_b64 s[8:9], s[40:41], exec
	v_lshrrev_b32_e32 v57, 16, v10
	s_or_b64 s[12:13], s[2:3], s[8:9]
.LBB135_246:                            ;   in Loop: Header=BB135_45 Depth=1
	s_or_b64 exec, exec, s[0:1]
	s_mov_b64 s[40:41], 0
	s_mov_b64 s[92:93], -1
.LBB135_247:                            ;   in Loop: Header=BB135_45 Depth=1
	s_orn2_b64 s[0:1], s[12:13], exec
.LBB135_248:                            ;   in Loop: Header=BB135_45 Depth=1
	s_or_b64 exec, exec, s[38:39]
	s_mov_b64 s[8:9], 0
	s_and_saveexec_b64 s[38:39], s[0:1]
	s_cbranch_execz .LBB135_312
; %bb.249:                              ;   in Loop: Header=BB135_45 Depth=1
	v_mov_b32_e32 v6, 1
	s_xor_b64 s[0:1], s[94:95], -1
	v_mov_b32_e32 v2, 1
	v_mov_b32_e32 v7, 0
	s_and_saveexec_b64 s[10:11], s[0:1]
	s_cbranch_execz .LBB135_258
; %bb.250:                              ;   in Loop: Header=BB135_45 Depth=1
	v_cmp_ge_u64_e32 vcc, s[84:85], v[4:5]
	s_and_saveexec_b64 s[0:1], vcc
	s_xor_b64 s[0:1], exec, s[0:1]
	s_cbranch_execz .LBB135_255
; %bb.251:                              ;   in Loop: Header=BB135_45 Depth=1
	ds_read_b64 v[6:7], v3 offset:5120
	v_and_b32_e32 v2, s60, v47
	v_lshl_or_b32 v47, 2, s66, v2
	v_or_b32_e32 v56, s49, v56
	s_waitcnt lgkmcnt(0)
	v_cmp_ne_u64_e32 vcc, 0, v[6:7]
	s_cbranch_vccnz .LBB135_255
; %bb.252:                              ;   in Loop: Header=BB135_45 Depth=1
	s_mov_b64 s[2:3], exec
	v_readlane_b32 s8, v62, 10
	v_readlane_b32 s9, v62, 11
	s_and_b64 s[8:9], s[2:3], s[8:9]
	s_mov_b64 exec, s[8:9]
; %bb.253:                              ;   in Loop: Header=BB135_45 Depth=1
	v_mov_b32_e32 v6, s84
	v_mov_b32_e32 v7, s85
	ds_write_b64 v3, v[6:7] offset:5128
; %bb.254:                              ;   in Loop: Header=BB135_45 Depth=1
	s_or_b64 exec, exec, s[2:3]
	s_waitcnt lgkmcnt(0)
	s_barrier
.LBB135_255:                            ;   in Loop: Header=BB135_45 Depth=1
	s_or_saveexec_b64 s[0:1], s[0:1]
	s_mov_b64 s[8:9], 0
	v_mov_b32_e32 v2, 8
	s_xor_b64 exec, exec, s[0:1]
; %bb.256:                              ;   in Loop: Header=BB135_45 Depth=1
	v_subrev_co_u32_e32 v4, vcc, s84, v4
	v_mov_b32_e32 v2, s85
	v_subb_co_u32_e32 v5, vcc, v5, v2, vcc
	v_mov_b32_e32 v2, 0
	s_mov_b64 s[8:9], exec
; %bb.257:                              ;   in Loop: Header=BB135_45 Depth=1
	s_or_b64 exec, exec, s[0:1]
	v_mov_b32_e32 v7, v5
	s_and_b64 s[8:9], s[8:9], exec
	v_mov_b32_e32 v6, v4
.LBB135_258:                            ;   in Loop: Header=BB135_45 Depth=1
	s_or_b64 exec, exec, s[10:11]
	s_mov_b64 s[0:1], -1
                                        ; implicit-def: $sgpr34_sgpr35
                                        ; implicit-def: $sgpr12_sgpr13
	s_and_saveexec_b64 s[84:85], s[8:9]
	s_cbranch_execz .LBB135_311
; %bb.259:                              ;   in Loop: Header=BB135_45 Depth=1
	s_cmp_eq_u64 s[14:15], 1
	v_cmp_eq_u64_e32 vcc, 1, v[6:7]
	s_cselect_b64 s[0:1], -1, 0
	s_and_b64 s[94:95], s[0:1], vcc
	s_mov_b64 s[0:1], -1
                                        ; implicit-def: $sgpr34_sgpr35
                                        ; implicit-def: $sgpr12_sgpr13
	s_and_saveexec_b64 s[42:43], s[94:95]
	s_cbranch_execz .LBB135_299
; %bb.260:                              ;   in Loop: Header=BB135_45 Depth=1
	ds_read_b64 v[4:5], v3 offset:5120
	v_writelane_b32 v62, s94, 36
	v_writelane_b32 v62, s95, 37
	s_mov_b32 s94, s62
	s_waitcnt lgkmcnt(0)
	v_readfirstlane_b32 s62, v4
	v_readfirstlane_b32 s63, v5
	s_barrier
	s_mov_b64 s[0:1], exec
	v_readlane_b32 s2, v62, 14
	v_readlane_b32 s3, v62, 15
	s_and_b64 s[2:3], s[0:1], s[2:3]
	s_mov_b64 exec, s[2:3]
; %bb.261:                              ;   in Loop: Header=BB135_45 Depth=1
	ds_write_b16 v49, v3
; %bb.262:                              ;   in Loop: Header=BB135_45 Depth=1
	s_or_b64 exec, exec, s[0:1]
	v_or_b32_e32 v47, s49, v47
	v_or_b32_e32 v56, s49, v56
	s_mov_b64 s[12:13], -1
	s_mov_b64 s[34:35], 0
	s_cmp_eq_u64 s[62:63], 0
	s_mov_b64 s[10:11], 0
	s_mov_b64 s[0:1], -1
	s_waitcnt lgkmcnt(0)
	s_barrier
                                        ; implicit-def: $vgpr57
	s_cbranch_scc1 .LBB135_279
; %bb.263:                              ;   in Loop: Header=BB135_45 Depth=1
	s_add_u32 s8, s62, s61
	s_addc_u32 s11, s63, s94
	s_mov_b32 s10, s47
	s_cmp_lg_u64 s[10:11], 0
	s_cbranch_scc0 .LBB135_283
; %bb.264:                              ;   in Loop: Header=BB135_45 Depth=1
	v_cvt_f32_u32_e32 v4, s33
	s_sub_u32 s2, 0, s33
	s_subb_u32 s3, 0, 0
	v_mac_f32_e32 v4, 0, v53
	v_rcp_f32_e32 v4, v4
	v_mul_f32_e32 v4, 0x5f7ffffc, v4
	v_mul_f32_e32 v5, 0x2f800000, v4
	v_trunc_f32_e32 v5, v5
	v_mac_f32_e32 v4, 0xcf800000, v5
	v_cvt_u32_f32_e32 v5, v5
	v_cvt_u32_f32_e32 v4, v4
	v_readfirstlane_b32 s9, v5
	v_readfirstlane_b32 s0, v4
	s_mul_i32 s1, s2, s9
	s_mul_hi_u32 s46, s2, s0
	s_mul_i32 s10, s3, s0
	s_add_i32 s1, s46, s1
	s_mul_i32 s54, s2, s0
	s_add_i32 s1, s1, s10
	s_mul_hi_u32 s46, s0, s54
	s_mul_i32 s58, s0, s1
	s_mul_hi_u32 s10, s0, s1
	s_add_u32 s46, s46, s58
	s_addc_u32 s10, 0, s10
	s_mul_hi_u32 s59, s9, s54
	s_mul_i32 s54, s9, s54
	s_add_u32 s46, s46, s54
	s_mul_hi_u32 s58, s9, s1
	s_addc_u32 s10, s10, s59
	s_addc_u32 s46, s58, 0
	s_mul_i32 s1, s9, s1
	s_add_u32 s1, s10, s1
	s_addc_u32 s10, 0, s46
	s_add_u32 s46, s0, s1
	s_cselect_b64 s[0:1], -1, 0
	s_cmp_lg_u64 s[0:1], 0
	s_addc_u32 s9, s9, s10
	s_mul_i32 s0, s2, s9
	s_mul_hi_u32 s1, s2, s46
	s_add_i32 s0, s1, s0
	s_mul_i32 s3, s3, s46
	s_add_i32 s0, s0, s3
	s_mul_i32 s2, s2, s46
	s_mul_hi_u32 s3, s9, s2
	s_mul_i32 s10, s9, s2
	s_mul_i32 s58, s46, s0
	s_mul_hi_u32 s2, s46, s2
	s_mul_hi_u32 s54, s46, s0
	s_add_u32 s2, s2, s58
	s_addc_u32 s54, 0, s54
	s_add_u32 s2, s2, s10
	s_mul_hi_u32 s1, s9, s0
	s_addc_u32 s2, s54, s3
	s_addc_u32 s1, s1, 0
	s_mul_i32 s0, s9, s0
	s_add_u32 s0, s2, s0
	s_addc_u32 s2, 0, s1
	s_add_u32 s3, s46, s0
	s_cselect_b64 s[0:1], -1, 0
	s_cmp_lg_u64 s[0:1], 0
	s_addc_u32 s0, s9, s2
	s_mul_i32 s2, s8, s0
	s_mul_hi_u32 s9, s8, s3
	s_mul_hi_u32 s1, s8, s0
	s_add_u32 s2, s9, s2
	s_addc_u32 s1, 0, s1
	s_mul_hi_u32 s10, s11, s3
	s_mul_i32 s3, s11, s3
	s_add_u32 s2, s2, s3
	s_mul_hi_u32 s9, s11, s0
	s_addc_u32 s1, s1, s10
	s_addc_u32 s2, s9, 0
	s_mul_i32 s0, s11, s0
	s_add_u32 s0, s1, s0
	s_addc_u32 s1, 0, s2
	s_mul_i32 s1, s33, s1
	s_mul_hi_u32 s2, s33, s0
	s_add_i32 s2, s2, s1
	s_mul_i32 s0, s33, s0
	s_sub_u32 s3, s8, s0
	s_cselect_b64 s[0:1], -1, 0
	s_cmp_lg_u64 s[0:1], 0
	s_subb_u32 s2, s11, s2
	s_sub_u32 s9, s3, s33
	s_cselect_b64 s[0:1], -1, 0
	s_cmp_lg_u64 s[0:1], 0
	s_subb_u32 s10, s2, 0
	;; [unrolled: 4-line block ×3, first 2 shown]
	s_cmp_ge_u32 s9, s33
	s_cselect_b32 s1, -1, 0
	s_cmp_eq_u32 s10, 0
	s_cselect_b32 s1, s1, -1
	s_cmp_lg_u32 s1, 0
	s_cselect_b32 s0, s0, s10
	s_cselect_b32 s9, s46, s9
	s_cmp_ge_u32 s3, s33
	s_cselect_b32 s1, -1, 0
	s_cmp_eq_u32 s2, 0
	s_cselect_b32 s1, s1, -1
	s_cmp_lg_u32 s1, 0
	s_cselect_b32 s1, s0, s2
	s_cselect_b32 s0, s9, s3
	s_mov_b32 s54, s61
	s_cbranch_execnz .LBB135_266
.LBB135_265:                            ;   in Loop: Header=BB135_45 Depth=1
	v_cvt_f32_u32_e32 v4, s33
	s_sub_i32 s0, 0, s33
	v_rcp_iflag_f32_e32 v4, v4
	v_mul_f32_e32 v4, 0x4f7ffffe, v4
	v_cvt_u32_f32_e32 v4, v4
	v_readfirstlane_b32 s1, v4
	s_mul_i32 s0, s0, s1
	s_mul_hi_u32 s0, s1, s0
	s_add_i32 s1, s1, s0
	s_mul_hi_u32 s0, s8, s1
	s_mul_i32 s0, s0, s33
	s_sub_i32 s0, s8, s0
	s_sub_i32 s1, s0, s33
	s_cmp_ge_u32 s0, s33
	s_cselect_b32 s0, s1, s0
	s_sub_i32 s1, s0, s33
	s_cmp_ge_u32 s0, s33
	s_cselect_b32 s46, s1, s0
	s_mov_b64 s[0:1], s[46:47]
.LBB135_266:                            ;   in Loop: Header=BB135_45 Depth=1
	s_sub_u32 s60, s8, s0
	s_subb_u32 s61, s11, s1
	v_cmp_gt_u64_e32 vcc, s[60:61], v[0:1]
	s_mov_b64 s[0:1], 0
	s_mov_b64 s[10:11], 0
                                        ; implicit-def: $vgpr57
	s_and_saveexec_b64 s[58:59], vcc
	v_readlane_b32 s46, v62, 35
	s_cbranch_execz .LBB135_278
; %bb.267:                              ;   in Loop: Header=BB135_45 Depth=1
	v_mov_b32_e32 v5, v1
	v_mov_b32_e32 v8, v48
	;; [unrolled: 1-line block ×3, first 2 shown]
                                        ; implicit-def: $sgpr8_sgpr9
	s_branch .LBB135_271
.LBB135_268:                            ;   in Loop: Header=BB135_271 Depth=2
	s_or_b64 exec, exec, s[2:3]
	s_waitcnt lgkmcnt(0)
	s_barrier
	ds_read_b32 v9, v3 offset:3072
	s_waitcnt lgkmcnt(0)
	s_barrier
	v_cmp_neq_f16_e32 vcc, 0, v9
	s_cbranch_vccnz .LBB135_274
; %bb.269:                              ;   in Loop: Header=BB135_271 Depth=2
	v_add_co_u32_e32 v4, vcc, s33, v4
	v_addc_co_u32_e32 v5, vcc, 0, v5, vcc
	v_cmp_le_u64_e32 vcc, s[60:61], v[4:5]
	v_add_u32_e32 v8, s16, v8
	s_mov_b64 s[2:3], 0
	s_orn2_b64 vcc, vcc, exec
.LBB135_270:                            ;   in Loop: Header=BB135_271 Depth=2
	s_and_b64 vcc, exec, vcc
	s_or_b64 s[10:11], vcc, s[10:11]
	s_andn2_b64 s[8:9], s[8:9], exec
	s_and_b64 s[2:3], s[2:3], exec
	s_or_b64 s[8:9], s[8:9], s[2:3]
	s_andn2_b64 exec, exec, s[10:11]
	s_cbranch_execz .LBB135_277
.LBB135_271:                            ;   Parent Loop BB135_45 Depth=1
                                        ; =>  This Inner Loop Header: Depth=2
	v_cmp_gt_u64_e32 vcc, s[62:63], v[4:5]
	s_and_saveexec_b64 s[2:3], vcc
	s_cbranch_execz .LBB135_268
; %bb.272:                              ;   in Loop: Header=BB135_271 Depth=2
	ds_read_u16 v9, v8
	s_waitcnt lgkmcnt(0)
	v_cmp_lt_i16_e32 vcc, -1, v9
	v_cndmask_b32_e32 v10, v51, v52, vcc
	v_xor_b32_sdwa v10, v10, v9 dst_sel:DWORD dst_unused:UNUSED_PAD src0_sel:DWORD src1_sel:WORD_0
	v_cmp_o_f16_e32 vcc, v9, v9
	v_cndmask_b32_e32 v10, v51, v10, vcc
	v_and_b32_e32 v10, v10, v56
	v_cmp_eq_u32_e32 vcc, v10, v47
	s_and_b64 exec, exec, vcc
	s_cbranch_execz .LBB135_268
; %bb.273:                              ;   in Loop: Header=BB135_271 Depth=2
	v_perm_b32 v9, v9, s67, v55
	ds_write_b32 v3, v9 offset:3072
	s_branch .LBB135_268
.LBB135_274:                            ;   in Loop: Header=BB135_271 Depth=2
	s_mov_b64 vcc, -1
                                        ; implicit-def: $vgpr4_vgpr5
                                        ; implicit-def: $vgpr8
	s_mov_b64 s[2:3], -1
	s_branch .LBB135_270
.LBB135_275:                            ;   in Loop: Header=BB135_45 Depth=1
                                        ; implicit-def: $sgpr0_sgpr1
	s_branch .LBB135_218
.LBB135_276:                            ;   in Loop: Header=BB135_45 Depth=1
                                        ; implicit-def: $sgpr0_sgpr1
	s_branch .LBB135_235
.LBB135_277:                            ;   in Loop: Header=BB135_45 Depth=1
	s_or_b64 exec, exec, s[10:11]
	v_lshrrev_b32_e32 v57, 16, v9
	s_and_b64 s[10:11], s[8:9], exec
.LBB135_278:                            ;   in Loop: Header=BB135_45 Depth=1
	s_or_b64 exec, exec, s[58:59]
	s_mov_b32 s61, s54
.LBB135_279:                            ;   in Loop: Header=BB135_45 Depth=1
	s_and_b64 vcc, exec, s[0:1]
	s_cbranch_vccz .LBB135_282
; %bb.280:                              ;   in Loop: Header=BB135_45 Depth=1
	s_mov_b32 s54, s47
	s_cmp_lg_u64 s[54:55], 0
	s_mov_b32 s62, s94
	s_cbranch_scc0 .LBB135_284
; %bb.281:                              ;   in Loop: Header=BB135_45 Depth=1
	v_cvt_f32_u32_e32 v4, s33
	s_sub_u32 s2, 0, s33
	s_subb_u32 s3, 0, 0
	v_mac_f32_e32 v4, 0, v53
	v_rcp_f32_e32 v4, v4
	v_mul_f32_e32 v4, 0x5f7ffffc, v4
	v_mul_f32_e32 v5, 0x2f800000, v4
	v_trunc_f32_e32 v5, v5
	v_mac_f32_e32 v4, 0xcf800000, v5
	v_cvt_u32_f32_e32 v5, v5
	v_cvt_u32_f32_e32 v4, v4
	v_readfirstlane_b32 s8, v5
	v_readfirstlane_b32 s0, v4
	s_mul_i32 s1, s2, s8
	s_mul_hi_u32 s12, s2, s0
	s_mul_i32 s9, s3, s0
	s_add_i32 s1, s12, s1
	s_mul_i32 s13, s2, s0
	s_add_i32 s1, s1, s9
	s_mul_hi_u32 s12, s0, s13
	s_mul_i32 s34, s0, s1
	s_mul_hi_u32 s9, s0, s1
	s_add_u32 s12, s12, s34
	s_addc_u32 s9, 0, s9
	s_mul_hi_u32 s35, s8, s13
	s_mul_i32 s13, s8, s13
	s_add_u32 s12, s12, s13
	s_mul_hi_u32 s34, s8, s1
	s_addc_u32 s9, s9, s35
	s_addc_u32 s12, s34, 0
	s_mul_i32 s1, s8, s1
	s_add_u32 s1, s9, s1
	s_addc_u32 s9, 0, s12
	s_add_u32 s12, s0, s1
	s_cselect_b64 s[0:1], -1, 0
	s_cmp_lg_u64 s[0:1], 0
	s_addc_u32 s8, s8, s9
	s_mul_i32 s0, s2, s8
	s_mul_hi_u32 s1, s2, s12
	s_add_i32 s0, s1, s0
	s_mul_i32 s3, s3, s12
	s_add_i32 s0, s0, s3
	s_mul_i32 s2, s2, s12
	s_mul_hi_u32 s3, s8, s2
	s_mul_i32 s9, s8, s2
	s_mul_i32 s34, s12, s0
	s_mul_hi_u32 s2, s12, s2
	s_mul_hi_u32 s13, s12, s0
	s_add_u32 s2, s2, s34
	s_addc_u32 s13, 0, s13
	s_add_u32 s2, s2, s9
	s_mul_hi_u32 s1, s8, s0
	s_addc_u32 s2, s13, s3
	s_addc_u32 s1, s1, 0
	s_mul_i32 s0, s8, s0
	s_add_u32 s0, s2, s0
	s_addc_u32 s2, 0, s1
	s_add_u32 s3, s12, s0
	s_cselect_b64 s[0:1], -1, 0
	s_cmp_lg_u64 s[0:1], 0
	s_addc_u32 s0, s8, s2
	s_mul_i32 s2, s64, s0
	s_mul_hi_u32 s8, s64, s3
	s_mul_hi_u32 s1, s64, s0
	s_add_u32 s2, s8, s2
	s_addc_u32 s1, 0, s1
	s_mul_hi_u32 s9, s55, s3
	s_mul_i32 s3, s55, s3
	s_add_u32 s2, s2, s3
	s_mul_hi_u32 s8, s55, s0
	s_addc_u32 s1, s1, s9
	s_addc_u32 s2, s8, 0
	s_mul_i32 s0, s55, s0
	s_add_u32 s0, s1, s0
	s_addc_u32 s1, 0, s2
	s_mul_i32 s1, s33, s1
	s_mul_hi_u32 s2, s33, s0
	s_add_i32 s2, s2, s1
	s_mul_i32 s0, s33, s0
	s_sub_u32 s3, s64, s0
	s_cselect_b64 s[0:1], -1, 0
	s_cmp_lg_u64 s[0:1], 0
	s_subb_u32 s2, s55, s2
	s_sub_u32 s8, s3, s33
	s_cselect_b64 s[0:1], -1, 0
	s_cmp_lg_u64 s[0:1], 0
	s_subb_u32 s9, s2, 0
	;; [unrolled: 4-line block ×3, first 2 shown]
	s_cmp_ge_u32 s8, s33
	s_cselect_b32 s1, -1, 0
	s_cmp_eq_u32 s9, 0
	s_cselect_b32 s1, s1, -1
	s_cmp_lg_u32 s1, 0
	s_cselect_b32 s0, s0, s9
	s_cselect_b32 s8, s12, s8
	s_cmp_ge_u32 s3, s33
	s_cselect_b32 s1, -1, 0
	s_cmp_eq_u32 s2, 0
	s_cselect_b32 s1, s1, -1
	s_cmp_lg_u32 s1, 0
	s_cselect_b32 s1, s0, s2
	s_cselect_b32 s0, s8, s3
	s_mov_b64 s[2:3], 0
	s_branch .LBB135_285
.LBB135_282:                            ;   in Loop: Header=BB135_45 Depth=1
	s_mov_b32 s62, s94
	v_readlane_b32 s94, v62, 36
	v_readlane_b32 s95, v62, 37
	s_branch .LBB135_298
.LBB135_283:                            ;   in Loop: Header=BB135_45 Depth=1
                                        ; implicit-def: $sgpr0_sgpr1
	s_mov_b32 s54, s61
	s_branch .LBB135_265
.LBB135_284:                            ;   in Loop: Header=BB135_45 Depth=1
	s_mov_b64 s[2:3], -1
                                        ; implicit-def: $sgpr0_sgpr1
.LBB135_285:                            ;   in Loop: Header=BB135_45 Depth=1
	v_readlane_b32 s94, v62, 36
	v_readlane_b32 s95, v62, 37
	s_andn2_b64 vcc, exec, s[2:3]
	s_cbranch_vccnz .LBB135_287
; %bb.286:                              ;   in Loop: Header=BB135_45 Depth=1
	v_cvt_f32_u32_e32 v4, s33
	s_sub_i32 s0, 0, s33
	v_rcp_iflag_f32_e32 v4, v4
	v_mul_f32_e32 v4, 0x4f7ffffe, v4
	v_cvt_u32_f32_e32 v4, v4
	v_readfirstlane_b32 s1, v4
	s_mul_i32 s0, s0, s1
	s_mul_hi_u32 s0, s1, s0
	s_add_i32 s1, s1, s0
	s_mul_hi_u32 s0, s64, s1
	s_mul_i32 s0, s0, s33
	s_sub_i32 s0, s64, s0
	s_sub_i32 s1, s0, s33
	s_cmp_ge_u32 s0, s33
	s_cselect_b32 s0, s1, s0
	s_sub_i32 s1, s0, s33
	s_cmp_ge_u32 s0, s33
	s_cselect_b32 s46, s1, s0
	s_mov_b64 s[0:1], s[46:47]
	v_readlane_b32 s46, v62, 35
.LBB135_287:                            ;   in Loop: Header=BB135_45 Depth=1
	s_sub_u32 s12, s64, s0
	s_subb_u32 s13, s55, s1
	v_cmp_gt_u64_e32 vcc, s[12:13], v[0:1]
                                        ; implicit-def: $vgpr57
	s_and_saveexec_b64 s[0:1], vcc
	s_cbranch_execz .LBB135_297
; %bb.288:                              ;   in Loop: Header=BB135_45 Depth=1
	v_mov_b32_e32 v4, v12
	v_mov_b32_e32 v9, v1
	s_mov_b64 s[34:35], 0
	v_mov_b32_e32 v5, v13
	v_mov_b32_e32 v8, v0
                                        ; implicit-def: $sgpr58_sgpr59
	s_branch .LBB135_292
.LBB135_289:                            ;   in Loop: Header=BB135_292 Depth=2
	s_or_b64 exec, exec, s[2:3]
	s_waitcnt lgkmcnt(0)
	s_barrier
	ds_read_b32 v10, v3 offset:3072
	s_waitcnt lgkmcnt(0)
	s_barrier
	v_cmp_eq_f16_e32 vcc, 0, v10
	s_cbranch_vccz .LBB135_295
; %bb.290:                              ;   in Loop: Header=BB135_292 Depth=2
	v_add_co_u32_e32 v8, vcc, s33, v8
	v_addc_co_u32_e32 v9, vcc, 0, v9, vcc
	v_mov_b32_e32 v11, s51
	v_add_co_u32_e32 v4, vcc, s50, v4
	v_addc_co_u32_e32 v5, vcc, v5, v11, vcc
	v_cmp_le_u64_e32 vcc, s[12:13], v[8:9]
	s_mov_b64 s[2:3], 0
	s_orn2_b64 s[8:9], vcc, exec
.LBB135_291:                            ;   in Loop: Header=BB135_292 Depth=2
	s_and_b64 s[8:9], exec, s[8:9]
	s_or_b64 s[34:35], s[8:9], s[34:35]
	s_andn2_b64 s[8:9], s[58:59], exec
	s_and_b64 s[2:3], s[2:3], exec
	s_or_b64 s[58:59], s[8:9], s[2:3]
	s_andn2_b64 exec, exec, s[34:35]
	s_cbranch_execz .LBB135_296
.LBB135_292:                            ;   Parent Loop BB135_45 Depth=1
                                        ; =>  This Inner Loop Header: Depth=2
	v_cmp_gt_u64_e32 vcc, s[24:25], v[8:9]
	s_and_saveexec_b64 s[2:3], vcc
	s_cbranch_execz .LBB135_289
; %bb.293:                              ;   in Loop: Header=BB135_292 Depth=2
	global_load_ushort v10, v[4:5], off
	s_waitcnt vmcnt(0)
	v_cmp_lt_i16_e32 vcc, -1, v10
	v_cndmask_b32_e32 v11, v51, v52, vcc
	v_xor_b32_sdwa v11, v11, v10 dst_sel:DWORD dst_unused:UNUSED_PAD src0_sel:DWORD src1_sel:WORD_0
	v_cmp_o_f16_e32 vcc, v10, v10
	v_cndmask_b32_e32 v11, v51, v11, vcc
	v_and_b32_e32 v11, v11, v56
	v_cmp_eq_u32_e32 vcc, v11, v47
	s_and_b64 exec, exec, vcc
	s_cbranch_execz .LBB135_289
; %bb.294:                              ;   in Loop: Header=BB135_292 Depth=2
	v_perm_b32 v10, v10, s67, v55
	ds_write_b32 v3, v10 offset:3072
	s_branch .LBB135_289
.LBB135_295:                            ;   in Loop: Header=BB135_292 Depth=2
	s_mov_b64 s[8:9], -1
                                        ; implicit-def: $vgpr8_vgpr9
                                        ; implicit-def: $vgpr4_vgpr5
	s_mov_b64 s[2:3], -1
	s_branch .LBB135_291
.LBB135_296:                            ;   in Loop: Header=BB135_45 Depth=1
	s_or_b64 exec, exec, s[34:35]
	s_andn2_b64 s[2:3], s[10:11], exec
	s_and_b64 s[8:9], s[58:59], exec
	v_lshrrev_b32_e32 v57, 16, v10
	s_or_b64 s[10:11], s[2:3], s[8:9]
.LBB135_297:                            ;   in Loop: Header=BB135_45 Depth=1
	s_or_b64 exec, exec, s[0:1]
	s_mov_b64 s[12:13], 0
	s_mov_b64 s[34:35], -1
.LBB135_298:                            ;   in Loop: Header=BB135_45 Depth=1
	s_orn2_b64 s[0:1], s[10:11], exec
.LBB135_299:                            ;   in Loop: Header=BB135_45 Depth=1
	s_or_b64 exec, exec, s[42:43]
	s_mov_b64 s[2:3], 0
	s_and_saveexec_b64 s[10:11], s[0:1]
	s_cbranch_execz .LBB135_310
; %bb.300:                              ;   in Loop: Header=BB135_45 Depth=1
	v_mov_b32_e32 v4, 1
	s_xor_b64 s[2:3], s[94:95], -1
	v_mov_b32_e32 v5, 0
	v_mov_b32_e32 v2, 1
	s_and_saveexec_b64 s[0:1], s[2:3]
	s_cbranch_execz .LBB135_309
; %bb.301:                              ;   in Loop: Header=BB135_45 Depth=1
	v_cmp_ge_u64_e32 vcc, s[14:15], v[6:7]
	s_and_saveexec_b64 s[2:3], vcc
	s_xor_b64 s[8:9], exec, s[2:3]
	s_cbranch_execz .LBB135_306
; %bb.302:                              ;   in Loop: Header=BB135_45 Depth=1
	ds_read_b64 v[4:5], v3 offset:5120
	v_or_b32_e32 v47, s49, v47
	v_or_b32_e32 v56, s49, v56
	s_waitcnt lgkmcnt(0)
	v_cmp_ne_u64_e32 vcc, 0, v[4:5]
	s_cbranch_vccnz .LBB135_306
; %bb.303:                              ;   in Loop: Header=BB135_45 Depth=1
	s_mov_b64 s[2:3], exec
	v_readlane_b32 s42, v62, 10
	v_readlane_b32 s43, v62, 11
	s_and_b64 s[42:43], s[2:3], s[42:43]
	s_mov_b64 exec, s[42:43]
; %bb.304:                              ;   in Loop: Header=BB135_45 Depth=1
	v_mov_b32_e32 v4, s14
	v_mov_b32_e32 v5, s15
	ds_write_b64 v3, v[4:5] offset:5128
; %bb.305:                              ;   in Loop: Header=BB135_45 Depth=1
	s_or_b64 exec, exec, s[2:3]
	s_waitcnt lgkmcnt(0)
	s_barrier
.LBB135_306:                            ;   in Loop: Header=BB135_45 Depth=1
	s_andn2_saveexec_b64 s[2:3], s[8:9]
; %bb.307:                              ;   in Loop: Header=BB135_45 Depth=1
	v_mov_b32_e32 v2, s15
	v_subrev_co_u32_e32 v6, vcc, s14, v6
	v_subb_co_u32_e32 v7, vcc, v7, v2, vcc
; %bb.308:                              ;   in Loop: Header=BB135_45 Depth=1
	s_or_b64 exec, exec, s[2:3]
	v_mov_b32_e32 v4, v6
	v_mov_b32_e32 v2, 8
	;; [unrolled: 1-line block ×3, first 2 shown]
.LBB135_309:                            ;   in Loop: Header=BB135_45 Depth=1
	s_or_b64 exec, exec, s[0:1]
	v_mov_b32_e32 v7, v5
	s_mov_b64 s[2:3], exec
	v_mov_b32_e32 v6, v4
.LBB135_310:                            ;   in Loop: Header=BB135_45 Depth=1
	s_or_b64 exec, exec, s[10:11]
	s_orn2_b64 s[0:1], s[2:3], exec
.LBB135_311:                            ;   in Loop: Header=BB135_45 Depth=1
	s_or_b64 exec, exec, s[84:85]
	s_andn2_b64 s[2:3], s[92:93], exec
	s_and_b64 s[8:9], s[34:35], exec
	s_or_b64 s[92:93], s[2:3], s[8:9]
	s_andn2_b64 s[2:3], s[40:41], exec
	s_and_b64 s[8:9], s[12:13], exec
	v_mov_b32_e32 v4, v6
	s_or_b64 s[40:41], s[2:3], s[8:9]
	s_and_b64 s[8:9], s[0:1], exec
	v_mov_b32_e32 v5, v7
.LBB135_312:                            ;   in Loop: Header=BB135_45 Depth=1
	s_or_b64 exec, exec, s[38:39]
	s_orn2_b64 s[0:1], s[8:9], exec
.LBB135_313:                            ;   in Loop: Header=BB135_45 Depth=1
	s_or_b64 exec, exec, s[90:91]
	s_andn2_b64 s[2:3], s[86:87], exec
	s_and_b64 s[8:9], s[92:93], exec
	s_or_b64 s[86:87], s[2:3], s[8:9]
	s_andn2_b64 s[2:3], s[6:7], exec
	s_and_b64 s[6:7], s[40:41], exec
	v_mov_b32_e32 v9, v5
	s_or_b64 s[6:7], s[2:3], s[6:7]
	s_and_b64 s[8:9], s[0:1], exec
	v_mov_b32_e32 v8, v4
.LBB135_314:                            ;   in Loop: Header=BB135_45 Depth=1
	s_or_b64 exec, exec, s[88:89]
	s_orn2_b64 s[0:1], s[8:9], exec
.LBB135_315:                            ;   in Loop: Header=BB135_45 Depth=1
	s_or_b64 exec, exec, s[82:83]
	s_mov_b64 s[8:9], 0
	s_and_saveexec_b64 s[2:3], s[0:1]
	s_xor_b64 s[0:1], exec, s[2:3]
	s_cbranch_execz .LBB135_43
; %bb.316:                              ;   in Loop: Header=BB135_45 Depth=1
	v_and_b32_e32 v2, 7, v2
	v_cmp_eq_u32_e32 vcc, 0, v2
	s_mov_b64 s[10:11], -1
	s_mov_b64 s[2:3], -1
	s_and_saveexec_b64 s[8:9], vcc
	s_cbranch_execz .LBB135_42
; %bb.317:                              ;   in Loop: Header=BB135_45 Depth=1
	s_xor_b32 s48, s48, 1
	s_add_i32 s12, s66, -2
	s_cmp_eq_u32 s66, 0
	s_cselect_b64 s[10:11], -1, 0
	s_xor_b64 s[2:3], exec, -1
	s_orn2_b64 s[10:11], s[10:11], exec
	s_mov_b32 s66, s12
	s_branch .LBB135_42
.LBB135_318:
	s_or_b64 exec, exec, s[68:69]
	s_xor_b64 s[4:5], s[74:75], -1
	s_xor_b64 s[2:3], s[70:71], -1
	;; [unrolled: 1-line block ×3, first 2 shown]
	s_mov_b64 s[0:1], 0
	s_and_saveexec_b64 s[8:9], s[2:3]
	s_xor_b64 s[2:3], exec, s[8:9]
	s_cbranch_execnz .LBB135_323
; %bb.319:
	s_andn2_saveexec_b64 s[2:3], s[2:3]
	s_cbranch_execnz .LBB135_336
.LBB135_320:
	s_or_b64 exec, exec, s[2:3]
	s_and_saveexec_b64 s[2:3], s[0:1]
.LBB135_321:
	; divergent unreachable
.LBB135_322:
	s_endpgm
.LBB135_323:
	s_and_saveexec_b64 s[0:1], s[4:5]
	s_xor_b64 s[4:5], exec, s[0:1]
	s_cbranch_execz .LBB135_334
; %bb.324:
	s_and_saveexec_b64 s[0:1], s[6:7]
	s_xor_b64 s[0:1], exec, s[0:1]
; %bb.325:
	v_and_b32_e32 v2, 0x8000, v47
	v_mov_b32_e32 v3, 0x8000
	v_mov_b32_e32 v4, 0xffff
	v_cmp_eq_u32_e32 vcc, 0, v2
	v_cndmask_b32_e32 v2, v3, v4, vcc
	v_xor_b32_e32 v57, v2, v47
; %bb.326:
	s_or_b64 exec, exec, s[0:1]
	v_readlane_b32 s6, v62, 0
	v_readlane_b32 s7, v62, 1
	s_mul_i32 s0, s6, s31
	s_mul_hi_u32 s1, s6, s30
	s_add_i32 s0, s1, s0
	s_mul_i32 s1, s7, s30
	s_add_i32 s1, s0, s1
	s_mul_i32 s0, s6, s30
	s_lshl_b64 s[0:1], s[0:1], 1
	v_readlane_b32 s6, v62, 4
	v_readlane_b32 s7, v62, 5
	s_add_u32 s6, s6, s0
	s_addc_u32 s7, s7, s1
	s_lshl_b64 s[0:1], s[22:23], 1
	s_add_u32 s0, s6, s0
	s_addc_u32 s1, s7, s1
	v_mov_b32_e32 v2, 0
	global_store_short v2, v57, s[0:1]
	s_mov_b64 s[6:7], exec
	v_readlane_b32 s0, v62, 8
	v_readlane_b32 s1, v62, 9
	s_and_b64 s[0:1], s[6:7], s[0:1]
	s_mov_b64 exec, s[0:1]
	s_cbranch_execz .LBB135_333
; %bb.327:
	v_cmp_u_f16_e32 vcc, v57, v57
	s_mov_b64 s[8:9], 0
	s_xor_b64 s[12:13], vcc, -1
                                        ; implicit-def: $sgpr10_sgpr11
                                        ; implicit-def: $sgpr16_sgpr17
                                        ; implicit-def: $sgpr14_sgpr15
	s_branch .LBB135_329
.LBB135_328:                            ;   in Loop: Header=BB135_329 Depth=1
	s_or_b64 exec, exec, s[0:1]
	s_and_b64 s[0:1], exec, s[16:17]
	s_or_b64 s[8:9], s[0:1], s[8:9]
	s_andn2_b64 s[0:1], s[10:11], exec
	s_and_b64 s[10:11], s[14:15], exec
	s_or_b64 s[10:11], s[0:1], s[10:11]
	s_andn2_b64 exec, exec, s[8:9]
	s_cbranch_execz .LBB135_331
.LBB135_329:                            ; =>This Inner Loop Header: Depth=1
	global_load_ushort v4, v[12:13], off
	v_mov_b32_e32 v3, v1
	v_mov_b32_e32 v2, v0
	s_or_b64 s[14:15], s[14:15], exec
	s_or_b64 s[16:17], s[16:17], exec
                                        ; implicit-def: $vgpr0_vgpr1
	s_waitcnt vmcnt(0)
	v_cmp_o_f16_e64 s[0:1], v4, v4
	v_cmp_neq_f16_e32 vcc, v4, v57
	s_or_b64 s[0:1], s[12:13], s[0:1]
	s_and_b64 s[18:19], vcc, s[0:1]
	s_and_saveexec_b64 s[0:1], s[18:19]
	s_cbranch_execz .LBB135_328
; %bb.330:                              ;   in Loop: Header=BB135_329 Depth=1
	v_add_co_u32_e32 v0, vcc, s33, v2
	v_addc_co_u32_e32 v1, vcc, 0, v3, vcc
	v_mov_b32_e32 v4, s51
	v_add_co_u32_e32 v12, vcc, s50, v12
	v_addc_co_u32_e32 v13, vcc, v13, v4, vcc
	v_cmp_le_u64_e32 vcc, s[24:25], v[0:1]
	s_andn2_b64 s[16:17], s[16:17], exec
	s_and_b64 s[18:19], vcc, exec
	s_andn2_b64 s[14:15], s[14:15], exec
	s_or_b64 s[16:17], s[16:17], s[18:19]
	s_branch .LBB135_328
.LBB135_331:
	s_or_b64 exec, exec, s[8:9]
	s_and_saveexec_b64 s[0:1], s[10:11]
	s_xor_b64 s[0:1], exec, s[0:1]
	s_cbranch_execz .LBB135_333
; %bb.332:
	v_readlane_b32 s8, v62, 2
	v_readlane_b32 s9, v62, 3
	s_mul_i32 s0, s8, s37
	s_mul_hi_u32 s1, s8, s36
	s_add_i32 s0, s1, s0
	s_mul_i32 s1, s9, s36
	s_add_i32 s1, s0, s1
	s_mul_i32 s0, s8, s36
	s_lshl_b64 s[0:1], s[0:1], 3
	v_readlane_b32 s8, v62, 6
	v_readlane_b32 s9, v62, 7
	s_add_u32 s8, s8, s0
	s_addc_u32 s9, s9, s1
	s_lshl_b64 s[0:1], s[28:29], 3
	s_add_u32 s0, s8, s0
	s_addc_u32 s1, s9, s1
	v_mov_b32_e32 v0, 0
	global_store_dwordx2 v0, v[2:3], s[0:1]
.LBB135_333:
	s_or_b64 exec, exec, s[6:7]
.LBB135_334:
	s_or_saveexec_b64 s[0:1], s[4:5]
	s_mov_b64 s[4:5], 0
	s_xor_b64 exec, exec, s[0:1]
	s_cbranch_execnz .LBB135_337
.LBB135_335:
	s_or_b64 exec, exec, s[0:1]
	s_and_b64 s[0:1], s[4:5], exec
	s_andn2_saveexec_b64 s[2:3], s[2:3]
	s_cbranch_execz .LBB135_320
.LBB135_336:
	s_or_b64 s[0:1], s[0:1], exec
	s_trap 2
	s_or_b64 exec, exec, s[2:3]
	s_and_saveexec_b64 s[2:3], s[0:1]
	s_cbranch_execnz .LBB135_321
	s_branch .LBB135_322
.LBB135_337:
	s_mov_b64 s[4:5], exec
	s_trap 2
	s_branch .LBB135_335
	.section	.rodata,"a",@progbits
	.p2align	6, 0x0
	.amdhsa_kernel _ZN2at6native12_GLOBAL__N_112gatherMedianIN3c104HalfEmLin1EEEvNS_4cuda6detail10TensorInfoIT_T0_EENS7_IlS9_EENS7_IKS8_S9_EES9_S9_S9_b
		.amdhsa_group_segment_fixed_size 5152
		.amdhsa_private_segment_fixed_size 0
		.amdhsa_kernarg_size 1536
		.amdhsa_user_sgpr_count 6
		.amdhsa_user_sgpr_private_segment_buffer 1
		.amdhsa_user_sgpr_dispatch_ptr 0
		.amdhsa_user_sgpr_queue_ptr 0
		.amdhsa_user_sgpr_kernarg_segment_ptr 1
		.amdhsa_user_sgpr_dispatch_id 0
		.amdhsa_user_sgpr_flat_scratch_init 0
		.amdhsa_user_sgpr_private_segment_size 0
		.amdhsa_uses_dynamic_stack 0
		.amdhsa_system_sgpr_private_segment_wavefront_offset 0
		.amdhsa_system_sgpr_workgroup_id_x 1
		.amdhsa_system_sgpr_workgroup_id_y 1
		.amdhsa_system_sgpr_workgroup_id_z 1
		.amdhsa_system_sgpr_workgroup_info 0
		.amdhsa_system_vgpr_workitem_id 0
		.amdhsa_next_free_vgpr 63
		.amdhsa_next_free_sgpr 96
		.amdhsa_reserve_vcc 1
		.amdhsa_reserve_flat_scratch 0
		.amdhsa_float_round_mode_32 0
		.amdhsa_float_round_mode_16_64 0
		.amdhsa_float_denorm_mode_32 3
		.amdhsa_float_denorm_mode_16_64 3
		.amdhsa_dx10_clamp 1
		.amdhsa_ieee_mode 1
		.amdhsa_fp16_overflow 0
		.amdhsa_exception_fp_ieee_invalid_op 0
		.amdhsa_exception_fp_denorm_src 0
		.amdhsa_exception_fp_ieee_div_zero 0
		.amdhsa_exception_fp_ieee_overflow 0
		.amdhsa_exception_fp_ieee_underflow 0
		.amdhsa_exception_fp_ieee_inexact 0
		.amdhsa_exception_int_div_zero 0
	.end_amdhsa_kernel
	.section	.text._ZN2at6native12_GLOBAL__N_112gatherMedianIN3c104HalfEmLin1EEEvNS_4cuda6detail10TensorInfoIT_T0_EENS7_IlS9_EENS7_IKS8_S9_EES9_S9_S9_b,"axG",@progbits,_ZN2at6native12_GLOBAL__N_112gatherMedianIN3c104HalfEmLin1EEEvNS_4cuda6detail10TensorInfoIT_T0_EENS7_IlS9_EENS7_IKS8_S9_EES9_S9_S9_b,comdat
.Lfunc_end135:
	.size	_ZN2at6native12_GLOBAL__N_112gatherMedianIN3c104HalfEmLin1EEEvNS_4cuda6detail10TensorInfoIT_T0_EENS7_IlS9_EENS7_IKS8_S9_EES9_S9_S9_b, .Lfunc_end135-_ZN2at6native12_GLOBAL__N_112gatherMedianIN3c104HalfEmLin1EEEvNS_4cuda6detail10TensorInfoIT_T0_EENS7_IlS9_EENS7_IKS8_S9_EES9_S9_S9_b
                                        ; -- End function
	.set _ZN2at6native12_GLOBAL__N_112gatherMedianIN3c104HalfEmLin1EEEvNS_4cuda6detail10TensorInfoIT_T0_EENS7_IlS9_EENS7_IKS8_S9_EES9_S9_S9_b.num_vgpr, 63
	.set _ZN2at6native12_GLOBAL__N_112gatherMedianIN3c104HalfEmLin1EEEvNS_4cuda6detail10TensorInfoIT_T0_EENS7_IlS9_EENS7_IKS8_S9_EES9_S9_S9_b.num_agpr, 0
	.set _ZN2at6native12_GLOBAL__N_112gatherMedianIN3c104HalfEmLin1EEEvNS_4cuda6detail10TensorInfoIT_T0_EENS7_IlS9_EENS7_IKS8_S9_EES9_S9_S9_b.numbered_sgpr, 96
	.set _ZN2at6native12_GLOBAL__N_112gatherMedianIN3c104HalfEmLin1EEEvNS_4cuda6detail10TensorInfoIT_T0_EENS7_IlS9_EENS7_IKS8_S9_EES9_S9_S9_b.num_named_barrier, 0
	.set _ZN2at6native12_GLOBAL__N_112gatherMedianIN3c104HalfEmLin1EEEvNS_4cuda6detail10TensorInfoIT_T0_EENS7_IlS9_EENS7_IKS8_S9_EES9_S9_S9_b.private_seg_size, 0
	.set _ZN2at6native12_GLOBAL__N_112gatherMedianIN3c104HalfEmLin1EEEvNS_4cuda6detail10TensorInfoIT_T0_EENS7_IlS9_EENS7_IKS8_S9_EES9_S9_S9_b.uses_vcc, 1
	.set _ZN2at6native12_GLOBAL__N_112gatherMedianIN3c104HalfEmLin1EEEvNS_4cuda6detail10TensorInfoIT_T0_EENS7_IlS9_EENS7_IKS8_S9_EES9_S9_S9_b.uses_flat_scratch, 0
	.set _ZN2at6native12_GLOBAL__N_112gatherMedianIN3c104HalfEmLin1EEEvNS_4cuda6detail10TensorInfoIT_T0_EENS7_IlS9_EENS7_IKS8_S9_EES9_S9_S9_b.has_dyn_sized_stack, 0
	.set _ZN2at6native12_GLOBAL__N_112gatherMedianIN3c104HalfEmLin1EEEvNS_4cuda6detail10TensorInfoIT_T0_EENS7_IlS9_EENS7_IKS8_S9_EES9_S9_S9_b.has_recursion, 0
	.set _ZN2at6native12_GLOBAL__N_112gatherMedianIN3c104HalfEmLin1EEEvNS_4cuda6detail10TensorInfoIT_T0_EENS7_IlS9_EENS7_IKS8_S9_EES9_S9_S9_b.has_indirect_call, 0
	.section	.AMDGPU.csdata,"",@progbits
; Kernel info:
; codeLenInByte = 18292
; TotalNumSgprs: 100
; NumVgprs: 63
; ScratchSize: 0
; MemoryBound: 0
; FloatMode: 240
; IeeeMode: 1
; LDSByteSize: 5152 bytes/workgroup (compile time only)
; SGPRBlocks: 12
; VGPRBlocks: 15
; NumSGPRsForWavesPerEU: 100
; NumVGPRsForWavesPerEU: 63
; Occupancy: 4
; WaveLimiterHint : 1
; COMPUTE_PGM_RSRC2:SCRATCH_EN: 0
; COMPUTE_PGM_RSRC2:USER_SGPR: 6
; COMPUTE_PGM_RSRC2:TRAP_HANDLER: 0
; COMPUTE_PGM_RSRC2:TGID_X_EN: 1
; COMPUTE_PGM_RSRC2:TGID_Y_EN: 1
; COMPUTE_PGM_RSRC2:TGID_Z_EN: 1
; COMPUTE_PGM_RSRC2:TIDIG_COMP_CNT: 0
	.section	.text._ZN2at6native12_GLOBAL__N_112gatherMedianIN3c108BFloat16EjLi1EEEvNS_4cuda6detail10TensorInfoIT_T0_EENS7_IlS9_EENS7_IKS8_S9_EES9_S9_S9_b,"axG",@progbits,_ZN2at6native12_GLOBAL__N_112gatherMedianIN3c108BFloat16EjLi1EEEvNS_4cuda6detail10TensorInfoIT_T0_EENS7_IlS9_EENS7_IKS8_S9_EES9_S9_S9_b,comdat
	.globl	_ZN2at6native12_GLOBAL__N_112gatherMedianIN3c108BFloat16EjLi1EEEvNS_4cuda6detail10TensorInfoIT_T0_EENS7_IlS9_EENS7_IKS8_S9_EES9_S9_S9_b ; -- Begin function _ZN2at6native12_GLOBAL__N_112gatherMedianIN3c108BFloat16EjLi1EEEvNS_4cuda6detail10TensorInfoIT_T0_EENS7_IlS9_EENS7_IKS8_S9_EES9_S9_S9_b
	.p2align	8
	.type	_ZN2at6native12_GLOBAL__N_112gatherMedianIN3c108BFloat16EjLi1EEEvNS_4cuda6detail10TensorInfoIT_T0_EENS7_IlS9_EENS7_IKS8_S9_EES9_S9_S9_b,@function
_ZN2at6native12_GLOBAL__N_112gatherMedianIN3c108BFloat16EjLi1EEEvNS_4cuda6detail10TensorInfoIT_T0_EENS7_IlS9_EENS7_IKS8_S9_EES9_S9_S9_b: ; @_ZN2at6native12_GLOBAL__N_112gatherMedianIN3c108BFloat16EjLi1EEEvNS_4cuda6detail10TensorInfoIT_T0_EENS7_IlS9_EENS7_IKS8_S9_EES9_S9_S9_b
; %bb.0:
	s_load_dwordx2 s[12:13], s[4:5], 0x298
	s_load_dwordx4 s[36:39], s[4:5], 0x288
	s_add_u32 s10, s4, 0x298
	s_addc_u32 s11, s5, 0
	s_waitcnt lgkmcnt(0)
	s_mul_i32 s0, s13, s8
	s_add_i32 s0, s0, s7
	s_mul_i32 s0, s0, s12
	s_add_i32 s7, s0, s6
	s_cmp_ge_u32 s7, s37
	s_cbranch_scc1 .LBB136_260
; %bb.1:
	s_load_dword s2, s[4:5], 0x21c
	s_load_dwordx2 s[0:1], s[4:5], 0x1b0
	s_load_dwordx2 s[8:9], s[4:5], 0xd8
                                        ; implicit-def: $vgpr53 : SGPR spill to VGPR lane
	s_mov_b32 s3, 0
	v_mov_b32_e32 v3, 0
	s_waitcnt lgkmcnt(0)
	s_mul_i32 s2, s2, s7
	s_lshl_b64 s[2:3], s[2:3], 1
	v_writelane_b32 v53, s8, 0
	v_writelane_b32 v53, s9, 1
	s_load_dwordx2 s[8:9], s[4:5], 0x0
	s_add_u32 s37, s0, s2
	s_addc_u32 s13, s1, s3
	v_cmp_gt_u32_e64 s[0:1], s36, v0
	s_waitcnt lgkmcnt(0)
	v_writelane_b32 v53, s8, 2
	v_writelane_b32 v53, s9, 3
	s_mov_b64 s[2:3], exec
	v_writelane_b32 v53, s0, 4
	v_writelane_b32 v53, s1, 5
	s_and_b64 s[0:1], s[2:3], s[0:1]
	s_mov_b64 exec, s[0:1]
	s_cbranch_execz .LBB136_5
; %bb.2:
	s_load_dword s0, s[10:11], 0xc
	v_mul_lo_u32 v1, v0, s38
	v_mov_b32_e32 v2, 0
	s_mov_b64 s[8:9], 0
	v_mov_b32_e32 v4, s13
	s_waitcnt lgkmcnt(0)
	s_and_b32 s0, s0, 0xffff
	s_mul_i32 s1, s38, s0
	v_mov_b32_e32 v3, v2
	v_mov_b32_e32 v5, v0
.LBB136_3:                              ; =>This Inner Loop Header: Depth=1
	v_lshlrev_b64 v[6:7], 1, v[1:2]
	v_add_u32_e32 v5, s0, v5
	v_add_co_u32_e32 v6, vcc, s37, v6
	v_addc_co_u32_e32 v7, vcc, v4, v7, vcc
	global_load_ushort v6, v[6:7], off
	v_cmp_le_u32_e32 vcc, s36, v5
	s_or_b64 s[8:9], vcc, s[8:9]
	v_add_u32_e32 v1, s1, v1
	s_waitcnt vmcnt(0)
	v_lshlrev_b32_e32 v6, 16, v6
	v_cmp_u_f32_e32 vcc, v6, v6
	v_addc_co_u32_e32 v3, vcc, 0, v3, vcc
	s_andn2_b64 exec, exec, s[8:9]
	s_cbranch_execnz .LBB136_3
; %bb.4:
	s_or_b64 exec, exec, s[8:9]
.LBB136_5:
	s_or_b64 exec, exec, s[2:3]
	s_load_dword s0, s[4:5], 0x144
	v_cmp_eq_u32_e64 s[2:3], 0, v0
                                        ; kill: killed $sgpr4 killed $sgpr5
	s_waitcnt lgkmcnt(0)
	v_writelane_b32 v53, s0, 6
	s_load_dword s0, s[4:5], 0x6c
	s_waitcnt lgkmcnt(0)
	v_writelane_b32 v53, s0, 7
	s_and_saveexec_b64 s[4:5], s[2:3]
; %bb.6:
	v_mov_b32_e32 v1, 0
	v_mov_b32_e32 v2, v1
	ds_write_b64 v1, v[1:2] offset:4096
; %bb.7:
	v_writelane_b32 v53, s7, 8
	s_or_b64 exec, exec, s[4:5]
	v_cmp_ne_u32_e32 vcc, 0, v3
	s_waitcnt lgkmcnt(0)
	s_barrier
	s_and_saveexec_b64 s[4:5], vcc
	s_cbranch_execz .LBB136_12
; %bb.8:
	s_mov_b64 s[14:15], exec
	v_mov_b32_e32 v1, 0
	s_mov_b64 s[8:9], 0
.LBB136_9:                              ; =>This Inner Loop Header: Depth=1
	s_ff1_i32_b64 s0, s[14:15]
	v_readlane_b32 s7, v3, s0
	v_readlane_b32 s1, v1, s0
	s_add_u32 s8, s8, s7
	s_addc_u32 s9, s9, s1
	s_lshl_b64 s[0:1], 1, s0
	s_andn2_b64 s[14:15], s[14:15], s[0:1]
	s_cmp_lg_u64 s[14:15], 0
	s_cbranch_scc1 .LBB136_9
; %bb.10:
	v_mbcnt_lo_u32_b32 v1, exec_lo, 0
	v_mbcnt_hi_u32_b32 v1, exec_hi, v1
	v_cmp_eq_u32_e32 vcc, 0, v1
	s_and_saveexec_b64 s[0:1], vcc
	s_xor_b64 s[0:1], exec, s[0:1]
; %bb.11:
	v_mov_b32_e32 v1, s8
	v_mov_b32_e32 v3, 0
	;; [unrolled: 1-line block ×3, first 2 shown]
	ds_add_u64 v3, v[1:2] offset:4096
.LBB136_12:
	s_or_b64 exec, exec, s[4:5]
	v_mov_b32_e32 v1, 0
	s_waitcnt lgkmcnt(0)
	s_barrier
	ds_read_b64 v[1:2], v1 offset:4096
	s_bitcmp1_b32 s39, 0
	s_cselect_b64 s[8:9], -1, 0
	s_mov_b32 s7, s36
	s_waitcnt lgkmcnt(0)
	v_readfirstlane_b32 s4, v1
	v_readfirstlane_b32 s5, v2
	v_cmp_lt_i64_e64 s[0:1], s[4:5], 1
	s_or_b64 s[0:1], s[8:9], s[0:1]
	s_andn2_b64 vcc, exec, s[0:1]
	s_cbranch_vccnz .LBB136_14
; %bb.13:
	s_not_b64 s[0:1], s[4:5]
	s_add_u32 s0, s0, s36
	s_addc_u32 s1, s1, 0
	s_lshr_b32 s4, s1, 31
	s_add_u32 s0, s0, s4
	s_addc_u32 s1, s1, 0
	s_lshr_b64 s[0:1], s[0:1], 1
	s_add_i32 s7, s0, 1
.LBB136_14:
	s_and_saveexec_b64 s[4:5], s[2:3]
	s_cbranch_execz .LBB136_16
; %bb.15:
	v_mov_b32_e32 v1, 0
	v_mov_b32_e32 v2, s36
	ds_write_b32 v1, v1 offset:4112
	ds_write_b64 v1, v[1:2] offset:4104
.LBB136_16:
	s_or_b64 exec, exec, s[4:5]
	s_waitcnt lgkmcnt(0)
	s_barrier
	s_load_dword s0, s[10:11], 0xc
	v_mul_lo_u32 v5, s38, v0
	v_mov_b32_e32 v7, 0
	v_mbcnt_lo_u32_b32 v1, -1, 0
	v_mov_b32_e32 v6, v7
	s_waitcnt lgkmcnt(0)
	s_and_b32 s39, s0, 0xffff
	v_mbcnt_hi_u32_b32 v21, -1, v1
	v_lshlrev_b64 v[1:2], 1, v[5:6]
	v_cmp_gt_u32_e32 vcc, 64, v0
	v_cmp_gt_i32_e64 s[8:9], 4, v21
	s_add_i32 s15, s39, -1
	s_lshl_b32 s14, s39, 2
	s_bfe_u32 s0, s0, 0xa0006
	s_and_b64 s[42:43], vcc, s[8:9]
	s_add_i32 s1, s15, s36
	v_mov_b32_e32 v3, s13
	v_add_co_u32_e32 v8, vcc, s37, v1
	s_cmpk_gt_u32 s36, 0x600
	v_addc_co_u32_e32 v9, vcc, v3, v2, vcc
	v_lshlrev_b64 v[2:3], v21, -1
	s_cselect_b64 s[44:45], -1, 0
	s_cmp_gt_u32 s39, 63
	s_cselect_b64 s[46:47], -1, 0
	v_not_b32_e32 v26, v2
	v_lshrrev_b32_e32 v2, 2, v0
	s_cmp_lt_u32 s6, s12
	v_and_b32_e32 v2, 0xf0, v2
	s_cselect_b32 s6, 12, 18
	v_or_b32_e32 v27, 0xc00, v2
	s_add_u32 s8, s10, s6
	v_add_u32_e32 v2, 2, v0
	s_addc_u32 s9, s11, 0
	v_max_u32_e32 v2, s36, v2
	v_writelane_b32 v53, s8, 9
	v_xad_u32 v2, v0, -1, v2
	v_not_b32_e32 v25, v3
	v_writelane_b32 v53, s9, 10
	v_add_u32_e32 v3, -2, v2
	v_cmp_lt_u32_e64 s[8:9], 31, v2
	v_lshrrev_b32_e32 v4, 1, v3
	v_writelane_b32 v53, s8, 11
	v_add_u32_e32 v4, 1, v4
	v_writelane_b32 v53, s9, 12
	v_cmp_lt_u32_e64 s[8:9], 13, v3
	v_and_b32_e32 v12, 7, v4
	v_writelane_b32 v53, s8, 13
	v_writelane_b32 v53, s9, 14
	v_cmp_ne_u32_e64 s[8:9], 0, v12
	v_and_b32_e32 v28, -2, v2
	v_writelane_b32 v53, s8, 15
	v_writelane_b32 v53, s9, 16
	v_cmp_ne_u32_e64 s[8:9], v2, v28
	v_cvt_f32_u32_e32 v2, s14
	v_writelane_b32 v53, s8, 17
	s_add_i32 s6, s0, -1
	v_writelane_b32 v53, s9, 18
	v_rcp_iflag_f32_e32 v2, v2
	s_bfe_u32 s9, s39, 0x30006
	s_and_b32 s6, s6, 0xffff
	s_cmp_gt_u32 s6, 6
	v_mul_f32_e32 v2, 0x4f7ffffe, v2
	v_cvt_u32_f32_e32 v2, v2
	s_cselect_b64 s[10:11], -1, 0
	s_and_b32 s8, s0, 0x3f8
	v_writelane_b32 v53, s10, 19
	s_cmp_lg_u32 s9, 0
	v_readfirstlane_b32 s6, v2
	v_cvt_f32_u32_e32 v2, s39
	v_writelane_b32 v53, s11, 20
	s_cselect_b64 s[10:11], -1, 0
	s_sub_i32 s0, 0, s14
	s_mul_i32 s0, s0, s6
	s_mul_hi_u32 s0, s6, s0
	v_and_b32_e32 v30, -8, v4
	v_writelane_b32 v53, s9, 21
	s_add_i32 s9, s6, s0
	v_rcp_iflag_f32_e32 v4, v2
	s_mul_hi_u32 s0, s36, s9
	s_mul_i32 s0, s0, s14
	s_sub_i32 s0, s36, s0
	s_sub_i32 s6, s0, s14
	v_mul_f32_e32 v4, 0x4f7ffffe, v4
	s_cmp_ge_u32 s0, s14
	v_cvt_u32_f32_e32 v4, v4
	s_cselect_b32 s0, s6, s0
	s_sub_i32 s6, s0, s14
	v_writelane_b32 v53, s10, 22
	s_cmp_ge_u32 s0, s14
	v_writelane_b32 v53, s11, 23
	s_cselect_b32 s6, s6, s0
	s_sub_i32 s0, 0, s39
	v_readfirstlane_b32 s10, v4
	s_mul_i32 s0, s0, s10
	s_mul_hi_u32 s0, s10, s0
	s_sub_i32 s41, s36, s6
	s_add_i32 s0, s10, s0
	v_add_u32_e32 v31, s41, v0
	s_mul_hi_u32 s10, s1, s0
	v_mul_lo_u32 v6, v31, s38
	s_mul_i32 s10, s10, s39
	s_sub_i32 s10, s1, s10
	s_sub_i32 s11, s10, s39
	s_cmp_ge_u32 s10, s39
	v_lshlrev_b64 v[2:3], 1, v[6:7]
	s_cselect_b32 s10, s11, s10
	v_lshlrev_b32_e32 v20, 2, v0
	s_sub_i32 s11, s10, s39
	v_add_co_u32_e32 v10, vcc, s37, v2
	s_cmp_ge_u32 s10, s39
	v_mul_lo_u32 v2, s38, v20
	s_cselect_b32 s10, s11, s10
	s_sub_i32 s1, s1, s10
	v_cmp_gt_u32_e64 s[10:11], s1, v0
	v_writelane_b32 v53, s10, 24
	v_add_u32_e32 v33, s38, v2
	v_or_b32_e32 v2, 2, v20
	v_writelane_b32 v53, s11, 25
	v_mul_lo_u32 v34, s38, v2
	v_or_b32_e32 v2, 3, v20
	s_add_i32 s10, s39, s36
	v_mul_lo_u32 v35, s38, v2
	v_add_u32_e32 v2, s10, v0
	v_subrev_u32_e32 v2, s6, v2
	v_mul_lo_u32 v37, s38, v2
	v_lshlrev_b32_e32 v22, 1, v0
	v_lshlrev_b32_e32 v1, 2, v21
	v_mov_b32_e32 v6, s13
	s_mul_i32 s40, s38, s39
	s_mov_b32 s33, 0
	v_cmp_eq_u32_e64 s[4:5], 0, v21
	v_cmp_gt_u32_e64 s[24:25], 2, v0
	v_add_u32_e32 v23, 0xc00, v22
	v_and_b32_e32 v24, 0x100, v1
	v_add_u32_e32 v29, v0, v28
	s_mov_b32 s12, s38
	v_cmp_gt_u32_e64 s[16:17], s41, v20
	v_cmp_gt_u32_e64 s[18:19], s36, v31
	v_addc_co_u32_e32 v11, vcc, v6, v3, vcc
	v_lshlrev_b32_e32 v32, 2, v12
	s_lshl_b32 s48, s40, 2
	v_lshlrev_b32_e32 v36, 2, v5
	s_lshl_b32 s49, s39, 3
	s_lshl_b32 s50, s39, 1
	v_or_b32_e32 v39, 0xc00, v1
	s_mov_b64 s[54:55], 0
	s_mov_b32 s51, 0x5040100
	s_movk_i32 s52, 0x3f80
	v_lshlrev_b32_e32 v40, 3, v0
	v_mov_b32_e32 v45, 14
	v_mov_b32_e32 v48, s7
	;; [unrolled: 1-line block ×4, first 2 shown]
	v_mov_b32_e32 v43, -1
	v_mov_b32_e32 v44, 0x5040100
	v_mov_b32_e32 v47, 0
	;; [unrolled: 1-line block ×4, first 2 shown]
                                        ; implicit-def: $sgpr56_sgpr57
                                        ; implicit-def: $sgpr60_sgpr61
                                        ; implicit-def: $sgpr58_sgpr59
                                        ; implicit-def: $sgpr64_sgpr65
                                        ; implicit-def: $sgpr66_sgpr67
                                        ; implicit-def: $sgpr62_sgpr63
	s_branch .LBB136_20
.LBB136_17:                             ;   in Loop: Header=BB136_20 Depth=1
	s_or_b64 exec, exec, s[10:11]
	s_and_b64 s[70:71], s[34:35], exec
	s_andn2_b64 s[30:31], s[30:31], exec
	s_andn2_b64 s[28:29], s[28:29], exec
	s_orn2_b64 s[22:23], s[22:23], exec
.LBB136_18:                             ;   in Loop: Header=BB136_20 Depth=1
	s_or_b64 exec, exec, s[26:27]
	s_andn2_b64 s[10:11], s[62:63], exec
	s_and_b64 s[26:27], s[70:71], exec
	s_or_b64 s[62:63], s[10:11], s[26:27]
	s_andn2_b64 s[10:11], s[66:67], exec
	s_and_b64 s[26:27], s[30:31], exec
	s_or_b64 s[66:67], s[10:11], s[26:27]
	;; [unrolled: 3-line block ×3, first 2 shown]
	s_orn2_b64 s[22:23], s[22:23], exec
.LBB136_19:                             ;   in Loop: Header=BB136_20 Depth=1
	s_or_b64 exec, exec, s[6:7]
	s_and_b64 s[6:7], exec, s[22:23]
	s_or_b64 s[54:55], s[6:7], s[54:55]
	s_andn2_b64 s[6:7], s[58:59], exec
	s_and_b64 s[10:11], s[62:63], exec
	s_or_b64 s[58:59], s[6:7], s[10:11]
	s_andn2_b64 s[6:7], s[60:61], exec
	s_and_b64 s[10:11], s[66:67], exec
	;; [unrolled: 3-line block ×3, first 2 shown]
	s_or_b64 s[56:57], s[6:7], s[10:11]
	s_mov_b32 s33, s20
	v_mov_b32_e32 v48, v4
	s_andn2_b64 exec, exec, s[54:55]
	s_cbranch_execz .LBB136_256
.LBB136_20:                             ; =>This Loop Header: Depth=1
                                        ;     Child Loop BB136_25 Depth 2
                                        ;     Child Loop BB136_46 Depth 2
	;; [unrolled: 1-line block ×18, first 2 shown]
	ds_read_b64 v[1:2], v7 offset:4104
	s_waitcnt lgkmcnt(0)
	v_readfirstlane_b32 s10, v1
	s_cmp_lg_u32 s10, 0
	s_cbranch_scc1 .LBB136_65
; %bb.21:                               ;   in Loop: Header=BB136_20 Depth=1
	s_and_b64 vcc, exec, s[44:45]
	s_cbranch_vccz .LBB136_33
; %bb.22:                               ;   in Loop: Header=BB136_20 Depth=1
	s_movk_i32 s6, 0x601
	v_cmp_gt_u32_e32 vcc, s6, v2
	s_mov_b64 s[26:27], 0
	s_mov_b64 s[6:7], 0
	s_cbranch_vccz .LBB136_34
; %bb.23:                               ;   in Loop: Header=BB136_20 Depth=1
	v_readlane_b32 s6, v53, 9
	v_readlane_b32 s7, v53, 10
	s_nop 4
	global_load_ushort v1, v7, s[6:7]
	global_load_ushort v4, v[8:9], off
	s_mov_b64 s[28:29], 0
	v_mov_b32_e32 v3, v0
	s_waitcnt vmcnt(1)
	v_add_u32_e32 v2, v0, v1
	v_mul_lo_u32 v6, s38, v2
	v_mul_lo_u32 v2, s38, v1
	s_branch .LBB136_25
.LBB136_24:                             ;   in Loop: Header=BB136_25 Depth=2
	s_or_b64 exec, exec, s[6:7]
	v_add_u32_e32 v6, v6, v2
	v_mov_b32_e32 v4, v12
	s_andn2_b64 exec, exec, s[28:29]
	s_cbranch_execz .LBB136_40
.LBB136_25:                             ;   Parent Loop BB136_20 Depth=1
                                        ; =>  This Inner Loop Header: Depth=2
	v_add_u32_e32 v3, v3, v1
	v_cmp_gt_u32_e64 s[6:7], s36, v3
	v_cmp_le_u32_e32 vcc, s36, v3
	s_waitcnt lgkmcnt(0)
	v_mov_b32_e32 v13, 0
	v_mov_b32_e32 v12, 0
	s_and_saveexec_b64 s[22:23], s[6:7]
	s_cbranch_execz .LBB136_27
; %bb.26:                               ;   in Loop: Header=BB136_25 Depth=2
	v_lshlrev_b64 v[14:15], 1, v[6:7]
	v_mov_b32_e32 v12, s13
	v_add_co_u32_e64 v14, s[6:7], s37, v14
	v_addc_co_u32_e64 v15, s[6:7], v12, v15, s[6:7]
	global_load_ushort v12, v[14:15], off
.LBB136_27:                             ;   in Loop: Header=BB136_25 Depth=2
	s_or_b64 exec, exec, s[22:23]
	s_waitcnt vmcnt(0)
	v_cmp_lt_i16_e64 s[6:7], -1, v4
	v_cndmask_b32_e64 v14, v41, v42, s[6:7]
	v_lshlrev_b32_e32 v15, 16, v4
	v_xor_b32_sdwa v14, v14, v4 dst_sel:DWORD dst_unused:UNUSED_PAD src0_sel:DWORD src1_sel:WORD_0
	v_cmp_o_f32_e64 s[6:7], v15, v15
	v_cndmask_b32_e64 v14, v41, v14, s[6:7]
	v_and_b32_e32 v14, v14, v46
	v_cmp_eq_u32_e64 s[22:23], v14, v38
	s_cmp_lg_u64 s[22:23], 0
	s_cselect_b64 s[6:7], -1, 0
	s_and_b64 s[6:7], s[4:5], s[6:7]
	s_and_saveexec_b64 s[30:31], s[6:7]
	s_cbranch_execz .LBB136_31
; %bb.28:                               ;   in Loop: Header=BB136_25 Depth=2
	s_mov_b64 s[34:35], exec
	v_mbcnt_lo_u32_b32 v13, s34, 0
	v_mbcnt_hi_u32_b32 v13, s35, v13
	s_bcnt1_i32_b64 s20, s[22:23]
	v_cmp_eq_u32_e64 s[6:7], 0, v13
                                        ; implicit-def: $vgpr14
	s_and_saveexec_b64 s[10:11], s[6:7]
; %bb.29:                               ;   in Loop: Header=BB136_25 Depth=2
	s_bcnt1_i32_b64 s6, s[34:35]
	s_mul_i32 s6, s20, s6
	v_mov_b32_e32 v14, s6
	ds_add_rtn_u32 v14, v7, v14 offset:4112
; %bb.30:                               ;   in Loop: Header=BB136_25 Depth=2
	s_or_b64 exec, exec, s[10:11]
	s_waitcnt lgkmcnt(0)
	v_readfirstlane_b32 s6, v14
	v_mov_b32_e32 v14, s6
	v_mad_u32_u24 v13, s20, v13, v14
.LBB136_31:                             ;   in Loop: Header=BB136_25 Depth=2
	s_or_b64 exec, exec, s[30:31]
	ds_bpermute_b32 v13, v24, v13
	s_and_b64 s[6:7], exec, vcc
	s_or_b64 s[28:29], s[6:7], s[28:29]
	s_and_saveexec_b64 s[6:7], s[22:23]
	s_cbranch_execz .LBB136_24
; %bb.32:                               ;   in Loop: Header=BB136_25 Depth=2
	v_and_b32_e32 v15, s22, v26
	v_and_b32_e32 v14, s23, v25
	v_bcnt_u32_b32 v15, v15, 0
	v_bcnt_u32_b32 v14, v14, v15
	v_lshlrev_b32_e32 v14, 1, v14
	s_waitcnt lgkmcnt(0)
	v_lshl_add_u32 v13, v13, 1, v14
	ds_write_b16 v13, v4
	s_branch .LBB136_24
.LBB136_33:                             ;   in Loop: Header=BB136_20 Depth=1
	s_mov_b64 s[26:27], -1
	s_mov_b64 s[6:7], 0
.LBB136_34:                             ;   in Loop: Header=BB136_20 Depth=1
	s_and_b64 vcc, exec, s[26:27]
	s_cbranch_vccz .LBB136_63
.LBB136_35:                             ;   in Loop: Header=BB136_20 Depth=1
	s_mov_b64 s[22:23], exec
	v_readlane_b32 s6, v53, 4
	v_readlane_b32 s7, v53, 5
	s_and_b64 s[6:7], s[22:23], s[6:7]
	s_mov_b64 exec, s[6:7]
	s_cbranch_execz .LBB136_60
; %bb.36:                               ;   in Loop: Header=BB136_20 Depth=1
	v_readlane_b32 s6, v53, 9
	v_readlane_b32 s7, v53, 10
	s_nop 4
	global_load_ushort v1, v7, s[6:7]
	global_load_ushort v16, v[8:9], off
	s_waitcnt vmcnt(1)
	v_add_u32_e32 v12, v0, v1
	v_readfirstlane_b32 s10, v1
	v_cmp_gt_u32_e32 vcc, s36, v12
	v_mov_b32_e32 v1, v0
	s_and_saveexec_b64 s[26:27], vcc
	s_cbranch_execz .LBB136_59
; %bb.37:                               ;   in Loop: Header=BB136_20 Depth=1
	v_readlane_b32 s28, v53, 11
	s_mov_b64 s[6:7], 0
	s_mul_i32 s11, s38, s10
	v_readlane_b32 s29, v53, 12
                                        ; implicit-def: $vgpr1
                                        ; implicit-def: $vgpr2
                                        ; implicit-def: $vgpr3
	s_and_saveexec_b64 s[20:21], s[28:29]
	s_xor_b64 s[28:29], exec, s[20:21]
	s_cbranch_execnz .LBB136_43
; %bb.38:                               ;   in Loop: Header=BB136_20 Depth=1
	s_andn2_saveexec_b64 s[28:29], s[28:29]
	s_cbranch_execnz .LBB136_54
.LBB136_39:                             ;   in Loop: Header=BB136_20 Depth=1
	s_or_b64 exec, exec, s[28:29]
	s_and_saveexec_b64 s[28:29], s[6:7]
	s_cbranch_execnz .LBB136_55
	s_branch .LBB136_58
.LBB136_40:                             ;   in Loop: Header=BB136_20 Depth=1
	s_or_b64 exec, exec, s[28:29]
	s_waitcnt lgkmcnt(0)
	s_barrier
	s_and_saveexec_b64 s[6:7], s[2:3]
	s_cbranch_execz .LBB136_42
; %bb.41:                               ;   in Loop: Header=BB136_20 Depth=1
	ds_read_b32 v1, v7 offset:4112
	s_waitcnt lgkmcnt(0)
	ds_write_b32 v7, v1 offset:4104
.LBB136_42:                             ;   in Loop: Header=BB136_20 Depth=1
	s_or_b64 exec, exec, s[6:7]
	s_waitcnt lgkmcnt(0)
	s_barrier
	s_mov_b64 s[6:7], -1
	s_and_b64 vcc, exec, s[26:27]
	s_cbranch_vccnz .LBB136_35
	s_branch .LBB136_63
.LBB136_43:                             ;   in Loop: Header=BB136_20 Depth=1
	v_cvt_f32_u32_e32 v1, s10
	s_sub_i32 s7, 0, s10
	v_add_u32_e32 v3, s10, v12
	v_max_u32_e32 v3, s36, v3
	v_rcp_iflag_f32_e32 v1, v1
	s_lshl_b32 s6, s10, 1
	v_sub_u32_e32 v3, v3, v0
	v_cmp_ne_u32_e32 vcc, s6, v3
	v_mul_f32_e32 v1, 0x4f7ffffe, v1
	v_cvt_u32_f32_e32 v1, v1
	v_cndmask_b32_e64 v4, 0, 1, vcc
	v_or_b32_e32 v4, s6, v4
	v_sub_u32_e32 v3, v3, v4
	v_mul_lo_u32 v2, s7, v1
	s_not_b32 s6, s11
	s_ashr_i32 s30, s6, 31
	s_abs_i32 s20, s11
	v_mul_hi_u32 v2, v1, v2
	s_cmp_eq_u32 s10, 1
	v_add_u32_e32 v1, v1, v2
	v_mul_hi_u32 v1, v3, v1
	v_mul_lo_u32 v2, s38, v12
	v_mul_lo_u32 v4, v1, s10
	v_add_u32_e32 v6, 1, v1
	v_xor_b32_e32 v2, s30, v2
	s_mov_b64 s[30:31], -1
	v_sub_u32_e32 v3, v3, v4
	v_cmp_le_u32_e64 s[6:7], s10, v3
	v_subrev_u32_e32 v4, s10, v3
	v_cndmask_b32_e64 v1, v1, v6, s[6:7]
	v_cndmask_b32_e64 v3, v3, v4, s[6:7]
	v_add_u32_e32 v4, 1, v1
	v_cmp_le_u32_e64 s[6:7], s10, v3
	v_cndmask_b32_e64 v1, v1, v4, s[6:7]
	v_addc_co_u32_e32 v1, vcc, 0, v1, vcc
	v_mul_hi_u32 v3, s20, v1
	v_mul_lo_u32 v1, s20, v1
	s_cselect_b64 s[20:21], -1, 0
	v_cmp_eq_u32_e32 vcc, 0, v3
	v_cmp_le_u32_e64 s[6:7], v1, v2
	s_and_b64 s[20:21], vcc, s[20:21]
	s_and_b64 s[20:21], s[20:21], s[6:7]
	v_mov_b32_e32 v2, v0
                                        ; implicit-def: $vgpr1
	s_and_saveexec_b64 s[6:7], s[20:21]
	s_cbranch_execz .LBB136_53
; %bb.44:                               ;   in Loop: Header=BB136_20 Depth=1
	v_add_u32_e32 v13, 1, v12
	v_mov_b32_e32 v15, v13
	s_waitcnt vmcnt(0)
	v_lshlrev_b32_e32 v17, 16, v16
	v_mov_b32_e32 v1, 0
	v_mov_b32_e32 v14, v12
                                        ; implicit-def: $vgpr16
	s_mov_b64 s[30:31], exec
	v_readlane_b32 s20, v53, 13
	v_readlane_b32 s21, v53, 14
	s_and_b64 s[20:21], s[30:31], s[20:21]
	s_mov_b64 exec, s[20:21]
	s_cbranch_execz .LBB136_48
; %bb.45:                               ;   in Loop: Header=BB136_20 Depth=1
	v_mov_b32_e32 v15, v13
	s_mov_b32 s34, 0
	s_mov_b64 s[68:69], 0
	v_mov_b32_e32 v49, v30
	v_mov_b32_e32 v50, v22
	;; [unrolled: 1-line block ×3, first 2 shown]
.LBB136_46:                             ;   Parent Loop BB136_20 Depth=1
                                        ; =>  This Inner Loop Header: Depth=2
	v_mul_lo_u32 v6, v14, s38
	v_mul_lo_u32 v1, v15, s12
	v_mov_b32_e32 v13, s13
	v_add_u32_e32 v49, -8, v49
	v_lshlrev_b64 v[2:3], 1, v[6:7]
	s_add_i32 s34, s34, 16
	v_add_co_u32_e32 v18, vcc, s37, v2
	v_mov_b32_e32 v2, v7
	v_lshlrev_b64 v[1:2], 1, v[1:2]
	v_addc_co_u32_e32 v19, vcc, v13, v3, vcc
	v_add_co_u32_e32 v1, vcc, s37, v1
	v_addc_co_u32_e32 v2, vcc, v13, v2, vcc
	global_load_ushort v3, v[18:19], off
	s_nop 0
	global_load_ushort v18, v[1:2], off
	v_add_u32_e32 v2, 2, v15
	v_mul_lo_u32 v2, v2, s12
	s_waitcnt vmcnt(1)
	v_alignbit_b32 v1, v3, v17, 16
	v_add_u32_e32 v3, 2, v14
	v_mul_lo_u32 v6, v3, s38
	v_lshlrev_b64 v[3:4], 1, v[6:7]
	v_add_co_u32_e32 v16, vcc, s37, v3
	v_mov_b32_e32 v3, v7
	v_lshlrev_b64 v[2:3], 1, v[2:3]
	v_addc_co_u32_e32 v17, vcc, v13, v4, vcc
	v_add_co_u32_e32 v2, vcc, s37, v2
	v_addc_co_u32_e32 v3, vcc, v13, v3, vcc
	global_load_ushort v4, v[16:17], off
	global_load_ushort v19, v[2:3], off
	v_add_u32_e32 v3, 4, v15
	v_mul_lo_u32 v3, v3, s12
	s_waitcnt vmcnt(1)
	v_perm_b32 v2, v4, v18, s51
	v_add_u32_e32 v4, 4, v14
	v_mul_lo_u32 v6, v4, s38
	v_mov_b32_e32 v4, v7
	v_lshlrev_b64 v[3:4], 1, v[3:4]
	v_lshlrev_b64 v[16:17], 1, v[6:7]
	v_add_co_u32_e32 v16, vcc, s37, v16
	v_addc_co_u32_e32 v17, vcc, v13, v17, vcc
	v_add_co_u32_e32 v3, vcc, s37, v3
	v_addc_co_u32_e32 v4, vcc, v13, v4, vcc
	global_load_ushort v6, v[16:17], off
	s_nop 0
	global_load_ushort v4, v[3:4], off
	v_add_u32_e32 v16, 6, v15
	v_mul_lo_u32 v16, v16, s12
	s_waitcnt vmcnt(1)
	v_perm_b32 v3, v6, v19, s51
	v_add_u32_e32 v6, 6, v14
	v_mul_lo_u32 v6, v6, s38
	v_lshlrev_b64 v[17:18], 1, v[6:7]
	v_add_co_u32_e32 v51, vcc, s37, v17
	v_mov_b32_e32 v17, v7
	v_lshlrev_b64 v[16:17], 1, v[16:17]
	v_addc_co_u32_e32 v52, vcc, v13, v18, vcc
	v_add_co_u32_e32 v16, vcc, s37, v16
	v_addc_co_u32_e32 v17, vcc, v13, v17, vcc
	global_load_ushort v6, v[51:52], off
	global_load_ushort v18, v[16:17], off
	s_waitcnt vmcnt(1)
	v_perm_b32 v4, v6, v4, s51
	ds_write_b128 v50, v[1:4]
	v_add_u32_e32 v2, 8, v14
	v_mul_lo_u32 v6, v2, s38
	v_add_u32_e32 v1, 8, v15
	v_mul_lo_u32 v1, v1, s12
	v_lshlrev_b64 v[2:3], 1, v[6:7]
	v_add_co_u32_e32 v16, vcc, s37, v2
	v_mov_b32_e32 v2, v7
	v_lshlrev_b64 v[1:2], 1, v[1:2]
	v_addc_co_u32_e32 v17, vcc, v13, v3, vcc
	v_add_co_u32_e32 v1, vcc, s37, v1
	v_addc_co_u32_e32 v2, vcc, v13, v2, vcc
	global_load_ushort v3, v[16:17], off
	global_load_ushort v19, v[1:2], off
	v_add_u32_e32 v2, 10, v15
	v_mul_lo_u32 v2, v2, s12
	s_waitcnt vmcnt(1)
	v_perm_b32 v1, v3, v18, s51
	v_add_u32_e32 v3, 10, v14
	v_mul_lo_u32 v6, v3, s38
	v_lshlrev_b64 v[3:4], 1, v[6:7]
	v_add_co_u32_e32 v16, vcc, s37, v3
	v_mov_b32_e32 v3, v7
	v_lshlrev_b64 v[2:3], 1, v[2:3]
	v_addc_co_u32_e32 v17, vcc, v13, v4, vcc
	v_add_co_u32_e32 v2, vcc, s37, v2
	v_addc_co_u32_e32 v3, vcc, v13, v3, vcc
	global_load_ushort v4, v[16:17], off
	global_load_ushort v18, v[2:3], off
	v_add_u32_e32 v3, 12, v15
	v_mul_lo_u32 v3, v3, s12
	s_waitcnt vmcnt(1)
	v_perm_b32 v2, v4, v19, s51
	v_add_u32_e32 v4, 12, v14
	v_mul_lo_u32 v6, v4, s38
	v_mov_b32_e32 v4, v7
	v_lshlrev_b64 v[3:4], 1, v[3:4]
	v_mov_b32_e32 v19, v7
	v_lshlrev_b64 v[16:17], 1, v[6:7]
	v_add_co_u32_e32 v16, vcc, s37, v16
	v_addc_co_u32_e32 v17, vcc, v13, v17, vcc
	v_add_co_u32_e32 v3, vcc, s37, v3
	v_addc_co_u32_e32 v4, vcc, v13, v4, vcc
	global_load_ushort v6, v[16:17], off
	s_nop 0
	global_load_ushort v4, v[3:4], off
	v_add_u32_e32 v16, 14, v15
	v_add_u32_e32 v15, 16, v15
	s_waitcnt vmcnt(1)
	v_perm_b32 v3, v6, v18, s51
	v_add_u32_e32 v6, 14, v14
	v_mul_lo_u32 v6, v6, s38
	v_mul_lo_u32 v18, v16, s12
	v_add_u32_e32 v14, 16, v14
	v_lshlrev_b64 v[16:17], 1, v[6:7]
	v_lshlrev_b64 v[18:19], 1, v[18:19]
	v_add_co_u32_e32 v16, vcc, s37, v16
	v_addc_co_u32_e32 v17, vcc, v13, v17, vcc
	v_add_co_u32_e32 v18, vcc, s37, v18
	v_addc_co_u32_e32 v19, vcc, v13, v19, vcc
	global_load_ushort v6, v[16:17], off
	s_nop 0
	global_load_ushort v16, v[18:19], off
	v_cmp_eq_u32_e32 vcc, 0, v49
	s_or_b64 s[68:69], vcc, s[68:69]
	s_waitcnt vmcnt(1)
	v_perm_b32 v4, v6, v4, s51
	s_waitcnt vmcnt(0)
	v_perm_b32 v17, v16, v6, s51
	ds_write_b128 v50, v[1:4] offset:16
	v_add_u32_e32 v50, 32, v50
	v_mov_b32_e32 v1, s34
	s_andn2_b64 exec, exec, s[68:69]
	s_cbranch_execnz .LBB136_46
; %bb.47:                               ;   in Loop: Header=BB136_20 Depth=1
	s_or_b64 exec, exec, s[68:69]
.LBB136_48:                             ;   in Loop: Header=BB136_20 Depth=1
	s_or_b64 exec, exec, s[30:31]
	s_mov_b64 s[30:31], exec
	v_readlane_b32 s20, v53, 15
	v_readlane_b32 s21, v53, 16
	s_and_b64 s[20:21], s[30:31], s[20:21]
	s_mov_b64 exec, s[20:21]
	s_cbranch_execz .LBB136_52
; %bb.49:                               ;   in Loop: Header=BB136_20 Depth=1
	v_lshl_add_u32 v1, v1, 1, v22
	s_mov_b64 s[68:69], 0
	v_mov_b32_e32 v2, v32
.LBB136_50:                             ;   Parent Loop BB136_20 Depth=1
                                        ; =>  This Inner Loop Header: Depth=2
	v_mul_lo_u32 v6, v14, s38
	v_mul_lo_u32 v3, v15, s12
	v_mov_b32_e32 v4, v7
	v_mov_b32_e32 v13, s13
	v_lshlrev_b64 v[18:19], 1, v[6:7]
	v_lshlrev_b64 v[3:4], 1, v[3:4]
	v_add_co_u32_e32 v18, vcc, s37, v18
	v_addc_co_u32_e32 v19, vcc, v13, v19, vcc
	v_add_co_u32_e32 v3, vcc, s37, v3
	v_addc_co_u32_e32 v4, vcc, v13, v4, vcc
	global_load_ushort v6, v[18:19], off
	global_load_ushort v16, v[3:4], off
	v_add_u32_e32 v2, -4, v2
	v_cmp_eq_u32_e32 vcc, 0, v2
	v_add_u32_e32 v15, 2, v15
	v_add_u32_e32 v14, 2, v14
	s_or_b64 s[68:69], vcc, s[68:69]
	s_waitcnt vmcnt(1)
	v_alignbit_b32 v4, v6, v17, 16
	s_waitcnt vmcnt(0)
	v_perm_b32 v3, v16, v6, s51
	ds_write_b32 v1, v4
	v_add_u32_e32 v1, 4, v1
	v_mov_b32_e32 v17, v3
	s_andn2_b64 exec, exec, s[68:69]
	s_cbranch_execnz .LBB136_50
; %bb.51:                               ;   in Loop: Header=BB136_20 Depth=1
	s_or_b64 exec, exec, s[68:69]
.LBB136_52:                             ;   in Loop: Header=BB136_20 Depth=1
	s_or_b64 exec, exec, s[30:31]
	v_readlane_b32 s20, v53, 17
	v_add_u32_e32 v12, v12, v28
	v_readlane_b32 s21, v53, 18
	v_add_u32_e32 v1, -1, v12
	s_orn2_b64 s[30:31], s[20:21], exec
	v_mov_b32_e32 v2, v29
.LBB136_53:                             ;   in Loop: Header=BB136_20 Depth=1
	s_or_b64 exec, exec, s[6:7]
	v_mov_b32_e32 v3, s11
	s_and_b64 s[6:7], s[30:31], exec
	s_andn2_saveexec_b64 s[28:29], s[28:29]
	s_cbranch_execz .LBB136_39
.LBB136_54:                             ;   in Loop: Header=BB136_20 Depth=1
	v_mov_b32_e32 v3, s11
	s_or_b64 s[6:7], s[6:7], exec
	v_mov_b32_e32 v2, v0
	s_or_b64 exec, exec, s[28:29]
	s_and_saveexec_b64 s[28:29], s[6:7]
	s_cbranch_execz .LBB136_58
.LBB136_55:                             ;   in Loop: Header=BB136_20 Depth=1
	v_mul_lo_u32 v6, s38, v12
	s_sub_i32 s11, 0, s10
	s_mov_b64 s[6:7], 0
.LBB136_56:                             ;   Parent Loop BB136_20 Depth=1
                                        ; =>  This Inner Loop Header: Depth=2
	v_lshlrev_b64 v[13:14], 1, v[6:7]
	v_mov_b32_e32 v4, s13
	v_add_co_u32_e32 v13, vcc, s37, v13
	v_addc_co_u32_e32 v14, vcc, v4, v14, vcc
	s_waitcnt vmcnt(0)
	v_mov_b32_e32 v1, v16
	global_load_ushort v16, v[13:14], off
	v_mov_b32_e32 v4, v12
	v_add_u32_e32 v12, s10, v4
	v_lshlrev_b32_e32 v2, 1, v2
	v_cmp_le_u32_e32 vcc, s36, v12
	v_add_u32_e32 v6, v6, v3
	ds_write_b16 v2, v1
	s_or_b64 s[6:7], vcc, s[6:7]
	v_mov_b32_e32 v2, v4
	s_andn2_b64 exec, exec, s[6:7]
	s_cbranch_execnz .LBB136_56
; %bb.57:                               ;   in Loop: Header=BB136_20 Depth=1
	s_or_b64 exec, exec, s[6:7]
	v_add_u32_e32 v1, s11, v12
.LBB136_58:                             ;   in Loop: Header=BB136_20 Depth=1
	s_or_b64 exec, exec, s[28:29]
.LBB136_59:                             ;   in Loop: Header=BB136_20 Depth=1
	s_or_b64 exec, exec, s[26:27]
	v_lshlrev_b32_e32 v1, 1, v1
	s_waitcnt vmcnt(0)
	ds_write_b16 v1, v16
.LBB136_60:                             ;   in Loop: Header=BB136_20 Depth=1
	s_or_b64 exec, exec, s[22:23]
	s_waitcnt lgkmcnt(0)
	s_barrier
	s_and_saveexec_b64 s[6:7], s[2:3]
; %bb.61:                               ;   in Loop: Header=BB136_20 Depth=1
	v_mov_b32_e32 v1, s36
	ds_write_b32 v7, v1 offset:4104
; %bb.62:                               ;   in Loop: Header=BB136_20 Depth=1
	s_or_b64 exec, exec, s[6:7]
	s_mov_b64 s[6:7], -1
	s_waitcnt lgkmcnt(0)
	s_barrier
.LBB136_63:                             ;   in Loop: Header=BB136_20 Depth=1
	s_mov_b32 s10, 0
	s_and_b64 vcc, exec, s[6:7]
	s_cbranch_vccz .LBB136_65
; %bb.64:                               ;   in Loop: Header=BB136_20 Depth=1
	ds_read_b32 v1, v7 offset:4104
	s_waitcnt lgkmcnt(0)
	v_readfirstlane_b32 s10, v1
.LBB136_65:                             ;   in Loop: Header=BB136_20 Depth=1
	s_cmp_lt_i32 s10, 1
	s_mov_b64 s[6:7], -1
                                        ; implicit-def: $vgpr1
	s_cbranch_scc1 .LBB136_75
; %bb.66:                               ;   in Loop: Header=BB136_20 Depth=1
	s_and_b64 vcc, exec, s[6:7]
	s_cbranch_vccnz .LBB136_86
.LBB136_67:                             ;   in Loop: Header=BB136_20 Depth=1
	s_lshl_b32 s10, s33, 6
	s_and_saveexec_b64 s[6:7], s[4:5]
.LBB136_68:                             ;   in Loop: Header=BB136_20 Depth=1
	v_lshl_add_u32 v6, s10, 2, v27
	ds_write_b128 v6, v[1:4]
.LBB136_69:                             ;   in Loop: Header=BB136_20 Depth=1
	s_or_b64 exec, exec, s[6:7]
	s_waitcnt lgkmcnt(0)
	s_barrier
	s_and_saveexec_b64 s[6:7], s[42:43]
	s_cbranch_execz .LBB136_100
; %bb.70:                               ;   in Loop: Header=BB136_20 Depth=1
	s_andn2_b64 vcc, exec, s[46:47]
	v_mov_b32_e32 v1, 0
	s_cbranch_vccnz .LBB136_99
; %bb.71:                               ;   in Loop: Header=BB136_20 Depth=1
	v_readlane_b32 s20, v53, 19
	v_readlane_b32 s21, v53, 20
	s_andn2_b64 vcc, exec, s[20:21]
	s_cbranch_vccnz .LBB136_95
; %bb.72:                               ;   in Loop: Header=BB136_20 Depth=1
	v_lshl_add_u32 v2, s33, 8, v39
	s_mov_b32 s11, 0
	v_mov_b32_e32 v1, 0
.LBB136_73:                             ;   Parent Loop BB136_20 Depth=1
                                        ; =>  This Inner Loop Header: Depth=2
	ds_read2_b32 v[3:4], v2 offset1:4
	ds_read2_b32 v[12:13], v2 offset0:8 offset1:12
	ds_read2_b32 v[14:15], v2 offset0:16 offset1:20
	;; [unrolled: 1-line block ×3, first 2 shown]
	s_add_i32 s11, s11, 8
	s_waitcnt lgkmcnt(3)
	v_add3_u32 v1, v3, v1, v4
	s_waitcnt lgkmcnt(2)
	v_add3_u32 v1, v12, v1, v13
	s_waitcnt lgkmcnt(1)
	v_add3_u32 v1, v14, v1, v15
	v_add_u32_e32 v2, 0x80, v2
	s_cmp_eq_u32 s8, s11
	s_waitcnt lgkmcnt(0)
	v_add3_u32 v1, v16, v1, v17
	s_cbranch_scc0 .LBB136_73
; %bb.74:                               ;   in Loop: Header=BB136_20 Depth=1
	s_mov_b32 s11, s8
	s_branch .LBB136_96
.LBB136_75:                             ;   in Loop: Header=BB136_20 Depth=1
	v_mov_b32_e32 v1, 0
	v_mov_b32_e32 v2, 0
	;; [unrolled: 1-line block ×4, first 2 shown]
	s_and_saveexec_b64 s[30:31], s[16:17]
	s_cbranch_execz .LBB136_79
; %bb.76:                               ;   in Loop: Header=BB136_20 Depth=1
	s_mov_b32 s11, 0
	s_mov_b64 s[68:69], 0
	s_mov_b32 s34, 0
	s_mov_b32 s35, 0
	;; [unrolled: 1-line block ×4, first 2 shown]
	v_mov_b32_e32 v12, v20
.LBB136_77:                             ;   Parent Loop BB136_20 Depth=1
                                        ; =>  This Inner Loop Header: Depth=2
	v_add_u32_e32 v6, s11, v36
	v_lshlrev_b64 v[1:2], 1, v[6:7]
	v_mov_b32_e32 v3, s13
	v_add_co_u32_e32 v1, vcc, s37, v1
	v_addc_co_u32_e32 v2, vcc, v3, v2, vcc
	v_add_u32_e32 v6, s11, v33
	global_load_ushort v4, v[1:2], off
	v_lshlrev_b64 v[1:2], 1, v[6:7]
	v_add_u32_e32 v6, s11, v34
	v_add_co_u32_e32 v1, vcc, s37, v1
	v_addc_co_u32_e32 v2, vcc, v3, v2, vcc
	global_load_ushort v13, v[1:2], off
	v_lshlrev_b64 v[1:2], 1, v[6:7]
	v_add_u32_e32 v6, s11, v35
	v_add_co_u32_e32 v1, vcc, s37, v1
	v_addc_co_u32_e32 v2, vcc, v3, v2, vcc
	;; [unrolled: 5-line block ×3, first 2 shown]
	global_load_ushort v1, v[1:2], off
	s_add_i32 s11, s11, s48
	s_waitcnt vmcnt(3)
	v_cmp_lt_i16_e32 vcc, -1, v4
	v_cndmask_b32_e32 v2, v41, v42, vcc
	v_lshlrev_b32_e32 v3, 16, v4
	v_cmp_o_f32_e32 vcc, v3, v3
	v_xor_b32_sdwa v2, v2, v4 dst_sel:DWORD dst_unused:UNUSED_PAD src0_sel:DWORD src1_sel:WORD_0
	v_cndmask_b32_e32 v2, v41, v2, vcc
	s_waitcnt vmcnt(2)
	v_cmp_lt_i16_e32 vcc, -1, v13
	v_cndmask_b32_e32 v3, v41, v42, vcc
	v_lshlrev_b32_e32 v4, 16, v13
	v_cmp_o_f32_e32 vcc, v4, v4
	v_xor_b32_sdwa v3, v3, v13 dst_sel:DWORD dst_unused:UNUSED_PAD src0_sel:DWORD src1_sel:WORD_0
	v_cndmask_b32_e32 v3, v41, v3, vcc
	;; [unrolled: 7-line block ×3, first 2 shown]
	s_waitcnt vmcnt(0)
	v_cmp_lt_i16_e32 vcc, -1, v1
	v_cndmask_b32_e32 v6, v41, v42, vcc
	v_lshlrev_b32_e32 v13, 16, v1
	v_cmp_o_f32_e32 vcc, v13, v13
	v_xor_b32_sdwa v1, v6, v1 dst_sel:DWORD dst_unused:UNUSED_PAD src0_sel:DWORD src1_sel:WORD_0
	v_and_b32_e32 v6, v2, v46
	v_bfe_u32 v2, v2, v45, 2
	v_cndmask_b32_e32 v1, v41, v1, vcc
	v_cmp_eq_u32_e32 vcc, v6, v38
	v_and_b32_e32 v6, v3, v46
	v_bfe_u32 v3, v3, v45, 2
	v_cmp_eq_u32_e64 s[28:29], 0, v2
	v_cmp_eq_u32_e64 s[6:7], v6, v38
	v_and_b32_e32 v6, v4, v46
	v_bfe_u32 v4, v4, v45, 2
	s_and_b64 s[20:21], vcc, s[28:29]
	v_cmp_eq_u32_e64 s[28:29], 0, v3
	v_cmp_eq_u32_e64 s[22:23], v6, v38
	v_and_b32_e32 v6, v1, v46
	v_bfe_u32 v1, v1, v45, 2
	s_and_b64 s[72:73], s[6:7], s[28:29]
	v_cmp_eq_u32_e64 s[28:29], 0, v4
	v_cmp_eq_u32_e64 s[26:27], v6, v38
	s_and_b64 s[74:75], s[22:23], s[28:29]
	v_cmp_eq_u32_e64 s[28:29], 0, v1
	v_cndmask_b32_e64 v6, 0, 1, s[20:21]
	s_and_b64 s[76:77], s[26:27], s[28:29]
	v_cmp_ne_u32_e64 s[28:29], 0, v6
	v_cndmask_b32_e64 v6, 0, 1, s[72:73]
	s_bcnt1_i32_b64 s20, s[28:29]
	v_cmp_ne_u32_e64 s[28:29], 0, v6
	v_cndmask_b32_e64 v6, 0, 1, s[74:75]
	s_bcnt1_i32_b64 s21, s[28:29]
	v_cmp_ne_u32_e64 s[28:29], 0, v6
	v_cndmask_b32_e64 v6, 0, 1, s[76:77]
	s_add_i32 s20, s70, s20
	s_bcnt1_i32_b64 s71, s[28:29]
	v_cmp_ne_u32_e64 s[28:29], 0, v6
	s_add_i32 s20, s20, s21
	s_bcnt1_i32_b64 s28, s[28:29]
	s_add_i32 s20, s20, s71
	s_add_i32 s70, s20, s28
	v_cmp_eq_u32_e64 s[28:29], 1, v2
	s_and_b64 s[20:21], vcc, s[28:29]
	v_cmp_eq_u32_e64 s[28:29], 1, v3
	s_and_b64 s[72:73], s[6:7], s[28:29]
	v_cmp_eq_u32_e64 s[28:29], 1, v4
	s_and_b64 s[74:75], s[22:23], s[28:29]
	v_cmp_eq_u32_e64 s[28:29], 1, v1
	v_cndmask_b32_e64 v6, 0, 1, s[20:21]
	s_and_b64 s[76:77], s[26:27], s[28:29]
	v_cmp_ne_u32_e64 s[28:29], 0, v6
	v_cndmask_b32_e64 v6, 0, 1, s[72:73]
	s_bcnt1_i32_b64 s20, s[28:29]
	v_cmp_ne_u32_e64 s[28:29], 0, v6
	v_cndmask_b32_e64 v6, 0, 1, s[74:75]
	s_bcnt1_i32_b64 s21, s[28:29]
	v_cmp_ne_u32_e64 s[28:29], 0, v6
	v_cndmask_b32_e64 v6, 0, 1, s[76:77]
	s_add_i32 s20, s53, s20
	s_bcnt1_i32_b64 s71, s[28:29]
	v_cmp_ne_u32_e64 s[28:29], 0, v6
	s_add_i32 s20, s20, s21
	s_bcnt1_i32_b64 s28, s[28:29]
	s_add_i32 s20, s20, s71
	s_add_i32 s53, s20, s28
	v_cmp_eq_u32_e64 s[28:29], 2, v2
	s_and_b64 s[20:21], vcc, s[28:29]
	v_cmp_eq_u32_e64 s[28:29], 2, v3
	s_and_b64 s[72:73], s[6:7], s[28:29]
	v_cmp_eq_u32_e64 s[28:29], 2, v4
	s_and_b64 s[74:75], s[22:23], s[28:29]
	v_cmp_eq_u32_e64 s[28:29], 2, v1
	v_cndmask_b32_e64 v6, 0, 1, s[20:21]
	s_and_b64 s[76:77], s[26:27], s[28:29]
	v_cmp_ne_u32_e64 s[28:29], 0, v6
	v_cndmask_b32_e64 v6, 0, 1, s[72:73]
	s_bcnt1_i32_b64 s20, s[28:29]
	v_cmp_ne_u32_e64 s[28:29], 0, v6
	v_cndmask_b32_e64 v6, 0, 1, s[74:75]
	s_bcnt1_i32_b64 s21, s[28:29]
	v_cmp_ne_u32_e64 s[28:29], 0, v6
	v_cndmask_b32_e64 v6, 0, 1, s[76:77]
	s_add_i32 s20, s35, s20
	s_bcnt1_i32_b64 s71, s[28:29]
	v_cmp_ne_u32_e64 s[28:29], 0, v6
	s_add_i32 s20, s20, s21
	s_bcnt1_i32_b64 s28, s[28:29]
	s_add_i32 s20, s20, s71
	s_add_i32 s35, s20, s28
	v_cmp_eq_u32_e64 s[28:29], 3, v2
	s_and_b64 s[20:21], vcc, s[28:29]
	v_cmp_eq_u32_e32 vcc, 3, v3
	s_and_b64 s[6:7], s[6:7], vcc
	v_cmp_eq_u32_e32 vcc, 3, v4
	s_and_b64 s[22:23], s[22:23], vcc
	v_cmp_eq_u32_e32 vcc, 3, v1
	v_cndmask_b32_e64 v1, 0, 1, s[20:21]
	s_and_b64 s[26:27], s[26:27], vcc
	v_cmp_ne_u32_e32 vcc, 0, v1
	v_cndmask_b32_e64 v1, 0, 1, s[6:7]
	s_bcnt1_i32_b64 s20, vcc
	v_cmp_ne_u32_e32 vcc, 0, v1
	v_cndmask_b32_e64 v1, 0, 1, s[22:23]
	s_bcnt1_i32_b64 s6, vcc
	v_cmp_ne_u32_e32 vcc, 0, v1
	v_cndmask_b32_e64 v1, 0, 1, s[26:27]
	s_add_i32 s20, s34, s20
	s_bcnt1_i32_b64 s7, vcc
	v_cmp_ne_u32_e32 vcc, 0, v1
	s_add_i32 s6, s20, s6
	s_bcnt1_i32_b64 s21, vcc
	s_add_i32 s6, s6, s7
	s_add_i32 s34, s6, s21
	v_cmp_le_u32_e32 vcc, s41, v12
	s_or_b64 s[68:69], vcc, s[68:69]
	v_mov_b32_e32 v1, s70
	v_mov_b32_e32 v2, s53
	;; [unrolled: 1-line block ×4, first 2 shown]
	s_andn2_b64 exec, exec, s[68:69]
	s_cbranch_execnz .LBB136_77
; %bb.78:                               ;   in Loop: Header=BB136_20 Depth=1
	s_or_b64 exec, exec, s[68:69]
.LBB136_79:                             ;   in Loop: Header=BB136_20 Depth=1
	s_or_b64 exec, exec, s[30:31]
	s_and_saveexec_b64 s[22:23], s[18:19]
	s_cbranch_execz .LBB136_85
; %bb.80:                               ;   in Loop: Header=BB136_20 Depth=1
	global_load_ushort v13, v[10:11], off
	s_mov_b64 s[26:27], 0
	v_mov_b32_e32 v6, v37
	v_mov_b32_e32 v12, v31
	s_branch .LBB136_82
.LBB136_81:                             ;   in Loop: Header=BB136_82 Depth=2
	s_or_b64 exec, exec, s[28:29]
	s_and_b64 s[6:7], exec, vcc
	s_waitcnt vmcnt(0)
	v_cmp_lt_i16_e32 vcc, -1, v13
	v_cndmask_b32_e32 v15, v41, v42, vcc
	v_lshlrev_b32_e32 v16, 16, v13
	v_xor_b32_sdwa v13, v15, v13 dst_sel:DWORD dst_unused:UNUSED_PAD src0_sel:DWORD src1_sel:WORD_0
	v_cmp_o_f32_e32 vcc, v16, v16
	v_cndmask_b32_e32 v13, v41, v13, vcc
	v_and_b32_e32 v15, v13, v46
	v_bfe_u32 v13, v13, v45, 2
	s_or_b64 s[26:27], s[6:7], s[26:27]
	v_cmp_eq_u32_e32 vcc, v15, v38
	v_cmp_eq_u32_e64 s[6:7], 0, v13
	s_and_b64 s[6:7], vcc, s[6:7]
	v_cndmask_b32_e64 v15, 0, 1, s[6:7]
	v_cmp_ne_u32_e64 s[6:7], 0, v15
	s_bcnt1_i32_b64 s6, s[6:7]
	v_add_u32_e32 v1, s6, v1
	v_cmp_eq_u32_e64 s[6:7], 1, v13
	s_and_b64 s[6:7], vcc, s[6:7]
	v_cndmask_b32_e64 v15, 0, 1, s[6:7]
	v_cmp_ne_u32_e64 s[6:7], 0, v15
	s_bcnt1_i32_b64 s6, s[6:7]
	v_add_u32_e32 v2, s6, v2
	;; [unrolled: 6-line block ×3, first 2 shown]
	v_cmp_eq_u32_e64 s[6:7], 3, v13
	s_and_b64 s[6:7], vcc, s[6:7]
	v_cndmask_b32_e64 v13, 0, 1, s[6:7]
	v_cmp_ne_u32_e32 vcc, 0, v13
	s_bcnt1_i32_b64 s6, vcc
	v_add_u32_e32 v4, s6, v4
	v_add_u32_e32 v6, s40, v6
	v_mov_b32_e32 v13, v14
	s_andn2_b64 exec, exec, s[26:27]
	s_cbranch_execz .LBB136_84
.LBB136_82:                             ;   Parent Loop BB136_20 Depth=1
                                        ; =>  This Inner Loop Header: Depth=2
	v_add_u32_e32 v12, s39, v12
	v_cmp_gt_u32_e64 s[6:7], s36, v12
	v_cmp_le_u32_e32 vcc, s36, v12
	v_mov_b32_e32 v14, 0
	s_and_saveexec_b64 s[28:29], s[6:7]
	s_cbranch_execz .LBB136_81
; %bb.83:                               ;   in Loop: Header=BB136_82 Depth=2
	v_lshlrev_b64 v[14:15], 1, v[6:7]
	v_mov_b32_e32 v16, s13
	v_add_co_u32_e64 v14, s[6:7], s37, v14
	v_addc_co_u32_e64 v15, s[6:7], v16, v15, s[6:7]
	global_load_ushort v14, v[14:15], off
	s_branch .LBB136_81
.LBB136_84:                             ;   in Loop: Header=BB136_20 Depth=1
	s_or_b64 exec, exec, s[26:27]
.LBB136_85:                             ;   in Loop: Header=BB136_20 Depth=1
	s_or_b64 exec, exec, s[22:23]
	s_branch .LBB136_67
.LBB136_86:                             ;   in Loop: Header=BB136_20 Depth=1
	s_mul_hi_u32 s6, s10, s9
	s_mul_i32 s6, s6, s14
	s_sub_i32 s6, s10, s6
	s_sub_i32 s7, s6, s14
	s_cmp_ge_u32 s6, s14
	s_cselect_b32 s6, s7, s6
	s_sub_i32 s7, s6, s14
	s_cmp_ge_u32 s6, s14
	s_cselect_b32 s6, s7, s6
	s_sub_i32 s11, s10, s6
	v_cmp_gt_u32_e32 vcc, s11, v20
	v_mov_b32_e32 v1, 0
	v_mov_b32_e32 v2, 0
	;; [unrolled: 1-line block ×4, first 2 shown]
	s_and_saveexec_b64 s[30:31], vcc
	s_cbranch_execz .LBB136_90
; %bb.87:                               ;   in Loop: Header=BB136_20 Depth=1
	s_mov_b32 s34, 0
	s_mov_b64 s[68:69], 0
	v_mov_b32_e32 v6, v40
	s_mov_b32 s35, 0
	s_mov_b32 s53, 0
	;; [unrolled: 1-line block ×3, first 2 shown]
	v_mov_b32_e32 v12, v20
.LBB136_88:                             ;   Parent Loop BB136_20 Depth=1
                                        ; =>  This Inner Loop Header: Depth=2
	ds_read_b64 v[1:2], v6
	v_add_u32_e32 v12, s14, v12
	v_add_u32_e32 v6, s49, v6
	s_waitcnt lgkmcnt(0)
	v_cmp_lt_i16_e32 vcc, -1, v1
	v_cndmask_b32_e32 v3, v41, v42, vcc
	v_lshlrev_b32_e32 v4, 16, v1
	v_cmp_o_f32_e32 vcc, v4, v4
	v_xor_b32_sdwa v3, v3, v1 dst_sel:DWORD dst_unused:UNUSED_PAD src0_sel:DWORD src1_sel:WORD_0
	v_cndmask_b32_e32 v3, v41, v3, vcc
	v_cmp_gt_i16_sdwa vcc, v1, v43 src0_sel:WORD_1 src1_sel:DWORD
	v_cndmask_b32_e32 v4, v41, v42, vcc
	v_and_b32_e32 v13, 0xffff0000, v1
	v_cmp_o_f32_e32 vcc, v13, v13
	v_xor_b32_sdwa v1, v4, v1 dst_sel:DWORD dst_unused:UNUSED_PAD src0_sel:DWORD src1_sel:WORD_1
	v_cndmask_b32_e32 v1, v41, v1, vcc
	v_cmp_lt_i16_e32 vcc, -1, v2
	v_cndmask_b32_e32 v4, v41, v42, vcc
	v_lshlrev_b32_e32 v13, 16, v2
	v_cmp_o_f32_e32 vcc, v13, v13
	v_xor_b32_sdwa v4, v4, v2 dst_sel:DWORD dst_unused:UNUSED_PAD src0_sel:DWORD src1_sel:WORD_0
	v_cndmask_b32_e32 v4, v41, v4, vcc
	v_cmp_gt_i16_sdwa vcc, v2, v43 src0_sel:WORD_1 src1_sel:DWORD
	v_cndmask_b32_e32 v13, v41, v42, vcc
	v_and_b32_e32 v14, 0xffff0000, v2
	v_cmp_o_f32_e32 vcc, v14, v14
	v_xor_b32_sdwa v2, v13, v2 dst_sel:DWORD dst_unused:UNUSED_PAD src0_sel:DWORD src1_sel:WORD_1
	v_and_b32_e32 v13, v3, v46
	v_bfe_u32 v3, v3, v45, 2
	v_cndmask_b32_e32 v2, v41, v2, vcc
	v_cmp_eq_u32_e32 vcc, v13, v38
	v_and_b32_e32 v13, v1, v46
	v_bfe_u32 v1, v1, v45, 2
	v_cmp_eq_u32_e64 s[28:29], 0, v3
	v_cmp_eq_u32_e64 s[6:7], v13, v38
	v_and_b32_e32 v13, v4, v46
	v_bfe_u32 v4, v4, v45, 2
	s_and_b64 s[20:21], vcc, s[28:29]
	v_cmp_eq_u32_e64 s[28:29], 0, v1
	v_cmp_eq_u32_e64 s[22:23], v13, v38
	v_and_b32_e32 v13, v2, v46
	v_bfe_u32 v2, v2, v45, 2
	s_and_b64 s[72:73], s[6:7], s[28:29]
	v_cmp_eq_u32_e64 s[28:29], 0, v4
	v_cmp_eq_u32_e64 s[26:27], v13, v38
	s_and_b64 s[74:75], s[22:23], s[28:29]
	v_cmp_eq_u32_e64 s[28:29], 0, v2
	v_cndmask_b32_e64 v13, 0, 1, s[20:21]
	s_and_b64 s[76:77], s[26:27], s[28:29]
	v_cmp_ne_u32_e64 s[28:29], 0, v13
	v_cndmask_b32_e64 v13, 0, 1, s[72:73]
	s_bcnt1_i32_b64 s20, s[28:29]
	v_cmp_ne_u32_e64 s[28:29], 0, v13
	v_cndmask_b32_e64 v13, 0, 1, s[74:75]
	s_bcnt1_i32_b64 s21, s[28:29]
	v_cmp_ne_u32_e64 s[28:29], 0, v13
	v_cndmask_b32_e64 v13, 0, 1, s[76:77]
	s_add_i32 s20, s70, s20
	s_bcnt1_i32_b64 s71, s[28:29]
	v_cmp_ne_u32_e64 s[28:29], 0, v13
	s_add_i32 s20, s20, s21
	s_bcnt1_i32_b64 s28, s[28:29]
	s_add_i32 s20, s20, s71
	s_add_i32 s70, s20, s28
	v_cmp_eq_u32_e64 s[28:29], 1, v3
	s_and_b64 s[20:21], vcc, s[28:29]
	v_cmp_eq_u32_e64 s[28:29], 1, v1
	s_and_b64 s[72:73], s[6:7], s[28:29]
	v_cmp_eq_u32_e64 s[28:29], 1, v4
	s_and_b64 s[74:75], s[22:23], s[28:29]
	v_cmp_eq_u32_e64 s[28:29], 1, v2
	v_cndmask_b32_e64 v13, 0, 1, s[20:21]
	s_and_b64 s[76:77], s[26:27], s[28:29]
	v_cmp_ne_u32_e64 s[28:29], 0, v13
	v_cndmask_b32_e64 v13, 0, 1, s[72:73]
	s_bcnt1_i32_b64 s20, s[28:29]
	v_cmp_ne_u32_e64 s[28:29], 0, v13
	v_cndmask_b32_e64 v13, 0, 1, s[74:75]
	s_bcnt1_i32_b64 s21, s[28:29]
	v_cmp_ne_u32_e64 s[28:29], 0, v13
	v_cndmask_b32_e64 v13, 0, 1, s[76:77]
	s_add_i32 s20, s53, s20
	s_bcnt1_i32_b64 s71, s[28:29]
	v_cmp_ne_u32_e64 s[28:29], 0, v13
	s_add_i32 s20, s20, s21
	s_bcnt1_i32_b64 s28, s[28:29]
	s_add_i32 s20, s20, s71
	s_add_i32 s53, s20, s28
	v_cmp_eq_u32_e64 s[28:29], 2, v3
	s_and_b64 s[20:21], vcc, s[28:29]
	v_cmp_eq_u32_e64 s[28:29], 2, v1
	s_and_b64 s[72:73], s[6:7], s[28:29]
	v_cmp_eq_u32_e64 s[28:29], 2, v4
	s_and_b64 s[74:75], s[22:23], s[28:29]
	v_cmp_eq_u32_e64 s[28:29], 2, v2
	v_cndmask_b32_e64 v13, 0, 1, s[20:21]
	s_and_b64 s[76:77], s[26:27], s[28:29]
	v_cmp_ne_u32_e64 s[28:29], 0, v13
	v_cndmask_b32_e64 v13, 0, 1, s[72:73]
	s_bcnt1_i32_b64 s20, s[28:29]
	v_cmp_ne_u32_e64 s[28:29], 0, v13
	v_cndmask_b32_e64 v13, 0, 1, s[74:75]
	s_bcnt1_i32_b64 s21, s[28:29]
	v_cmp_ne_u32_e64 s[28:29], 0, v13
	v_cndmask_b32_e64 v13, 0, 1, s[76:77]
	s_add_i32 s20, s35, s20
	s_bcnt1_i32_b64 s71, s[28:29]
	v_cmp_ne_u32_e64 s[28:29], 0, v13
	s_add_i32 s20, s20, s21
	s_bcnt1_i32_b64 s28, s[28:29]
	s_add_i32 s20, s20, s71
	s_add_i32 s35, s20, s28
	v_cmp_eq_u32_e64 s[28:29], 3, v3
	s_and_b64 s[20:21], vcc, s[28:29]
	v_cmp_eq_u32_e32 vcc, 3, v1
	s_and_b64 s[6:7], s[6:7], vcc
	v_cmp_eq_u32_e32 vcc, 3, v4
	s_and_b64 s[22:23], s[22:23], vcc
	v_cmp_eq_u32_e32 vcc, 3, v2
	v_cndmask_b32_e64 v1, 0, 1, s[20:21]
	s_and_b64 s[26:27], s[26:27], vcc
	v_cmp_ne_u32_e32 vcc, 0, v1
	v_cndmask_b32_e64 v1, 0, 1, s[6:7]
	s_bcnt1_i32_b64 s20, vcc
	v_cmp_ne_u32_e32 vcc, 0, v1
	v_cndmask_b32_e64 v1, 0, 1, s[22:23]
	s_bcnt1_i32_b64 s6, vcc
	v_cmp_ne_u32_e32 vcc, 0, v1
	v_cndmask_b32_e64 v1, 0, 1, s[26:27]
	s_add_i32 s20, s34, s20
	s_bcnt1_i32_b64 s7, vcc
	v_cmp_ne_u32_e32 vcc, 0, v1
	s_add_i32 s6, s20, s6
	s_bcnt1_i32_b64 s21, vcc
	s_add_i32 s6, s6, s7
	s_add_i32 s34, s6, s21
	v_cmp_le_u32_e32 vcc, s11, v12
	s_or_b64 s[68:69], vcc, s[68:69]
	v_mov_b32_e32 v1, s70
	v_mov_b32_e32 v2, s53
	;; [unrolled: 1-line block ×4, first 2 shown]
	s_andn2_b64 exec, exec, s[68:69]
	s_cbranch_execnz .LBB136_88
; %bb.89:                               ;   in Loop: Header=BB136_20 Depth=1
	s_or_b64 exec, exec, s[68:69]
.LBB136_90:                             ;   in Loop: Header=BB136_20 Depth=1
	s_or_b64 exec, exec, s[30:31]
	v_add_u32_e32 v6, s11, v0
	v_cmp_gt_u32_e32 vcc, s10, v6
	s_and_saveexec_b64 s[68:69], vcc
	s_cbranch_execz .LBB136_94
; %bb.91:                               ;   in Loop: Header=BB136_20 Depth=1
	v_lshlrev_b32_e32 v12, 1, v6
	s_mov_b64 s[70:71], 0
.LBB136_92:                             ;   Parent Loop BB136_20 Depth=1
                                        ; =>  This Inner Loop Header: Depth=2
	ds_read_u16 v13, v12
	v_add_u32_e32 v6, s39, v6
	v_cmp_le_u32_e32 vcc, s10, v6
	v_add_u32_e32 v12, s50, v12
	s_waitcnt lgkmcnt(0)
	v_cmp_lt_i16_e64 s[6:7], -1, v13
	v_cndmask_b32_e64 v14, v41, v42, s[6:7]
	v_lshlrev_b32_e32 v15, 16, v13
	v_xor_b32_sdwa v13, v14, v13 dst_sel:DWORD dst_unused:UNUSED_PAD src0_sel:DWORD src1_sel:WORD_0
	v_cmp_o_f32_e64 s[6:7], v15, v15
	v_cndmask_b32_e64 v13, v41, v13, s[6:7]
	v_and_b32_e32 v14, v13, v46
	v_bfe_u32 v13, v13, v45, 2
	v_cmp_eq_u32_e64 s[6:7], v14, v38
	v_cmp_eq_u32_e64 s[22:23], 0, v13
	;; [unrolled: 1-line block ×3, first 2 shown]
	s_and_b64 s[20:21], s[6:7], s[22:23]
	v_cmp_eq_u32_e64 s[28:29], 2, v13
	v_cmp_eq_u32_e64 s[30:31], 3, v13
	v_cndmask_b32_e64 v13, 0, 1, s[20:21]
	s_and_b64 s[20:21], s[6:7], s[26:27]
	v_cndmask_b32_e64 v14, 0, 1, s[20:21]
	s_and_b64 s[20:21], s[6:7], s[28:29]
	s_and_b64 s[6:7], s[6:7], s[30:31]
	v_cndmask_b32_e64 v15, 0, 1, s[20:21]
	v_cndmask_b32_e64 v16, 0, 1, s[6:7]
	v_cmp_ne_u32_e64 s[6:7], 0, v13
	v_cmp_ne_u32_e64 s[22:23], 0, v14
	;; [unrolled: 1-line block ×4, first 2 shown]
	s_bcnt1_i32_b64 s6, s[6:7]
	s_bcnt1_i32_b64 s7, s[22:23]
	;; [unrolled: 1-line block ×4, first 2 shown]
	v_add_u32_e32 v1, s6, v1
	v_add_u32_e32 v2, s7, v2
	;; [unrolled: 1-line block ×3, first 2 shown]
	s_or_b64 s[70:71], vcc, s[70:71]
	v_add_u32_e32 v4, s20, v4
	s_andn2_b64 exec, exec, s[70:71]
	s_cbranch_execnz .LBB136_92
; %bb.93:                               ;   in Loop: Header=BB136_20 Depth=1
	s_or_b64 exec, exec, s[70:71]
.LBB136_94:                             ;   in Loop: Header=BB136_20 Depth=1
	s_or_b64 exec, exec, s[68:69]
	s_lshl_b32 s10, s33, 6
	s_and_saveexec_b64 s[6:7], s[4:5]
	s_cbranch_execnz .LBB136_68
	s_branch .LBB136_69
.LBB136_95:                             ;   in Loop: Header=BB136_20 Depth=1
	v_mov_b32_e32 v1, 0
	s_mov_b32 s11, 0
.LBB136_96:                             ;   in Loop: Header=BB136_20 Depth=1
	v_readlane_b32 s20, v53, 22
	v_readlane_b32 s21, v53, 23
	s_andn2_b64 vcc, exec, s[20:21]
	s_cbranch_vccnz .LBB136_99
; %bb.97:                               ;   in Loop: Header=BB136_20 Depth=1
	s_lshl_b32 s20, s33, 8
	s_lshl_b32 s11, s11, 4
	s_add_i32 s20, s20, s11
	v_add_u32_e32 v2, s20, v39
	v_readlane_b32 s11, v53, 21
.LBB136_98:                             ;   Parent Loop BB136_20 Depth=1
                                        ; =>  This Inner Loop Header: Depth=2
	ds_read_b32 v3, v2
	s_add_i32 s11, s11, -1
	v_add_u32_e32 v2, 16, v2
	s_cmp_lg_u32 s11, 0
	s_waitcnt lgkmcnt(0)
	v_add_u32_e32 v1, v3, v1
	s_cbranch_scc1 .LBB136_98
.LBB136_99:                             ;   in Loop: Header=BB136_20 Depth=1
	v_add_lshl_u32 v2, s10, v21, 2
	ds_write_b32 v2, v1 offset:3072
.LBB136_100:                            ;   in Loop: Header=BB136_20 Depth=1
	s_or_b64 exec, exec, s[6:7]
	s_lshl_b32 s6, s10, 2
	v_mov_b32_e32 v1, s6
	s_waitcnt lgkmcnt(0)
	s_barrier
	ds_read_b128 v[1:4], v1 offset:3072
	v_cmp_eq_u32_e32 vcc, 1, v48
	s_mov_b64 s[22:23], -1
	s_mov_b64 s[68:69], -1
                                        ; implicit-def: $sgpr30_sgpr31
                                        ; implicit-def: $sgpr28_sgpr29
	s_waitcnt lgkmcnt(0)
	v_readfirstlane_b32 s78, v1
	s_cmp_eq_u32 s78, 1
	v_lshlrev_b32_e64 v1, v45, 3
	s_cselect_b64 s[6:7], -1, 0
	v_readfirstlane_b32 s82, v2
	v_readfirstlane_b32 s90, v3
	;; [unrolled: 1-line block ×3, first 2 shown]
	v_not_b32_e32 v3, v1
	s_and_b64 s[26:27], s[6:7], vcc
	s_and_saveexec_b64 s[6:7], s[26:27]
	s_cbranch_execz .LBB136_126
; %bb.101:                              ;   in Loop: Header=BB136_20 Depth=1
	ds_read_b32 v2, v7 offset:4104
	s_waitcnt lgkmcnt(0)
	s_barrier
	v_readfirstlane_b32 s20, v2
	s_and_saveexec_b64 s[10:11], s[24:25]
; %bb.102:                              ;   in Loop: Header=BB136_20 Depth=1
	ds_write_b16 v23, v7
; %bb.103:                              ;   in Loop: Header=BB136_20 Depth=1
	s_or_b64 exec, exec, s[10:11]
	v_and_b32_e32 v38, v38, v3
	v_or_b32_e32 v46, v46, v1
	s_mov_b64 s[28:29], -1
	s_mov_b64 s[30:31], 0
	s_cmp_eq_u32 s20, 0
	s_mov_b64 s[68:69], 0
	s_mov_b64 s[70:71], -1
	s_waitcnt lgkmcnt(0)
	s_barrier
                                        ; implicit-def: $vgpr47
	s_cbranch_scc1 .LBB136_114
; %bb.104:                              ;   in Loop: Header=BB136_20 Depth=1
	s_add_i32 s10, s20, s15
	s_mul_hi_u32 s11, s10, s0
	s_mul_i32 s11, s11, s39
	s_sub_i32 s11, s10, s11
	s_sub_i32 s21, s11, s39
	s_cmp_ge_u32 s11, s39
	s_cselect_b32 s11, s21, s11
	s_sub_i32 s21, s11, s39
	s_cmp_ge_u32 s11, s39
	s_cselect_b32 s11, s21, s11
	s_sub_i32 s10, s10, s11
	v_cmp_gt_u32_e32 vcc, s10, v0
	s_mov_b64 s[70:71], 0
                                        ; implicit-def: $vgpr47
	s_and_saveexec_b64 s[72:73], vcc
	s_cbranch_execz .LBB136_113
; %bb.105:                              ;   in Loop: Header=BB136_20 Depth=1
	v_mov_b32_e32 v2, v22
	v_mov_b32_e32 v4, v0
                                        ; implicit-def: $sgpr74_sgpr75
	s_branch .LBB136_108
.LBB136_106:                            ;   in Loop: Header=BB136_108 Depth=2
	s_or_b64 exec, exec, s[34:35]
	s_waitcnt lgkmcnt(0)
	s_barrier
	ds_read_b32 v6, v7 offset:3072
	s_mov_b64 s[34:35], -1
	s_mov_b64 s[76:77], -1
	s_waitcnt lgkmcnt(0)
	s_barrier
	v_and_b32_e32 v12, 0x7fff, v6
	v_cmp_ne_u32_e32 vcc, 0, v12
	s_cbranch_vccz .LBB136_111
.LBB136_107:                            ;   in Loop: Header=BB136_108 Depth=2
	s_and_b64 s[34:35], exec, s[34:35]
	s_or_b64 s[68:69], s[34:35], s[68:69]
	s_andn2_b64 s[34:35], s[74:75], exec
	s_and_b64 s[74:75], s[76:77], exec
	s_or_b64 s[74:75], s[34:35], s[74:75]
	s_andn2_b64 exec, exec, s[68:69]
	s_cbranch_execz .LBB136_112
.LBB136_108:                            ;   Parent Loop BB136_20 Depth=1
                                        ; =>  This Inner Loop Header: Depth=2
	v_cmp_gt_u32_e32 vcc, s20, v4
	s_and_saveexec_b64 s[34:35], vcc
	s_cbranch_execz .LBB136_106
; %bb.109:                              ;   in Loop: Header=BB136_108 Depth=2
	ds_read_u16 v6, v2
	s_waitcnt lgkmcnt(0)
	v_cmp_lt_i16_e32 vcc, -1, v6
	v_cndmask_b32_e32 v12, v41, v42, vcc
	v_lshlrev_b32_e32 v13, 16, v6
	v_cmp_o_f32_e32 vcc, v13, v13
	v_xor_b32_sdwa v12, v12, v6 dst_sel:DWORD dst_unused:UNUSED_PAD src0_sel:DWORD src1_sel:WORD_0
	v_cndmask_b32_e32 v12, v41, v12, vcc
	v_and_b32_e32 v12, v12, v46
	v_cmp_eq_u32_e32 vcc, v12, v38
	s_and_b64 exec, exec, vcc
	s_cbranch_execz .LBB136_106
; %bb.110:                              ;   in Loop: Header=BB136_108 Depth=2
	v_perm_b32 v6, v6, s52, v44
	ds_write_b32 v7, v6 offset:3072
	s_branch .LBB136_106
.LBB136_111:                            ;   in Loop: Header=BB136_108 Depth=2
	v_add_u32_e32 v4, s39, v4
	v_cmp_le_u32_e32 vcc, s10, v4
	v_add_u32_e32 v2, s50, v2
	s_mov_b64 s[76:77], 0
	s_orn2_b64 s[34:35], vcc, exec
	s_branch .LBB136_107
.LBB136_112:                            ;   in Loop: Header=BB136_20 Depth=1
	s_or_b64 exec, exec, s[68:69]
	v_lshrrev_b32_e32 v47, 16, v6
	s_and_b64 s[68:69], s[74:75], exec
.LBB136_113:                            ;   in Loop: Header=BB136_20 Depth=1
	s_or_b64 exec, exec, s[72:73]
.LBB136_114:                            ;   in Loop: Header=BB136_20 Depth=1
	s_and_b64 vcc, exec, s[70:71]
	s_cbranch_vccz .LBB136_125
; %bb.115:                              ;   in Loop: Header=BB136_20 Depth=1
                                        ; implicit-def: $vgpr47
	s_mov_b64 s[28:29], exec
	v_readlane_b32 s10, v53, 24
	v_readlane_b32 s11, v53, 25
	s_and_b64 s[10:11], s[28:29], s[10:11]
	s_mov_b64 exec, s[10:11]
	s_cbranch_execz .LBB136_124
; %bb.116:                              ;   in Loop: Header=BB136_20 Depth=1
	s_mov_b64 s[30:31], 0
	v_mov_b32_e32 v6, v5
	v_mov_b32_e32 v2, v0
                                        ; implicit-def: $sgpr70_sgpr71
	s_branch .LBB136_119
.LBB136_117:                            ;   in Loop: Header=BB136_119 Depth=2
	s_or_b64 exec, exec, s[72:73]
	s_waitcnt lgkmcnt(0)
	s_barrier
	ds_read_b32 v4, v7 offset:3072
	s_mov_b64 s[34:35], -1
	s_mov_b64 s[72:73], -1
	s_waitcnt lgkmcnt(0)
	s_barrier
	v_and_b32_e32 v12, 0x7fff, v4
	v_cmp_ne_u32_e32 vcc, 0, v12
	s_cbranch_vccz .LBB136_122
.LBB136_118:                            ;   in Loop: Header=BB136_119 Depth=2
	s_and_b64 s[10:11], exec, s[34:35]
	s_or_b64 s[30:31], s[10:11], s[30:31]
	s_andn2_b64 s[10:11], s[70:71], exec
	s_and_b64 s[20:21], s[72:73], exec
	s_or_b64 s[70:71], s[10:11], s[20:21]
	s_andn2_b64 exec, exec, s[30:31]
	s_cbranch_execz .LBB136_123
.LBB136_119:                            ;   Parent Loop BB136_20 Depth=1
                                        ; =>  This Inner Loop Header: Depth=2
	v_cmp_gt_u32_e32 vcc, s36, v2
	s_and_saveexec_b64 s[72:73], vcc
	s_cbranch_execz .LBB136_117
; %bb.120:                              ;   in Loop: Header=BB136_119 Depth=2
	v_lshlrev_b64 v[12:13], 1, v[6:7]
	v_mov_b32_e32 v4, s13
	v_add_co_u32_e32 v12, vcc, s37, v12
	v_addc_co_u32_e32 v13, vcc, v4, v13, vcc
	global_load_ushort v4, v[12:13], off
	s_waitcnt vmcnt(0)
	v_cmp_lt_i16_e32 vcc, -1, v4
	v_cndmask_b32_e32 v12, v41, v42, vcc
	v_lshlrev_b32_e32 v13, 16, v4
	v_xor_b32_sdwa v12, v12, v4 dst_sel:DWORD dst_unused:UNUSED_PAD src0_sel:DWORD src1_sel:WORD_0
	v_cmp_o_f32_e32 vcc, v13, v13
	v_cndmask_b32_e32 v12, v41, v12, vcc
	v_and_b32_e32 v12, v12, v46
	v_cmp_eq_u32_e32 vcc, v12, v38
	s_and_b64 exec, exec, vcc
	s_cbranch_execz .LBB136_117
; %bb.121:                              ;   in Loop: Header=BB136_119 Depth=2
	v_perm_b32 v4, v4, s52, v44
	ds_write_b32 v7, v4 offset:3072
	s_branch .LBB136_117
.LBB136_122:                            ;   in Loop: Header=BB136_119 Depth=2
	v_add_u32_e32 v2, s39, v2
	v_cmp_le_u32_e32 vcc, s1, v2
	v_add_u32_e32 v6, s40, v6
	s_mov_b64 s[72:73], 0
	s_orn2_b64 s[34:35], vcc, exec
	s_branch .LBB136_118
.LBB136_123:                            ;   in Loop: Header=BB136_20 Depth=1
	s_or_b64 exec, exec, s[30:31]
	s_andn2_b64 s[10:11], s[68:69], exec
	s_and_b64 s[20:21], s[70:71], exec
	v_lshrrev_b32_e32 v47, 16, v4
	s_or_b64 s[68:69], s[10:11], s[20:21]
.LBB136_124:                            ;   in Loop: Header=BB136_20 Depth=1
	s_or_b64 exec, exec, s[28:29]
	s_mov_b64 s[28:29], 0
	s_mov_b64 s[30:31], -1
.LBB136_125:                            ;   in Loop: Header=BB136_20 Depth=1
	s_orn2_b64 s[68:69], s[68:69], exec
.LBB136_126:                            ;   in Loop: Header=BB136_20 Depth=1
	s_or_b64 exec, exec, s[6:7]
	s_andn2_b64 s[6:7], s[66:67], exec
	s_and_b64 s[10:11], s[30:31], exec
	s_or_b64 s[66:67], s[6:7], s[10:11]
	s_andn2_b64 s[6:7], s[64:65], exec
	s_and_b64 s[10:11], s[28:29], exec
	v_readfirstlane_b32 s20, v0
	s_andn2_b64 s[62:63], s[62:63], exec
	s_or_b64 s[64:65], s[6:7], s[10:11]
                                        ; implicit-def: $vgpr4
	s_and_saveexec_b64 s[6:7], s[68:69]
	s_cbranch_execz .LBB136_19
; %bb.127:                              ;   in Loop: Header=BB136_20 Depth=1
	s_xor_b64 s[10:11], s[26:27], -1
	s_mov_b64 s[26:27], 0
	v_mov_b32_e32 v4, 1
	v_mov_b32_e32 v2, 1
	s_and_saveexec_b64 s[22:23], s[10:11]
	s_cbranch_execz .LBB136_136
; %bb.128:                              ;   in Loop: Header=BB136_20 Depth=1
	v_cmp_ge_u32_e32 vcc, s78, v48
	s_and_saveexec_b64 s[10:11], vcc
	s_xor_b64 s[26:27], exec, s[10:11]
	s_cbranch_execz .LBB136_133
; %bb.129:                              ;   in Loop: Header=BB136_20 Depth=1
	ds_read_b32 v2, v7 offset:4104
	v_and_b32_e32 v38, v38, v3
	v_or_b32_e32 v46, v46, v1
	s_waitcnt lgkmcnt(0)
	v_cmp_ne_u32_e32 vcc, 0, v2
	s_cbranch_vccnz .LBB136_133
; %bb.130:                              ;   in Loop: Header=BB136_20 Depth=1
	s_and_saveexec_b64 s[10:11], s[2:3]
; %bb.131:                              ;   in Loop: Header=BB136_20 Depth=1
	v_mov_b32_e32 v2, s78
	ds_write_b32 v7, v2 offset:4108
; %bb.132:                              ;   in Loop: Header=BB136_20 Depth=1
	s_or_b64 exec, exec, s[10:11]
	s_waitcnt lgkmcnt(0)
	s_barrier
.LBB136_133:                            ;   in Loop: Header=BB136_20 Depth=1
	s_or_saveexec_b64 s[26:27], s[26:27]
	s_mov_b64 s[28:29], 0
	v_mov_b32_e32 v2, 8
	s_xor_b64 exec, exec, s[26:27]
; %bb.134:                              ;   in Loop: Header=BB136_20 Depth=1
	s_mov_b64 s[28:29], exec
	v_subrev_u32_e32 v48, s78, v48
	v_mov_b32_e32 v2, 0
; %bb.135:                              ;   in Loop: Header=BB136_20 Depth=1
	s_or_b64 exec, exec, s[26:27]
	s_and_b64 s[26:27], s[28:29], exec
	v_mov_b32_e32 v4, v48
.LBB136_136:                            ;   in Loop: Header=BB136_20 Depth=1
	s_or_b64 exec, exec, s[22:23]
	s_mov_b64 s[22:23], -1
	s_mov_b64 s[68:69], -1
                                        ; implicit-def: $sgpr28_sgpr29
                                        ; implicit-def: $sgpr30_sgpr31
	s_and_saveexec_b64 s[10:11], s[26:27]
	s_xor_b64 s[26:27], exec, s[10:11]
	s_cbranch_execz .LBB136_253
; %bb.137:                              ;   in Loop: Header=BB136_20 Depth=1
	s_cmp_eq_u32 s82, 1
	s_cselect_b64 s[10:11], -1, 0
	v_cmp_eq_u32_e32 vcc, 1, v4
	s_and_b64 s[70:71], s[10:11], vcc
	s_mov_b64 s[72:73], -1
                                        ; implicit-def: $sgpr30_sgpr31
                                        ; implicit-def: $sgpr28_sgpr29
	s_and_saveexec_b64 s[68:69], s[70:71]
	s_cbranch_execz .LBB136_163
; %bb.138:                              ;   in Loop: Header=BB136_20 Depth=1
	ds_read_b32 v6, v7 offset:4104
	s_waitcnt lgkmcnt(0)
	s_barrier
	v_readfirstlane_b32 s83, v6
	s_and_saveexec_b64 s[10:11], s[24:25]
; %bb.139:                              ;   in Loop: Header=BB136_20 Depth=1
	ds_write_b16 v23, v7
; %bb.140:                              ;   in Loop: Header=BB136_20 Depth=1
	s_or_b64 exec, exec, s[10:11]
	v_and_b32_e32 v6, v38, v3
	v_lshl_or_b32 v38, 1, v45, v6
	v_or_b32_e32 v46, v46, v1
	s_mov_b64 s[28:29], -1
	s_mov_b64 s[30:31], 0
	s_cmp_eq_u32 s83, 0
	s_mov_b64 s[72:73], 0
	s_mov_b64 s[74:75], -1
	s_waitcnt lgkmcnt(0)
	s_barrier
                                        ; implicit-def: $vgpr47
	s_cbranch_scc1 .LBB136_151
; %bb.141:                              ;   in Loop: Header=BB136_20 Depth=1
	s_add_i32 s10, s83, s15
	s_mul_hi_u32 s11, s10, s0
	s_mul_i32 s11, s11, s39
	s_sub_i32 s11, s10, s11
	s_sub_i32 s20, s11, s39
	s_cmp_ge_u32 s11, s39
	s_cselect_b32 s11, s20, s11
	s_sub_i32 s20, s11, s39
	s_cmp_ge_u32 s11, s39
	s_cselect_b32 s11, s20, s11
	s_sub_i32 s10, s10, s11
	v_cmp_gt_u32_e32 vcc, s10, v0
	s_mov_b64 s[74:75], 0
                                        ; implicit-def: $vgpr47
	s_and_saveexec_b64 s[76:77], vcc
	s_cbranch_execz .LBB136_150
; %bb.142:                              ;   in Loop: Header=BB136_20 Depth=1
	v_mov_b32_e32 v6, v22
	v_mov_b32_e32 v12, v0
                                        ; implicit-def: $sgpr78_sgpr79
	s_branch .LBB136_145
.LBB136_143:                            ;   in Loop: Header=BB136_145 Depth=2
	s_or_b64 exec, exec, s[80:81]
	s_waitcnt lgkmcnt(0)
	s_barrier
	ds_read_b32 v13, v7 offset:3072
	s_mov_b64 s[34:35], -1
	s_mov_b64 s[80:81], -1
	s_waitcnt lgkmcnt(0)
	s_barrier
	v_and_b32_e32 v14, 0x7fff, v13
	v_cmp_ne_u32_e32 vcc, 0, v14
	s_cbranch_vccz .LBB136_148
.LBB136_144:                            ;   in Loop: Header=BB136_145 Depth=2
	s_and_b64 s[20:21], exec, s[34:35]
	s_or_b64 s[72:73], s[20:21], s[72:73]
	s_andn2_b64 s[20:21], s[78:79], exec
	s_and_b64 s[34:35], s[80:81], exec
	s_or_b64 s[78:79], s[20:21], s[34:35]
	s_andn2_b64 exec, exec, s[72:73]
	s_cbranch_execz .LBB136_149
.LBB136_145:                            ;   Parent Loop BB136_20 Depth=1
                                        ; =>  This Inner Loop Header: Depth=2
	v_cmp_gt_u32_e32 vcc, s83, v12
	s_and_saveexec_b64 s[80:81], vcc
	s_cbranch_execz .LBB136_143
; %bb.146:                              ;   in Loop: Header=BB136_145 Depth=2
	ds_read_u16 v13, v6
	s_waitcnt lgkmcnt(0)
	v_cmp_lt_i16_e32 vcc, -1, v13
	v_cndmask_b32_e32 v14, v41, v42, vcc
	v_lshlrev_b32_e32 v15, 16, v13
	v_cmp_o_f32_e32 vcc, v15, v15
	v_xor_b32_sdwa v14, v14, v13 dst_sel:DWORD dst_unused:UNUSED_PAD src0_sel:DWORD src1_sel:WORD_0
	v_cndmask_b32_e32 v14, v41, v14, vcc
	v_and_b32_e32 v14, v14, v46
	v_cmp_eq_u32_e32 vcc, v14, v38
	s_and_b64 exec, exec, vcc
	s_cbranch_execz .LBB136_143
; %bb.147:                              ;   in Loop: Header=BB136_145 Depth=2
	v_perm_b32 v13, v13, s52, v44
	ds_write_b32 v7, v13 offset:3072
	s_branch .LBB136_143
.LBB136_148:                            ;   in Loop: Header=BB136_145 Depth=2
	v_add_u32_e32 v12, s39, v12
	v_cmp_le_u32_e32 vcc, s10, v12
	v_add_u32_e32 v6, s50, v6
	s_mov_b64 s[80:81], 0
	s_orn2_b64 s[34:35], vcc, exec
	s_branch .LBB136_144
.LBB136_149:                            ;   in Loop: Header=BB136_20 Depth=1
	s_or_b64 exec, exec, s[72:73]
	v_lshrrev_b32_e32 v47, 16, v13
	s_and_b64 s[72:73], s[78:79], exec
.LBB136_150:                            ;   in Loop: Header=BB136_20 Depth=1
	s_or_b64 exec, exec, s[76:77]
.LBB136_151:                            ;   in Loop: Header=BB136_20 Depth=1
	s_and_b64 vcc, exec, s[74:75]
	s_cbranch_vccz .LBB136_162
; %bb.152:                              ;   in Loop: Header=BB136_20 Depth=1
                                        ; implicit-def: $vgpr47
	s_mov_b64 s[28:29], exec
	v_readlane_b32 s10, v53, 24
	v_readlane_b32 s11, v53, 25
	s_and_b64 s[10:11], s[28:29], s[10:11]
	s_mov_b64 exec, s[10:11]
	s_cbranch_execz .LBB136_161
; %bb.153:                              ;   in Loop: Header=BB136_20 Depth=1
	s_mov_b64 s[30:31], 0
	v_mov_b32_e32 v6, v5
	v_mov_b32_e32 v12, v0
                                        ; implicit-def: $sgpr74_sgpr75
	s_branch .LBB136_156
.LBB136_154:                            ;   in Loop: Header=BB136_156 Depth=2
	s_or_b64 exec, exec, s[76:77]
	s_waitcnt lgkmcnt(0)
	s_barrier
	ds_read_b32 v13, v7 offset:3072
	s_mov_b64 s[34:35], -1
	s_mov_b64 s[76:77], -1
	s_waitcnt lgkmcnt(0)
	s_barrier
	v_and_b32_e32 v14, 0x7fff, v13
	v_cmp_eq_u32_e32 vcc, 0, v14
	s_cbranch_vccnz .LBB136_159
.LBB136_155:                            ;   in Loop: Header=BB136_156 Depth=2
	s_and_b64 s[10:11], exec, s[34:35]
	s_or_b64 s[30:31], s[10:11], s[30:31]
	s_andn2_b64 s[10:11], s[74:75], exec
	s_and_b64 s[20:21], s[76:77], exec
	s_or_b64 s[74:75], s[10:11], s[20:21]
	s_andn2_b64 exec, exec, s[30:31]
	s_cbranch_execz .LBB136_160
.LBB136_156:                            ;   Parent Loop BB136_20 Depth=1
                                        ; =>  This Inner Loop Header: Depth=2
	v_cmp_gt_u32_e32 vcc, s36, v12
	s_and_saveexec_b64 s[76:77], vcc
	s_cbranch_execz .LBB136_154
; %bb.157:                              ;   in Loop: Header=BB136_156 Depth=2
	v_lshlrev_b64 v[13:14], 1, v[6:7]
	v_mov_b32_e32 v15, s13
	v_add_co_u32_e32 v13, vcc, s37, v13
	v_addc_co_u32_e32 v14, vcc, v15, v14, vcc
	global_load_ushort v13, v[13:14], off
	s_waitcnt vmcnt(0)
	v_cmp_lt_i16_e32 vcc, -1, v13
	v_cndmask_b32_e32 v14, v41, v42, vcc
	v_lshlrev_b32_e32 v15, 16, v13
	v_xor_b32_sdwa v14, v14, v13 dst_sel:DWORD dst_unused:UNUSED_PAD src0_sel:DWORD src1_sel:WORD_0
	v_cmp_o_f32_e32 vcc, v15, v15
	v_cndmask_b32_e32 v14, v41, v14, vcc
	v_and_b32_e32 v14, v14, v46
	v_cmp_eq_u32_e32 vcc, v14, v38
	s_and_b64 exec, exec, vcc
	s_cbranch_execz .LBB136_154
; %bb.158:                              ;   in Loop: Header=BB136_156 Depth=2
	v_perm_b32 v13, v13, s52, v44
	ds_write_b32 v7, v13 offset:3072
	s_branch .LBB136_154
.LBB136_159:                            ;   in Loop: Header=BB136_156 Depth=2
	v_add_u32_e32 v12, s39, v12
	v_cmp_le_u32_e32 vcc, s1, v12
	v_add_u32_e32 v6, s40, v6
	s_mov_b64 s[76:77], 0
	s_orn2_b64 s[34:35], vcc, exec
	s_branch .LBB136_155
.LBB136_160:                            ;   in Loop: Header=BB136_20 Depth=1
	s_or_b64 exec, exec, s[30:31]
	s_andn2_b64 s[10:11], s[72:73], exec
	s_and_b64 s[20:21], s[74:75], exec
	v_lshrrev_b32_e32 v47, 16, v13
	s_or_b64 s[72:73], s[10:11], s[20:21]
.LBB136_161:                            ;   in Loop: Header=BB136_20 Depth=1
	s_or_b64 exec, exec, s[28:29]
	s_mov_b64 s[28:29], 0
	s_mov_b64 s[30:31], -1
.LBB136_162:                            ;   in Loop: Header=BB136_20 Depth=1
	s_orn2_b64 s[72:73], s[72:73], exec
.LBB136_163:                            ;   in Loop: Header=BB136_20 Depth=1
	s_or_b64 exec, exec, s[68:69]
	s_mov_b64 s[74:75], 0
	s_and_saveexec_b64 s[68:69], s[72:73]
	s_cbranch_execz .LBB136_252
; %bb.164:                              ;   in Loop: Header=BB136_20 Depth=1
	s_xor_b64 s[10:11], s[70:71], -1
	s_mov_b64 s[78:79], 0
	v_mov_b32_e32 v12, 1
	v_mov_b32_e32 v2, 1
	s_and_saveexec_b64 s[70:71], s[10:11]
	s_cbranch_execz .LBB136_173
; %bb.165:                              ;   in Loop: Header=BB136_20 Depth=1
	v_cmp_ge_u32_e32 vcc, s82, v4
	s_and_saveexec_b64 s[10:11], vcc
	s_xor_b64 s[72:73], exec, s[10:11]
	s_cbranch_execz .LBB136_170
; %bb.166:                              ;   in Loop: Header=BB136_20 Depth=1
	ds_read_b32 v2, v7 offset:4104
	v_and_b32_e32 v6, v38, v3
	v_lshl_or_b32 v38, 1, v45, v6
	v_or_b32_e32 v46, v46, v1
	s_waitcnt lgkmcnt(0)
	v_cmp_ne_u32_e32 vcc, 0, v2
	s_cbranch_vccnz .LBB136_170
; %bb.167:                              ;   in Loop: Header=BB136_20 Depth=1
	s_and_saveexec_b64 s[10:11], s[2:3]
; %bb.168:                              ;   in Loop: Header=BB136_20 Depth=1
	v_mov_b32_e32 v2, s82
	ds_write_b32 v7, v2 offset:4108
; %bb.169:                              ;   in Loop: Header=BB136_20 Depth=1
	s_or_b64 exec, exec, s[10:11]
	s_waitcnt lgkmcnt(0)
	s_barrier
.LBB136_170:                            ;   in Loop: Header=BB136_20 Depth=1
	s_or_saveexec_b64 s[34:35], s[72:73]
	s_mov_b64 s[72:73], 0
	v_mov_b32_e32 v2, 8
	s_xor_b64 exec, exec, s[34:35]
; %bb.171:                              ;   in Loop: Header=BB136_20 Depth=1
	s_mov_b64 s[72:73], exec
	v_subrev_u32_e32 v4, s82, v4
	v_mov_b32_e32 v2, 0
; %bb.172:                              ;   in Loop: Header=BB136_20 Depth=1
	s_or_b64 exec, exec, s[34:35]
	s_and_b64 s[78:79], s[72:73], exec
	v_mov_b32_e32 v12, v4
.LBB136_173:                            ;   in Loop: Header=BB136_20 Depth=1
	s_or_b64 exec, exec, s[70:71]
	s_mov_b64 s[76:77], -1
                                        ; implicit-def: $sgpr72_sgpr73
                                        ; implicit-def: $sgpr74_sgpr75
	s_and_saveexec_b64 s[70:71], s[78:79]
	s_cbranch_execz .LBB136_251
; %bb.174:                              ;   in Loop: Header=BB136_20 Depth=1
	s_cmp_eq_u32 s90, 1
	s_cselect_b64 s[10:11], -1, 0
	v_cmp_eq_u32_e32 vcc, 1, v12
	s_and_b64 s[78:79], s[10:11], vcc
	s_mov_b64 s[80:81], -1
                                        ; implicit-def: $sgpr74_sgpr75
                                        ; implicit-def: $sgpr72_sgpr73
	s_and_saveexec_b64 s[76:77], s[78:79]
	s_cbranch_execz .LBB136_200
; %bb.175:                              ;   in Loop: Header=BB136_20 Depth=1
	ds_read_b32 v4, v7 offset:4104
	s_waitcnt lgkmcnt(0)
	s_barrier
	v_readfirstlane_b32 s91, v4
	s_and_saveexec_b64 s[10:11], s[24:25]
; %bb.176:                              ;   in Loop: Header=BB136_20 Depth=1
	ds_write_b16 v23, v7
; %bb.177:                              ;   in Loop: Header=BB136_20 Depth=1
	s_or_b64 exec, exec, s[10:11]
	v_and_b32_e32 v4, v38, v3
	v_lshl_or_b32 v38, 2, v45, v4
	v_or_b32_e32 v46, v46, v1
	s_mov_b64 s[72:73], -1
	s_mov_b64 s[74:75], 0
	s_cmp_eq_u32 s91, 0
	s_mov_b64 s[80:81], 0
	s_mov_b64 s[82:83], -1
	s_waitcnt lgkmcnt(0)
	s_barrier
                                        ; implicit-def: $vgpr47
	s_cbranch_scc1 .LBB136_188
; %bb.178:                              ;   in Loop: Header=BB136_20 Depth=1
	s_add_i32 s10, s91, s15
	s_mul_hi_u32 s11, s10, s0
	s_mul_i32 s11, s11, s39
	s_sub_i32 s11, s10, s11
	s_sub_i32 s20, s11, s39
	s_cmp_ge_u32 s11, s39
	s_cselect_b32 s11, s20, s11
	s_sub_i32 s20, s11, s39
	s_cmp_ge_u32 s11, s39
	s_cselect_b32 s11, s20, s11
	s_sub_i32 s10, s10, s11
	v_cmp_gt_u32_e32 vcc, s10, v0
	s_mov_b64 s[82:83], 0
                                        ; implicit-def: $vgpr47
	s_and_saveexec_b64 s[84:85], vcc
	s_cbranch_execz .LBB136_187
; %bb.179:                              ;   in Loop: Header=BB136_20 Depth=1
	v_mov_b32_e32 v4, v22
	v_mov_b32_e32 v6, v0
                                        ; implicit-def: $sgpr86_sgpr87
	s_branch .LBB136_182
.LBB136_180:                            ;   in Loop: Header=BB136_182 Depth=2
	s_or_b64 exec, exec, s[88:89]
	s_waitcnt lgkmcnt(0)
	s_barrier
	ds_read_b32 v13, v7 offset:3072
	s_mov_b64 s[34:35], -1
	s_mov_b64 s[88:89], -1
	s_waitcnt lgkmcnt(0)
	s_barrier
	v_and_b32_e32 v14, 0x7fff, v13
	v_cmp_ne_u32_e32 vcc, 0, v14
	s_cbranch_vccz .LBB136_185
.LBB136_181:                            ;   in Loop: Header=BB136_182 Depth=2
	s_and_b64 s[20:21], exec, s[34:35]
	s_or_b64 s[80:81], s[20:21], s[80:81]
	s_andn2_b64 s[20:21], s[86:87], exec
	s_and_b64 s[34:35], s[88:89], exec
	s_or_b64 s[86:87], s[20:21], s[34:35]
	s_andn2_b64 exec, exec, s[80:81]
	s_cbranch_execz .LBB136_186
.LBB136_182:                            ;   Parent Loop BB136_20 Depth=1
                                        ; =>  This Inner Loop Header: Depth=2
	v_cmp_gt_u32_e32 vcc, s91, v6
	s_and_saveexec_b64 s[88:89], vcc
	s_cbranch_execz .LBB136_180
; %bb.183:                              ;   in Loop: Header=BB136_182 Depth=2
	ds_read_u16 v13, v4
	s_waitcnt lgkmcnt(0)
	v_cmp_lt_i16_e32 vcc, -1, v13
	v_cndmask_b32_e32 v14, v41, v42, vcc
	v_lshlrev_b32_e32 v15, 16, v13
	v_cmp_o_f32_e32 vcc, v15, v15
	v_xor_b32_sdwa v14, v14, v13 dst_sel:DWORD dst_unused:UNUSED_PAD src0_sel:DWORD src1_sel:WORD_0
	v_cndmask_b32_e32 v14, v41, v14, vcc
	v_and_b32_e32 v14, v14, v46
	v_cmp_eq_u32_e32 vcc, v14, v38
	s_and_b64 exec, exec, vcc
	s_cbranch_execz .LBB136_180
; %bb.184:                              ;   in Loop: Header=BB136_182 Depth=2
	v_perm_b32 v13, v13, s52, v44
	ds_write_b32 v7, v13 offset:3072
	s_branch .LBB136_180
.LBB136_185:                            ;   in Loop: Header=BB136_182 Depth=2
	v_add_u32_e32 v6, s39, v6
	v_cmp_le_u32_e32 vcc, s10, v6
	v_add_u32_e32 v4, s50, v4
	s_mov_b64 s[88:89], 0
	s_orn2_b64 s[34:35], vcc, exec
	s_branch .LBB136_181
.LBB136_186:                            ;   in Loop: Header=BB136_20 Depth=1
	s_or_b64 exec, exec, s[80:81]
	v_lshrrev_b32_e32 v47, 16, v13
	s_and_b64 s[80:81], s[86:87], exec
.LBB136_187:                            ;   in Loop: Header=BB136_20 Depth=1
	s_or_b64 exec, exec, s[84:85]
.LBB136_188:                            ;   in Loop: Header=BB136_20 Depth=1
	s_and_b64 vcc, exec, s[82:83]
	s_cbranch_vccz .LBB136_199
; %bb.189:                              ;   in Loop: Header=BB136_20 Depth=1
                                        ; implicit-def: $vgpr47
	s_mov_b64 s[72:73], exec
	v_readlane_b32 s10, v53, 24
	v_readlane_b32 s11, v53, 25
	s_and_b64 s[10:11], s[72:73], s[10:11]
	s_mov_b64 exec, s[10:11]
	s_cbranch_execz .LBB136_198
; %bb.190:                              ;   in Loop: Header=BB136_20 Depth=1
	s_mov_b64 s[74:75], 0
	v_mov_b32_e32 v6, v5
	v_mov_b32_e32 v4, v0
                                        ; implicit-def: $sgpr82_sgpr83
	s_branch .LBB136_193
.LBB136_191:                            ;   in Loop: Header=BB136_193 Depth=2
	s_or_b64 exec, exec, s[84:85]
	s_waitcnt lgkmcnt(0)
	s_barrier
	ds_read_b32 v13, v7 offset:3072
	s_mov_b64 s[34:35], -1
	s_mov_b64 s[84:85], -1
	s_waitcnt lgkmcnt(0)
	s_barrier
	v_and_b32_e32 v14, 0x7fff, v13
	v_cmp_eq_u32_e32 vcc, 0, v14
	s_cbranch_vccnz .LBB136_196
.LBB136_192:                            ;   in Loop: Header=BB136_193 Depth=2
	s_and_b64 s[10:11], exec, s[34:35]
	s_or_b64 s[74:75], s[10:11], s[74:75]
	s_andn2_b64 s[10:11], s[82:83], exec
	s_and_b64 s[20:21], s[84:85], exec
	s_or_b64 s[82:83], s[10:11], s[20:21]
	s_andn2_b64 exec, exec, s[74:75]
	s_cbranch_execz .LBB136_197
.LBB136_193:                            ;   Parent Loop BB136_20 Depth=1
                                        ; =>  This Inner Loop Header: Depth=2
	v_cmp_gt_u32_e32 vcc, s36, v4
	s_and_saveexec_b64 s[84:85], vcc
	s_cbranch_execz .LBB136_191
; %bb.194:                              ;   in Loop: Header=BB136_193 Depth=2
	v_lshlrev_b64 v[13:14], 1, v[6:7]
	v_mov_b32_e32 v15, s13
	v_add_co_u32_e32 v13, vcc, s37, v13
	v_addc_co_u32_e32 v14, vcc, v15, v14, vcc
	global_load_ushort v13, v[13:14], off
	s_waitcnt vmcnt(0)
	v_cmp_lt_i16_e32 vcc, -1, v13
	v_cndmask_b32_e32 v14, v41, v42, vcc
	v_lshlrev_b32_e32 v15, 16, v13
	v_xor_b32_sdwa v14, v14, v13 dst_sel:DWORD dst_unused:UNUSED_PAD src0_sel:DWORD src1_sel:WORD_0
	v_cmp_o_f32_e32 vcc, v15, v15
	v_cndmask_b32_e32 v14, v41, v14, vcc
	v_and_b32_e32 v14, v14, v46
	v_cmp_eq_u32_e32 vcc, v14, v38
	s_and_b64 exec, exec, vcc
	s_cbranch_execz .LBB136_191
; %bb.195:                              ;   in Loop: Header=BB136_193 Depth=2
	v_perm_b32 v13, v13, s52, v44
	ds_write_b32 v7, v13 offset:3072
	s_branch .LBB136_191
.LBB136_196:                            ;   in Loop: Header=BB136_193 Depth=2
	v_add_u32_e32 v4, s39, v4
	v_cmp_le_u32_e32 vcc, s1, v4
	v_add_u32_e32 v6, s40, v6
	s_mov_b64 s[84:85], 0
	s_orn2_b64 s[34:35], vcc, exec
	s_branch .LBB136_192
.LBB136_197:                            ;   in Loop: Header=BB136_20 Depth=1
	s_or_b64 exec, exec, s[74:75]
	s_andn2_b64 s[10:11], s[80:81], exec
	s_and_b64 s[20:21], s[82:83], exec
	v_lshrrev_b32_e32 v47, 16, v13
	s_or_b64 s[80:81], s[10:11], s[20:21]
.LBB136_198:                            ;   in Loop: Header=BB136_20 Depth=1
	s_or_b64 exec, exec, s[72:73]
	s_mov_b64 s[72:73], 0
	s_mov_b64 s[74:75], -1
.LBB136_199:                            ;   in Loop: Header=BB136_20 Depth=1
	s_orn2_b64 s[80:81], s[80:81], exec
.LBB136_200:                            ;   in Loop: Header=BB136_20 Depth=1
	s_or_b64 exec, exec, s[76:77]
	s_mov_b64 s[82:83], 0
	s_and_saveexec_b64 s[76:77], s[80:81]
	s_cbranch_execz .LBB136_250
; %bb.201:                              ;   in Loop: Header=BB136_20 Depth=1
	s_xor_b64 s[10:11], s[78:79], -1
	s_mov_b64 s[86:87], 0
	v_mov_b32_e32 v4, 1
	v_mov_b32_e32 v2, 1
	s_and_saveexec_b64 s[78:79], s[10:11]
	s_cbranch_execz .LBB136_210
; %bb.202:                              ;   in Loop: Header=BB136_20 Depth=1
	v_cmp_ge_u32_e32 vcc, s90, v12
	s_and_saveexec_b64 s[10:11], vcc
	s_xor_b64 s[80:81], exec, s[10:11]
	s_cbranch_execz .LBB136_207
; %bb.203:                              ;   in Loop: Header=BB136_20 Depth=1
	v_and_b32_e32 v2, v38, v3
	v_lshl_or_b32 v38, 2, v45, v2
	ds_read_b32 v2, v7 offset:4104
	v_or_b32_e32 v46, v46, v1
	s_waitcnt lgkmcnt(0)
	v_cmp_ne_u32_e32 vcc, 0, v2
	s_cbranch_vccnz .LBB136_207
; %bb.204:                              ;   in Loop: Header=BB136_20 Depth=1
	s_and_saveexec_b64 s[10:11], s[2:3]
; %bb.205:                              ;   in Loop: Header=BB136_20 Depth=1
	v_mov_b32_e32 v2, s90
	ds_write_b32 v7, v2 offset:4108
; %bb.206:                              ;   in Loop: Header=BB136_20 Depth=1
	s_or_b64 exec, exec, s[10:11]
	s_waitcnt lgkmcnt(0)
	s_barrier
.LBB136_207:                            ;   in Loop: Header=BB136_20 Depth=1
	s_or_saveexec_b64 s[80:81], s[80:81]
	v_mov_b32_e32 v2, 8
	s_xor_b64 exec, exec, s[80:81]
; %bb.208:                              ;   in Loop: Header=BB136_20 Depth=1
	v_subrev_u32_e32 v12, s90, v12
	v_mov_b32_e32 v2, 0
	s_mov_b64 s[82:83], exec
; %bb.209:                              ;   in Loop: Header=BB136_20 Depth=1
	s_or_b64 exec, exec, s[80:81]
	s_and_b64 s[86:87], s[82:83], exec
	v_mov_b32_e32 v4, v12
.LBB136_210:                            ;   in Loop: Header=BB136_20 Depth=1
	s_or_b64 exec, exec, s[78:79]
	s_mov_b64 s[84:85], -1
                                        ; implicit-def: $sgpr82_sgpr83
                                        ; implicit-def: $sgpr80_sgpr81
	s_and_saveexec_b64 s[78:79], s[86:87]
	s_cbranch_execz .LBB136_249
; %bb.211:                              ;   in Loop: Header=BB136_20 Depth=1
	s_cmp_eq_u32 s53, 1
	s_cselect_b64 s[10:11], -1, 0
	v_cmp_eq_u32_e32 vcc, 1, v4
	s_and_b64 s[84:85], s[10:11], vcc
	s_mov_b64 s[88:89], -1
                                        ; implicit-def: $sgpr82_sgpr83
                                        ; implicit-def: $sgpr80_sgpr81
	s_and_saveexec_b64 s[86:87], s[84:85]
	s_cbranch_execz .LBB136_237
; %bb.212:                              ;   in Loop: Header=BB136_20 Depth=1
	ds_read_b32 v3, v7 offset:4104
	s_waitcnt lgkmcnt(0)
	s_barrier
	v_readfirstlane_b32 s20, v3
	s_and_saveexec_b64 s[10:11], s[24:25]
; %bb.213:                              ;   in Loop: Header=BB136_20 Depth=1
	ds_write_b16 v23, v7
; %bb.214:                              ;   in Loop: Header=BB136_20 Depth=1
	s_or_b64 exec, exec, s[10:11]
	v_or_b32_e32 v38, v38, v1
	v_or_b32_e32 v46, v46, v1
	s_mov_b64 s[80:81], -1
	s_mov_b64 s[82:83], 0
	s_cmp_eq_u32 s20, 0
	s_mov_b64 s[88:89], 0
	s_mov_b64 s[90:91], -1
	s_waitcnt lgkmcnt(0)
	s_barrier
                                        ; implicit-def: $vgpr47
	s_cbranch_scc1 .LBB136_225
; %bb.215:                              ;   in Loop: Header=BB136_20 Depth=1
	s_add_i32 s10, s20, s15
	s_mul_hi_u32 s11, s10, s0
	s_mul_i32 s11, s11, s39
	s_sub_i32 s11, s10, s11
	s_sub_i32 s21, s11, s39
	s_cmp_ge_u32 s11, s39
	s_cselect_b32 s11, s21, s11
	s_sub_i32 s21, s11, s39
	s_cmp_ge_u32 s11, s39
	s_cselect_b32 s11, s21, s11
	s_sub_i32 s21, s10, s11
	v_cmp_gt_u32_e32 vcc, s21, v0
	s_mov_b64 s[90:91], 0
                                        ; implicit-def: $vgpr47
	s_and_saveexec_b64 s[92:93], vcc
	s_cbranch_execz .LBB136_224
; %bb.216:                              ;   in Loop: Header=BB136_20 Depth=1
	v_mov_b32_e32 v3, v22
	v_mov_b32_e32 v6, v0
                                        ; implicit-def: $sgpr94_sgpr95
	s_branch .LBB136_219
.LBB136_217:                            ;   in Loop: Header=BB136_219 Depth=2
	s_or_b64 exec, exec, s[34:35]
	s_waitcnt lgkmcnt(0)
	s_barrier
	ds_read_b32 v12, v7 offset:3072
	s_mov_b64 s[34:35], -1
	s_mov_b64 s[10:11], -1
	s_waitcnt lgkmcnt(0)
	s_barrier
	v_and_b32_e32 v13, 0x7fff, v12
	v_cmp_ne_u32_e32 vcc, 0, v13
	s_cbranch_vccz .LBB136_222
.LBB136_218:                            ;   in Loop: Header=BB136_219 Depth=2
	s_and_b64 s[34:35], exec, s[34:35]
	s_or_b64 s[88:89], s[34:35], s[88:89]
	s_andn2_b64 s[34:35], s[94:95], exec
	s_and_b64 s[10:11], s[10:11], exec
	s_or_b64 s[94:95], s[34:35], s[10:11]
	s_andn2_b64 exec, exec, s[88:89]
	s_cbranch_execz .LBB136_223
.LBB136_219:                            ;   Parent Loop BB136_20 Depth=1
                                        ; =>  This Inner Loop Header: Depth=2
	v_cmp_gt_u32_e32 vcc, s20, v6
	s_and_saveexec_b64 s[34:35], vcc
	s_cbranch_execz .LBB136_217
; %bb.220:                              ;   in Loop: Header=BB136_219 Depth=2
	ds_read_u16 v12, v3
	s_waitcnt lgkmcnt(0)
	v_cmp_lt_i16_e32 vcc, -1, v12
	v_cndmask_b32_e32 v13, v41, v42, vcc
	v_lshlrev_b32_e32 v14, 16, v12
	v_cmp_o_f32_e32 vcc, v14, v14
	v_xor_b32_sdwa v13, v13, v12 dst_sel:DWORD dst_unused:UNUSED_PAD src0_sel:DWORD src1_sel:WORD_0
	v_cndmask_b32_e32 v13, v41, v13, vcc
	v_and_b32_e32 v13, v13, v46
	v_cmp_eq_u32_e32 vcc, v13, v38
	s_and_b64 exec, exec, vcc
	s_cbranch_execz .LBB136_217
; %bb.221:                              ;   in Loop: Header=BB136_219 Depth=2
	v_perm_b32 v12, v12, s52, v44
	ds_write_b32 v7, v12 offset:3072
	s_branch .LBB136_217
.LBB136_222:                            ;   in Loop: Header=BB136_219 Depth=2
	v_add_u32_e32 v6, s39, v6
	v_cmp_le_u32_e32 vcc, s21, v6
	v_add_u32_e32 v3, s50, v3
	s_mov_b64 s[10:11], 0
	s_orn2_b64 s[34:35], vcc, exec
	s_branch .LBB136_218
.LBB136_223:                            ;   in Loop: Header=BB136_20 Depth=1
	s_or_b64 exec, exec, s[88:89]
	v_lshrrev_b32_e32 v47, 16, v12
	s_and_b64 s[88:89], s[94:95], exec
.LBB136_224:                            ;   in Loop: Header=BB136_20 Depth=1
	s_or_b64 exec, exec, s[92:93]
.LBB136_225:                            ;   in Loop: Header=BB136_20 Depth=1
	s_and_b64 vcc, exec, s[90:91]
	s_cbranch_vccz .LBB136_236
; %bb.226:                              ;   in Loop: Header=BB136_20 Depth=1
                                        ; implicit-def: $vgpr47
	s_mov_b64 s[80:81], exec
	v_readlane_b32 s10, v53, 24
	v_readlane_b32 s11, v53, 25
	s_and_b64 s[10:11], s[80:81], s[10:11]
	s_mov_b64 exec, s[10:11]
	s_cbranch_execz .LBB136_235
; %bb.227:                              ;   in Loop: Header=BB136_20 Depth=1
	s_mov_b64 s[82:83], 0
	v_mov_b32_e32 v6, v5
	v_mov_b32_e32 v3, v0
                                        ; implicit-def: $sgpr90_sgpr91
	s_branch .LBB136_230
.LBB136_228:                            ;   in Loop: Header=BB136_230 Depth=2
	s_or_b64 exec, exec, s[92:93]
	s_waitcnt lgkmcnt(0)
	s_barrier
	ds_read_b32 v12, v7 offset:3072
	s_mov_b64 s[34:35], -1
	s_mov_b64 s[10:11], -1
	s_waitcnt lgkmcnt(0)
	s_barrier
	v_and_b32_e32 v13, 0x7fff, v12
	v_cmp_eq_u32_e32 vcc, 0, v13
	s_cbranch_vccnz .LBB136_233
.LBB136_229:                            ;   in Loop: Header=BB136_230 Depth=2
	s_and_b64 s[20:21], exec, s[34:35]
	s_or_b64 s[82:83], s[20:21], s[82:83]
	s_andn2_b64 s[20:21], s[90:91], exec
	s_and_b64 s[10:11], s[10:11], exec
	s_or_b64 s[90:91], s[20:21], s[10:11]
	s_andn2_b64 exec, exec, s[82:83]
	s_cbranch_execz .LBB136_234
.LBB136_230:                            ;   Parent Loop BB136_20 Depth=1
                                        ; =>  This Inner Loop Header: Depth=2
	v_cmp_gt_u32_e32 vcc, s36, v3
	s_and_saveexec_b64 s[92:93], vcc
	s_cbranch_execz .LBB136_228
; %bb.231:                              ;   in Loop: Header=BB136_230 Depth=2
	v_lshlrev_b64 v[12:13], 1, v[6:7]
	v_mov_b32_e32 v14, s13
	v_add_co_u32_e32 v12, vcc, s37, v12
	v_addc_co_u32_e32 v13, vcc, v14, v13, vcc
	global_load_ushort v12, v[12:13], off
	s_waitcnt vmcnt(0)
	v_cmp_lt_i16_e32 vcc, -1, v12
	v_cndmask_b32_e32 v13, v41, v42, vcc
	v_lshlrev_b32_e32 v14, 16, v12
	v_xor_b32_sdwa v13, v13, v12 dst_sel:DWORD dst_unused:UNUSED_PAD src0_sel:DWORD src1_sel:WORD_0
	v_cmp_o_f32_e32 vcc, v14, v14
	v_cndmask_b32_e32 v13, v41, v13, vcc
	v_and_b32_e32 v13, v13, v46
	v_cmp_eq_u32_e32 vcc, v13, v38
	s_and_b64 exec, exec, vcc
	s_cbranch_execz .LBB136_228
; %bb.232:                              ;   in Loop: Header=BB136_230 Depth=2
	v_perm_b32 v12, v12, s52, v44
	ds_write_b32 v7, v12 offset:3072
	s_branch .LBB136_228
.LBB136_233:                            ;   in Loop: Header=BB136_230 Depth=2
	v_add_u32_e32 v3, s39, v3
	v_cmp_le_u32_e32 vcc, s1, v3
	v_add_u32_e32 v6, s40, v6
	s_mov_b64 s[10:11], 0
	s_orn2_b64 s[34:35], vcc, exec
	s_branch .LBB136_229
.LBB136_234:                            ;   in Loop: Header=BB136_20 Depth=1
	s_or_b64 exec, exec, s[82:83]
	s_andn2_b64 s[10:11], s[88:89], exec
	s_and_b64 s[20:21], s[90:91], exec
	v_lshrrev_b32_e32 v47, 16, v12
	s_or_b64 s[88:89], s[10:11], s[20:21]
.LBB136_235:                            ;   in Loop: Header=BB136_20 Depth=1
	s_or_b64 exec, exec, s[80:81]
	s_mov_b64 s[80:81], 0
	s_mov_b64 s[82:83], -1
.LBB136_236:                            ;   in Loop: Header=BB136_20 Depth=1
	s_orn2_b64 s[88:89], s[88:89], exec
.LBB136_237:                            ;   in Loop: Header=BB136_20 Depth=1
	s_or_b64 exec, exec, s[86:87]
	s_mov_b64 s[34:35], 0
	s_and_saveexec_b64 s[86:87], s[88:89]
	s_cbranch_execz .LBB136_248
; %bb.238:                              ;   in Loop: Header=BB136_20 Depth=1
	s_xor_b64 s[10:11], s[84:85], -1
	v_mov_b32_e32 v2, 1
	v_mov_b32_e32 v3, 1
	s_and_saveexec_b64 s[84:85], s[10:11]
	s_cbranch_execz .LBB136_247
; %bb.239:                              ;   in Loop: Header=BB136_20 Depth=1
	v_cmp_ge_u32_e32 vcc, s53, v4
	s_and_saveexec_b64 s[10:11], vcc
	s_xor_b64 s[88:89], exec, s[10:11]
	s_cbranch_execz .LBB136_244
; %bb.240:                              ;   in Loop: Header=BB136_20 Depth=1
	v_or_b32_e32 v38, v38, v1
	v_or_b32_e32 v46, v46, v1
	ds_read_b32 v1, v7 offset:4104
	s_waitcnt lgkmcnt(0)
	v_cmp_ne_u32_e32 vcc, 0, v1
	s_cbranch_vccnz .LBB136_244
; %bb.241:                              ;   in Loop: Header=BB136_20 Depth=1
	s_and_saveexec_b64 s[10:11], s[2:3]
; %bb.242:                              ;   in Loop: Header=BB136_20 Depth=1
	v_mov_b32_e32 v1, s53
	ds_write_b32 v7, v1 offset:4108
; %bb.243:                              ;   in Loop: Header=BB136_20 Depth=1
	s_or_b64 exec, exec, s[10:11]
	s_waitcnt lgkmcnt(0)
	s_barrier
.LBB136_244:                            ;   in Loop: Header=BB136_20 Depth=1
	s_andn2_saveexec_b64 s[34:35], s[88:89]
; %bb.245:                              ;   in Loop: Header=BB136_20 Depth=1
	v_subrev_u32_e32 v4, s53, v4
; %bb.246:                              ;   in Loop: Header=BB136_20 Depth=1
	s_or_b64 exec, exec, s[34:35]
	v_mov_b32_e32 v2, 8
	v_mov_b32_e32 v3, v4
.LBB136_247:                            ;   in Loop: Header=BB136_20 Depth=1
	s_or_b64 exec, exec, s[84:85]
	s_mov_b64 s[34:35], exec
	v_mov_b32_e32 v4, v3
.LBB136_248:                            ;   in Loop: Header=BB136_20 Depth=1
	s_or_b64 exec, exec, s[86:87]
	s_orn2_b64 s[84:85], s[34:35], exec
.LBB136_249:                            ;   in Loop: Header=BB136_20 Depth=1
	s_or_b64 exec, exec, s[78:79]
	s_andn2_b64 s[10:11], s[74:75], exec
	s_and_b64 s[20:21], s[82:83], exec
	s_or_b64 s[74:75], s[10:11], s[20:21]
	s_andn2_b64 s[10:11], s[72:73], exec
	s_and_b64 s[20:21], s[80:81], exec
	s_or_b64 s[72:73], s[10:11], s[20:21]
	s_and_b64 s[82:83], s[84:85], exec
	v_mov_b32_e32 v12, v4
.LBB136_250:                            ;   in Loop: Header=BB136_20 Depth=1
	s_or_b64 exec, exec, s[76:77]
	s_orn2_b64 s[76:77], s[82:83], exec
.LBB136_251:                            ;   in Loop: Header=BB136_20 Depth=1
	s_or_b64 exec, exec, s[70:71]
	s_andn2_b64 s[10:11], s[30:31], exec
	s_and_b64 s[20:21], s[74:75], exec
	s_or_b64 s[30:31], s[10:11], s[20:21]
	s_andn2_b64 s[10:11], s[28:29], exec
	s_and_b64 s[20:21], s[72:73], exec
	s_or_b64 s[28:29], s[10:11], s[20:21]
	s_and_b64 s[74:75], s[76:77], exec
	v_mov_b32_e32 v4, v12
.LBB136_252:                            ;   in Loop: Header=BB136_20 Depth=1
	s_or_b64 exec, exec, s[68:69]
	s_orn2_b64 s[68:69], s[74:75], exec
.LBB136_253:                            ;   in Loop: Header=BB136_20 Depth=1
	s_or_b64 exec, exec, s[26:27]
	s_mov_b64 s[70:71], 0
                                        ; implicit-def: $sgpr20
	s_and_saveexec_b64 s[10:11], s[68:69]
	s_xor_b64 s[26:27], exec, s[10:11]
	s_cbranch_execz .LBB136_18
; %bb.254:                              ;   in Loop: Header=BB136_20 Depth=1
	v_and_b32_e32 v1, 7, v2
	v_cmp_eq_u32_e32 vcc, 0, v1
	s_mov_b64 s[22:23], -1
	s_mov_b64 s[34:35], -1
                                        ; implicit-def: $sgpr20
	s_and_saveexec_b64 s[10:11], vcc
	s_cbranch_execz .LBB136_17
; %bb.255:                              ;   in Loop: Header=BB136_20 Depth=1
	v_add_u32_e32 v1, -2, v45
	v_cmp_eq_u32_e32 vcc, 0, v45
	s_xor_b32 s20, s33, 1
	s_xor_b64 s[34:35], exec, -1
	s_orn2_b64 s[22:23], vcc, exec
	v_mov_b32_e32 v45, v1
	s_branch .LBB136_17
.LBB136_256:
	s_or_b64 exec, exec, s[54:55]
	s_xor_b64 s[8:9], s[60:61], -1
	s_xor_b64 s[0:1], s[56:57], -1
	;; [unrolled: 1-line block ×3, first 2 shown]
	s_mov_b64 s[4:5], 0
	s_and_saveexec_b64 s[2:3], s[0:1]
	s_xor_b64 s[2:3], exec, s[2:3]
	s_cbranch_execnz .LBB136_261
; %bb.257:
	s_andn2_saveexec_b64 s[0:1], s[2:3]
	s_cbranch_execnz .LBB136_274
.LBB136_258:
	s_or_b64 exec, exec, s[0:1]
	s_and_saveexec_b64 s[0:1], s[4:5]
.LBB136_259:
	; divergent unreachable
.LBB136_260:
	s_endpgm
.LBB136_261:
	s_and_saveexec_b64 s[0:1], s[8:9]
	s_xor_b64 s[4:5], exec, s[0:1]
	s_cbranch_execz .LBB136_272
; %bb.262:
	s_and_saveexec_b64 s[0:1], s[6:7]
	s_xor_b64 s[6:7], exec, s[0:1]
; %bb.263:
	v_and_b32_e32 v1, 0x8000, v38
	v_mov_b32_e32 v2, 0x8000
	v_mov_b32_e32 v3, 0xffff
	v_cmp_eq_u32_e32 vcc, 0, v1
	v_cndmask_b32_e32 v1, v2, v3, vcc
	v_xor_b32_e32 v47, v1, v38
; %bb.264:
	s_or_b64 exec, exec, s[6:7]
	v_readlane_b32 s0, v53, 8
	v_readlane_b32 s1, v53, 7
	s_mul_i32 s0, s1, s0
	s_mov_b32 s1, 0
	s_lshl_b64 s[0:1], s[0:1], 1
	v_readlane_b32 s6, v53, 2
	v_readlane_b32 s7, v53, 3
	s_add_u32 s0, s6, s0
	s_addc_u32 s1, s7, s1
	v_mov_b32_e32 v6, 0
	global_store_short v6, v47, s[0:1]
	s_mov_b64 s[6:7], exec
	v_readlane_b32 s0, v53, 4
	v_readlane_b32 s1, v53, 5
	s_and_b64 s[0:1], s[6:7], s[0:1]
	s_mov_b64 exec, s[0:1]
	s_cbranch_execz .LBB136_271
; %bb.265:
	v_lshlrev_b32_e32 v2, 16, v47
	v_cmp_u_f32_e32 vcc, v2, v2
	s_mov_b64 s[8:9], 0
	v_mov_b32_e32 v3, s13
	s_xor_b64 s[12:13], vcc, -1
                                        ; implicit-def: $sgpr10_sgpr11
                                        ; implicit-def: $sgpr16_sgpr17
                                        ; implicit-def: $sgpr14_sgpr15
	s_branch .LBB136_267
.LBB136_266:                            ;   in Loop: Header=BB136_267 Depth=1
	s_or_b64 exec, exec, s[0:1]
	s_and_b64 s[0:1], exec, s[16:17]
	s_or_b64 s[8:9], s[0:1], s[8:9]
	s_andn2_b64 s[0:1], s[10:11], exec
	s_and_b64 s[10:11], s[14:15], exec
	s_or_b64 s[10:11], s[0:1], s[10:11]
	s_andn2_b64 exec, exec, s[8:9]
	s_cbranch_execz .LBB136_269
.LBB136_267:                            ; =>This Inner Loop Header: Depth=1
	v_lshlrev_b64 v[7:8], 1, v[5:6]
	v_mov_b32_e32 v1, v0
	v_add_co_u32_e32 v7, vcc, s37, v7
	v_addc_co_u32_e32 v8, vcc, v3, v8, vcc
	global_load_ushort v4, v[7:8], off
	s_or_b64 s[14:15], s[14:15], exec
	s_or_b64 s[16:17], s[16:17], exec
	s_waitcnt vmcnt(0)
	v_lshlrev_b32_e32 v0, 16, v4
	v_cmp_o_f32_e64 s[0:1], v0, v0
	v_cmp_neq_f32_e32 vcc, v0, v2
	s_or_b64 s[0:1], s[12:13], s[0:1]
	s_and_b64 s[18:19], vcc, s[0:1]
                                        ; implicit-def: $vgpr0
	s_and_saveexec_b64 s[0:1], s[18:19]
	s_cbranch_execz .LBB136_266
; %bb.268:                              ;   in Loop: Header=BB136_267 Depth=1
	v_add_u32_e32 v0, s39, v1
	v_cmp_le_u32_e32 vcc, s36, v0
	s_andn2_b64 s[16:17], s[16:17], exec
	s_and_b64 s[18:19], vcc, exec
	v_add_u32_e32 v5, s40, v5
	s_andn2_b64 s[14:15], s[14:15], exec
	s_or_b64 s[16:17], s[16:17], s[18:19]
	s_branch .LBB136_266
.LBB136_269:
	s_or_b64 exec, exec, s[8:9]
	s_and_saveexec_b64 s[0:1], s[10:11]
	s_xor_b64 s[0:1], exec, s[0:1]
	s_cbranch_execz .LBB136_271
; %bb.270:
	v_readlane_b32 s0, v53, 8
	v_readlane_b32 s1, v53, 6
	s_mul_i32 s0, s1, s0
	s_mov_b32 s1, 0
	s_lshl_b64 s[0:1], s[0:1], 3
	v_readlane_b32 s8, v53, 0
	v_readlane_b32 s9, v53, 1
	s_add_u32 s0, s8, s0
	s_addc_u32 s1, s9, s1
	v_mov_b32_e32 v2, 0
	global_store_dwordx2 v2, v[1:2], s[0:1]
.LBB136_271:
	s_or_b64 exec, exec, s[6:7]
.LBB136_272:
	s_or_saveexec_b64 s[0:1], s[4:5]
	s_mov_b64 s[4:5], 0
	s_xor_b64 exec, exec, s[0:1]
	s_cbranch_execnz .LBB136_275
.LBB136_273:
	s_or_b64 exec, exec, s[0:1]
	s_and_b64 s[4:5], s[4:5], exec
	s_andn2_saveexec_b64 s[0:1], s[2:3]
	s_cbranch_execz .LBB136_258
.LBB136_274:
	s_or_b64 s[4:5], s[4:5], exec
	s_trap 2
	s_or_b64 exec, exec, s[0:1]
	s_and_saveexec_b64 s[0:1], s[4:5]
	s_cbranch_execnz .LBB136_259
	s_branch .LBB136_260
.LBB136_275:
	s_mov_b64 s[4:5], exec
	s_trap 2
	s_branch .LBB136_273
	.section	.rodata,"a",@progbits
	.p2align	6, 0x0
	.amdhsa_kernel _ZN2at6native12_GLOBAL__N_112gatherMedianIN3c108BFloat16EjLi1EEEvNS_4cuda6detail10TensorInfoIT_T0_EENS7_IlS9_EENS7_IKS8_S9_EES9_S9_S9_b
		.amdhsa_group_segment_fixed_size 4120
		.amdhsa_private_segment_fixed_size 0
		.amdhsa_kernarg_size 920
		.amdhsa_user_sgpr_count 6
		.amdhsa_user_sgpr_private_segment_buffer 1
		.amdhsa_user_sgpr_dispatch_ptr 0
		.amdhsa_user_sgpr_queue_ptr 0
		.amdhsa_user_sgpr_kernarg_segment_ptr 1
		.amdhsa_user_sgpr_dispatch_id 0
		.amdhsa_user_sgpr_flat_scratch_init 0
		.amdhsa_user_sgpr_private_segment_size 0
		.amdhsa_uses_dynamic_stack 0
		.amdhsa_system_sgpr_private_segment_wavefront_offset 0
		.amdhsa_system_sgpr_workgroup_id_x 1
		.amdhsa_system_sgpr_workgroup_id_y 1
		.amdhsa_system_sgpr_workgroup_id_z 1
		.amdhsa_system_sgpr_workgroup_info 0
		.amdhsa_system_vgpr_workitem_id 0
		.amdhsa_next_free_vgpr 54
		.amdhsa_next_free_sgpr 96
		.amdhsa_reserve_vcc 1
		.amdhsa_reserve_flat_scratch 0
		.amdhsa_float_round_mode_32 0
		.amdhsa_float_round_mode_16_64 0
		.amdhsa_float_denorm_mode_32 3
		.amdhsa_float_denorm_mode_16_64 3
		.amdhsa_dx10_clamp 1
		.amdhsa_ieee_mode 1
		.amdhsa_fp16_overflow 0
		.amdhsa_exception_fp_ieee_invalid_op 0
		.amdhsa_exception_fp_denorm_src 0
		.amdhsa_exception_fp_ieee_div_zero 0
		.amdhsa_exception_fp_ieee_overflow 0
		.amdhsa_exception_fp_ieee_underflow 0
		.amdhsa_exception_fp_ieee_inexact 0
		.amdhsa_exception_int_div_zero 0
	.end_amdhsa_kernel
	.section	.text._ZN2at6native12_GLOBAL__N_112gatherMedianIN3c108BFloat16EjLi1EEEvNS_4cuda6detail10TensorInfoIT_T0_EENS7_IlS9_EENS7_IKS8_S9_EES9_S9_S9_b,"axG",@progbits,_ZN2at6native12_GLOBAL__N_112gatherMedianIN3c108BFloat16EjLi1EEEvNS_4cuda6detail10TensorInfoIT_T0_EENS7_IlS9_EENS7_IKS8_S9_EES9_S9_S9_b,comdat
.Lfunc_end136:
	.size	_ZN2at6native12_GLOBAL__N_112gatherMedianIN3c108BFloat16EjLi1EEEvNS_4cuda6detail10TensorInfoIT_T0_EENS7_IlS9_EENS7_IKS8_S9_EES9_S9_S9_b, .Lfunc_end136-_ZN2at6native12_GLOBAL__N_112gatherMedianIN3c108BFloat16EjLi1EEEvNS_4cuda6detail10TensorInfoIT_T0_EENS7_IlS9_EENS7_IKS8_S9_EES9_S9_S9_b
                                        ; -- End function
	.set _ZN2at6native12_GLOBAL__N_112gatherMedianIN3c108BFloat16EjLi1EEEvNS_4cuda6detail10TensorInfoIT_T0_EENS7_IlS9_EENS7_IKS8_S9_EES9_S9_S9_b.num_vgpr, 54
	.set _ZN2at6native12_GLOBAL__N_112gatherMedianIN3c108BFloat16EjLi1EEEvNS_4cuda6detail10TensorInfoIT_T0_EENS7_IlS9_EENS7_IKS8_S9_EES9_S9_S9_b.num_agpr, 0
	.set _ZN2at6native12_GLOBAL__N_112gatherMedianIN3c108BFloat16EjLi1EEEvNS_4cuda6detail10TensorInfoIT_T0_EENS7_IlS9_EENS7_IKS8_S9_EES9_S9_S9_b.numbered_sgpr, 96
	.set _ZN2at6native12_GLOBAL__N_112gatherMedianIN3c108BFloat16EjLi1EEEvNS_4cuda6detail10TensorInfoIT_T0_EENS7_IlS9_EENS7_IKS8_S9_EES9_S9_S9_b.num_named_barrier, 0
	.set _ZN2at6native12_GLOBAL__N_112gatherMedianIN3c108BFloat16EjLi1EEEvNS_4cuda6detail10TensorInfoIT_T0_EENS7_IlS9_EENS7_IKS8_S9_EES9_S9_S9_b.private_seg_size, 0
	.set _ZN2at6native12_GLOBAL__N_112gatherMedianIN3c108BFloat16EjLi1EEEvNS_4cuda6detail10TensorInfoIT_T0_EENS7_IlS9_EENS7_IKS8_S9_EES9_S9_S9_b.uses_vcc, 1
	.set _ZN2at6native12_GLOBAL__N_112gatherMedianIN3c108BFloat16EjLi1EEEvNS_4cuda6detail10TensorInfoIT_T0_EENS7_IlS9_EENS7_IKS8_S9_EES9_S9_S9_b.uses_flat_scratch, 0
	.set _ZN2at6native12_GLOBAL__N_112gatherMedianIN3c108BFloat16EjLi1EEEvNS_4cuda6detail10TensorInfoIT_T0_EENS7_IlS9_EENS7_IKS8_S9_EES9_S9_S9_b.has_dyn_sized_stack, 0
	.set _ZN2at6native12_GLOBAL__N_112gatherMedianIN3c108BFloat16EjLi1EEEvNS_4cuda6detail10TensorInfoIT_T0_EENS7_IlS9_EENS7_IKS8_S9_EES9_S9_S9_b.has_recursion, 0
	.set _ZN2at6native12_GLOBAL__N_112gatherMedianIN3c108BFloat16EjLi1EEEvNS_4cuda6detail10TensorInfoIT_T0_EENS7_IlS9_EENS7_IKS8_S9_EES9_S9_S9_b.has_indirect_call, 0
	.section	.AMDGPU.csdata,"",@progbits
; Kernel info:
; codeLenInByte = 10972
; TotalNumSgprs: 100
; NumVgprs: 54
; ScratchSize: 0
; MemoryBound: 0
; FloatMode: 240
; IeeeMode: 1
; LDSByteSize: 4120 bytes/workgroup (compile time only)
; SGPRBlocks: 12
; VGPRBlocks: 13
; NumSGPRsForWavesPerEU: 100
; NumVGPRsForWavesPerEU: 54
; Occupancy: 4
; WaveLimiterHint : 1
; COMPUTE_PGM_RSRC2:SCRATCH_EN: 0
; COMPUTE_PGM_RSRC2:USER_SGPR: 6
; COMPUTE_PGM_RSRC2:TRAP_HANDLER: 0
; COMPUTE_PGM_RSRC2:TGID_X_EN: 1
; COMPUTE_PGM_RSRC2:TGID_Y_EN: 1
; COMPUTE_PGM_RSRC2:TGID_Z_EN: 1
; COMPUTE_PGM_RSRC2:TIDIG_COMP_CNT: 0
	.section	.text._ZN2at6native12_GLOBAL__N_112gatherMedianIN3c108BFloat16EjLi2EEEvNS_4cuda6detail10TensorInfoIT_T0_EENS7_IlS9_EENS7_IKS8_S9_EES9_S9_S9_b,"axG",@progbits,_ZN2at6native12_GLOBAL__N_112gatherMedianIN3c108BFloat16EjLi2EEEvNS_4cuda6detail10TensorInfoIT_T0_EENS7_IlS9_EENS7_IKS8_S9_EES9_S9_S9_b,comdat
	.globl	_ZN2at6native12_GLOBAL__N_112gatherMedianIN3c108BFloat16EjLi2EEEvNS_4cuda6detail10TensorInfoIT_T0_EENS7_IlS9_EENS7_IKS8_S9_EES9_S9_S9_b ; -- Begin function _ZN2at6native12_GLOBAL__N_112gatherMedianIN3c108BFloat16EjLi2EEEvNS_4cuda6detail10TensorInfoIT_T0_EENS7_IlS9_EENS7_IKS8_S9_EES9_S9_S9_b
	.p2align	8
	.type	_ZN2at6native12_GLOBAL__N_112gatherMedianIN3c108BFloat16EjLi2EEEvNS_4cuda6detail10TensorInfoIT_T0_EENS7_IlS9_EENS7_IKS8_S9_EES9_S9_S9_b,@function
_ZN2at6native12_GLOBAL__N_112gatherMedianIN3c108BFloat16EjLi2EEEvNS_4cuda6detail10TensorInfoIT_T0_EENS7_IlS9_EENS7_IKS8_S9_EES9_S9_S9_b: ; @_ZN2at6native12_GLOBAL__N_112gatherMedianIN3c108BFloat16EjLi2EEEvNS_4cuda6detail10TensorInfoIT_T0_EENS7_IlS9_EENS7_IKS8_S9_EES9_S9_S9_b
; %bb.0:
	s_load_dwordx2 s[12:13], s[4:5], 0x298
	s_load_dwordx4 s[36:39], s[4:5], 0x288
	s_add_u32 s10, s4, 0x298
	s_addc_u32 s11, s5, 0
	s_waitcnt lgkmcnt(0)
	s_mul_i32 s0, s13, s8
	s_add_i32 s0, s0, s7
	s_mul_i32 s0, s0, s12
	s_add_i32 s14, s0, s6
	s_cmp_ge_u32 s14, s37
	s_cbranch_scc1 .LBB137_260
; %bb.1:
	s_load_dword s8, s[4:5], 0xc
	s_load_dword s9, s[4:5], 0xe4
	;; [unrolled: 1-line block ×3, first 2 shown]
	s_load_dwordx2 s[0:1], s[4:5], 0x1b0
	s_load_dwordx2 s[2:3], s[4:5], 0x144
                                        ; implicit-def: $vgpr53 : SGPR spill to VGPR lane
                                        ; kill: killed $sgpr4 killed $sgpr5
	v_mov_b32_e32 v3, 0
	s_waitcnt lgkmcnt(0)
	v_cvt_f32_u32_e32 v1, s8
	v_cvt_f32_u32_e32 v2, s9
	v_writelane_b32 v53, s2, 0
	v_writelane_b32 v53, s3, 1
	s_load_dwordx2 s[2:3], s[4:5], 0xd8
	v_rcp_iflag_f32_e32 v1, v1
	v_rcp_iflag_f32_e32 v2, v2
	s_waitcnt lgkmcnt(0)
	v_writelane_b32 v53, s2, 2
	v_writelane_b32 v53, s3, 3
	s_load_dwordx2 s[2:3], s[4:5], 0x6c
	v_mul_f32_e32 v1, 0x4f7ffffe, v1
	v_cvt_u32_f32_e32 v1, v1
	v_mul_f32_e32 v2, 0x4f7ffffe, v2
	v_cvt_u32_f32_e32 v2, v2
	s_waitcnt lgkmcnt(0)
	v_writelane_b32 v53, s2, 4
	v_writelane_b32 v53, s3, 5
	s_load_dwordx2 s[2:3], s[4:5], 0x0
	s_waitcnt lgkmcnt(0)
	v_writelane_b32 v53, s2, 6
	v_writelane_b32 v53, s3, 7
	s_load_dwordx2 s[2:3], s[4:5], 0x21c
	v_writelane_b32 v53, s8, 8
	s_sub_i32 s4, 0, s8
	v_readfirstlane_b32 s8, v1
	v_cvt_f32_u32_e32 v1, s7
	s_mul_i32 s4, s4, s8
	s_mul_hi_u32 s4, s8, s4
	s_add_i32 s8, s8, s4
	v_rcp_iflag_f32_e32 v1, v1
	s_mul_hi_u32 s4, s14, s8
	v_writelane_b32 v53, s4, 9
	s_sub_i32 s4, 0, s9
	v_readfirstlane_b32 s8, v2
	v_mul_f32_e32 v1, 0x4f7ffffe, v1
	s_mul_i32 s4, s4, s8
	v_cvt_u32_f32_e32 v1, v1
	s_mul_hi_u32 s4, s8, s4
	s_add_i32 s8, s8, s4
	v_writelane_b32 v53, s9, 10
	s_mul_hi_u32 s4, s14, s8
	v_writelane_b32 v53, s4, 11
	s_sub_i32 s4, 0, s7
	v_readfirstlane_b32 s8, v1
	s_mul_i32 s4, s4, s8
	s_mul_hi_u32 s4, s8, s4
	s_add_i32 s8, s8, s4
	s_mul_hi_u32 s4, s14, s8
	s_mul_i32 s8, s4, s7
	s_sub_i32 s8, s14, s8
	s_add_i32 s9, s4, 1
	s_sub_i32 s13, s8, s7
	s_cmp_ge_u32 s8, s7
	s_cselect_b32 s4, s9, s4
	s_cselect_b32 s8, s13, s8
	s_add_i32 s9, s4, 1
	s_cmp_ge_u32 s8, s7
	s_cselect_b32 s4, s9, s4
	s_mul_i32 s7, s4, s7
	s_sub_i32 s7, s14, s7
	s_waitcnt lgkmcnt(0)
	s_mul_i32 s7, s7, s3
	s_mul_i32 s2, s4, s2
	s_mov_b32 s5, 0
	s_add_i32 s4, s2, s7
	s_lshl_b64 s[2:3], s[4:5], 1
	s_add_u32 s42, s0, s2
	s_addc_u32 s45, s1, s3
	v_writelane_b32 v53, s14, 12
	v_cmp_gt_u32_e64 s[0:1], s36, v0
	s_mov_b64 s[2:3], exec
	v_writelane_b32 v53, s0, 13
	v_writelane_b32 v53, s1, 14
	s_and_b64 s[0:1], s[2:3], s[0:1]
	s_mov_b64 exec, s[0:1]
	s_cbranch_execz .LBB137_5
; %bb.2:
	s_load_dword s0, s[10:11], 0xc
	v_mul_lo_u32 v1, v0, s38
	v_mov_b32_e32 v2, 0
	s_mov_b64 s[4:5], 0
	v_mov_b32_e32 v4, s45
	s_waitcnt lgkmcnt(0)
	s_and_b32 s0, s0, 0xffff
	s_mul_i32 s1, s38, s0
	v_mov_b32_e32 v3, v2
	v_mov_b32_e32 v5, v0
.LBB137_3:                              ; =>This Inner Loop Header: Depth=1
	v_lshlrev_b64 v[6:7], 1, v[1:2]
	v_add_u32_e32 v5, s0, v5
	v_add_co_u32_e32 v6, vcc, s42, v6
	v_addc_co_u32_e32 v7, vcc, v4, v7, vcc
	global_load_ushort v6, v[6:7], off
	v_cmp_le_u32_e32 vcc, s36, v5
	s_or_b64 s[4:5], vcc, s[4:5]
	v_add_u32_e32 v1, s1, v1
	s_waitcnt vmcnt(0)
	v_lshlrev_b32_e32 v6, 16, v6
	v_cmp_u_f32_e32 vcc, v6, v6
	v_addc_co_u32_e32 v3, vcc, 0, v3, vcc
	s_andn2_b64 exec, exec, s[4:5]
	s_cbranch_execnz .LBB137_3
; %bb.4:
	s_or_b64 exec, exec, s[4:5]
.LBB137_5:
	s_or_b64 exec, exec, s[2:3]
	v_cmp_eq_u32_e64 s[2:3], 0, v0
	s_and_saveexec_b64 s[4:5], s[2:3]
; %bb.6:
	v_mov_b32_e32 v1, 0
	v_mov_b32_e32 v2, v1
	ds_write_b64 v1, v[1:2] offset:4096
; %bb.7:
	s_or_b64 exec, exec, s[4:5]
	v_cmp_ne_u32_e32 vcc, 0, v3
	s_waitcnt lgkmcnt(0)
	s_barrier
	s_and_saveexec_b64 s[4:5], vcc
	s_cbranch_execz .LBB137_12
; %bb.8:
	s_mov_b64 s[14:15], exec
	v_mov_b32_e32 v1, 0
	s_mov_b64 s[8:9], 0
.LBB137_9:                              ; =>This Inner Loop Header: Depth=1
	s_ff1_i32_b64 s0, s[14:15]
	v_readlane_b32 s7, v3, s0
	v_readlane_b32 s1, v1, s0
	s_add_u32 s8, s8, s7
	s_addc_u32 s9, s9, s1
	s_lshl_b64 s[0:1], 1, s0
	s_andn2_b64 s[14:15], s[14:15], s[0:1]
	s_cmp_lg_u64 s[14:15], 0
	s_cbranch_scc1 .LBB137_9
; %bb.10:
	v_mbcnt_lo_u32_b32 v1, exec_lo, 0
	v_mbcnt_hi_u32_b32 v1, exec_hi, v1
	v_cmp_eq_u32_e32 vcc, 0, v1
	s_and_saveexec_b64 s[0:1], vcc
	s_xor_b64 s[0:1], exec, s[0:1]
; %bb.11:
	v_mov_b32_e32 v1, s8
	v_mov_b32_e32 v3, 0
	;; [unrolled: 1-line block ×3, first 2 shown]
	ds_add_u64 v3, v[1:2] offset:4096
.LBB137_12:
	s_or_b64 exec, exec, s[4:5]
	v_mov_b32_e32 v1, 0
	s_waitcnt lgkmcnt(0)
	s_barrier
	ds_read_b64 v[1:2], v1 offset:4096
	s_bitcmp1_b32 s39, 0
	s_cselect_b64 s[8:9], -1, 0
	s_mov_b32 s7, s36
	s_waitcnt lgkmcnt(0)
	v_readfirstlane_b32 s4, v1
	v_readfirstlane_b32 s5, v2
	v_cmp_lt_i64_e64 s[0:1], s[4:5], 1
	s_or_b64 s[0:1], s[8:9], s[0:1]
	s_andn2_b64 vcc, exec, s[0:1]
	s_cbranch_vccnz .LBB137_14
; %bb.13:
	s_not_b64 s[0:1], s[4:5]
	s_add_u32 s0, s0, s36
	s_addc_u32 s1, s1, 0
	s_lshr_b32 s4, s1, 31
	s_add_u32 s0, s0, s4
	s_addc_u32 s1, s1, 0
	s_lshr_b64 s[0:1], s[0:1], 1
	s_add_i32 s7, s0, 1
.LBB137_14:
	s_and_saveexec_b64 s[4:5], s[2:3]
	s_cbranch_execz .LBB137_16
; %bb.15:
	v_mov_b32_e32 v1, 0
	v_mov_b32_e32 v2, s36
	ds_write_b32 v1, v1 offset:4112
	ds_write_b64 v1, v[1:2] offset:4104
.LBB137_16:
	s_or_b64 exec, exec, s[4:5]
	s_waitcnt lgkmcnt(0)
	s_barrier
	s_load_dword s0, s[10:11], 0xc
	v_mul_lo_u32 v5, s38, v0
	v_mov_b32_e32 v7, 0
	v_mbcnt_lo_u32_b32 v1, -1, 0
	v_mov_b32_e32 v6, v7
	s_waitcnt lgkmcnt(0)
	s_and_b32 s39, s0, 0xffff
	v_mbcnt_hi_u32_b32 v21, -1, v1
	v_lshlrev_b64 v[1:2], 1, v[5:6]
	v_cmp_gt_u32_e32 vcc, 64, v0
	v_cmp_gt_i32_e64 s[8:9], 4, v21
	s_add_i32 s15, s39, -1
	s_lshl_b32 s14, s39, 2
	s_bfe_u32 s1, s0, 0xa0006
	s_and_b64 s[46:47], vcc, s[8:9]
	s_add_i32 s13, s15, s36
	v_mov_b32_e32 v3, s45
	v_add_co_u32_e32 v8, vcc, s42, v1
	s_cmpk_gt_u32 s36, 0x600
	v_addc_co_u32_e32 v9, vcc, v3, v2, vcc
	v_lshlrev_b64 v[2:3], v21, -1
	s_cselect_b64 s[48:49], -1, 0
	s_cmp_gt_u32 s39, 63
	s_cselect_b64 s[50:51], -1, 0
	v_not_b32_e32 v26, v2
	v_lshrrev_b32_e32 v2, 2, v0
	s_cmp_lt_u32 s6, s12
	v_and_b32_e32 v2, 0xf0, v2
	s_cselect_b32 s6, 12, 18
	v_or_b32_e32 v27, 0xc00, v2
	s_add_u32 s8, s10, s6
	v_add_u32_e32 v2, 2, v0
	s_addc_u32 s9, s11, 0
	v_max_u32_e32 v2, s36, v2
	v_writelane_b32 v53, s8, 15
	v_xad_u32 v2, v0, -1, v2
	v_not_b32_e32 v25, v3
	v_writelane_b32 v53, s9, 16
	v_add_u32_e32 v3, -2, v2
	v_cmp_lt_u32_e64 s[8:9], 31, v2
	v_lshrrev_b32_e32 v4, 1, v3
	v_writelane_b32 v53, s8, 17
	v_add_u32_e32 v4, 1, v4
	v_writelane_b32 v53, s9, 18
	v_cmp_lt_u32_e64 s[10:11], 13, v3
	v_and_b32_e32 v12, 7, v4
	v_writelane_b32 v53, s10, 19
	v_writelane_b32 v53, s11, 20
	v_cmp_ne_u32_e64 s[10:11], 0, v12
	v_and_b32_e32 v28, -2, v2
	v_writelane_b32 v53, s10, 21
	v_writelane_b32 v53, s11, 22
	v_cmp_ne_u32_e64 s[10:11], v2, v28
	v_cvt_f32_u32_e32 v2, s14
	s_add_i32 s6, s1, -1
	s_bfe_u32 s9, s39, 0x30006
	s_and_b32 s6, s6, 0xffff
	v_rcp_iflag_f32_e32 v2, v2
	v_writelane_b32 v53, s10, 23
	s_cmp_gt_u32 s6, 6
	v_writelane_b32 v53, s11, 24
	v_mul_f32_e32 v2, 0x4f7ffffe, v2
	v_cvt_u32_f32_e32 v2, v2
	s_cselect_b64 s[10:11], -1, 0
	s_and_b32 s37, s1, 0x3f8
	v_writelane_b32 v53, s10, 25
	s_cmp_lg_u32 s9, 0
	v_readfirstlane_b32 s6, v2
	v_cvt_f32_u32_e32 v2, s39
	v_writelane_b32 v53, s11, 26
	s_cselect_b64 s[10:11], -1, 0
	s_sub_i32 s1, 0, s14
	s_mul_i32 s1, s1, s6
	s_mul_hi_u32 s1, s6, s1
	v_and_b32_e32 v30, -8, v4
	s_add_i32 s43, s6, s1
	v_rcp_iflag_f32_e32 v4, v2
	s_mul_hi_u32 s1, s36, s43
	s_mul_i32 s1, s1, s14
	s_sub_i32 s1, s36, s1
	s_sub_i32 s6, s1, s14
	v_mul_f32_e32 v4, 0x4f7ffffe, v4
	s_cmp_ge_u32 s1, s14
	v_cvt_u32_f32_e32 v4, v4
	s_cselect_b32 s1, s6, s1
	v_writelane_b32 v53, s9, 27
	s_sub_i32 s6, s1, s14
	v_writelane_b32 v53, s10, 28
	s_cmp_ge_u32 s1, s14
	v_writelane_b32 v53, s11, 29
	s_cselect_b32 s6, s6, s1
	s_sub_i32 s9, 0, s39
	v_readfirstlane_b32 s10, v4
	s_mul_i32 s9, s9, s10
	s_mul_hi_u32 s9, s10, s9
	s_sub_i32 s1, s36, s6
	s_add_i32 s9, s10, s9
	v_add_u32_e32 v31, s1, v0
	s_mul_hi_u32 s10, s13, s9
	v_mul_lo_u32 v6, v31, s38
	s_mul_i32 s10, s10, s39
	s_sub_i32 s10, s13, s10
	s_sub_i32 s11, s10, s39
	s_cmp_ge_u32 s10, s39
	v_lshlrev_b64 v[2:3], 1, v[6:7]
	s_cselect_b32 s10, s11, s10
	v_lshlrev_b32_e32 v20, 2, v0
	s_sub_i32 s11, s10, s39
	v_add_co_u32_e32 v10, vcc, s42, v2
	s_cmp_ge_u32 s10, s39
	v_mul_lo_u32 v2, s38, v20
	s_cselect_b32 s10, s11, s10
	s_sub_i32 s33, s13, s10
	v_cmp_gt_u32_e64 s[10:11], s33, v0
	v_writelane_b32 v53, s10, 30
	v_add_u32_e32 v33, s38, v2
	v_or_b32_e32 v2, 2, v20
	v_writelane_b32 v53, s11, 31
	v_mul_lo_u32 v34, s38, v2
	v_or_b32_e32 v2, 3, v20
	s_add_i32 s10, s39, s36
	v_mul_lo_u32 v35, s38, v2
	v_add_u32_e32 v2, s10, v0
	v_subrev_u32_e32 v2, s6, v2
	v_mul_lo_u32 v37, s38, v2
	v_lshlrev_b32_e32 v22, 1, v0
	v_lshlrev_b32_e32 v1, 2, v21
	v_mov_b32_e32 v6, s45
	s_mul_i32 s44, s38, s39
	s_mov_b32 s0, 0
	v_cmp_eq_u32_e64 s[4:5], 0, v21
	v_cmp_gt_u32_e64 s[24:25], 2, v0
	v_add_u32_e32 v23, 0xc00, v22
	v_and_b32_e32 v24, 0x100, v1
	v_add_u32_e32 v29, v0, v28
	s_mov_b32 s8, s38
	v_cmp_gt_u32_e64 s[16:17], s1, v20
	v_cmp_gt_u32_e64 s[18:19], s36, v31
	v_addc_co_u32_e32 v11, vcc, v6, v3, vcc
	v_lshlrev_b32_e32 v32, 2, v12
	s_lshl_b32 s52, s44, 2
	v_lshlrev_b32_e32 v36, 2, v5
	s_lshl_b32 s53, s39, 3
	s_lshl_b32 s54, s39, 1
	v_or_b32_e32 v39, 0xc00, v1
	s_mov_b64 s[58:59], 0
	s_mov_b32 s55, 0x5040100
	s_movk_i32 s56, 0x3f80
	v_lshlrev_b32_e32 v40, 3, v0
	v_mov_b32_e32 v45, 14
	v_mov_b32_e32 v48, s7
	v_mov_b32_e32 v41, 0xffff
	v_mov_b32_e32 v42, 0x8000
	v_mov_b32_e32 v43, -1
	v_mov_b32_e32 v44, 0x5040100
	v_mov_b32_e32 v47, 0
	;; [unrolled: 1-line block ×4, first 2 shown]
                                        ; implicit-def: $sgpr60_sgpr61
                                        ; implicit-def: $sgpr64_sgpr65
                                        ; implicit-def: $sgpr62_sgpr63
                                        ; implicit-def: $sgpr68_sgpr69
                                        ; implicit-def: $sgpr70_sgpr71
                                        ; implicit-def: $sgpr66_sgpr67
	s_branch .LBB137_20
.LBB137_17:                             ;   in Loop: Header=BB137_20 Depth=1
	s_or_b64 exec, exec, s[12:13]
	s_and_b64 s[40:41], s[22:23], exec
	s_andn2_b64 s[30:31], s[30:31], exec
	s_andn2_b64 s[28:29], s[28:29], exec
	s_orn2_b64 s[22:23], s[10:11], exec
.LBB137_18:                             ;   in Loop: Header=BB137_20 Depth=1
	s_or_b64 exec, exec, s[26:27]
	s_andn2_b64 s[10:11], s[66:67], exec
	s_and_b64 s[12:13], s[40:41], exec
	s_or_b64 s[66:67], s[10:11], s[12:13]
	s_andn2_b64 s[10:11], s[70:71], exec
	s_and_b64 s[12:13], s[30:31], exec
	s_or_b64 s[70:71], s[10:11], s[12:13]
	;; [unrolled: 3-line block ×3, first 2 shown]
	s_orn2_b64 s[22:23], s[22:23], exec
.LBB137_19:                             ;   in Loop: Header=BB137_20 Depth=1
	s_or_b64 exec, exec, s[6:7]
	s_and_b64 s[6:7], exec, s[22:23]
	s_or_b64 s[58:59], s[6:7], s[58:59]
	s_andn2_b64 s[6:7], s[62:63], exec
	s_and_b64 s[10:11], s[66:67], exec
	s_or_b64 s[62:63], s[6:7], s[10:11]
	s_andn2_b64 s[6:7], s[64:65], exec
	s_and_b64 s[10:11], s[70:71], exec
	;; [unrolled: 3-line block ×3, first 2 shown]
	s_or_b64 s[60:61], s[6:7], s[10:11]
	s_mov_b32 s0, s20
	v_mov_b32_e32 v48, v4
	s_andn2_b64 exec, exec, s[58:59]
	s_cbranch_execz .LBB137_256
.LBB137_20:                             ; =>This Loop Header: Depth=1
                                        ;     Child Loop BB137_25 Depth 2
                                        ;     Child Loop BB137_46 Depth 2
	;; [unrolled: 1-line block ×18, first 2 shown]
	ds_read_b64 v[1:2], v7 offset:4104
	s_waitcnt lgkmcnt(0)
	v_readfirstlane_b32 s12, v1
	s_cmp_lg_u32 s12, 0
	s_cbranch_scc1 .LBB137_65
; %bb.21:                               ;   in Loop: Header=BB137_20 Depth=1
	s_and_b64 vcc, exec, s[48:49]
	s_cbranch_vccz .LBB137_33
; %bb.22:                               ;   in Loop: Header=BB137_20 Depth=1
	s_movk_i32 s6, 0x601
	v_cmp_gt_u32_e32 vcc, s6, v2
	s_mov_b64 s[26:27], 0
	s_mov_b64 s[6:7], 0
	s_cbranch_vccz .LBB137_34
; %bb.23:                               ;   in Loop: Header=BB137_20 Depth=1
	v_readlane_b32 s6, v53, 15
	v_readlane_b32 s7, v53, 16
	s_nop 4
	global_load_ushort v1, v7, s[6:7]
	global_load_ushort v4, v[8:9], off
	s_mov_b64 s[28:29], 0
	v_mov_b32_e32 v3, v0
	s_waitcnt vmcnt(1)
	v_add_u32_e32 v2, v0, v1
	v_mul_lo_u32 v6, s38, v2
	v_mul_lo_u32 v2, s38, v1
	s_branch .LBB137_25
.LBB137_24:                             ;   in Loop: Header=BB137_25 Depth=2
	s_or_b64 exec, exec, s[6:7]
	v_add_u32_e32 v6, v6, v2
	v_mov_b32_e32 v4, v12
	s_andn2_b64 exec, exec, s[28:29]
	s_cbranch_execz .LBB137_40
.LBB137_25:                             ;   Parent Loop BB137_20 Depth=1
                                        ; =>  This Inner Loop Header: Depth=2
	v_add_u32_e32 v3, v3, v1
	v_cmp_gt_u32_e64 s[6:7], s36, v3
	v_cmp_le_u32_e32 vcc, s36, v3
	s_waitcnt lgkmcnt(0)
	v_mov_b32_e32 v13, 0
	v_mov_b32_e32 v12, 0
	s_and_saveexec_b64 s[10:11], s[6:7]
	s_cbranch_execz .LBB137_27
; %bb.26:                               ;   in Loop: Header=BB137_25 Depth=2
	v_lshlrev_b64 v[14:15], 1, v[6:7]
	v_mov_b32_e32 v12, s45
	v_add_co_u32_e64 v14, s[6:7], s42, v14
	v_addc_co_u32_e64 v15, s[6:7], v12, v15, s[6:7]
	global_load_ushort v12, v[14:15], off
.LBB137_27:                             ;   in Loop: Header=BB137_25 Depth=2
	s_or_b64 exec, exec, s[10:11]
	s_waitcnt vmcnt(0)
	v_cmp_lt_i16_e64 s[6:7], -1, v4
	v_cndmask_b32_e64 v14, v41, v42, s[6:7]
	v_lshlrev_b32_e32 v15, 16, v4
	v_xor_b32_sdwa v14, v14, v4 dst_sel:DWORD dst_unused:UNUSED_PAD src0_sel:DWORD src1_sel:WORD_0
	v_cmp_o_f32_e64 s[6:7], v15, v15
	v_cndmask_b32_e64 v14, v41, v14, s[6:7]
	v_and_b32_e32 v14, v14, v46
	v_cmp_eq_u32_e64 s[22:23], v14, v38
	s_cmp_lg_u64 s[22:23], 0
	s_cselect_b64 s[6:7], -1, 0
	s_and_b64 s[6:7], s[4:5], s[6:7]
	s_and_saveexec_b64 s[30:31], s[6:7]
	s_cbranch_execz .LBB137_31
; %bb.28:                               ;   in Loop: Header=BB137_25 Depth=2
	s_mov_b64 s[12:13], exec
	v_mbcnt_lo_u32_b32 v13, s12, 0
	v_mbcnt_hi_u32_b32 v13, s13, v13
	s_bcnt1_i32_b64 s20, s[22:23]
	v_cmp_eq_u32_e64 s[6:7], 0, v13
                                        ; implicit-def: $vgpr14
	s_and_saveexec_b64 s[10:11], s[6:7]
; %bb.29:                               ;   in Loop: Header=BB137_25 Depth=2
	s_bcnt1_i32_b64 s6, s[12:13]
	s_mul_i32 s6, s20, s6
	v_mov_b32_e32 v14, s6
	ds_add_rtn_u32 v14, v7, v14 offset:4112
; %bb.30:                               ;   in Loop: Header=BB137_25 Depth=2
	s_or_b64 exec, exec, s[10:11]
	s_waitcnt lgkmcnt(0)
	v_readfirstlane_b32 s6, v14
	v_mov_b32_e32 v14, s6
	v_mad_u32_u24 v13, s20, v13, v14
.LBB137_31:                             ;   in Loop: Header=BB137_25 Depth=2
	s_or_b64 exec, exec, s[30:31]
	ds_bpermute_b32 v13, v24, v13
	s_and_b64 s[6:7], exec, vcc
	s_or_b64 s[28:29], s[6:7], s[28:29]
	s_and_saveexec_b64 s[6:7], s[22:23]
	s_cbranch_execz .LBB137_24
; %bb.32:                               ;   in Loop: Header=BB137_25 Depth=2
	v_and_b32_e32 v15, s22, v26
	v_and_b32_e32 v14, s23, v25
	v_bcnt_u32_b32 v15, v15, 0
	v_bcnt_u32_b32 v14, v14, v15
	v_lshlrev_b32_e32 v14, 1, v14
	s_waitcnt lgkmcnt(0)
	v_lshl_add_u32 v13, v13, 1, v14
	ds_write_b16 v13, v4
	s_branch .LBB137_24
.LBB137_33:                             ;   in Loop: Header=BB137_20 Depth=1
	s_mov_b64 s[26:27], -1
	s_mov_b64 s[6:7], 0
.LBB137_34:                             ;   in Loop: Header=BB137_20 Depth=1
	s_and_b64 vcc, exec, s[26:27]
	s_cbranch_vccz .LBB137_63
.LBB137_35:                             ;   in Loop: Header=BB137_20 Depth=1
	s_mov_b64 s[22:23], exec
	v_readlane_b32 s6, v53, 13
	v_readlane_b32 s7, v53, 14
	s_and_b64 s[6:7], s[22:23], s[6:7]
	s_mov_b64 exec, s[6:7]
	s_cbranch_execz .LBB137_60
; %bb.36:                               ;   in Loop: Header=BB137_20 Depth=1
	v_readlane_b32 s6, v53, 15
	v_readlane_b32 s7, v53, 16
	s_nop 4
	global_load_ushort v1, v7, s[6:7]
	global_load_ushort v16, v[8:9], off
	s_waitcnt vmcnt(1)
	v_add_u32_e32 v12, v0, v1
	v_readfirstlane_b32 s12, v1
	v_cmp_gt_u32_e32 vcc, s36, v12
	v_mov_b32_e32 v1, v0
	s_and_saveexec_b64 s[26:27], vcc
	s_cbranch_execz .LBB137_59
; %bb.37:                               ;   in Loop: Header=BB137_20 Depth=1
	s_mov_b64 s[6:7], 0
	s_mul_i32 s13, s38, s12
                                        ; implicit-def: $vgpr1
                                        ; implicit-def: $vgpr2
                                        ; implicit-def: $vgpr3
	s_mov_b64 s[10:11], exec
	v_readlane_b32 s20, v53, 17
	v_readlane_b32 s21, v53, 18
	s_and_b64 s[20:21], s[10:11], s[20:21]
	s_xor_b64 s[28:29], s[20:21], s[10:11]
	s_mov_b64 exec, s[20:21]
	s_cbranch_execnz .LBB137_43
; %bb.38:                               ;   in Loop: Header=BB137_20 Depth=1
	s_andn2_saveexec_b64 s[10:11], s[28:29]
	s_cbranch_execnz .LBB137_54
.LBB137_39:                             ;   in Loop: Header=BB137_20 Depth=1
	s_or_b64 exec, exec, s[10:11]
	s_and_saveexec_b64 s[28:29], s[6:7]
	s_cbranch_execnz .LBB137_55
	s_branch .LBB137_58
.LBB137_40:                             ;   in Loop: Header=BB137_20 Depth=1
	s_or_b64 exec, exec, s[28:29]
	s_waitcnt lgkmcnt(0)
	s_barrier
	s_and_saveexec_b64 s[6:7], s[2:3]
	s_cbranch_execz .LBB137_42
; %bb.41:                               ;   in Loop: Header=BB137_20 Depth=1
	ds_read_b32 v1, v7 offset:4112
	s_waitcnt lgkmcnt(0)
	ds_write_b32 v7, v1 offset:4104
.LBB137_42:                             ;   in Loop: Header=BB137_20 Depth=1
	s_or_b64 exec, exec, s[6:7]
	s_waitcnt lgkmcnt(0)
	s_barrier
	s_mov_b64 s[6:7], -1
	s_and_b64 vcc, exec, s[26:27]
	s_cbranch_vccnz .LBB137_35
	s_branch .LBB137_63
.LBB137_43:                             ;   in Loop: Header=BB137_20 Depth=1
	v_cvt_f32_u32_e32 v1, s12
	s_sub_i32 s7, 0, s12
	v_add_u32_e32 v3, s12, v12
	v_max_u32_e32 v3, s36, v3
	v_rcp_iflag_f32_e32 v1, v1
	s_lshl_b32 s6, s12, 1
	v_sub_u32_e32 v3, v3, v0
	v_cmp_ne_u32_e32 vcc, s6, v3
	v_mul_f32_e32 v1, 0x4f7ffffe, v1
	v_cvt_u32_f32_e32 v1, v1
	v_cndmask_b32_e64 v4, 0, 1, vcc
	v_or_b32_e32 v4, s6, v4
	v_sub_u32_e32 v3, v3, v4
	v_mul_lo_u32 v2, s7, v1
	s_not_b32 s6, s13
	s_ashr_i32 s20, s6, 31
	s_abs_i32 s10, s13
	v_mul_hi_u32 v2, v1, v2
	s_cmp_eq_u32 s12, 1
	v_add_u32_e32 v1, v1, v2
	v_mul_hi_u32 v1, v3, v1
	v_mul_lo_u32 v2, s38, v12
	v_mul_lo_u32 v4, v1, s12
	v_add_u32_e32 v6, 1, v1
	v_xor_b32_e32 v2, s20, v2
	v_sub_u32_e32 v3, v3, v4
	v_cmp_le_u32_e64 s[6:7], s12, v3
	v_subrev_u32_e32 v4, s12, v3
	v_cndmask_b32_e64 v1, v1, v6, s[6:7]
	v_cndmask_b32_e64 v3, v3, v4, s[6:7]
	v_add_u32_e32 v4, 1, v1
	v_cmp_le_u32_e64 s[6:7], s12, v3
	v_cndmask_b32_e64 v1, v1, v4, s[6:7]
	v_addc_co_u32_e32 v1, vcc, 0, v1, vcc
	v_mul_hi_u32 v3, s10, v1
	v_mul_lo_u32 v1, s10, v1
	s_cselect_b64 s[10:11], -1, 0
	v_cmp_eq_u32_e32 vcc, 0, v3
	v_cmp_le_u32_e64 s[6:7], v1, v2
	s_and_b64 s[10:11], vcc, s[10:11]
	s_and_b64 s[20:21], s[10:11], s[6:7]
	s_mov_b64 s[10:11], -1
	v_mov_b32_e32 v2, v0
                                        ; implicit-def: $vgpr1
	s_and_saveexec_b64 s[6:7], s[20:21]
	s_cbranch_execz .LBB137_53
; %bb.44:                               ;   in Loop: Header=BB137_20 Depth=1
	v_add_u32_e32 v13, 1, v12
	v_mov_b32_e32 v15, v13
	s_waitcnt vmcnt(0)
	v_lshlrev_b32_e32 v17, 16, v16
	v_mov_b32_e32 v1, 0
	v_mov_b32_e32 v14, v12
                                        ; implicit-def: $vgpr16
	s_mov_b64 s[30:31], exec
	v_readlane_b32 s10, v53, 19
	v_readlane_b32 s11, v53, 20
	s_and_b64 s[10:11], s[30:31], s[10:11]
	s_mov_b64 exec, s[10:11]
	s_cbranch_execz .LBB137_48
; %bb.45:                               ;   in Loop: Header=BB137_20 Depth=1
	v_mov_b32_e32 v15, v13
	s_mov_b32 s10, 0
	s_mov_b64 s[72:73], 0
	v_mov_b32_e32 v49, v30
	v_mov_b32_e32 v50, v22
	;; [unrolled: 1-line block ×3, first 2 shown]
.LBB137_46:                             ;   Parent Loop BB137_20 Depth=1
                                        ; =>  This Inner Loop Header: Depth=2
	v_mul_lo_u32 v6, v14, s38
	v_mul_lo_u32 v1, v15, s8
	v_mov_b32_e32 v13, s45
	v_add_u32_e32 v49, -8, v49
	v_lshlrev_b64 v[2:3], 1, v[6:7]
	s_add_i32 s10, s10, 16
	v_add_co_u32_e32 v18, vcc, s42, v2
	v_mov_b32_e32 v2, v7
	v_lshlrev_b64 v[1:2], 1, v[1:2]
	v_addc_co_u32_e32 v19, vcc, v13, v3, vcc
	v_add_co_u32_e32 v1, vcc, s42, v1
	v_addc_co_u32_e32 v2, vcc, v13, v2, vcc
	global_load_ushort v3, v[18:19], off
	s_nop 0
	global_load_ushort v18, v[1:2], off
	v_add_u32_e32 v2, 2, v15
	v_mul_lo_u32 v2, v2, s8
	s_waitcnt vmcnt(1)
	v_alignbit_b32 v1, v3, v17, 16
	v_add_u32_e32 v3, 2, v14
	v_mul_lo_u32 v6, v3, s38
	v_lshlrev_b64 v[3:4], 1, v[6:7]
	v_add_co_u32_e32 v16, vcc, s42, v3
	v_mov_b32_e32 v3, v7
	v_lshlrev_b64 v[2:3], 1, v[2:3]
	v_addc_co_u32_e32 v17, vcc, v13, v4, vcc
	v_add_co_u32_e32 v2, vcc, s42, v2
	v_addc_co_u32_e32 v3, vcc, v13, v3, vcc
	global_load_ushort v4, v[16:17], off
	global_load_ushort v19, v[2:3], off
	v_add_u32_e32 v3, 4, v15
	v_mul_lo_u32 v3, v3, s8
	s_waitcnt vmcnt(1)
	v_perm_b32 v2, v4, v18, s55
	v_add_u32_e32 v4, 4, v14
	v_mul_lo_u32 v6, v4, s38
	v_mov_b32_e32 v4, v7
	v_lshlrev_b64 v[3:4], 1, v[3:4]
	v_lshlrev_b64 v[16:17], 1, v[6:7]
	v_add_co_u32_e32 v16, vcc, s42, v16
	v_addc_co_u32_e32 v17, vcc, v13, v17, vcc
	v_add_co_u32_e32 v3, vcc, s42, v3
	v_addc_co_u32_e32 v4, vcc, v13, v4, vcc
	global_load_ushort v6, v[16:17], off
	s_nop 0
	global_load_ushort v4, v[3:4], off
	v_add_u32_e32 v16, 6, v15
	v_mul_lo_u32 v16, v16, s8
	s_waitcnt vmcnt(1)
	v_perm_b32 v3, v6, v19, s55
	v_add_u32_e32 v6, 6, v14
	v_mul_lo_u32 v6, v6, s38
	v_lshlrev_b64 v[17:18], 1, v[6:7]
	v_add_co_u32_e32 v51, vcc, s42, v17
	v_mov_b32_e32 v17, v7
	v_lshlrev_b64 v[16:17], 1, v[16:17]
	v_addc_co_u32_e32 v52, vcc, v13, v18, vcc
	v_add_co_u32_e32 v16, vcc, s42, v16
	v_addc_co_u32_e32 v17, vcc, v13, v17, vcc
	global_load_ushort v6, v[51:52], off
	global_load_ushort v18, v[16:17], off
	s_waitcnt vmcnt(1)
	v_perm_b32 v4, v6, v4, s55
	ds_write_b128 v50, v[1:4]
	v_add_u32_e32 v2, 8, v14
	v_mul_lo_u32 v6, v2, s38
	v_add_u32_e32 v1, 8, v15
	v_mul_lo_u32 v1, v1, s8
	v_lshlrev_b64 v[2:3], 1, v[6:7]
	v_add_co_u32_e32 v16, vcc, s42, v2
	v_mov_b32_e32 v2, v7
	v_lshlrev_b64 v[1:2], 1, v[1:2]
	v_addc_co_u32_e32 v17, vcc, v13, v3, vcc
	v_add_co_u32_e32 v1, vcc, s42, v1
	v_addc_co_u32_e32 v2, vcc, v13, v2, vcc
	global_load_ushort v3, v[16:17], off
	global_load_ushort v19, v[1:2], off
	v_add_u32_e32 v2, 10, v15
	v_mul_lo_u32 v2, v2, s8
	s_waitcnt vmcnt(1)
	v_perm_b32 v1, v3, v18, s55
	v_add_u32_e32 v3, 10, v14
	v_mul_lo_u32 v6, v3, s38
	v_lshlrev_b64 v[3:4], 1, v[6:7]
	v_add_co_u32_e32 v16, vcc, s42, v3
	v_mov_b32_e32 v3, v7
	v_lshlrev_b64 v[2:3], 1, v[2:3]
	v_addc_co_u32_e32 v17, vcc, v13, v4, vcc
	v_add_co_u32_e32 v2, vcc, s42, v2
	v_addc_co_u32_e32 v3, vcc, v13, v3, vcc
	global_load_ushort v4, v[16:17], off
	global_load_ushort v18, v[2:3], off
	v_add_u32_e32 v3, 12, v15
	v_mul_lo_u32 v3, v3, s8
	s_waitcnt vmcnt(1)
	v_perm_b32 v2, v4, v19, s55
	v_add_u32_e32 v4, 12, v14
	v_mul_lo_u32 v6, v4, s38
	v_mov_b32_e32 v4, v7
	v_lshlrev_b64 v[3:4], 1, v[3:4]
	v_mov_b32_e32 v19, v7
	v_lshlrev_b64 v[16:17], 1, v[6:7]
	v_add_co_u32_e32 v16, vcc, s42, v16
	v_addc_co_u32_e32 v17, vcc, v13, v17, vcc
	v_add_co_u32_e32 v3, vcc, s42, v3
	v_addc_co_u32_e32 v4, vcc, v13, v4, vcc
	global_load_ushort v6, v[16:17], off
	s_nop 0
	global_load_ushort v4, v[3:4], off
	v_add_u32_e32 v16, 14, v15
	v_add_u32_e32 v15, 16, v15
	s_waitcnt vmcnt(1)
	v_perm_b32 v3, v6, v18, s55
	v_add_u32_e32 v6, 14, v14
	v_mul_lo_u32 v6, v6, s38
	v_mul_lo_u32 v18, v16, s8
	v_add_u32_e32 v14, 16, v14
	v_lshlrev_b64 v[16:17], 1, v[6:7]
	v_lshlrev_b64 v[18:19], 1, v[18:19]
	v_add_co_u32_e32 v16, vcc, s42, v16
	v_addc_co_u32_e32 v17, vcc, v13, v17, vcc
	v_add_co_u32_e32 v18, vcc, s42, v18
	v_addc_co_u32_e32 v19, vcc, v13, v19, vcc
	global_load_ushort v6, v[16:17], off
	s_nop 0
	global_load_ushort v16, v[18:19], off
	v_cmp_eq_u32_e32 vcc, 0, v49
	s_or_b64 s[72:73], vcc, s[72:73]
	s_waitcnt vmcnt(1)
	v_perm_b32 v4, v6, v4, s55
	s_waitcnt vmcnt(0)
	v_perm_b32 v17, v16, v6, s55
	ds_write_b128 v50, v[1:4] offset:16
	v_add_u32_e32 v50, 32, v50
	v_mov_b32_e32 v1, s10
	s_andn2_b64 exec, exec, s[72:73]
	s_cbranch_execnz .LBB137_46
; %bb.47:                               ;   in Loop: Header=BB137_20 Depth=1
	s_or_b64 exec, exec, s[72:73]
.LBB137_48:                             ;   in Loop: Header=BB137_20 Depth=1
	s_or_b64 exec, exec, s[30:31]
	s_mov_b64 s[30:31], exec
	v_readlane_b32 s10, v53, 21
	v_readlane_b32 s11, v53, 22
	s_and_b64 s[10:11], s[30:31], s[10:11]
	s_mov_b64 exec, s[10:11]
	s_cbranch_execz .LBB137_52
; %bb.49:                               ;   in Loop: Header=BB137_20 Depth=1
	v_lshl_add_u32 v1, v1, 1, v22
	s_mov_b64 s[34:35], 0
	v_mov_b32_e32 v2, v32
.LBB137_50:                             ;   Parent Loop BB137_20 Depth=1
                                        ; =>  This Inner Loop Header: Depth=2
	v_mul_lo_u32 v6, v14, s38
	v_mul_lo_u32 v3, v15, s8
	v_mov_b32_e32 v4, v7
	v_mov_b32_e32 v13, s45
	v_lshlrev_b64 v[18:19], 1, v[6:7]
	v_lshlrev_b64 v[3:4], 1, v[3:4]
	v_add_co_u32_e32 v18, vcc, s42, v18
	v_addc_co_u32_e32 v19, vcc, v13, v19, vcc
	v_add_co_u32_e32 v3, vcc, s42, v3
	v_addc_co_u32_e32 v4, vcc, v13, v4, vcc
	global_load_ushort v6, v[18:19], off
	global_load_ushort v16, v[3:4], off
	v_add_u32_e32 v2, -4, v2
	v_cmp_eq_u32_e32 vcc, 0, v2
	v_add_u32_e32 v15, 2, v15
	v_add_u32_e32 v14, 2, v14
	s_or_b64 s[34:35], vcc, s[34:35]
	s_waitcnt vmcnt(1)
	v_alignbit_b32 v4, v6, v17, 16
	s_waitcnt vmcnt(0)
	v_perm_b32 v3, v16, v6, s55
	ds_write_b32 v1, v4
	v_add_u32_e32 v1, 4, v1
	v_mov_b32_e32 v17, v3
	s_andn2_b64 exec, exec, s[34:35]
	s_cbranch_execnz .LBB137_50
; %bb.51:                               ;   in Loop: Header=BB137_20 Depth=1
	s_or_b64 exec, exec, s[34:35]
.LBB137_52:                             ;   in Loop: Header=BB137_20 Depth=1
	s_or_b64 exec, exec, s[30:31]
	v_readlane_b32 s10, v53, 23
	v_add_u32_e32 v12, v12, v28
	v_readlane_b32 s11, v53, 24
	v_add_u32_e32 v1, -1, v12
	s_orn2_b64 s[10:11], s[10:11], exec
	v_mov_b32_e32 v2, v29
.LBB137_53:                             ;   in Loop: Header=BB137_20 Depth=1
	s_or_b64 exec, exec, s[6:7]
	v_mov_b32_e32 v3, s13
	s_and_b64 s[6:7], s[10:11], exec
	s_andn2_saveexec_b64 s[10:11], s[28:29]
	s_cbranch_execz .LBB137_39
.LBB137_54:                             ;   in Loop: Header=BB137_20 Depth=1
	v_mov_b32_e32 v3, s13
	s_or_b64 s[6:7], s[6:7], exec
	v_mov_b32_e32 v2, v0
	s_or_b64 exec, exec, s[10:11]
	s_and_saveexec_b64 s[28:29], s[6:7]
	s_cbranch_execz .LBB137_58
.LBB137_55:                             ;   in Loop: Header=BB137_20 Depth=1
	v_mul_lo_u32 v6, s38, v12
	s_sub_i32 s10, 0, s12
	s_mov_b64 s[6:7], 0
.LBB137_56:                             ;   Parent Loop BB137_20 Depth=1
                                        ; =>  This Inner Loop Header: Depth=2
	v_lshlrev_b64 v[13:14], 1, v[6:7]
	v_mov_b32_e32 v4, s45
	v_add_co_u32_e32 v13, vcc, s42, v13
	v_addc_co_u32_e32 v14, vcc, v4, v14, vcc
	s_waitcnt vmcnt(0)
	v_mov_b32_e32 v1, v16
	global_load_ushort v16, v[13:14], off
	v_mov_b32_e32 v4, v12
	v_add_u32_e32 v12, s12, v4
	v_lshlrev_b32_e32 v2, 1, v2
	v_cmp_le_u32_e32 vcc, s36, v12
	v_add_u32_e32 v6, v6, v3
	ds_write_b16 v2, v1
	s_or_b64 s[6:7], vcc, s[6:7]
	v_mov_b32_e32 v2, v4
	s_andn2_b64 exec, exec, s[6:7]
	s_cbranch_execnz .LBB137_56
; %bb.57:                               ;   in Loop: Header=BB137_20 Depth=1
	s_or_b64 exec, exec, s[6:7]
	v_add_u32_e32 v1, s10, v12
.LBB137_58:                             ;   in Loop: Header=BB137_20 Depth=1
	s_or_b64 exec, exec, s[28:29]
.LBB137_59:                             ;   in Loop: Header=BB137_20 Depth=1
	s_or_b64 exec, exec, s[26:27]
	v_lshlrev_b32_e32 v1, 1, v1
	s_waitcnt vmcnt(0)
	ds_write_b16 v1, v16
.LBB137_60:                             ;   in Loop: Header=BB137_20 Depth=1
	s_or_b64 exec, exec, s[22:23]
	s_waitcnt lgkmcnt(0)
	s_barrier
	s_and_saveexec_b64 s[6:7], s[2:3]
; %bb.61:                               ;   in Loop: Header=BB137_20 Depth=1
	v_mov_b32_e32 v1, s36
	ds_write_b32 v7, v1 offset:4104
; %bb.62:                               ;   in Loop: Header=BB137_20 Depth=1
	s_or_b64 exec, exec, s[6:7]
	s_mov_b64 s[6:7], -1
	s_waitcnt lgkmcnt(0)
	s_barrier
.LBB137_63:                             ;   in Loop: Header=BB137_20 Depth=1
	s_mov_b32 s12, 0
	s_and_b64 vcc, exec, s[6:7]
	s_cbranch_vccz .LBB137_65
; %bb.64:                               ;   in Loop: Header=BB137_20 Depth=1
	ds_read_b32 v1, v7 offset:4104
	s_waitcnt lgkmcnt(0)
	v_readfirstlane_b32 s12, v1
.LBB137_65:                             ;   in Loop: Header=BB137_20 Depth=1
	s_cmp_lt_i32 s12, 1
	s_mov_b64 s[6:7], -1
                                        ; implicit-def: $vgpr1
	s_cbranch_scc1 .LBB137_75
; %bb.66:                               ;   in Loop: Header=BB137_20 Depth=1
	s_and_b64 vcc, exec, s[6:7]
	s_cbranch_vccnz .LBB137_86
.LBB137_67:                             ;   in Loop: Header=BB137_20 Depth=1
	s_lshl_b32 s10, s0, 6
	s_and_saveexec_b64 s[6:7], s[4:5]
.LBB137_68:                             ;   in Loop: Header=BB137_20 Depth=1
	v_lshl_add_u32 v6, s10, 2, v27
	ds_write_b128 v6, v[1:4]
.LBB137_69:                             ;   in Loop: Header=BB137_20 Depth=1
	s_or_b64 exec, exec, s[6:7]
	s_waitcnt lgkmcnt(0)
	s_barrier
	s_and_saveexec_b64 s[6:7], s[46:47]
	s_cbranch_execz .LBB137_100
; %bb.70:                               ;   in Loop: Header=BB137_20 Depth=1
	s_andn2_b64 vcc, exec, s[50:51]
	v_mov_b32_e32 v1, 0
	s_cbranch_vccnz .LBB137_99
; %bb.71:                               ;   in Loop: Header=BB137_20 Depth=1
	v_readlane_b32 s12, v53, 25
	v_readlane_b32 s13, v53, 26
	s_andn2_b64 vcc, exec, s[12:13]
	s_cbranch_vccnz .LBB137_95
; %bb.72:                               ;   in Loop: Header=BB137_20 Depth=1
	v_lshl_add_u32 v2, s0, 8, v39
	s_mov_b32 s11, 0
	v_mov_b32_e32 v1, 0
.LBB137_73:                             ;   Parent Loop BB137_20 Depth=1
                                        ; =>  This Inner Loop Header: Depth=2
	ds_read2_b32 v[3:4], v2 offset1:4
	ds_read2_b32 v[12:13], v2 offset0:8 offset1:12
	ds_read2_b32 v[14:15], v2 offset0:16 offset1:20
	;; [unrolled: 1-line block ×3, first 2 shown]
	s_add_i32 s11, s11, 8
	s_waitcnt lgkmcnt(3)
	v_add3_u32 v1, v3, v1, v4
	s_waitcnt lgkmcnt(2)
	v_add3_u32 v1, v12, v1, v13
	;; [unrolled: 2-line block ×3, first 2 shown]
	v_add_u32_e32 v2, 0x80, v2
	s_cmp_eq_u32 s37, s11
	s_waitcnt lgkmcnt(0)
	v_add3_u32 v1, v16, v1, v17
	s_cbranch_scc0 .LBB137_73
; %bb.74:                               ;   in Loop: Header=BB137_20 Depth=1
	s_mov_b32 s11, s37
	s_branch .LBB137_96
.LBB137_75:                             ;   in Loop: Header=BB137_20 Depth=1
	v_mov_b32_e32 v1, 0
	v_mov_b32_e32 v2, 0
	;; [unrolled: 1-line block ×4, first 2 shown]
	s_and_saveexec_b64 s[30:31], s[16:17]
	s_cbranch_execz .LBB137_79
; %bb.76:                               ;   in Loop: Header=BB137_20 Depth=1
	s_mov_b32 s10, 0
	s_mov_b64 s[72:73], 0
	s_mov_b32 s11, 0
	s_mov_b32 s13, 0
	;; [unrolled: 1-line block ×4, first 2 shown]
	v_mov_b32_e32 v12, v20
.LBB137_77:                             ;   Parent Loop BB137_20 Depth=1
                                        ; =>  This Inner Loop Header: Depth=2
	v_add_u32_e32 v6, s10, v36
	v_lshlrev_b64 v[1:2], 1, v[6:7]
	v_mov_b32_e32 v3, s45
	v_add_co_u32_e32 v1, vcc, s42, v1
	v_addc_co_u32_e32 v2, vcc, v3, v2, vcc
	v_add_u32_e32 v6, s10, v33
	global_load_ushort v4, v[1:2], off
	v_lshlrev_b64 v[1:2], 1, v[6:7]
	v_add_u32_e32 v6, s10, v34
	v_add_co_u32_e32 v1, vcc, s42, v1
	v_addc_co_u32_e32 v2, vcc, v3, v2, vcc
	global_load_ushort v13, v[1:2], off
	v_lshlrev_b64 v[1:2], 1, v[6:7]
	v_add_u32_e32 v6, s10, v35
	v_add_co_u32_e32 v1, vcc, s42, v1
	v_addc_co_u32_e32 v2, vcc, v3, v2, vcc
	;; [unrolled: 5-line block ×3, first 2 shown]
	global_load_ushort v1, v[1:2], off
	s_add_i32 s10, s10, s52
	s_waitcnt vmcnt(3)
	v_cmp_lt_i16_e32 vcc, -1, v4
	v_cndmask_b32_e32 v2, v41, v42, vcc
	v_lshlrev_b32_e32 v3, 16, v4
	v_cmp_o_f32_e32 vcc, v3, v3
	v_xor_b32_sdwa v2, v2, v4 dst_sel:DWORD dst_unused:UNUSED_PAD src0_sel:DWORD src1_sel:WORD_0
	v_cndmask_b32_e32 v2, v41, v2, vcc
	s_waitcnt vmcnt(2)
	v_cmp_lt_i16_e32 vcc, -1, v13
	v_cndmask_b32_e32 v3, v41, v42, vcc
	v_lshlrev_b32_e32 v4, 16, v13
	v_cmp_o_f32_e32 vcc, v4, v4
	v_xor_b32_sdwa v3, v3, v13 dst_sel:DWORD dst_unused:UNUSED_PAD src0_sel:DWORD src1_sel:WORD_0
	v_cndmask_b32_e32 v3, v41, v3, vcc
	;; [unrolled: 7-line block ×3, first 2 shown]
	s_waitcnt vmcnt(0)
	v_cmp_lt_i16_e32 vcc, -1, v1
	v_cndmask_b32_e32 v6, v41, v42, vcc
	v_lshlrev_b32_e32 v13, 16, v1
	v_cmp_o_f32_e32 vcc, v13, v13
	v_xor_b32_sdwa v1, v6, v1 dst_sel:DWORD dst_unused:UNUSED_PAD src0_sel:DWORD src1_sel:WORD_0
	v_and_b32_e32 v6, v2, v46
	v_bfe_u32 v2, v2, v45, 2
	v_cndmask_b32_e32 v1, v41, v1, vcc
	v_cmp_eq_u32_e32 vcc, v6, v38
	v_and_b32_e32 v6, v3, v46
	v_bfe_u32 v3, v3, v45, 2
	v_cmp_eq_u32_e64 s[28:29], 0, v2
	v_cmp_eq_u32_e64 s[6:7], v6, v38
	v_and_b32_e32 v6, v4, v46
	v_bfe_u32 v4, v4, v45, 2
	s_and_b64 s[20:21], vcc, s[28:29]
	v_cmp_eq_u32_e64 s[28:29], 0, v3
	v_cmp_eq_u32_e64 s[22:23], v6, v38
	v_and_b32_e32 v6, v1, v46
	v_bfe_u32 v1, v1, v45, 2
	s_and_b64 s[40:41], s[6:7], s[28:29]
	v_cmp_eq_u32_e64 s[28:29], 0, v4
	v_cmp_eq_u32_e64 s[26:27], v6, v38
	s_and_b64 s[74:75], s[22:23], s[28:29]
	v_cmp_eq_u32_e64 s[28:29], 0, v1
	v_cndmask_b32_e64 v6, 0, 1, s[20:21]
	s_and_b64 s[76:77], s[26:27], s[28:29]
	v_cmp_ne_u32_e64 s[28:29], 0, v6
	v_cndmask_b32_e64 v6, 0, 1, s[40:41]
	s_bcnt1_i32_b64 s20, s[28:29]
	v_cmp_ne_u32_e64 s[28:29], 0, v6
	v_cndmask_b32_e64 v6, 0, 1, s[74:75]
	s_bcnt1_i32_b64 s21, s[28:29]
	v_cmp_ne_u32_e64 s[28:29], 0, v6
	v_cndmask_b32_e64 v6, 0, 1, s[76:77]
	s_add_i32 s20, s35, s20
	s_bcnt1_i32_b64 s40, s[28:29]
	v_cmp_ne_u32_e64 s[28:29], 0, v6
	s_add_i32 s20, s20, s21
	s_bcnt1_i32_b64 s28, s[28:29]
	s_add_i32 s20, s20, s40
	s_add_i32 s35, s20, s28
	v_cmp_eq_u32_e64 s[28:29], 1, v2
	s_and_b64 s[20:21], vcc, s[28:29]
	v_cmp_eq_u32_e64 s[28:29], 1, v3
	s_and_b64 s[40:41], s[6:7], s[28:29]
	v_cmp_eq_u32_e64 s[28:29], 1, v4
	s_and_b64 s[74:75], s[22:23], s[28:29]
	v_cmp_eq_u32_e64 s[28:29], 1, v1
	v_cndmask_b32_e64 v6, 0, 1, s[20:21]
	s_and_b64 s[76:77], s[26:27], s[28:29]
	v_cmp_ne_u32_e64 s[28:29], 0, v6
	v_cndmask_b32_e64 v6, 0, 1, s[40:41]
	s_bcnt1_i32_b64 s20, s[28:29]
	v_cmp_ne_u32_e64 s[28:29], 0, v6
	v_cndmask_b32_e64 v6, 0, 1, s[74:75]
	s_bcnt1_i32_b64 s21, s[28:29]
	v_cmp_ne_u32_e64 s[28:29], 0, v6
	v_cndmask_b32_e64 v6, 0, 1, s[76:77]
	s_add_i32 s20, s34, s20
	s_bcnt1_i32_b64 s40, s[28:29]
	v_cmp_ne_u32_e64 s[28:29], 0, v6
	s_add_i32 s20, s20, s21
	s_bcnt1_i32_b64 s28, s[28:29]
	s_add_i32 s20, s20, s40
	s_add_i32 s34, s20, s28
	v_cmp_eq_u32_e64 s[28:29], 2, v2
	s_and_b64 s[20:21], vcc, s[28:29]
	v_cmp_eq_u32_e64 s[28:29], 2, v3
	s_and_b64 s[40:41], s[6:7], s[28:29]
	v_cmp_eq_u32_e64 s[28:29], 2, v4
	s_and_b64 s[74:75], s[22:23], s[28:29]
	v_cmp_eq_u32_e64 s[28:29], 2, v1
	v_cndmask_b32_e64 v6, 0, 1, s[20:21]
	s_and_b64 s[76:77], s[26:27], s[28:29]
	v_cmp_ne_u32_e64 s[28:29], 0, v6
	v_cndmask_b32_e64 v6, 0, 1, s[40:41]
	s_bcnt1_i32_b64 s20, s[28:29]
	v_cmp_ne_u32_e64 s[28:29], 0, v6
	v_cndmask_b32_e64 v6, 0, 1, s[74:75]
	s_bcnt1_i32_b64 s21, s[28:29]
	v_cmp_ne_u32_e64 s[28:29], 0, v6
	v_cndmask_b32_e64 v6, 0, 1, s[76:77]
	s_add_i32 s13, s13, s20
	s_bcnt1_i32_b64 s40, s[28:29]
	v_cmp_ne_u32_e64 s[28:29], 0, v6
	s_add_i32 s13, s13, s21
	s_bcnt1_i32_b64 s28, s[28:29]
	s_add_i32 s13, s13, s40
	s_add_i32 s13, s13, s28
	v_cmp_eq_u32_e64 s[28:29], 3, v2
	s_and_b64 s[20:21], vcc, s[28:29]
	v_cmp_eq_u32_e32 vcc, 3, v3
	s_and_b64 s[6:7], s[6:7], vcc
	v_cmp_eq_u32_e32 vcc, 3, v4
	s_and_b64 s[22:23], s[22:23], vcc
	v_cmp_eq_u32_e32 vcc, 3, v1
	v_cndmask_b32_e64 v1, 0, 1, s[20:21]
	s_and_b64 s[26:27], s[26:27], vcc
	v_cmp_ne_u32_e32 vcc, 0, v1
	v_cndmask_b32_e64 v1, 0, 1, s[6:7]
	s_bcnt1_i32_b64 s20, vcc
	v_cmp_ne_u32_e32 vcc, 0, v1
	v_cndmask_b32_e64 v1, 0, 1, s[22:23]
	s_bcnt1_i32_b64 s6, vcc
	v_cmp_ne_u32_e32 vcc, 0, v1
	v_cndmask_b32_e64 v1, 0, 1, s[26:27]
	s_add_i32 s11, s11, s20
	s_bcnt1_i32_b64 s7, vcc
	v_cmp_ne_u32_e32 vcc, 0, v1
	s_add_i32 s6, s11, s6
	s_bcnt1_i32_b64 s21, vcc
	s_add_i32 s6, s6, s7
	s_add_i32 s11, s6, s21
	v_cmp_le_u32_e32 vcc, s1, v12
	s_or_b64 s[72:73], vcc, s[72:73]
	v_mov_b32_e32 v1, s35
	v_mov_b32_e32 v2, s34
	;; [unrolled: 1-line block ×4, first 2 shown]
	s_andn2_b64 exec, exec, s[72:73]
	s_cbranch_execnz .LBB137_77
; %bb.78:                               ;   in Loop: Header=BB137_20 Depth=1
	s_or_b64 exec, exec, s[72:73]
.LBB137_79:                             ;   in Loop: Header=BB137_20 Depth=1
	s_or_b64 exec, exec, s[30:31]
	s_and_saveexec_b64 s[22:23], s[18:19]
	s_cbranch_execz .LBB137_85
; %bb.80:                               ;   in Loop: Header=BB137_20 Depth=1
	global_load_ushort v13, v[10:11], off
	s_mov_b64 s[26:27], 0
	v_mov_b32_e32 v6, v37
	v_mov_b32_e32 v12, v31
	s_branch .LBB137_82
.LBB137_81:                             ;   in Loop: Header=BB137_82 Depth=2
	s_or_b64 exec, exec, s[10:11]
	s_and_b64 s[6:7], exec, vcc
	s_waitcnt vmcnt(0)
	v_cmp_lt_i16_e32 vcc, -1, v13
	v_cndmask_b32_e32 v15, v41, v42, vcc
	v_lshlrev_b32_e32 v16, 16, v13
	v_xor_b32_sdwa v13, v15, v13 dst_sel:DWORD dst_unused:UNUSED_PAD src0_sel:DWORD src1_sel:WORD_0
	v_cmp_o_f32_e32 vcc, v16, v16
	v_cndmask_b32_e32 v13, v41, v13, vcc
	v_and_b32_e32 v15, v13, v46
	v_bfe_u32 v13, v13, v45, 2
	s_or_b64 s[26:27], s[6:7], s[26:27]
	v_cmp_eq_u32_e32 vcc, v15, v38
	v_cmp_eq_u32_e64 s[6:7], 0, v13
	s_and_b64 s[6:7], vcc, s[6:7]
	v_cndmask_b32_e64 v15, 0, 1, s[6:7]
	v_cmp_ne_u32_e64 s[6:7], 0, v15
	s_bcnt1_i32_b64 s6, s[6:7]
	v_add_u32_e32 v1, s6, v1
	v_cmp_eq_u32_e64 s[6:7], 1, v13
	s_and_b64 s[6:7], vcc, s[6:7]
	v_cndmask_b32_e64 v15, 0, 1, s[6:7]
	v_cmp_ne_u32_e64 s[6:7], 0, v15
	s_bcnt1_i32_b64 s6, s[6:7]
	v_add_u32_e32 v2, s6, v2
	;; [unrolled: 6-line block ×3, first 2 shown]
	v_cmp_eq_u32_e64 s[6:7], 3, v13
	s_and_b64 s[6:7], vcc, s[6:7]
	v_cndmask_b32_e64 v13, 0, 1, s[6:7]
	v_cmp_ne_u32_e32 vcc, 0, v13
	s_bcnt1_i32_b64 s6, vcc
	v_add_u32_e32 v4, s6, v4
	v_add_u32_e32 v6, s44, v6
	v_mov_b32_e32 v13, v14
	s_andn2_b64 exec, exec, s[26:27]
	s_cbranch_execz .LBB137_84
.LBB137_82:                             ;   Parent Loop BB137_20 Depth=1
                                        ; =>  This Inner Loop Header: Depth=2
	v_add_u32_e32 v12, s39, v12
	v_cmp_gt_u32_e64 s[6:7], s36, v12
	v_cmp_le_u32_e32 vcc, s36, v12
	v_mov_b32_e32 v14, 0
	s_and_saveexec_b64 s[10:11], s[6:7]
	s_cbranch_execz .LBB137_81
; %bb.83:                               ;   in Loop: Header=BB137_82 Depth=2
	v_lshlrev_b64 v[14:15], 1, v[6:7]
	v_mov_b32_e32 v16, s45
	v_add_co_u32_e64 v14, s[6:7], s42, v14
	v_addc_co_u32_e64 v15, s[6:7], v16, v15, s[6:7]
	global_load_ushort v14, v[14:15], off
	s_branch .LBB137_81
.LBB137_84:                             ;   in Loop: Header=BB137_20 Depth=1
	s_or_b64 exec, exec, s[26:27]
.LBB137_85:                             ;   in Loop: Header=BB137_20 Depth=1
	s_or_b64 exec, exec, s[22:23]
	s_branch .LBB137_67
.LBB137_86:                             ;   in Loop: Header=BB137_20 Depth=1
	s_mul_hi_u32 s6, s12, s43
	s_mul_i32 s6, s6, s14
	s_sub_i32 s6, s12, s6
	s_sub_i32 s7, s6, s14
	s_cmp_ge_u32 s6, s14
	s_cselect_b32 s6, s7, s6
	s_sub_i32 s7, s6, s14
	s_cmp_ge_u32 s6, s14
	s_cselect_b32 s6, s7, s6
	s_sub_i32 s10, s12, s6
	v_cmp_gt_u32_e32 vcc, s10, v20
	v_mov_b32_e32 v1, 0
	v_mov_b32_e32 v2, 0
	;; [unrolled: 1-line block ×4, first 2 shown]
	s_and_saveexec_b64 s[30:31], vcc
	s_cbranch_execz .LBB137_90
; %bb.87:                               ;   in Loop: Header=BB137_20 Depth=1
	s_mov_b32 s11, 0
	s_mov_b64 s[72:73], 0
	v_mov_b32_e32 v6, v40
	s_mov_b32 s13, 0
	s_mov_b32 s34, 0
	;; [unrolled: 1-line block ×3, first 2 shown]
	v_mov_b32_e32 v12, v20
.LBB137_88:                             ;   Parent Loop BB137_20 Depth=1
                                        ; =>  This Inner Loop Header: Depth=2
	ds_read_b64 v[1:2], v6
	v_add_u32_e32 v12, s14, v12
	v_add_u32_e32 v6, s53, v6
	s_waitcnt lgkmcnt(0)
	v_cmp_lt_i16_e32 vcc, -1, v1
	v_cndmask_b32_e32 v3, v41, v42, vcc
	v_lshlrev_b32_e32 v4, 16, v1
	v_cmp_o_f32_e32 vcc, v4, v4
	v_xor_b32_sdwa v3, v3, v1 dst_sel:DWORD dst_unused:UNUSED_PAD src0_sel:DWORD src1_sel:WORD_0
	v_cndmask_b32_e32 v3, v41, v3, vcc
	v_cmp_gt_i16_sdwa vcc, v1, v43 src0_sel:WORD_1 src1_sel:DWORD
	v_cndmask_b32_e32 v4, v41, v42, vcc
	v_and_b32_e32 v13, 0xffff0000, v1
	v_cmp_o_f32_e32 vcc, v13, v13
	v_xor_b32_sdwa v1, v4, v1 dst_sel:DWORD dst_unused:UNUSED_PAD src0_sel:DWORD src1_sel:WORD_1
	v_cndmask_b32_e32 v1, v41, v1, vcc
	v_cmp_lt_i16_e32 vcc, -1, v2
	v_cndmask_b32_e32 v4, v41, v42, vcc
	v_lshlrev_b32_e32 v13, 16, v2
	v_cmp_o_f32_e32 vcc, v13, v13
	v_xor_b32_sdwa v4, v4, v2 dst_sel:DWORD dst_unused:UNUSED_PAD src0_sel:DWORD src1_sel:WORD_0
	v_cndmask_b32_e32 v4, v41, v4, vcc
	v_cmp_gt_i16_sdwa vcc, v2, v43 src0_sel:WORD_1 src1_sel:DWORD
	v_cndmask_b32_e32 v13, v41, v42, vcc
	v_and_b32_e32 v14, 0xffff0000, v2
	v_cmp_o_f32_e32 vcc, v14, v14
	v_xor_b32_sdwa v2, v13, v2 dst_sel:DWORD dst_unused:UNUSED_PAD src0_sel:DWORD src1_sel:WORD_1
	v_and_b32_e32 v13, v3, v46
	v_bfe_u32 v3, v3, v45, 2
	v_cndmask_b32_e32 v2, v41, v2, vcc
	v_cmp_eq_u32_e32 vcc, v13, v38
	v_and_b32_e32 v13, v1, v46
	v_bfe_u32 v1, v1, v45, 2
	v_cmp_eq_u32_e64 s[28:29], 0, v3
	v_cmp_eq_u32_e64 s[6:7], v13, v38
	v_and_b32_e32 v13, v4, v46
	v_bfe_u32 v4, v4, v45, 2
	s_and_b64 s[20:21], vcc, s[28:29]
	v_cmp_eq_u32_e64 s[28:29], 0, v1
	v_cmp_eq_u32_e64 s[22:23], v13, v38
	v_and_b32_e32 v13, v2, v46
	v_bfe_u32 v2, v2, v45, 2
	s_and_b64 s[40:41], s[6:7], s[28:29]
	v_cmp_eq_u32_e64 s[28:29], 0, v4
	v_cmp_eq_u32_e64 s[26:27], v13, v38
	s_and_b64 s[74:75], s[22:23], s[28:29]
	v_cmp_eq_u32_e64 s[28:29], 0, v2
	v_cndmask_b32_e64 v13, 0, 1, s[20:21]
	s_and_b64 s[76:77], s[26:27], s[28:29]
	v_cmp_ne_u32_e64 s[28:29], 0, v13
	v_cndmask_b32_e64 v13, 0, 1, s[40:41]
	s_bcnt1_i32_b64 s20, s[28:29]
	v_cmp_ne_u32_e64 s[28:29], 0, v13
	v_cndmask_b32_e64 v13, 0, 1, s[74:75]
	s_bcnt1_i32_b64 s21, s[28:29]
	v_cmp_ne_u32_e64 s[28:29], 0, v13
	v_cndmask_b32_e64 v13, 0, 1, s[76:77]
	s_add_i32 s20, s35, s20
	s_bcnt1_i32_b64 s40, s[28:29]
	v_cmp_ne_u32_e64 s[28:29], 0, v13
	s_add_i32 s20, s20, s21
	s_bcnt1_i32_b64 s28, s[28:29]
	s_add_i32 s20, s20, s40
	s_add_i32 s35, s20, s28
	v_cmp_eq_u32_e64 s[28:29], 1, v3
	s_and_b64 s[20:21], vcc, s[28:29]
	v_cmp_eq_u32_e64 s[28:29], 1, v1
	s_and_b64 s[40:41], s[6:7], s[28:29]
	v_cmp_eq_u32_e64 s[28:29], 1, v4
	s_and_b64 s[74:75], s[22:23], s[28:29]
	v_cmp_eq_u32_e64 s[28:29], 1, v2
	v_cndmask_b32_e64 v13, 0, 1, s[20:21]
	s_and_b64 s[76:77], s[26:27], s[28:29]
	v_cmp_ne_u32_e64 s[28:29], 0, v13
	v_cndmask_b32_e64 v13, 0, 1, s[40:41]
	s_bcnt1_i32_b64 s20, s[28:29]
	v_cmp_ne_u32_e64 s[28:29], 0, v13
	v_cndmask_b32_e64 v13, 0, 1, s[74:75]
	s_bcnt1_i32_b64 s21, s[28:29]
	v_cmp_ne_u32_e64 s[28:29], 0, v13
	v_cndmask_b32_e64 v13, 0, 1, s[76:77]
	s_add_i32 s20, s34, s20
	s_bcnt1_i32_b64 s40, s[28:29]
	v_cmp_ne_u32_e64 s[28:29], 0, v13
	s_add_i32 s20, s20, s21
	s_bcnt1_i32_b64 s28, s[28:29]
	s_add_i32 s20, s20, s40
	s_add_i32 s34, s20, s28
	v_cmp_eq_u32_e64 s[28:29], 2, v3
	s_and_b64 s[20:21], vcc, s[28:29]
	v_cmp_eq_u32_e64 s[28:29], 2, v1
	s_and_b64 s[40:41], s[6:7], s[28:29]
	v_cmp_eq_u32_e64 s[28:29], 2, v4
	s_and_b64 s[74:75], s[22:23], s[28:29]
	v_cmp_eq_u32_e64 s[28:29], 2, v2
	v_cndmask_b32_e64 v13, 0, 1, s[20:21]
	s_and_b64 s[76:77], s[26:27], s[28:29]
	v_cmp_ne_u32_e64 s[28:29], 0, v13
	v_cndmask_b32_e64 v13, 0, 1, s[40:41]
	s_bcnt1_i32_b64 s20, s[28:29]
	v_cmp_ne_u32_e64 s[28:29], 0, v13
	v_cndmask_b32_e64 v13, 0, 1, s[74:75]
	s_bcnt1_i32_b64 s21, s[28:29]
	v_cmp_ne_u32_e64 s[28:29], 0, v13
	v_cndmask_b32_e64 v13, 0, 1, s[76:77]
	s_add_i32 s13, s13, s20
	s_bcnt1_i32_b64 s40, s[28:29]
	v_cmp_ne_u32_e64 s[28:29], 0, v13
	s_add_i32 s13, s13, s21
	s_bcnt1_i32_b64 s28, s[28:29]
	s_add_i32 s13, s13, s40
	s_add_i32 s13, s13, s28
	v_cmp_eq_u32_e64 s[28:29], 3, v3
	s_and_b64 s[20:21], vcc, s[28:29]
	v_cmp_eq_u32_e32 vcc, 3, v1
	s_and_b64 s[6:7], s[6:7], vcc
	v_cmp_eq_u32_e32 vcc, 3, v4
	s_and_b64 s[22:23], s[22:23], vcc
	v_cmp_eq_u32_e32 vcc, 3, v2
	v_cndmask_b32_e64 v1, 0, 1, s[20:21]
	s_and_b64 s[26:27], s[26:27], vcc
	v_cmp_ne_u32_e32 vcc, 0, v1
	v_cndmask_b32_e64 v1, 0, 1, s[6:7]
	s_bcnt1_i32_b64 s20, vcc
	v_cmp_ne_u32_e32 vcc, 0, v1
	v_cndmask_b32_e64 v1, 0, 1, s[22:23]
	s_bcnt1_i32_b64 s6, vcc
	v_cmp_ne_u32_e32 vcc, 0, v1
	v_cndmask_b32_e64 v1, 0, 1, s[26:27]
	s_add_i32 s11, s11, s20
	s_bcnt1_i32_b64 s7, vcc
	v_cmp_ne_u32_e32 vcc, 0, v1
	s_add_i32 s6, s11, s6
	s_bcnt1_i32_b64 s21, vcc
	s_add_i32 s6, s6, s7
	s_add_i32 s11, s6, s21
	v_cmp_le_u32_e32 vcc, s10, v12
	s_or_b64 s[72:73], vcc, s[72:73]
	v_mov_b32_e32 v1, s35
	v_mov_b32_e32 v2, s34
	;; [unrolled: 1-line block ×4, first 2 shown]
	s_andn2_b64 exec, exec, s[72:73]
	s_cbranch_execnz .LBB137_88
; %bb.89:                               ;   in Loop: Header=BB137_20 Depth=1
	s_or_b64 exec, exec, s[72:73]
.LBB137_90:                             ;   in Loop: Header=BB137_20 Depth=1
	s_or_b64 exec, exec, s[30:31]
	v_add_u32_e32 v6, s10, v0
	v_cmp_gt_u32_e32 vcc, s12, v6
	s_and_saveexec_b64 s[72:73], vcc
	s_cbranch_execz .LBB137_94
; %bb.91:                               ;   in Loop: Header=BB137_20 Depth=1
	v_lshlrev_b32_e32 v12, 1, v6
	s_mov_b64 s[34:35], 0
.LBB137_92:                             ;   Parent Loop BB137_20 Depth=1
                                        ; =>  This Inner Loop Header: Depth=2
	ds_read_u16 v13, v12
	v_add_u32_e32 v6, s39, v6
	v_cmp_le_u32_e32 vcc, s12, v6
	v_add_u32_e32 v12, s54, v12
	s_waitcnt lgkmcnt(0)
	v_cmp_lt_i16_e64 s[6:7], -1, v13
	v_cndmask_b32_e64 v14, v41, v42, s[6:7]
	v_lshlrev_b32_e32 v15, 16, v13
	v_xor_b32_sdwa v13, v14, v13 dst_sel:DWORD dst_unused:UNUSED_PAD src0_sel:DWORD src1_sel:WORD_0
	v_cmp_o_f32_e64 s[6:7], v15, v15
	v_cndmask_b32_e64 v13, v41, v13, s[6:7]
	v_and_b32_e32 v14, v13, v46
	v_bfe_u32 v13, v13, v45, 2
	v_cmp_eq_u32_e64 s[6:7], v14, v38
	v_cmp_eq_u32_e64 s[22:23], 0, v13
	;; [unrolled: 1-line block ×3, first 2 shown]
	s_and_b64 s[10:11], s[6:7], s[22:23]
	v_cmp_eq_u32_e64 s[28:29], 2, v13
	v_cmp_eq_u32_e64 s[30:31], 3, v13
	v_cndmask_b32_e64 v13, 0, 1, s[10:11]
	s_and_b64 s[10:11], s[6:7], s[26:27]
	v_cndmask_b32_e64 v14, 0, 1, s[10:11]
	s_and_b64 s[10:11], s[6:7], s[28:29]
	s_and_b64 s[6:7], s[6:7], s[30:31]
	v_cndmask_b32_e64 v15, 0, 1, s[10:11]
	v_cndmask_b32_e64 v16, 0, 1, s[6:7]
	v_cmp_ne_u32_e64 s[6:7], 0, v13
	v_cmp_ne_u32_e64 s[22:23], 0, v14
	;; [unrolled: 1-line block ×4, first 2 shown]
	s_bcnt1_i32_b64 s6, s[6:7]
	s_bcnt1_i32_b64 s7, s[22:23]
	;; [unrolled: 1-line block ×4, first 2 shown]
	v_add_u32_e32 v1, s6, v1
	v_add_u32_e32 v2, s7, v2
	;; [unrolled: 1-line block ×3, first 2 shown]
	s_or_b64 s[34:35], vcc, s[34:35]
	v_add_u32_e32 v4, s11, v4
	s_andn2_b64 exec, exec, s[34:35]
	s_cbranch_execnz .LBB137_92
; %bb.93:                               ;   in Loop: Header=BB137_20 Depth=1
	s_or_b64 exec, exec, s[34:35]
.LBB137_94:                             ;   in Loop: Header=BB137_20 Depth=1
	s_or_b64 exec, exec, s[72:73]
	s_lshl_b32 s10, s0, 6
	s_and_saveexec_b64 s[6:7], s[4:5]
	s_cbranch_execnz .LBB137_68
	s_branch .LBB137_69
.LBB137_95:                             ;   in Loop: Header=BB137_20 Depth=1
	v_mov_b32_e32 v1, 0
	s_mov_b32 s11, 0
.LBB137_96:                             ;   in Loop: Header=BB137_20 Depth=1
	v_readlane_b32 s12, v53, 28
	v_readlane_b32 s13, v53, 29
	s_andn2_b64 vcc, exec, s[12:13]
	s_cbranch_vccnz .LBB137_99
; %bb.97:                               ;   in Loop: Header=BB137_20 Depth=1
	s_lshl_b32 s12, s0, 8
	s_lshl_b32 s11, s11, 4
	s_add_i32 s12, s12, s11
	v_add_u32_e32 v2, s12, v39
	v_readlane_b32 s11, v53, 27
.LBB137_98:                             ;   Parent Loop BB137_20 Depth=1
                                        ; =>  This Inner Loop Header: Depth=2
	ds_read_b32 v3, v2
	s_add_i32 s11, s11, -1
	v_add_u32_e32 v2, 16, v2
	s_cmp_lg_u32 s11, 0
	s_waitcnt lgkmcnt(0)
	v_add_u32_e32 v1, v3, v1
	s_cbranch_scc1 .LBB137_98
.LBB137_99:                             ;   in Loop: Header=BB137_20 Depth=1
	v_add_lshl_u32 v2, s10, v21, 2
	ds_write_b32 v2, v1 offset:3072
.LBB137_100:                            ;   in Loop: Header=BB137_20 Depth=1
	s_or_b64 exec, exec, s[6:7]
	s_lshl_b32 s6, s10, 2
	v_mov_b32_e32 v1, s6
	s_waitcnt lgkmcnt(0)
	s_barrier
	ds_read_b128 v[1:4], v1 offset:3072
	v_cmp_eq_u32_e32 vcc, 1, v48
	s_mov_b64 s[22:23], -1
	s_mov_b64 s[34:35], -1
                                        ; implicit-def: $sgpr30_sgpr31
                                        ; implicit-def: $sgpr28_sgpr29
	s_waitcnt lgkmcnt(0)
	v_readfirstlane_b32 s78, v1
	s_cmp_eq_u32 s78, 1
	v_lshlrev_b32_e64 v1, v45, 3
	s_cselect_b64 s[6:7], -1, 0
	v_readfirstlane_b32 s13, v2
	v_readfirstlane_b32 s12, v3
	v_readfirstlane_b32 s57, v4
	v_not_b32_e32 v3, v1
	s_and_b64 s[26:27], s[6:7], vcc
	s_and_saveexec_b64 s[6:7], s[26:27]
	s_cbranch_execz .LBB137_126
; %bb.101:                              ;   in Loop: Header=BB137_20 Depth=1
	ds_read_b32 v2, v7 offset:4104
	s_waitcnt lgkmcnt(0)
	s_barrier
	v_readfirstlane_b32 s20, v2
	s_and_saveexec_b64 s[10:11], s[24:25]
; %bb.102:                              ;   in Loop: Header=BB137_20 Depth=1
	ds_write_b16 v23, v7
; %bb.103:                              ;   in Loop: Header=BB137_20 Depth=1
	s_or_b64 exec, exec, s[10:11]
	v_and_b32_e32 v38, v38, v3
	v_or_b32_e32 v46, v46, v1
	s_mov_b64 s[28:29], -1
	s_mov_b64 s[30:31], 0
	s_cmp_eq_u32 s20, 0
	s_mov_b64 s[72:73], 0
	s_mov_b64 s[74:75], -1
	s_waitcnt lgkmcnt(0)
	s_barrier
                                        ; implicit-def: $vgpr47
	s_cbranch_scc1 .LBB137_114
; %bb.104:                              ;   in Loop: Header=BB137_20 Depth=1
	s_add_i32 s10, s20, s15
	s_mul_hi_u32 s11, s10, s9
	s_mul_i32 s11, s11, s39
	s_sub_i32 s11, s10, s11
	s_sub_i32 s21, s11, s39
	s_cmp_ge_u32 s11, s39
	s_cselect_b32 s11, s21, s11
	s_sub_i32 s21, s11, s39
	s_cmp_ge_u32 s11, s39
	s_cselect_b32 s11, s21, s11
	s_sub_i32 s21, s10, s11
	v_cmp_gt_u32_e32 vcc, s21, v0
	s_mov_b64 s[74:75], 0
                                        ; implicit-def: $vgpr47
	s_and_saveexec_b64 s[34:35], vcc
	s_cbranch_execz .LBB137_113
; %bb.105:                              ;   in Loop: Header=BB137_20 Depth=1
	v_mov_b32_e32 v2, v22
	v_mov_b32_e32 v4, v0
                                        ; implicit-def: $sgpr40_sgpr41
	s_branch .LBB137_108
.LBB137_106:                            ;   in Loop: Header=BB137_108 Depth=2
	s_or_b64 exec, exec, s[10:11]
	s_waitcnt lgkmcnt(0)
	s_barrier
	ds_read_b32 v6, v7 offset:3072
	s_mov_b64 s[10:11], -1
	s_mov_b64 s[76:77], -1
	s_waitcnt lgkmcnt(0)
	s_barrier
	v_and_b32_e32 v12, 0x7fff, v6
	v_cmp_ne_u32_e32 vcc, 0, v12
	s_cbranch_vccz .LBB137_111
.LBB137_107:                            ;   in Loop: Header=BB137_108 Depth=2
	s_and_b64 s[10:11], exec, s[10:11]
	s_or_b64 s[72:73], s[10:11], s[72:73]
	s_andn2_b64 s[10:11], s[40:41], exec
	s_and_b64 s[40:41], s[76:77], exec
	s_or_b64 s[40:41], s[10:11], s[40:41]
	s_andn2_b64 exec, exec, s[72:73]
	s_cbranch_execz .LBB137_112
.LBB137_108:                            ;   Parent Loop BB137_20 Depth=1
                                        ; =>  This Inner Loop Header: Depth=2
	v_cmp_gt_u32_e32 vcc, s20, v4
	s_and_saveexec_b64 s[10:11], vcc
	s_cbranch_execz .LBB137_106
; %bb.109:                              ;   in Loop: Header=BB137_108 Depth=2
	ds_read_u16 v6, v2
	s_waitcnt lgkmcnt(0)
	v_cmp_lt_i16_e32 vcc, -1, v6
	v_cndmask_b32_e32 v12, v41, v42, vcc
	v_lshlrev_b32_e32 v13, 16, v6
	v_cmp_o_f32_e32 vcc, v13, v13
	v_xor_b32_sdwa v12, v12, v6 dst_sel:DWORD dst_unused:UNUSED_PAD src0_sel:DWORD src1_sel:WORD_0
	v_cndmask_b32_e32 v12, v41, v12, vcc
	v_and_b32_e32 v12, v12, v46
	v_cmp_eq_u32_e32 vcc, v12, v38
	s_and_b64 exec, exec, vcc
	s_cbranch_execz .LBB137_106
; %bb.110:                              ;   in Loop: Header=BB137_108 Depth=2
	v_perm_b32 v6, v6, s56, v44
	ds_write_b32 v7, v6 offset:3072
	s_branch .LBB137_106
.LBB137_111:                            ;   in Loop: Header=BB137_108 Depth=2
	v_add_u32_e32 v4, s39, v4
	v_cmp_le_u32_e32 vcc, s21, v4
	v_add_u32_e32 v2, s54, v2
	s_mov_b64 s[76:77], 0
	s_orn2_b64 s[10:11], vcc, exec
	s_branch .LBB137_107
.LBB137_112:                            ;   in Loop: Header=BB137_20 Depth=1
	s_or_b64 exec, exec, s[72:73]
	v_lshrrev_b32_e32 v47, 16, v6
	s_and_b64 s[72:73], s[40:41], exec
.LBB137_113:                            ;   in Loop: Header=BB137_20 Depth=1
	s_or_b64 exec, exec, s[34:35]
.LBB137_114:                            ;   in Loop: Header=BB137_20 Depth=1
	s_and_b64 vcc, exec, s[74:75]
	s_cbranch_vccz .LBB137_125
; %bb.115:                              ;   in Loop: Header=BB137_20 Depth=1
                                        ; implicit-def: $vgpr47
	s_mov_b64 s[28:29], exec
	v_readlane_b32 s10, v53, 30
	v_readlane_b32 s11, v53, 31
	s_and_b64 s[10:11], s[28:29], s[10:11]
	s_mov_b64 exec, s[10:11]
	s_cbranch_execz .LBB137_124
; %bb.116:                              ;   in Loop: Header=BB137_20 Depth=1
	s_mov_b64 s[30:31], 0
	v_mov_b32_e32 v6, v5
	v_mov_b32_e32 v2, v0
                                        ; implicit-def: $sgpr34_sgpr35
	s_branch .LBB137_119
.LBB137_117:                            ;   in Loop: Header=BB137_119 Depth=2
	s_or_b64 exec, exec, s[40:41]
	s_waitcnt lgkmcnt(0)
	s_barrier
	ds_read_b32 v4, v7 offset:3072
	s_mov_b64 s[10:11], -1
	s_mov_b64 s[40:41], -1
	s_waitcnt lgkmcnt(0)
	s_barrier
	v_and_b32_e32 v12, 0x7fff, v4
	v_cmp_ne_u32_e32 vcc, 0, v12
	s_cbranch_vccz .LBB137_122
.LBB137_118:                            ;   in Loop: Header=BB137_119 Depth=2
	s_and_b64 s[10:11], exec, s[10:11]
	s_or_b64 s[30:31], s[10:11], s[30:31]
	s_andn2_b64 s[10:11], s[34:35], exec
	s_and_b64 s[20:21], s[40:41], exec
	s_or_b64 s[34:35], s[10:11], s[20:21]
	s_andn2_b64 exec, exec, s[30:31]
	s_cbranch_execz .LBB137_123
.LBB137_119:                            ;   Parent Loop BB137_20 Depth=1
                                        ; =>  This Inner Loop Header: Depth=2
	v_cmp_gt_u32_e32 vcc, s36, v2
	s_and_saveexec_b64 s[40:41], vcc
	s_cbranch_execz .LBB137_117
; %bb.120:                              ;   in Loop: Header=BB137_119 Depth=2
	v_lshlrev_b64 v[12:13], 1, v[6:7]
	v_mov_b32_e32 v4, s45
	v_add_co_u32_e32 v12, vcc, s42, v12
	v_addc_co_u32_e32 v13, vcc, v4, v13, vcc
	global_load_ushort v4, v[12:13], off
	s_waitcnt vmcnt(0)
	v_cmp_lt_i16_e32 vcc, -1, v4
	v_cndmask_b32_e32 v12, v41, v42, vcc
	v_lshlrev_b32_e32 v13, 16, v4
	v_xor_b32_sdwa v12, v12, v4 dst_sel:DWORD dst_unused:UNUSED_PAD src0_sel:DWORD src1_sel:WORD_0
	v_cmp_o_f32_e32 vcc, v13, v13
	v_cndmask_b32_e32 v12, v41, v12, vcc
	v_and_b32_e32 v12, v12, v46
	v_cmp_eq_u32_e32 vcc, v12, v38
	s_and_b64 exec, exec, vcc
	s_cbranch_execz .LBB137_117
; %bb.121:                              ;   in Loop: Header=BB137_119 Depth=2
	v_perm_b32 v4, v4, s56, v44
	ds_write_b32 v7, v4 offset:3072
	s_branch .LBB137_117
.LBB137_122:                            ;   in Loop: Header=BB137_119 Depth=2
	v_add_u32_e32 v2, s39, v2
	v_cmp_le_u32_e32 vcc, s33, v2
	v_add_u32_e32 v6, s44, v6
	s_mov_b64 s[40:41], 0
	s_orn2_b64 s[10:11], vcc, exec
	s_branch .LBB137_118
.LBB137_123:                            ;   in Loop: Header=BB137_20 Depth=1
	s_or_b64 exec, exec, s[30:31]
	s_andn2_b64 s[10:11], s[72:73], exec
	s_and_b64 s[20:21], s[34:35], exec
	v_lshrrev_b32_e32 v47, 16, v4
	s_or_b64 s[72:73], s[10:11], s[20:21]
.LBB137_124:                            ;   in Loop: Header=BB137_20 Depth=1
	s_or_b64 exec, exec, s[28:29]
	s_mov_b64 s[28:29], 0
	s_mov_b64 s[30:31], -1
.LBB137_125:                            ;   in Loop: Header=BB137_20 Depth=1
	s_orn2_b64 s[34:35], s[72:73], exec
.LBB137_126:                            ;   in Loop: Header=BB137_20 Depth=1
	s_or_b64 exec, exec, s[6:7]
	s_andn2_b64 s[6:7], s[70:71], exec
	s_and_b64 s[10:11], s[30:31], exec
	s_or_b64 s[70:71], s[6:7], s[10:11]
	s_andn2_b64 s[6:7], s[68:69], exec
	s_and_b64 s[10:11], s[28:29], exec
	v_readfirstlane_b32 s20, v0
	s_andn2_b64 s[66:67], s[66:67], exec
	s_or_b64 s[68:69], s[6:7], s[10:11]
                                        ; implicit-def: $vgpr4
	s_and_saveexec_b64 s[6:7], s[34:35]
	s_cbranch_execz .LBB137_19
; %bb.127:                              ;   in Loop: Header=BB137_20 Depth=1
	s_xor_b64 s[10:11], s[26:27], -1
	s_mov_b64 s[26:27], 0
	v_mov_b32_e32 v4, 1
	v_mov_b32_e32 v2, 1
	s_and_saveexec_b64 s[22:23], s[10:11]
	s_cbranch_execz .LBB137_136
; %bb.128:                              ;   in Loop: Header=BB137_20 Depth=1
	v_cmp_ge_u32_e32 vcc, s78, v48
	s_and_saveexec_b64 s[10:11], vcc
	s_xor_b64 s[26:27], exec, s[10:11]
	s_cbranch_execz .LBB137_133
; %bb.129:                              ;   in Loop: Header=BB137_20 Depth=1
	ds_read_b32 v2, v7 offset:4104
	v_and_b32_e32 v38, v38, v3
	v_or_b32_e32 v46, v46, v1
	s_waitcnt lgkmcnt(0)
	v_cmp_ne_u32_e32 vcc, 0, v2
	s_cbranch_vccnz .LBB137_133
; %bb.130:                              ;   in Loop: Header=BB137_20 Depth=1
	s_and_saveexec_b64 s[10:11], s[2:3]
; %bb.131:                              ;   in Loop: Header=BB137_20 Depth=1
	v_mov_b32_e32 v2, s78
	ds_write_b32 v7, v2 offset:4108
; %bb.132:                              ;   in Loop: Header=BB137_20 Depth=1
	s_or_b64 exec, exec, s[10:11]
	s_waitcnt lgkmcnt(0)
	s_barrier
.LBB137_133:                            ;   in Loop: Header=BB137_20 Depth=1
	s_or_saveexec_b64 s[10:11], s[26:27]
	s_mov_b64 s[26:27], 0
	v_mov_b32_e32 v2, 8
	s_xor_b64 exec, exec, s[10:11]
; %bb.134:                              ;   in Loop: Header=BB137_20 Depth=1
	s_mov_b64 s[26:27], exec
	v_subrev_u32_e32 v48, s78, v48
	v_mov_b32_e32 v2, 0
; %bb.135:                              ;   in Loop: Header=BB137_20 Depth=1
	s_or_b64 exec, exec, s[10:11]
	s_and_b64 s[26:27], s[26:27], exec
	v_mov_b32_e32 v4, v48
.LBB137_136:                            ;   in Loop: Header=BB137_20 Depth=1
	s_or_b64 exec, exec, s[22:23]
	s_mov_b64 s[22:23], -1
	s_mov_b64 s[34:35], -1
                                        ; implicit-def: $sgpr28_sgpr29
                                        ; implicit-def: $sgpr30_sgpr31
	s_and_saveexec_b64 s[10:11], s[26:27]
	s_xor_b64 s[26:27], exec, s[10:11]
	s_cbranch_execz .LBB137_253
; %bb.137:                              ;   in Loop: Header=BB137_20 Depth=1
	s_cmp_eq_u32 s13, 1
	s_cselect_b64 s[10:11], -1, 0
	v_cmp_eq_u32_e32 vcc, 1, v4
	s_and_b64 s[74:75], s[10:11], vcc
                                        ; implicit-def: $sgpr30_sgpr31
                                        ; implicit-def: $sgpr28_sgpr29
	s_and_saveexec_b64 s[72:73], s[74:75]
	s_cbranch_execz .LBB137_163
; %bb.138:                              ;   in Loop: Header=BB137_20 Depth=1
	ds_read_b32 v6, v7 offset:4104
	s_waitcnt lgkmcnt(0)
	s_barrier
	v_readfirstlane_b32 s82, v6
	s_and_saveexec_b64 s[10:11], s[24:25]
; %bb.139:                              ;   in Loop: Header=BB137_20 Depth=1
	ds_write_b16 v23, v7
; %bb.140:                              ;   in Loop: Header=BB137_20 Depth=1
	s_or_b64 exec, exec, s[10:11]
	v_and_b32_e32 v6, v38, v3
	v_lshl_or_b32 v38, 1, v45, v6
	v_or_b32_e32 v46, v46, v1
	s_mov_b64 s[28:29], -1
	s_mov_b64 s[30:31], 0
	s_cmp_eq_u32 s82, 0
	s_mov_b64 s[76:77], 0
	s_mov_b64 s[78:79], -1
	s_waitcnt lgkmcnt(0)
	s_barrier
                                        ; implicit-def: $vgpr47
	s_cbranch_scc1 .LBB137_151
; %bb.141:                              ;   in Loop: Header=BB137_20 Depth=1
	s_add_i32 s10, s82, s15
	s_mul_hi_u32 s11, s10, s9
	s_mul_i32 s11, s11, s39
	s_sub_i32 s11, s10, s11
	s_sub_i32 s20, s11, s39
	s_cmp_ge_u32 s11, s39
	s_cselect_b32 s11, s20, s11
	s_sub_i32 s20, s11, s39
	s_cmp_ge_u32 s11, s39
	s_cselect_b32 s11, s20, s11
	s_sub_i32 s20, s10, s11
	v_cmp_gt_u32_e32 vcc, s20, v0
	s_mov_b64 s[78:79], 0
                                        ; implicit-def: $vgpr47
	s_and_saveexec_b64 s[80:81], vcc
	s_cbranch_execz .LBB137_150
; %bb.142:                              ;   in Loop: Header=BB137_20 Depth=1
	s_mov_b64 s[34:35], 0
	v_mov_b32_e32 v6, v22
	v_mov_b32_e32 v12, v0
                                        ; implicit-def: $sgpr76_sgpr77
	s_branch .LBB137_145
.LBB137_143:                            ;   in Loop: Header=BB137_145 Depth=2
	s_or_b64 exec, exec, s[40:41]
	s_waitcnt lgkmcnt(0)
	s_barrier
	ds_read_b32 v13, v7 offset:3072
	s_mov_b64 s[10:11], -1
	s_mov_b64 s[40:41], -1
	s_waitcnt lgkmcnt(0)
	s_barrier
	v_and_b32_e32 v14, 0x7fff, v13
	v_cmp_ne_u32_e32 vcc, 0, v14
	s_cbranch_vccz .LBB137_148
.LBB137_144:                            ;   in Loop: Header=BB137_145 Depth=2
	s_and_b64 s[10:11], exec, s[10:11]
	s_or_b64 s[34:35], s[10:11], s[34:35]
	s_andn2_b64 s[10:11], s[76:77], exec
	s_and_b64 s[40:41], s[40:41], exec
	s_or_b64 s[76:77], s[10:11], s[40:41]
	s_andn2_b64 exec, exec, s[34:35]
	s_cbranch_execz .LBB137_149
.LBB137_145:                            ;   Parent Loop BB137_20 Depth=1
                                        ; =>  This Inner Loop Header: Depth=2
	v_cmp_gt_u32_e32 vcc, s82, v12
	s_and_saveexec_b64 s[40:41], vcc
	s_cbranch_execz .LBB137_143
; %bb.146:                              ;   in Loop: Header=BB137_145 Depth=2
	ds_read_u16 v13, v6
	s_waitcnt lgkmcnt(0)
	v_cmp_lt_i16_e32 vcc, -1, v13
	v_cndmask_b32_e32 v14, v41, v42, vcc
	v_lshlrev_b32_e32 v15, 16, v13
	v_cmp_o_f32_e32 vcc, v15, v15
	v_xor_b32_sdwa v14, v14, v13 dst_sel:DWORD dst_unused:UNUSED_PAD src0_sel:DWORD src1_sel:WORD_0
	v_cndmask_b32_e32 v14, v41, v14, vcc
	v_and_b32_e32 v14, v14, v46
	v_cmp_eq_u32_e32 vcc, v14, v38
	s_and_b64 exec, exec, vcc
	s_cbranch_execz .LBB137_143
; %bb.147:                              ;   in Loop: Header=BB137_145 Depth=2
	v_perm_b32 v13, v13, s56, v44
	ds_write_b32 v7, v13 offset:3072
	s_branch .LBB137_143
.LBB137_148:                            ;   in Loop: Header=BB137_145 Depth=2
	v_add_u32_e32 v12, s39, v12
	v_cmp_le_u32_e32 vcc, s20, v12
	v_add_u32_e32 v6, s54, v6
	s_mov_b64 s[40:41], 0
	s_orn2_b64 s[10:11], vcc, exec
	s_branch .LBB137_144
.LBB137_149:                            ;   in Loop: Header=BB137_20 Depth=1
	s_or_b64 exec, exec, s[34:35]
	v_lshrrev_b32_e32 v47, 16, v13
	s_and_b64 s[76:77], s[76:77], exec
.LBB137_150:                            ;   in Loop: Header=BB137_20 Depth=1
	s_or_b64 exec, exec, s[80:81]
.LBB137_151:                            ;   in Loop: Header=BB137_20 Depth=1
	s_and_b64 vcc, exec, s[78:79]
	s_cbranch_vccz .LBB137_162
; %bb.152:                              ;   in Loop: Header=BB137_20 Depth=1
                                        ; implicit-def: $vgpr47
	s_mov_b64 s[28:29], exec
	v_readlane_b32 s10, v53, 30
	v_readlane_b32 s11, v53, 31
	s_and_b64 s[10:11], s[28:29], s[10:11]
	s_mov_b64 exec, s[10:11]
	s_cbranch_execz .LBB137_161
; %bb.153:                              ;   in Loop: Header=BB137_20 Depth=1
	s_mov_b64 s[30:31], 0
	v_mov_b32_e32 v6, v5
	v_mov_b32_e32 v12, v0
                                        ; implicit-def: $sgpr34_sgpr35
	s_branch .LBB137_156
.LBB137_154:                            ;   in Loop: Header=BB137_156 Depth=2
	s_or_b64 exec, exec, s[40:41]
	s_waitcnt lgkmcnt(0)
	s_barrier
	ds_read_b32 v13, v7 offset:3072
	s_mov_b64 s[10:11], -1
	s_mov_b64 s[40:41], -1
	s_waitcnt lgkmcnt(0)
	s_barrier
	v_and_b32_e32 v14, 0x7fff, v13
	v_cmp_eq_u32_e32 vcc, 0, v14
	s_cbranch_vccnz .LBB137_159
.LBB137_155:                            ;   in Loop: Header=BB137_156 Depth=2
	s_and_b64 s[10:11], exec, s[10:11]
	s_or_b64 s[30:31], s[10:11], s[30:31]
	s_andn2_b64 s[10:11], s[34:35], exec
	s_and_b64 s[20:21], s[40:41], exec
	s_or_b64 s[34:35], s[10:11], s[20:21]
	s_andn2_b64 exec, exec, s[30:31]
	s_cbranch_execz .LBB137_160
.LBB137_156:                            ;   Parent Loop BB137_20 Depth=1
                                        ; =>  This Inner Loop Header: Depth=2
	v_cmp_gt_u32_e32 vcc, s36, v12
	s_and_saveexec_b64 s[40:41], vcc
	s_cbranch_execz .LBB137_154
; %bb.157:                              ;   in Loop: Header=BB137_156 Depth=2
	v_lshlrev_b64 v[13:14], 1, v[6:7]
	v_mov_b32_e32 v15, s45
	v_add_co_u32_e32 v13, vcc, s42, v13
	v_addc_co_u32_e32 v14, vcc, v15, v14, vcc
	global_load_ushort v13, v[13:14], off
	s_waitcnt vmcnt(0)
	v_cmp_lt_i16_e32 vcc, -1, v13
	v_cndmask_b32_e32 v14, v41, v42, vcc
	v_lshlrev_b32_e32 v15, 16, v13
	v_xor_b32_sdwa v14, v14, v13 dst_sel:DWORD dst_unused:UNUSED_PAD src0_sel:DWORD src1_sel:WORD_0
	v_cmp_o_f32_e32 vcc, v15, v15
	v_cndmask_b32_e32 v14, v41, v14, vcc
	v_and_b32_e32 v14, v14, v46
	v_cmp_eq_u32_e32 vcc, v14, v38
	s_and_b64 exec, exec, vcc
	s_cbranch_execz .LBB137_154
; %bb.158:                              ;   in Loop: Header=BB137_156 Depth=2
	v_perm_b32 v13, v13, s56, v44
	ds_write_b32 v7, v13 offset:3072
	s_branch .LBB137_154
.LBB137_159:                            ;   in Loop: Header=BB137_156 Depth=2
	v_add_u32_e32 v12, s39, v12
	v_cmp_le_u32_e32 vcc, s33, v12
	v_add_u32_e32 v6, s44, v6
	s_mov_b64 s[40:41], 0
	s_orn2_b64 s[10:11], vcc, exec
	s_branch .LBB137_155
.LBB137_160:                            ;   in Loop: Header=BB137_20 Depth=1
	s_or_b64 exec, exec, s[30:31]
	s_andn2_b64 s[10:11], s[76:77], exec
	s_and_b64 s[20:21], s[34:35], exec
	v_lshrrev_b32_e32 v47, 16, v13
	s_or_b64 s[76:77], s[10:11], s[20:21]
.LBB137_161:                            ;   in Loop: Header=BB137_20 Depth=1
	s_or_b64 exec, exec, s[28:29]
	s_mov_b64 s[28:29], 0
	s_mov_b64 s[30:31], -1
.LBB137_162:                            ;   in Loop: Header=BB137_20 Depth=1
	s_orn2_b64 s[34:35], s[76:77], exec
.LBB137_163:                            ;   in Loop: Header=BB137_20 Depth=1
	s_or_b64 exec, exec, s[72:73]
	s_mov_b64 s[40:41], 0
	s_and_saveexec_b64 s[72:73], s[34:35]
	s_cbranch_execz .LBB137_252
; %bb.164:                              ;   in Loop: Header=BB137_20 Depth=1
	s_xor_b64 s[10:11], s[74:75], -1
	v_mov_b32_e32 v12, 1
	v_mov_b32_e32 v2, 1
	s_and_saveexec_b64 s[74:75], s[10:11]
	s_cbranch_execz .LBB137_170
; %bb.165:                              ;   in Loop: Header=BB137_20 Depth=1
	v_cmp_ge_u32_e32 vcc, s13, v4
	s_and_saveexec_b64 s[10:11], vcc
	s_xor_b64 s[34:35], exec, s[10:11]
	s_cbranch_execz .LBB137_167
; %bb.166:                              ;   in Loop: Header=BB137_20 Depth=1
	v_and_b32_e32 v2, v38, v3
	v_lshl_or_b32 v38, 1, v45, v2
	ds_read_b32 v2, v7 offset:4104
	v_or_b32_e32 v46, v46, v1
	s_waitcnt lgkmcnt(0)
	v_cmp_ne_u32_e32 vcc, 0, v2
	s_cbranch_vccz .LBB137_183
.LBB137_167:                            ;   in Loop: Header=BB137_20 Depth=1
	s_or_saveexec_b64 s[34:35], s[34:35]
	v_mov_b32_e32 v2, 8
	s_xor_b64 exec, exec, s[34:35]
.LBB137_168:                            ;   in Loop: Header=BB137_20 Depth=1
	v_subrev_u32_e32 v4, s13, v4
	v_mov_b32_e32 v2, 0
	s_mov_b64 s[40:41], exec
.LBB137_169:                            ;   in Loop: Header=BB137_20 Depth=1
	s_or_b64 exec, exec, s[34:35]
	s_and_b64 s[40:41], s[40:41], exec
	v_mov_b32_e32 v12, v4
.LBB137_170:                            ;   in Loop: Header=BB137_20 Depth=1
	s_or_b64 exec, exec, s[74:75]
	s_mov_b64 s[34:35], -1
                                        ; implicit-def: $sgpr76_sgpr77
                                        ; implicit-def: $sgpr78_sgpr79
	s_and_saveexec_b64 s[74:75], s[40:41]
	s_cbranch_execz .LBB137_251
; %bb.171:                              ;   in Loop: Header=BB137_20 Depth=1
	s_cmp_eq_u32 s12, 1
	s_cselect_b64 s[10:11], -1, 0
	v_cmp_eq_u32_e32 vcc, 1, v12
	s_and_b64 s[82:83], s[10:11], vcc
                                        ; implicit-def: $sgpr78_sgpr79
                                        ; implicit-def: $sgpr76_sgpr77
	s_and_saveexec_b64 s[80:81], s[82:83]
	s_cbranch_execz .LBB137_200
; %bb.172:                              ;   in Loop: Header=BB137_20 Depth=1
	ds_read_b32 v4, v7 offset:4104
	s_waitcnt lgkmcnt(0)
	s_barrier
	v_readfirstlane_b32 s13, v4
	s_and_saveexec_b64 s[10:11], s[24:25]
; %bb.173:                              ;   in Loop: Header=BB137_20 Depth=1
	ds_write_b16 v23, v7
; %bb.174:                              ;   in Loop: Header=BB137_20 Depth=1
	s_or_b64 exec, exec, s[10:11]
	v_and_b32_e32 v4, v38, v3
	v_lshl_or_b32 v38, 2, v45, v4
	v_or_b32_e32 v46, v46, v1
	s_mov_b64 s[76:77], -1
	s_mov_b64 s[78:79], 0
	s_cmp_eq_u32 s13, 0
	s_mov_b64 s[84:85], 0
	s_mov_b64 s[86:87], -1
	s_waitcnt lgkmcnt(0)
	s_barrier
                                        ; implicit-def: $vgpr47
	s_cbranch_scc1 .LBB137_188
; %bb.175:                              ;   in Loop: Header=BB137_20 Depth=1
	s_add_i32 s10, s13, s15
	s_mul_hi_u32 s11, s10, s9
	s_mul_i32 s11, s11, s39
	s_sub_i32 s11, s10, s11
	s_sub_i32 s20, s11, s39
	s_cmp_ge_u32 s11, s39
	s_cselect_b32 s11, s20, s11
	s_sub_i32 s20, s11, s39
	s_cmp_ge_u32 s11, s39
	s_cselect_b32 s11, s20, s11
	s_sub_i32 s20, s10, s11
	v_cmp_gt_u32_e32 vcc, s20, v0
	s_mov_b64 s[86:87], 0
                                        ; implicit-def: $vgpr47
	s_and_saveexec_b64 s[88:89], vcc
	s_cbranch_execz .LBB137_187
; %bb.176:                              ;   in Loop: Header=BB137_20 Depth=1
	s_mov_b64 s[34:35], 0
	v_mov_b32_e32 v4, v22
	v_mov_b32_e32 v6, v0
                                        ; implicit-def: $sgpr84_sgpr85
	s_branch .LBB137_179
.LBB137_177:                            ;   in Loop: Header=BB137_179 Depth=2
	s_or_b64 exec, exec, s[40:41]
	s_waitcnt lgkmcnt(0)
	s_barrier
	ds_read_b32 v13, v7 offset:3072
	s_mov_b64 s[10:11], -1
	s_mov_b64 s[40:41], -1
	s_waitcnt lgkmcnt(0)
	s_barrier
	v_and_b32_e32 v14, 0x7fff, v13
	v_cmp_ne_u32_e32 vcc, 0, v14
	s_cbranch_vccz .LBB137_182
.LBB137_178:                            ;   in Loop: Header=BB137_179 Depth=2
	s_and_b64 s[10:11], exec, s[10:11]
	s_or_b64 s[34:35], s[10:11], s[34:35]
	s_andn2_b64 s[10:11], s[84:85], exec
	s_and_b64 s[40:41], s[40:41], exec
	s_or_b64 s[84:85], s[10:11], s[40:41]
	s_andn2_b64 exec, exec, s[34:35]
	s_cbranch_execz .LBB137_186
.LBB137_179:                            ;   Parent Loop BB137_20 Depth=1
                                        ; =>  This Inner Loop Header: Depth=2
	v_cmp_gt_u32_e32 vcc, s13, v6
	s_and_saveexec_b64 s[40:41], vcc
	s_cbranch_execz .LBB137_177
; %bb.180:                              ;   in Loop: Header=BB137_179 Depth=2
	ds_read_u16 v13, v4
	s_waitcnt lgkmcnt(0)
	v_cmp_lt_i16_e32 vcc, -1, v13
	v_cndmask_b32_e32 v14, v41, v42, vcc
	v_lshlrev_b32_e32 v15, 16, v13
	v_cmp_o_f32_e32 vcc, v15, v15
	v_xor_b32_sdwa v14, v14, v13 dst_sel:DWORD dst_unused:UNUSED_PAD src0_sel:DWORD src1_sel:WORD_0
	v_cndmask_b32_e32 v14, v41, v14, vcc
	v_and_b32_e32 v14, v14, v46
	v_cmp_eq_u32_e32 vcc, v14, v38
	s_and_b64 exec, exec, vcc
	s_cbranch_execz .LBB137_177
; %bb.181:                              ;   in Loop: Header=BB137_179 Depth=2
	v_perm_b32 v13, v13, s56, v44
	ds_write_b32 v7, v13 offset:3072
	s_branch .LBB137_177
.LBB137_182:                            ;   in Loop: Header=BB137_179 Depth=2
	v_add_u32_e32 v6, s39, v6
	v_cmp_le_u32_e32 vcc, s20, v6
	v_add_u32_e32 v4, s54, v4
	s_mov_b64 s[40:41], 0
	s_orn2_b64 s[10:11], vcc, exec
	s_branch .LBB137_178
.LBB137_183:                            ;   in Loop: Header=BB137_20 Depth=1
	s_and_saveexec_b64 s[10:11], s[2:3]
; %bb.184:                              ;   in Loop: Header=BB137_20 Depth=1
	v_mov_b32_e32 v2, s13
	ds_write_b32 v7, v2 offset:4108
; %bb.185:                              ;   in Loop: Header=BB137_20 Depth=1
	s_or_b64 exec, exec, s[10:11]
	s_waitcnt lgkmcnt(0)
	s_barrier
	s_or_saveexec_b64 s[34:35], s[34:35]
	v_mov_b32_e32 v2, 8
	s_xor_b64 exec, exec, s[34:35]
	s_cbranch_execnz .LBB137_168
	s_branch .LBB137_169
.LBB137_186:                            ;   in Loop: Header=BB137_20 Depth=1
	s_or_b64 exec, exec, s[34:35]
	v_lshrrev_b32_e32 v47, 16, v13
	s_and_b64 s[84:85], s[84:85], exec
.LBB137_187:                            ;   in Loop: Header=BB137_20 Depth=1
	s_or_b64 exec, exec, s[88:89]
.LBB137_188:                            ;   in Loop: Header=BB137_20 Depth=1
	s_and_b64 vcc, exec, s[86:87]
	s_cbranch_vccz .LBB137_199
; %bb.189:                              ;   in Loop: Header=BB137_20 Depth=1
                                        ; implicit-def: $vgpr47
	s_mov_b64 s[76:77], exec
	v_readlane_b32 s10, v53, 30
	v_readlane_b32 s11, v53, 31
	s_and_b64 s[10:11], s[76:77], s[10:11]
	s_mov_b64 exec, s[10:11]
	s_cbranch_execz .LBB137_198
; %bb.190:                              ;   in Loop: Header=BB137_20 Depth=1
	s_mov_b64 s[34:35], 0
	v_mov_b32_e32 v6, v5
	v_mov_b32_e32 v4, v0
                                        ; implicit-def: $sgpr78_sgpr79
	s_branch .LBB137_193
.LBB137_191:                            ;   in Loop: Header=BB137_193 Depth=2
	s_or_b64 exec, exec, s[40:41]
	s_waitcnt lgkmcnt(0)
	s_barrier
	ds_read_b32 v13, v7 offset:3072
	s_mov_b64 s[10:11], -1
	s_mov_b64 s[40:41], -1
	s_waitcnt lgkmcnt(0)
	s_barrier
	v_and_b32_e32 v14, 0x7fff, v13
	v_cmp_eq_u32_e32 vcc, 0, v14
	s_cbranch_vccnz .LBB137_196
.LBB137_192:                            ;   in Loop: Header=BB137_193 Depth=2
	s_and_b64 s[10:11], exec, s[10:11]
	s_or_b64 s[34:35], s[10:11], s[34:35]
	s_andn2_b64 s[10:11], s[78:79], exec
	s_and_b64 s[20:21], s[40:41], exec
	s_or_b64 s[78:79], s[10:11], s[20:21]
	s_andn2_b64 exec, exec, s[34:35]
	s_cbranch_execz .LBB137_197
.LBB137_193:                            ;   Parent Loop BB137_20 Depth=1
                                        ; =>  This Inner Loop Header: Depth=2
	v_cmp_gt_u32_e32 vcc, s36, v4
	s_and_saveexec_b64 s[40:41], vcc
	s_cbranch_execz .LBB137_191
; %bb.194:                              ;   in Loop: Header=BB137_193 Depth=2
	v_lshlrev_b64 v[13:14], 1, v[6:7]
	v_mov_b32_e32 v15, s45
	v_add_co_u32_e32 v13, vcc, s42, v13
	v_addc_co_u32_e32 v14, vcc, v15, v14, vcc
	global_load_ushort v13, v[13:14], off
	s_waitcnt vmcnt(0)
	v_cmp_lt_i16_e32 vcc, -1, v13
	v_cndmask_b32_e32 v14, v41, v42, vcc
	v_lshlrev_b32_e32 v15, 16, v13
	v_xor_b32_sdwa v14, v14, v13 dst_sel:DWORD dst_unused:UNUSED_PAD src0_sel:DWORD src1_sel:WORD_0
	v_cmp_o_f32_e32 vcc, v15, v15
	v_cndmask_b32_e32 v14, v41, v14, vcc
	v_and_b32_e32 v14, v14, v46
	v_cmp_eq_u32_e32 vcc, v14, v38
	s_and_b64 exec, exec, vcc
	s_cbranch_execz .LBB137_191
; %bb.195:                              ;   in Loop: Header=BB137_193 Depth=2
	v_perm_b32 v13, v13, s56, v44
	ds_write_b32 v7, v13 offset:3072
	s_branch .LBB137_191
.LBB137_196:                            ;   in Loop: Header=BB137_193 Depth=2
	v_add_u32_e32 v4, s39, v4
	v_cmp_le_u32_e32 vcc, s33, v4
	v_add_u32_e32 v6, s44, v6
	s_mov_b64 s[40:41], 0
	s_orn2_b64 s[10:11], vcc, exec
	s_branch .LBB137_192
.LBB137_197:                            ;   in Loop: Header=BB137_20 Depth=1
	s_or_b64 exec, exec, s[34:35]
	s_andn2_b64 s[10:11], s[84:85], exec
	s_and_b64 s[20:21], s[78:79], exec
	v_lshrrev_b32_e32 v47, 16, v13
	s_or_b64 s[84:85], s[10:11], s[20:21]
.LBB137_198:                            ;   in Loop: Header=BB137_20 Depth=1
	s_or_b64 exec, exec, s[76:77]
	s_mov_b64 s[76:77], 0
	s_mov_b64 s[78:79], -1
.LBB137_199:                            ;   in Loop: Header=BB137_20 Depth=1
	s_orn2_b64 s[34:35], s[84:85], exec
.LBB137_200:                            ;   in Loop: Header=BB137_20 Depth=1
	s_or_b64 exec, exec, s[80:81]
	s_mov_b64 s[40:41], 0
	s_and_saveexec_b64 s[80:81], s[34:35]
	s_cbranch_execz .LBB137_250
; %bb.201:                              ;   in Loop: Header=BB137_20 Depth=1
	s_xor_b64 s[10:11], s[82:83], -1
	v_mov_b32_e32 v4, 1
	v_mov_b32_e32 v2, 1
	s_and_saveexec_b64 s[82:83], s[10:11]
	s_cbranch_execz .LBB137_210
; %bb.202:                              ;   in Loop: Header=BB137_20 Depth=1
	v_cmp_ge_u32_e32 vcc, s12, v12
	s_and_saveexec_b64 s[10:11], vcc
	s_xor_b64 s[34:35], exec, s[10:11]
	s_cbranch_execz .LBB137_207
; %bb.203:                              ;   in Loop: Header=BB137_20 Depth=1
	v_and_b32_e32 v2, v38, v3
	v_lshl_or_b32 v38, 2, v45, v2
	ds_read_b32 v2, v7 offset:4104
	v_or_b32_e32 v46, v46, v1
	s_waitcnt lgkmcnt(0)
	v_cmp_ne_u32_e32 vcc, 0, v2
	s_cbranch_vccnz .LBB137_207
; %bb.204:                              ;   in Loop: Header=BB137_20 Depth=1
	s_and_saveexec_b64 s[10:11], s[2:3]
; %bb.205:                              ;   in Loop: Header=BB137_20 Depth=1
	v_mov_b32_e32 v2, s12
	ds_write_b32 v7, v2 offset:4108
; %bb.206:                              ;   in Loop: Header=BB137_20 Depth=1
	s_or_b64 exec, exec, s[10:11]
	s_waitcnt lgkmcnt(0)
	s_barrier
.LBB137_207:                            ;   in Loop: Header=BB137_20 Depth=1
	s_or_saveexec_b64 s[34:35], s[34:35]
	v_mov_b32_e32 v2, 8
	s_xor_b64 exec, exec, s[34:35]
; %bb.208:                              ;   in Loop: Header=BB137_20 Depth=1
	v_subrev_u32_e32 v12, s12, v12
	v_mov_b32_e32 v2, 0
	s_mov_b64 s[40:41], exec
; %bb.209:                              ;   in Loop: Header=BB137_20 Depth=1
	s_or_b64 exec, exec, s[34:35]
	s_and_b64 s[40:41], s[40:41], exec
	v_mov_b32_e32 v4, v12
.LBB137_210:                            ;   in Loop: Header=BB137_20 Depth=1
	s_or_b64 exec, exec, s[82:83]
	s_mov_b64 s[34:35], -1
                                        ; implicit-def: $sgpr86_sgpr87
                                        ; implicit-def: $sgpr84_sgpr85
	s_and_saveexec_b64 s[82:83], s[40:41]
	s_cbranch_execz .LBB137_249
; %bb.211:                              ;   in Loop: Header=BB137_20 Depth=1
	s_cmp_eq_u32 s57, 1
	s_cselect_b64 s[10:11], -1, 0
	v_cmp_eq_u32_e32 vcc, 1, v4
	s_and_b64 s[88:89], s[10:11], vcc
                                        ; implicit-def: $sgpr86_sgpr87
                                        ; implicit-def: $sgpr84_sgpr85
	s_and_saveexec_b64 s[90:91], s[88:89]
	s_cbranch_execz .LBB137_237
; %bb.212:                              ;   in Loop: Header=BB137_20 Depth=1
	ds_read_b32 v3, v7 offset:4104
	s_waitcnt lgkmcnt(0)
	s_barrier
	v_readfirstlane_b32 s20, v3
	s_and_saveexec_b64 s[10:11], s[24:25]
; %bb.213:                              ;   in Loop: Header=BB137_20 Depth=1
	ds_write_b16 v23, v7
; %bb.214:                              ;   in Loop: Header=BB137_20 Depth=1
	s_or_b64 exec, exec, s[10:11]
	v_or_b32_e32 v38, v38, v1
	v_or_b32_e32 v46, v46, v1
	s_mov_b64 s[84:85], -1
	s_mov_b64 s[86:87], 0
	s_cmp_eq_u32 s20, 0
	s_mov_b64 s[92:93], 0
	s_mov_b64 s[94:95], -1
	s_waitcnt lgkmcnt(0)
	s_barrier
                                        ; implicit-def: $vgpr47
	s_cbranch_scc1 .LBB137_225
; %bb.215:                              ;   in Loop: Header=BB137_20 Depth=1
	s_add_i32 s10, s20, s15
	s_mul_hi_u32 s11, s10, s9
	s_mul_i32 s11, s11, s39
	s_sub_i32 s11, s10, s11
	s_sub_i32 s12, s11, s39
	s_cmp_ge_u32 s11, s39
	s_cselect_b32 s11, s12, s11
	s_sub_i32 s12, s11, s39
	s_cmp_ge_u32 s11, s39
	s_cselect_b32 s11, s12, s11
	s_sub_i32 s21, s10, s11
	v_cmp_gt_u32_e32 vcc, s21, v0
	s_mov_b64 s[94:95], 0
                                        ; implicit-def: $vgpr47
	s_and_saveexec_b64 s[34:35], vcc
	s_cbranch_execz .LBB137_224
; %bb.216:                              ;   in Loop: Header=BB137_20 Depth=1
	v_mov_b32_e32 v3, v22
	v_mov_b32_e32 v6, v0
                                        ; implicit-def: $sgpr40_sgpr41
	s_branch .LBB137_219
.LBB137_217:                            ;   in Loop: Header=BB137_219 Depth=2
	s_or_b64 exec, exec, s[10:11]
	s_waitcnt lgkmcnt(0)
	s_barrier
	ds_read_b32 v12, v7 offset:3072
	s_mov_b64 s[10:11], -1
	s_mov_b64 s[12:13], -1
	s_waitcnt lgkmcnt(0)
	s_barrier
	v_and_b32_e32 v13, 0x7fff, v12
	v_cmp_ne_u32_e32 vcc, 0, v13
	s_cbranch_vccz .LBB137_222
.LBB137_218:                            ;   in Loop: Header=BB137_219 Depth=2
	s_and_b64 s[10:11], exec, s[10:11]
	s_or_b64 s[92:93], s[10:11], s[92:93]
	s_andn2_b64 s[10:11], s[40:41], exec
	s_and_b64 s[12:13], s[12:13], exec
	s_or_b64 s[40:41], s[10:11], s[12:13]
	s_andn2_b64 exec, exec, s[92:93]
	s_cbranch_execz .LBB137_223
.LBB137_219:                            ;   Parent Loop BB137_20 Depth=1
                                        ; =>  This Inner Loop Header: Depth=2
	v_cmp_gt_u32_e32 vcc, s20, v6
	s_and_saveexec_b64 s[10:11], vcc
	s_cbranch_execz .LBB137_217
; %bb.220:                              ;   in Loop: Header=BB137_219 Depth=2
	ds_read_u16 v12, v3
	s_waitcnt lgkmcnt(0)
	v_cmp_lt_i16_e32 vcc, -1, v12
	v_cndmask_b32_e32 v13, v41, v42, vcc
	v_lshlrev_b32_e32 v14, 16, v12
	v_cmp_o_f32_e32 vcc, v14, v14
	v_xor_b32_sdwa v13, v13, v12 dst_sel:DWORD dst_unused:UNUSED_PAD src0_sel:DWORD src1_sel:WORD_0
	v_cndmask_b32_e32 v13, v41, v13, vcc
	v_and_b32_e32 v13, v13, v46
	v_cmp_eq_u32_e32 vcc, v13, v38
	s_and_b64 exec, exec, vcc
	s_cbranch_execz .LBB137_217
; %bb.221:                              ;   in Loop: Header=BB137_219 Depth=2
	v_perm_b32 v12, v12, s56, v44
	ds_write_b32 v7, v12 offset:3072
	s_branch .LBB137_217
.LBB137_222:                            ;   in Loop: Header=BB137_219 Depth=2
	v_add_u32_e32 v6, s39, v6
	v_cmp_le_u32_e32 vcc, s21, v6
	v_add_u32_e32 v3, s54, v3
	s_mov_b64 s[12:13], 0
	s_orn2_b64 s[10:11], vcc, exec
	s_branch .LBB137_218
.LBB137_223:                            ;   in Loop: Header=BB137_20 Depth=1
	s_or_b64 exec, exec, s[92:93]
	v_lshrrev_b32_e32 v47, 16, v12
	s_and_b64 s[92:93], s[40:41], exec
.LBB137_224:                            ;   in Loop: Header=BB137_20 Depth=1
	s_or_b64 exec, exec, s[34:35]
.LBB137_225:                            ;   in Loop: Header=BB137_20 Depth=1
	s_and_b64 vcc, exec, s[94:95]
	s_cbranch_vccz .LBB137_236
; %bb.226:                              ;   in Loop: Header=BB137_20 Depth=1
                                        ; implicit-def: $vgpr47
	s_mov_b64 s[84:85], exec
	v_readlane_b32 s10, v53, 30
	v_readlane_b32 s11, v53, 31
	s_and_b64 s[10:11], s[84:85], s[10:11]
	s_mov_b64 exec, s[10:11]
	s_cbranch_execz .LBB137_235
; %bb.227:                              ;   in Loop: Header=BB137_20 Depth=1
	s_mov_b64 s[34:35], 0
	v_mov_b32_e32 v6, v5
	v_mov_b32_e32 v3, v0
                                        ; implicit-def: $sgpr86_sgpr87
	s_branch .LBB137_230
.LBB137_228:                            ;   in Loop: Header=BB137_230 Depth=2
	s_or_b64 exec, exec, s[40:41]
	s_waitcnt lgkmcnt(0)
	s_barrier
	ds_read_b32 v12, v7 offset:3072
	s_mov_b64 s[10:11], -1
	s_mov_b64 s[12:13], -1
	s_waitcnt lgkmcnt(0)
	s_barrier
	v_and_b32_e32 v13, 0x7fff, v12
	v_cmp_eq_u32_e32 vcc, 0, v13
	s_cbranch_vccnz .LBB137_233
.LBB137_229:                            ;   in Loop: Header=BB137_230 Depth=2
	s_and_b64 s[10:11], exec, s[10:11]
	s_or_b64 s[34:35], s[10:11], s[34:35]
	s_andn2_b64 s[10:11], s[86:87], exec
	s_and_b64 s[12:13], s[12:13], exec
	s_or_b64 s[86:87], s[10:11], s[12:13]
	s_andn2_b64 exec, exec, s[34:35]
	s_cbranch_execz .LBB137_234
.LBB137_230:                            ;   Parent Loop BB137_20 Depth=1
                                        ; =>  This Inner Loop Header: Depth=2
	v_cmp_gt_u32_e32 vcc, s36, v3
	s_and_saveexec_b64 s[40:41], vcc
	s_cbranch_execz .LBB137_228
; %bb.231:                              ;   in Loop: Header=BB137_230 Depth=2
	v_lshlrev_b64 v[12:13], 1, v[6:7]
	v_mov_b32_e32 v14, s45
	v_add_co_u32_e32 v12, vcc, s42, v12
	v_addc_co_u32_e32 v13, vcc, v14, v13, vcc
	global_load_ushort v12, v[12:13], off
	s_waitcnt vmcnt(0)
	v_cmp_lt_i16_e32 vcc, -1, v12
	v_cndmask_b32_e32 v13, v41, v42, vcc
	v_lshlrev_b32_e32 v14, 16, v12
	v_xor_b32_sdwa v13, v13, v12 dst_sel:DWORD dst_unused:UNUSED_PAD src0_sel:DWORD src1_sel:WORD_0
	v_cmp_o_f32_e32 vcc, v14, v14
	v_cndmask_b32_e32 v13, v41, v13, vcc
	v_and_b32_e32 v13, v13, v46
	v_cmp_eq_u32_e32 vcc, v13, v38
	s_and_b64 exec, exec, vcc
	s_cbranch_execz .LBB137_228
; %bb.232:                              ;   in Loop: Header=BB137_230 Depth=2
	v_perm_b32 v12, v12, s56, v44
	ds_write_b32 v7, v12 offset:3072
	s_branch .LBB137_228
.LBB137_233:                            ;   in Loop: Header=BB137_230 Depth=2
	v_add_u32_e32 v3, s39, v3
	v_cmp_le_u32_e32 vcc, s33, v3
	v_add_u32_e32 v6, s44, v6
	s_mov_b64 s[12:13], 0
	s_orn2_b64 s[10:11], vcc, exec
	s_branch .LBB137_229
.LBB137_234:                            ;   in Loop: Header=BB137_20 Depth=1
	s_or_b64 exec, exec, s[34:35]
	s_andn2_b64 s[10:11], s[92:93], exec
	s_and_b64 s[12:13], s[86:87], exec
	v_lshrrev_b32_e32 v47, 16, v12
	s_or_b64 s[92:93], s[10:11], s[12:13]
.LBB137_235:                            ;   in Loop: Header=BB137_20 Depth=1
	s_or_b64 exec, exec, s[84:85]
	s_mov_b64 s[84:85], 0
	s_mov_b64 s[86:87], -1
.LBB137_236:                            ;   in Loop: Header=BB137_20 Depth=1
	s_orn2_b64 s[34:35], s[92:93], exec
.LBB137_237:                            ;   in Loop: Header=BB137_20 Depth=1
	s_or_b64 exec, exec, s[90:91]
	s_mov_b64 s[10:11], 0
	s_and_saveexec_b64 s[90:91], s[34:35]
	s_cbranch_execz .LBB137_248
; %bb.238:                              ;   in Loop: Header=BB137_20 Depth=1
	s_xor_b64 s[10:11], s[88:89], -1
	v_mov_b32_e32 v2, 1
	v_mov_b32_e32 v3, 1
	s_and_saveexec_b64 s[34:35], s[10:11]
	s_cbranch_execz .LBB137_247
; %bb.239:                              ;   in Loop: Header=BB137_20 Depth=1
	v_cmp_ge_u32_e32 vcc, s57, v4
	s_and_saveexec_b64 s[10:11], vcc
	s_xor_b64 s[40:41], exec, s[10:11]
	s_cbranch_execz .LBB137_244
; %bb.240:                              ;   in Loop: Header=BB137_20 Depth=1
	v_or_b32_e32 v38, v38, v1
	v_or_b32_e32 v46, v46, v1
	ds_read_b32 v1, v7 offset:4104
	s_waitcnt lgkmcnt(0)
	v_cmp_ne_u32_e32 vcc, 0, v1
	s_cbranch_vccnz .LBB137_244
; %bb.241:                              ;   in Loop: Header=BB137_20 Depth=1
	s_and_saveexec_b64 s[10:11], s[2:3]
; %bb.242:                              ;   in Loop: Header=BB137_20 Depth=1
	v_mov_b32_e32 v1, s57
	ds_write_b32 v7, v1 offset:4108
; %bb.243:                              ;   in Loop: Header=BB137_20 Depth=1
	s_or_b64 exec, exec, s[10:11]
	s_waitcnt lgkmcnt(0)
	s_barrier
.LBB137_244:                            ;   in Loop: Header=BB137_20 Depth=1
	s_andn2_saveexec_b64 s[10:11], s[40:41]
; %bb.245:                              ;   in Loop: Header=BB137_20 Depth=1
	v_subrev_u32_e32 v4, s57, v4
; %bb.246:                              ;   in Loop: Header=BB137_20 Depth=1
	s_or_b64 exec, exec, s[10:11]
	v_mov_b32_e32 v2, 8
	v_mov_b32_e32 v3, v4
.LBB137_247:                            ;   in Loop: Header=BB137_20 Depth=1
	s_or_b64 exec, exec, s[34:35]
	s_mov_b64 s[10:11], exec
	v_mov_b32_e32 v4, v3
.LBB137_248:                            ;   in Loop: Header=BB137_20 Depth=1
	s_or_b64 exec, exec, s[90:91]
	s_orn2_b64 s[34:35], s[10:11], exec
.LBB137_249:                            ;   in Loop: Header=BB137_20 Depth=1
	s_or_b64 exec, exec, s[82:83]
	s_andn2_b64 s[10:11], s[78:79], exec
	s_and_b64 s[12:13], s[86:87], exec
	s_or_b64 s[78:79], s[10:11], s[12:13]
	s_andn2_b64 s[10:11], s[76:77], exec
	s_and_b64 s[12:13], s[84:85], exec
	s_or_b64 s[76:77], s[10:11], s[12:13]
	s_and_b64 s[40:41], s[34:35], exec
	v_mov_b32_e32 v12, v4
.LBB137_250:                            ;   in Loop: Header=BB137_20 Depth=1
	s_or_b64 exec, exec, s[80:81]
	s_orn2_b64 s[34:35], s[40:41], exec
.LBB137_251:                            ;   in Loop: Header=BB137_20 Depth=1
	s_or_b64 exec, exec, s[74:75]
	s_andn2_b64 s[10:11], s[30:31], exec
	s_and_b64 s[12:13], s[78:79], exec
	s_or_b64 s[30:31], s[10:11], s[12:13]
	s_andn2_b64 s[10:11], s[28:29], exec
	s_and_b64 s[12:13], s[76:77], exec
	s_or_b64 s[28:29], s[10:11], s[12:13]
	s_and_b64 s[40:41], s[34:35], exec
	v_mov_b32_e32 v4, v12
.LBB137_252:                            ;   in Loop: Header=BB137_20 Depth=1
	s_or_b64 exec, exec, s[72:73]
	s_orn2_b64 s[34:35], s[40:41], exec
.LBB137_253:                            ;   in Loop: Header=BB137_20 Depth=1
	s_or_b64 exec, exec, s[26:27]
	s_mov_b64 s[40:41], 0
                                        ; implicit-def: $sgpr20
	s_and_saveexec_b64 s[10:11], s[34:35]
	s_xor_b64 s[26:27], exec, s[10:11]
	s_cbranch_execz .LBB137_18
; %bb.254:                              ;   in Loop: Header=BB137_20 Depth=1
	v_and_b32_e32 v1, 7, v2
	v_cmp_eq_u32_e32 vcc, 0, v1
	s_mov_b64 s[10:11], -1
	s_mov_b64 s[22:23], -1
                                        ; implicit-def: $sgpr20
	s_and_saveexec_b64 s[12:13], vcc
	s_cbranch_execz .LBB137_17
; %bb.255:                              ;   in Loop: Header=BB137_20 Depth=1
	v_add_u32_e32 v1, -2, v45
	v_cmp_eq_u32_e32 vcc, 0, v45
	s_xor_b32 s20, s0, 1
	s_xor_b64 s[22:23], exec, -1
	s_orn2_b64 s[10:11], vcc, exec
	v_mov_b32_e32 v45, v1
	s_branch .LBB137_17
.LBB137_256:
	s_or_b64 exec, exec, s[58:59]
	s_xor_b64 s[8:9], s[64:65], -1
	s_xor_b64 s[0:1], s[60:61], -1
	;; [unrolled: 1-line block ×3, first 2 shown]
	s_mov_b64 s[4:5], 0
	s_and_saveexec_b64 s[2:3], s[0:1]
	s_xor_b64 s[2:3], exec, s[2:3]
	s_cbranch_execnz .LBB137_261
; %bb.257:
	s_andn2_saveexec_b64 s[0:1], s[2:3]
	s_cbranch_execnz .LBB137_274
.LBB137_258:
	s_or_b64 exec, exec, s[0:1]
	s_and_saveexec_b64 s[0:1], s[4:5]
.LBB137_259:
	; divergent unreachable
.LBB137_260:
	s_endpgm
.LBB137_261:
	s_and_saveexec_b64 s[0:1], s[8:9]
	s_xor_b64 s[4:5], exec, s[0:1]
	s_cbranch_execz .LBB137_272
; %bb.262:
	s_and_saveexec_b64 s[0:1], s[6:7]
	s_xor_b64 s[6:7], exec, s[0:1]
; %bb.263:
	v_and_b32_e32 v1, 0x8000, v38
	v_mov_b32_e32 v2, 0x8000
	v_mov_b32_e32 v3, 0xffff
	v_cmp_eq_u32_e32 vcc, 0, v1
	v_cndmask_b32_e32 v1, v2, v3, vcc
	v_xor_b32_e32 v47, v1, v38
; %bb.264:
	s_or_b64 exec, exec, s[6:7]
	v_readlane_b32 s8, v53, 8
	v_readlane_b32 s9, v53, 9
	s_mul_i32 s0, s9, s8
	v_readlane_b32 s7, v53, 12
	s_sub_i32 s0, s7, s0
	s_add_i32 s1, s9, 1
	s_sub_i32 s6, s0, s8
	s_cmp_ge_u32 s0, s8
	s_cselect_b32 s1, s1, s9
	s_cselect_b32 s0, s6, s0
	s_add_i32 s6, s1, 1
	s_cmp_ge_u32 s0, s8
	s_cselect_b32 s0, s6, s1
	s_mul_i32 s1, s0, s8
	s_sub_i32 s1, s7, s1
	v_readlane_b32 s6, v53, 4
	v_readlane_b32 s7, v53, 5
	s_mul_i32 s1, s1, s7
	s_mul_i32 s0, s0, s6
	s_add_i32 s0, s0, s1
	s_mov_b32 s1, 0
	s_lshl_b64 s[0:1], s[0:1], 1
	v_readlane_b32 s6, v53, 6
	v_readlane_b32 s7, v53, 7
	s_add_u32 s0, s6, s0
	s_addc_u32 s1, s7, s1
	v_mov_b32_e32 v6, 0
	global_store_short v6, v47, s[0:1]
	s_mov_b64 s[6:7], exec
	v_readlane_b32 s0, v53, 13
	v_readlane_b32 s1, v53, 14
	s_and_b64 s[0:1], s[6:7], s[0:1]
	s_mov_b64 exec, s[0:1]
	s_cbranch_execz .LBB137_271
; %bb.265:
	v_lshlrev_b32_e32 v2, 16, v47
	v_cmp_u_f32_e32 vcc, v2, v2
	s_mov_b64 s[8:9], 0
	v_mov_b32_e32 v3, s45
	s_xor_b64 s[12:13], vcc, -1
                                        ; implicit-def: $sgpr10_sgpr11
                                        ; implicit-def: $sgpr16_sgpr17
                                        ; implicit-def: $sgpr14_sgpr15
	s_branch .LBB137_267
.LBB137_266:                            ;   in Loop: Header=BB137_267 Depth=1
	s_or_b64 exec, exec, s[0:1]
	s_and_b64 s[0:1], exec, s[16:17]
	s_or_b64 s[8:9], s[0:1], s[8:9]
	s_andn2_b64 s[0:1], s[10:11], exec
	s_and_b64 s[10:11], s[14:15], exec
	s_or_b64 s[10:11], s[0:1], s[10:11]
	s_andn2_b64 exec, exec, s[8:9]
	s_cbranch_execz .LBB137_269
.LBB137_267:                            ; =>This Inner Loop Header: Depth=1
	v_lshlrev_b64 v[7:8], 1, v[5:6]
	v_mov_b32_e32 v1, v0
	v_add_co_u32_e32 v7, vcc, s42, v7
	v_addc_co_u32_e32 v8, vcc, v3, v8, vcc
	global_load_ushort v4, v[7:8], off
	s_or_b64 s[14:15], s[14:15], exec
	s_or_b64 s[16:17], s[16:17], exec
	s_waitcnt vmcnt(0)
	v_lshlrev_b32_e32 v0, 16, v4
	v_cmp_o_f32_e64 s[0:1], v0, v0
	v_cmp_neq_f32_e32 vcc, v0, v2
	s_or_b64 s[0:1], s[12:13], s[0:1]
	s_and_b64 s[18:19], vcc, s[0:1]
                                        ; implicit-def: $vgpr0
	s_and_saveexec_b64 s[0:1], s[18:19]
	s_cbranch_execz .LBB137_266
; %bb.268:                              ;   in Loop: Header=BB137_267 Depth=1
	v_add_u32_e32 v0, s39, v1
	v_cmp_le_u32_e32 vcc, s36, v0
	s_andn2_b64 s[16:17], s[16:17], exec
	s_and_b64 s[18:19], vcc, exec
	v_add_u32_e32 v5, s44, v5
	s_andn2_b64 s[14:15], s[14:15], exec
	s_or_b64 s[16:17], s[16:17], s[18:19]
	s_branch .LBB137_266
.LBB137_269:
	s_or_b64 exec, exec, s[8:9]
	s_and_saveexec_b64 s[0:1], s[10:11]
	s_xor_b64 s[0:1], exec, s[0:1]
	s_cbranch_execz .LBB137_271
; %bb.270:
	v_readlane_b32 s10, v53, 10
	v_readlane_b32 s11, v53, 11
	s_mul_i32 s0, s11, s10
	v_readlane_b32 s9, v53, 12
	s_sub_i32 s0, s9, s0
	s_add_i32 s1, s11, 1
	s_sub_i32 s8, s0, s10
	s_cmp_ge_u32 s0, s10
	s_cselect_b32 s1, s1, s11
	s_cselect_b32 s0, s8, s0
	s_add_i32 s8, s1, 1
	s_cmp_ge_u32 s0, s10
	s_cselect_b32 s0, s8, s1
	s_mul_i32 s1, s0, s10
	s_sub_i32 s1, s9, s1
	v_readlane_b32 s8, v53, 0
	v_readlane_b32 s9, v53, 1
	s_mul_i32 s1, s1, s9
	s_mul_i32 s0, s0, s8
	s_add_i32 s0, s0, s1
	s_mov_b32 s1, 0
	s_lshl_b64 s[0:1], s[0:1], 3
	v_readlane_b32 s8, v53, 2
	v_readlane_b32 s9, v53, 3
	s_add_u32 s0, s8, s0
	s_addc_u32 s1, s9, s1
	v_mov_b32_e32 v2, 0
	global_store_dwordx2 v2, v[1:2], s[0:1]
.LBB137_271:
	s_or_b64 exec, exec, s[6:7]
.LBB137_272:
	s_or_saveexec_b64 s[0:1], s[4:5]
	s_mov_b64 s[4:5], 0
	s_xor_b64 exec, exec, s[0:1]
	s_cbranch_execnz .LBB137_275
.LBB137_273:
	s_or_b64 exec, exec, s[0:1]
	s_and_b64 s[4:5], s[4:5], exec
	s_andn2_saveexec_b64 s[0:1], s[2:3]
	s_cbranch_execz .LBB137_258
.LBB137_274:
	s_or_b64 s[4:5], s[4:5], exec
	s_trap 2
	s_or_b64 exec, exec, s[0:1]
	s_and_saveexec_b64 s[0:1], s[4:5]
	s_cbranch_execnz .LBB137_259
	s_branch .LBB137_260
.LBB137_275:
	s_mov_b64 s[4:5], exec
	s_trap 2
	s_branch .LBB137_273
	.section	.rodata,"a",@progbits
	.p2align	6, 0x0
	.amdhsa_kernel _ZN2at6native12_GLOBAL__N_112gatherMedianIN3c108BFloat16EjLi2EEEvNS_4cuda6detail10TensorInfoIT_T0_EENS7_IlS9_EENS7_IKS8_S9_EES9_S9_S9_b
		.amdhsa_group_segment_fixed_size 4120
		.amdhsa_private_segment_fixed_size 0
		.amdhsa_kernarg_size 920
		.amdhsa_user_sgpr_count 6
		.amdhsa_user_sgpr_private_segment_buffer 1
		.amdhsa_user_sgpr_dispatch_ptr 0
		.amdhsa_user_sgpr_queue_ptr 0
		.amdhsa_user_sgpr_kernarg_segment_ptr 1
		.amdhsa_user_sgpr_dispatch_id 0
		.amdhsa_user_sgpr_flat_scratch_init 0
		.amdhsa_user_sgpr_private_segment_size 0
		.amdhsa_uses_dynamic_stack 0
		.amdhsa_system_sgpr_private_segment_wavefront_offset 0
		.amdhsa_system_sgpr_workgroup_id_x 1
		.amdhsa_system_sgpr_workgroup_id_y 1
		.amdhsa_system_sgpr_workgroup_id_z 1
		.amdhsa_system_sgpr_workgroup_info 0
		.amdhsa_system_vgpr_workitem_id 0
		.amdhsa_next_free_vgpr 54
		.amdhsa_next_free_sgpr 96
		.amdhsa_reserve_vcc 1
		.amdhsa_reserve_flat_scratch 0
		.amdhsa_float_round_mode_32 0
		.amdhsa_float_round_mode_16_64 0
		.amdhsa_float_denorm_mode_32 3
		.amdhsa_float_denorm_mode_16_64 3
		.amdhsa_dx10_clamp 1
		.amdhsa_ieee_mode 1
		.amdhsa_fp16_overflow 0
		.amdhsa_exception_fp_ieee_invalid_op 0
		.amdhsa_exception_fp_denorm_src 0
		.amdhsa_exception_fp_ieee_div_zero 0
		.amdhsa_exception_fp_ieee_overflow 0
		.amdhsa_exception_fp_ieee_underflow 0
		.amdhsa_exception_fp_ieee_inexact 0
		.amdhsa_exception_int_div_zero 0
	.end_amdhsa_kernel
	.section	.text._ZN2at6native12_GLOBAL__N_112gatherMedianIN3c108BFloat16EjLi2EEEvNS_4cuda6detail10TensorInfoIT_T0_EENS7_IlS9_EENS7_IKS8_S9_EES9_S9_S9_b,"axG",@progbits,_ZN2at6native12_GLOBAL__N_112gatherMedianIN3c108BFloat16EjLi2EEEvNS_4cuda6detail10TensorInfoIT_T0_EENS7_IlS9_EENS7_IKS8_S9_EES9_S9_S9_b,comdat
.Lfunc_end137:
	.size	_ZN2at6native12_GLOBAL__N_112gatherMedianIN3c108BFloat16EjLi2EEEvNS_4cuda6detail10TensorInfoIT_T0_EENS7_IlS9_EENS7_IKS8_S9_EES9_S9_S9_b, .Lfunc_end137-_ZN2at6native12_GLOBAL__N_112gatherMedianIN3c108BFloat16EjLi2EEEvNS_4cuda6detail10TensorInfoIT_T0_EENS7_IlS9_EENS7_IKS8_S9_EES9_S9_S9_b
                                        ; -- End function
	.set _ZN2at6native12_GLOBAL__N_112gatherMedianIN3c108BFloat16EjLi2EEEvNS_4cuda6detail10TensorInfoIT_T0_EENS7_IlS9_EENS7_IKS8_S9_EES9_S9_S9_b.num_vgpr, 54
	.set _ZN2at6native12_GLOBAL__N_112gatherMedianIN3c108BFloat16EjLi2EEEvNS_4cuda6detail10TensorInfoIT_T0_EENS7_IlS9_EENS7_IKS8_S9_EES9_S9_S9_b.num_agpr, 0
	.set _ZN2at6native12_GLOBAL__N_112gatherMedianIN3c108BFloat16EjLi2EEEvNS_4cuda6detail10TensorInfoIT_T0_EENS7_IlS9_EENS7_IKS8_S9_EES9_S9_S9_b.numbered_sgpr, 96
	.set _ZN2at6native12_GLOBAL__N_112gatherMedianIN3c108BFloat16EjLi2EEEvNS_4cuda6detail10TensorInfoIT_T0_EENS7_IlS9_EENS7_IKS8_S9_EES9_S9_S9_b.num_named_barrier, 0
	.set _ZN2at6native12_GLOBAL__N_112gatherMedianIN3c108BFloat16EjLi2EEEvNS_4cuda6detail10TensorInfoIT_T0_EENS7_IlS9_EENS7_IKS8_S9_EES9_S9_S9_b.private_seg_size, 0
	.set _ZN2at6native12_GLOBAL__N_112gatherMedianIN3c108BFloat16EjLi2EEEvNS_4cuda6detail10TensorInfoIT_T0_EENS7_IlS9_EENS7_IKS8_S9_EES9_S9_S9_b.uses_vcc, 1
	.set _ZN2at6native12_GLOBAL__N_112gatherMedianIN3c108BFloat16EjLi2EEEvNS_4cuda6detail10TensorInfoIT_T0_EENS7_IlS9_EENS7_IKS8_S9_EES9_S9_S9_b.uses_flat_scratch, 0
	.set _ZN2at6native12_GLOBAL__N_112gatherMedianIN3c108BFloat16EjLi2EEEvNS_4cuda6detail10TensorInfoIT_T0_EENS7_IlS9_EENS7_IKS8_S9_EES9_S9_S9_b.has_dyn_sized_stack, 0
	.set _ZN2at6native12_GLOBAL__N_112gatherMedianIN3c108BFloat16EjLi2EEEvNS_4cuda6detail10TensorInfoIT_T0_EENS7_IlS9_EENS7_IKS8_S9_EES9_S9_S9_b.has_recursion, 0
	.set _ZN2at6native12_GLOBAL__N_112gatherMedianIN3c108BFloat16EjLi2EEEvNS_4cuda6detail10TensorInfoIT_T0_EENS7_IlS9_EENS7_IKS8_S9_EES9_S9_S9_b.has_indirect_call, 0
	.section	.AMDGPU.csdata,"",@progbits
; Kernel info:
; codeLenInByte = 11408
; TotalNumSgprs: 100
; NumVgprs: 54
; ScratchSize: 0
; MemoryBound: 0
; FloatMode: 240
; IeeeMode: 1
; LDSByteSize: 4120 bytes/workgroup (compile time only)
; SGPRBlocks: 12
; VGPRBlocks: 13
; NumSGPRsForWavesPerEU: 100
; NumVGPRsForWavesPerEU: 54
; Occupancy: 4
; WaveLimiterHint : 1
; COMPUTE_PGM_RSRC2:SCRATCH_EN: 0
; COMPUTE_PGM_RSRC2:USER_SGPR: 6
; COMPUTE_PGM_RSRC2:TRAP_HANDLER: 0
; COMPUTE_PGM_RSRC2:TGID_X_EN: 1
; COMPUTE_PGM_RSRC2:TGID_Y_EN: 1
; COMPUTE_PGM_RSRC2:TGID_Z_EN: 1
; COMPUTE_PGM_RSRC2:TIDIG_COMP_CNT: 0
	.section	.text._ZN2at6native12_GLOBAL__N_112gatherMedianIN3c108BFloat16EjLi3EEEvNS_4cuda6detail10TensorInfoIT_T0_EENS7_IlS9_EENS7_IKS8_S9_EES9_S9_S9_b,"axG",@progbits,_ZN2at6native12_GLOBAL__N_112gatherMedianIN3c108BFloat16EjLi3EEEvNS_4cuda6detail10TensorInfoIT_T0_EENS7_IlS9_EENS7_IKS8_S9_EES9_S9_S9_b,comdat
	.globl	_ZN2at6native12_GLOBAL__N_112gatherMedianIN3c108BFloat16EjLi3EEEvNS_4cuda6detail10TensorInfoIT_T0_EENS7_IlS9_EENS7_IKS8_S9_EES9_S9_S9_b ; -- Begin function _ZN2at6native12_GLOBAL__N_112gatherMedianIN3c108BFloat16EjLi3EEEvNS_4cuda6detail10TensorInfoIT_T0_EENS7_IlS9_EENS7_IKS8_S9_EES9_S9_S9_b
	.p2align	8
	.type	_ZN2at6native12_GLOBAL__N_112gatherMedianIN3c108BFloat16EjLi3EEEvNS_4cuda6detail10TensorInfoIT_T0_EENS7_IlS9_EENS7_IKS8_S9_EES9_S9_S9_b,@function
_ZN2at6native12_GLOBAL__N_112gatherMedianIN3c108BFloat16EjLi3EEEvNS_4cuda6detail10TensorInfoIT_T0_EENS7_IlS9_EENS7_IKS8_S9_EES9_S9_S9_b: ; @_ZN2at6native12_GLOBAL__N_112gatherMedianIN3c108BFloat16EjLi3EEEvNS_4cuda6detail10TensorInfoIT_T0_EENS7_IlS9_EENS7_IKS8_S9_EES9_S9_S9_b
; %bb.0:
	s_load_dwordx2 s[12:13], s[4:5], 0x298
	s_load_dwordx4 s[36:39], s[4:5], 0x288
	s_add_u32 s10, s4, 0x298
	s_addc_u32 s11, s5, 0
	s_waitcnt lgkmcnt(0)
	s_mul_i32 s0, s13, s8
	s_add_i32 s0, s0, s7
	s_mul_i32 s0, s0, s12
	s_add_i32 s16, s0, s6
	s_cmp_ge_u32 s16, s37
	s_cbranch_scc1 .LBB138_260
; %bb.1:
	s_load_dwordx2 s[24:25], s[4:5], 0xc
	s_load_dwordx2 s[0:1], s[4:5], 0x0
	;; [unrolled: 1-line block ×4, first 2 shown]
	s_load_dwordx4 s[20:23], s[4:5], 0x144
                                        ; implicit-def: $vgpr53 : SGPR spill to VGPR lane
	s_load_dwordx2 s[18:19], s[4:5], 0xd8
	s_load_dwordx4 s[28:31], s[4:5], 0x6c
	s_waitcnt lgkmcnt(0)
	v_cvt_f32_u32_e32 v1, s25
	v_writelane_b32 v53, s0, 0
	v_writelane_b32 v53, s1, 1
	;; [unrolled: 1-line block ×3, first 2 shown]
	v_rcp_iflag_f32_e32 v1, v1
	v_cvt_f32_u32_e32 v2, s24
	v_writelane_b32 v53, s21, 3
	v_writelane_b32 v53, s22, 4
	v_mul_f32_e32 v1, 0x4f7ffffe, v1
	v_cvt_u32_f32_e32 v1, v1
	s_load_dwordx4 s[0:3], s[4:5], 0x21c
	v_writelane_b32 v53, s23, 5
	s_load_dwordx2 s[20:21], s[4:5], 0xe4
	v_rcp_iflag_f32_e32 v2, v2
                                        ; kill: killed $sgpr4 killed $sgpr5
	s_sub_i32 s4, 0, s25
	v_readfirstlane_b32 s5, v1
	s_mul_i32 s4, s4, s5
	s_mul_hi_u32 s4, s5, s4
	s_add_i32 s5, s5, s4
	v_mul_f32_e32 v1, 0x4f7ffffe, v2
	s_waitcnt lgkmcnt(0)
	v_cvt_f32_u32_e32 v2, s21
	s_mul_hi_u32 s4, s16, s5
	s_mul_i32 s5, s4, s25
	v_writelane_b32 v53, s18, 6
	s_sub_i32 s5, s16, s5
	v_writelane_b32 v53, s19, 7
	s_add_i32 s7, s4, 1
	s_sub_i32 s13, s5, s25
	v_cvt_u32_f32_e32 v1, v1
	v_rcp_iflag_f32_e32 v2, v2
	v_writelane_b32 v53, s28, 8
	s_cmp_ge_u32 s5, s25
	v_writelane_b32 v53, s29, 9
	s_cselect_b32 s4, s7, s4
	v_writelane_b32 v53, s30, 10
	s_cselect_b32 s5, s13, s5
	s_add_i32 s7, s4, 1
	v_writelane_b32 v53, s31, 11
	s_cmp_ge_u32 s5, s25
	v_readfirstlane_b32 s5, v1
	v_mul_f32_e32 v1, 0x4f7ffffe, v2
	s_cselect_b32 s7, s7, s4
	v_writelane_b32 v53, s24, 12
	s_sub_i32 s4, 0, s24
	v_cvt_u32_f32_e32 v1, v1
	s_mul_i32 s4, s4, s5
	s_mul_hi_u32 s4, s5, s4
	v_writelane_b32 v53, s25, 13
	s_add_i32 s5, s5, s4
	v_writelane_b32 v53, s7, 14
	s_mul_hi_u32 s4, s7, s5
	v_readfirstlane_b32 s5, v1
	v_cvt_f32_u32_e32 v1, s20
	v_writelane_b32 v53, s4, 15
	s_sub_i32 s4, 0, s21
	s_mul_i32 s4, s4, s5
	s_mul_hi_u32 s4, s5, s4
	s_add_i32 s5, s5, s4
	v_rcp_iflag_f32_e32 v1, v1
	s_mul_hi_u32 s4, s16, s5
	v_cvt_f32_u32_e32 v2, s15
	s_mul_i32 s5, s4, s21
	s_sub_i32 s5, s16, s5
	s_add_i32 s7, s4, 1
	s_sub_i32 s13, s5, s21
	v_mul_f32_e32 v1, 0x4f7ffffe, v1
	s_cmp_ge_u32 s5, s21
	v_cvt_u32_f32_e32 v1, v1
	v_rcp_iflag_f32_e32 v2, v2
	s_cselect_b32 s4, s7, s4
	s_cselect_b32 s5, s13, s5
	s_add_i32 s7, s4, 1
	s_cmp_ge_u32 s5, s21
	s_cselect_b32 s7, s7, s4
	v_writelane_b32 v53, s20, 16
	s_sub_i32 s4, 0, s20
	v_readfirstlane_b32 s5, v1
	v_mul_f32_e32 v1, 0x4f7ffffe, v2
	s_mul_i32 s4, s4, s5
	v_cvt_u32_f32_e32 v1, v1
	s_mul_hi_u32 s4, s5, s4
	v_writelane_b32 v53, s21, 17
	s_add_i32 s5, s5, s4
	v_writelane_b32 v53, s7, 18
	s_mul_hi_u32 s4, s7, s5
	v_writelane_b32 v53, s4, 19
	s_sub_i32 s4, 0, s15
	v_readfirstlane_b32 s5, v1
	s_mul_i32 s4, s4, s5
	s_mul_hi_u32 s4, s5, s4
	v_cvt_f32_u32_e32 v1, s14
	s_add_i32 s5, s5, s4
	s_mul_hi_u32 s4, s16, s5
	s_mul_i32 s5, s4, s15
	s_sub_i32 s5, s16, s5
	v_rcp_iflag_f32_e32 v1, v1
	s_add_i32 s7, s4, 1
	s_sub_i32 s13, s5, s15
	s_cmp_ge_u32 s5, s15
	s_cselect_b32 s4, s7, s4
	s_cselect_b32 s5, s13, s5
	s_add_i32 s7, s4, 1
	v_mul_f32_e32 v1, 0x4f7ffffe, v1
	s_cmp_ge_u32 s5, s15
	v_cvt_u32_f32_e32 v1, v1
	s_cselect_b32 s4, s7, s4
	s_mul_i32 s5, s4, s15
	s_sub_i32 s5, s16, s5
	s_mul_i32 s5, s5, s2
	s_sub_i32 s2, 0, s14
	v_readfirstlane_b32 s7, v1
	s_mul_i32 s2, s2, s7
	s_mul_hi_u32 s2, s7, s2
	s_add_i32 s7, s7, s2
	s_mul_hi_u32 s2, s4, s7
	s_mul_i32 s7, s2, s14
	s_sub_i32 s7, s4, s7
	s_add_i32 s13, s2, 1
	s_sub_i32 s15, s7, s14
	s_cmp_ge_u32 s7, s14
	s_cselect_b32 s2, s13, s2
	s_cselect_b32 s7, s15, s7
	s_add_i32 s13, s2, 1
	s_cmp_ge_u32 s7, s14
	s_cselect_b32 s2, s13, s2
	s_mul_i32 s7, s2, s14
	s_sub_i32 s4, s4, s7
	s_mul_i32 s1, s4, s1
	s_add_i32 s1, s1, s5
	s_mul_i32 s2, s2, s0
	s_mov_b32 s3, 0
	s_add_i32 s2, s1, s2
	s_lshl_b64 s[0:1], s[2:3], 1
	s_add_u32 s46, s8, s0
	s_addc_u32 s37, s9, s1
	v_mov_b32_e32 v3, 0
	v_writelane_b32 v53, s16, 20
	v_cmp_gt_u32_e64 s[0:1], s36, v0
	s_mov_b64 s[2:3], exec
	v_writelane_b32 v53, s0, 21
	v_writelane_b32 v53, s1, 22
	s_and_b64 s[0:1], s[2:3], s[0:1]
	s_mov_b64 exec, s[0:1]
	s_cbranch_execz .LBB138_5
; %bb.2:
	s_load_dword s0, s[10:11], 0xc
	v_mul_lo_u32 v1, v0, s38
	v_mov_b32_e32 v2, 0
	s_mov_b64 s[4:5], 0
	v_mov_b32_e32 v4, s37
	s_waitcnt lgkmcnt(0)
	s_and_b32 s0, s0, 0xffff
	s_mul_i32 s1, s38, s0
	v_mov_b32_e32 v3, v2
	v_mov_b32_e32 v5, v0
.LBB138_3:                              ; =>This Inner Loop Header: Depth=1
	v_lshlrev_b64 v[6:7], 1, v[1:2]
	v_add_u32_e32 v5, s0, v5
	v_add_co_u32_e32 v6, vcc, s46, v6
	v_addc_co_u32_e32 v7, vcc, v4, v7, vcc
	global_load_ushort v6, v[6:7], off
	v_cmp_le_u32_e32 vcc, s36, v5
	s_or_b64 s[4:5], vcc, s[4:5]
	v_add_u32_e32 v1, s1, v1
	s_waitcnt vmcnt(0)
	v_lshlrev_b32_e32 v6, 16, v6
	v_cmp_u_f32_e32 vcc, v6, v6
	v_addc_co_u32_e32 v3, vcc, 0, v3, vcc
	s_andn2_b64 exec, exec, s[4:5]
	s_cbranch_execnz .LBB138_3
; %bb.4:
	s_or_b64 exec, exec, s[4:5]
.LBB138_5:
	s_or_b64 exec, exec, s[2:3]
	v_cmp_eq_u32_e64 s[2:3], 0, v0
	s_and_saveexec_b64 s[4:5], s[2:3]
; %bb.6:
	v_mov_b32_e32 v1, 0
	v_mov_b32_e32 v2, v1
	ds_write_b64 v1, v[1:2] offset:4096
; %bb.7:
	s_or_b64 exec, exec, s[4:5]
	v_cmp_ne_u32_e32 vcc, 0, v3
	s_waitcnt lgkmcnt(0)
	s_barrier
	s_and_saveexec_b64 s[4:5], vcc
	s_cbranch_execz .LBB138_12
; %bb.8:
	s_mov_b64 s[14:15], exec
	v_mov_b32_e32 v1, 0
	s_mov_b64 s[8:9], 0
.LBB138_9:                              ; =>This Inner Loop Header: Depth=1
	s_ff1_i32_b64 s0, s[14:15]
	v_readlane_b32 s7, v3, s0
	v_readlane_b32 s1, v1, s0
	s_add_u32 s8, s8, s7
	s_addc_u32 s9, s9, s1
	s_lshl_b64 s[0:1], 1, s0
	s_andn2_b64 s[14:15], s[14:15], s[0:1]
	s_cmp_lg_u64 s[14:15], 0
	s_cbranch_scc1 .LBB138_9
; %bb.10:
	v_mbcnt_lo_u32_b32 v1, exec_lo, 0
	v_mbcnt_hi_u32_b32 v1, exec_hi, v1
	v_cmp_eq_u32_e32 vcc, 0, v1
	s_and_saveexec_b64 s[0:1], vcc
	s_xor_b64 s[0:1], exec, s[0:1]
; %bb.11:
	v_mov_b32_e32 v1, s8
	v_mov_b32_e32 v3, 0
	;; [unrolled: 1-line block ×3, first 2 shown]
	ds_add_u64 v3, v[1:2] offset:4096
.LBB138_12:
	s_or_b64 exec, exec, s[4:5]
	v_mov_b32_e32 v1, 0
	s_waitcnt lgkmcnt(0)
	s_barrier
	ds_read_b64 v[1:2], v1 offset:4096
	s_bitcmp1_b32 s39, 0
	s_cselect_b64 s[8:9], -1, 0
	s_mov_b32 s7, s36
	s_waitcnt lgkmcnt(0)
	v_readfirstlane_b32 s4, v1
	v_readfirstlane_b32 s5, v2
	v_cmp_lt_i64_e64 s[0:1], s[4:5], 1
	s_or_b64 s[0:1], s[8:9], s[0:1]
	s_andn2_b64 vcc, exec, s[0:1]
	s_cbranch_vccnz .LBB138_14
; %bb.13:
	s_not_b64 s[0:1], s[4:5]
	s_add_u32 s0, s0, s36
	s_addc_u32 s1, s1, 0
	s_lshr_b32 s4, s1, 31
	s_add_u32 s0, s0, s4
	s_addc_u32 s1, s1, 0
	s_lshr_b64 s[0:1], s[0:1], 1
	s_add_i32 s7, s0, 1
.LBB138_14:
	s_and_saveexec_b64 s[4:5], s[2:3]
	s_cbranch_execz .LBB138_16
; %bb.15:
	v_mov_b32_e32 v1, 0
	v_mov_b32_e32 v2, s36
	ds_write_b32 v1, v1 offset:4112
	ds_write_b64 v1, v[1:2] offset:4104
.LBB138_16:
	s_or_b64 exec, exec, s[4:5]
	s_waitcnt lgkmcnt(0)
	s_barrier
	s_load_dword s1, s[10:11], 0xc
	v_mul_lo_u32 v5, s38, v0
	v_mov_b32_e32 v7, 0
	v_mbcnt_lo_u32_b32 v1, -1, 0
	v_mov_b32_e32 v6, v7
	s_waitcnt lgkmcnt(0)
	s_and_b32 s39, s1, 0xffff
	v_mbcnt_hi_u32_b32 v21, -1, v1
	v_lshlrev_b64 v[1:2], 1, v[5:6]
	s_bfe_u32 s13, s1, 0xa0006
	v_cmp_gt_u32_e32 vcc, 64, v0
	v_cmp_gt_i32_e64 s[8:9], 4, v21
	s_add_i32 s1, s39, -1
	s_lshl_b32 s0, s39, 2
	s_and_b64 s[52:53], vcc, s[8:9]
	s_add_i32 s14, s1, s36
	v_mov_b32_e32 v3, s37
	v_add_co_u32_e32 v8, vcc, s46, v1
	s_cmpk_gt_u32 s36, 0x600
	v_addc_co_u32_e32 v9, vcc, v3, v2, vcc
	v_lshlrev_b64 v[2:3], v21, -1
	s_cselect_b64 s[54:55], -1, 0
	s_cmp_gt_u32 s39, 63
	s_cselect_b64 s[56:57], -1, 0
	v_not_b32_e32 v26, v2
	v_lshrrev_b32_e32 v2, 2, v0
	s_cmp_lt_u32 s6, s12
	v_and_b32_e32 v2, 0xf0, v2
	s_cselect_b32 s6, 12, 18
	v_or_b32_e32 v27, 0xc00, v2
	s_add_u32 s8, s10, s6
	v_add_u32_e32 v2, 2, v0
	s_addc_u32 s9, s11, 0
	v_max_u32_e32 v2, s36, v2
	v_writelane_b32 v53, s8, 23
	v_xad_u32 v2, v0, -1, v2
	v_not_b32_e32 v25, v3
	v_writelane_b32 v53, s9, 24
	v_add_u32_e32 v3, -2, v2
	v_cmp_lt_u32_e64 s[8:9], 31, v2
	v_lshrrev_b32_e32 v4, 1, v3
	v_writelane_b32 v53, s8, 25
	v_add_u32_e32 v4, 1, v4
	v_writelane_b32 v53, s9, 26
	v_cmp_lt_u32_e64 s[10:11], 13, v3
	v_and_b32_e32 v12, 7, v4
	v_writelane_b32 v53, s10, 27
	v_writelane_b32 v53, s11, 28
	v_cmp_ne_u32_e64 s[10:11], 0, v12
	v_and_b32_e32 v28, -2, v2
	v_writelane_b32 v53, s10, 29
	v_writelane_b32 v53, s11, 30
	v_cmp_ne_u32_e64 s[10:11], v2, v28
	v_cvt_f32_u32_e32 v2, s0
	v_writelane_b32 v53, s10, 31
	s_add_i32 s6, s13, -1
	v_writelane_b32 v53, s11, 32
	v_rcp_iflag_f32_e32 v2, v2
	s_bfe_u32 s10, s39, 0x30006
	s_and_b32 s6, s6, 0xffff
	s_cmp_gt_u32 s6, 6
	s_cselect_b64 s[16:17], -1, 0
	v_mul_f32_e32 v2, 0x4f7ffffe, v2
	v_writelane_b32 v53, s16, 33
	s_and_b32 s9, s13, 0x3f8
	v_cvt_u32_f32_e32 v2, v2
	v_writelane_b32 v53, s17, 34
	s_cmp_lg_u32 s10, 0
	v_writelane_b32 v53, s10, 35
	s_cselect_b64 s[10:11], -1, 0
	v_writelane_b32 v53, s10, 36
	v_writelane_b32 v53, s11, 37
	v_readfirstlane_b32 s10, v2
	v_cvt_f32_u32_e32 v2, s39
	s_sub_i32 s6, 0, s0
	s_mul_i32 s6, s6, s10
	s_mul_hi_u32 s6, s10, s6
	v_and_b32_e32 v30, -8, v4
	s_add_i32 s34, s10, s6
	v_rcp_iflag_f32_e32 v4, v2
	s_mul_hi_u32 s6, s36, s34
	s_mul_i32 s6, s6, s0
	s_sub_i32 s6, s36, s6
	s_sub_i32 s10, s6, s0
	v_mul_f32_e32 v4, 0x4f7ffffe, v4
	s_cmp_ge_u32 s6, s0
	v_cvt_u32_f32_e32 v4, v4
	s_cselect_b32 s6, s10, s6
	s_sub_i32 s10, s6, s0
	s_cmp_ge_u32 s6, s0
	s_cselect_b32 s6, s10, s6
	s_sub_i32 s10, 0, s39
	v_readfirstlane_b32 s11, v4
	s_mul_i32 s10, s10, s11
	s_mul_hi_u32 s10, s11, s10
	s_sub_i32 s58, s36, s6
	s_add_i32 s59, s11, s10
	v_add_u32_e32 v31, s58, v0
	s_mul_hi_u32 s10, s14, s59
	v_mul_lo_u32 v6, v31, s38
	s_mul_i32 s10, s10, s39
	s_sub_i32 s10, s14, s10
	s_sub_i32 s11, s10, s39
	s_cmp_ge_u32 s10, s39
	v_lshlrev_b64 v[2:3], 1, v[6:7]
	s_cselect_b32 s10, s11, s10
	v_lshlrev_b32_e32 v20, 2, v0
	s_sub_i32 s11, s10, s39
	v_add_co_u32_e32 v10, vcc, s46, v2
	s_cmp_ge_u32 s10, s39
	v_mul_lo_u32 v2, s38, v20
	s_cselect_b32 s10, s11, s10
	s_sub_i32 s60, s14, s10
	v_cmp_gt_u32_e64 s[10:11], s60, v0
	v_writelane_b32 v53, s10, 38
	v_add_u32_e32 v33, s38, v2
	v_or_b32_e32 v2, 2, v20
	v_writelane_b32 v53, s11, 39
	v_mul_lo_u32 v34, s38, v2
	v_or_b32_e32 v2, 3, v20
	s_add_i32 s10, s39, s36
	v_mul_lo_u32 v35, s38, v2
	v_add_u32_e32 v2, s10, v0
	v_subrev_u32_e32 v2, s6, v2
	v_mul_lo_u32 v37, s38, v2
	v_lshlrev_b32_e32 v22, 1, v0
	v_lshlrev_b32_e32 v1, 2, v21
	v_mov_b32_e32 v6, s37
	s_mul_i32 s47, s38, s39
	s_mov_b32 s35, 0
	v_cmp_eq_u32_e64 s[4:5], 0, v21
	v_cmp_gt_u32_e64 s[24:25], 2, v0
	v_add_u32_e32 v23, 0xc00, v22
	v_and_b32_e32 v24, 0x100, v1
	v_add_u32_e32 v29, v0, v28
	s_mov_b32 s8, s38
	v_cmp_gt_u32_e64 s[16:17], s58, v20
	v_cmp_gt_u32_e64 s[18:19], s36, v31
	v_addc_co_u32_e32 v11, vcc, v6, v3, vcc
	v_lshlrev_b32_e32 v32, 2, v12
	s_lshl_b32 s61, s47, 2
	v_lshlrev_b32_e32 v36, 2, v5
	s_lshl_b32 s62, s39, 3
	s_lshl_b32 s63, s39, 1
	v_or_b32_e32 v39, 0xc00, v1
	s_mov_b64 s[64:65], 0
	s_mov_b32 s50, 0x5040100
	s_movk_i32 s51, 0x3f80
	v_lshlrev_b32_e32 v40, 3, v0
	v_mov_b32_e32 v45, 14
	v_mov_b32_e32 v48, s7
	;; [unrolled: 1-line block ×4, first 2 shown]
	v_mov_b32_e32 v43, -1
	v_mov_b32_e32 v44, 0x5040100
	v_mov_b32_e32 v47, 0
	;; [unrolled: 1-line block ×4, first 2 shown]
                                        ; implicit-def: $sgpr66_sgpr67
                                        ; implicit-def: $sgpr70_sgpr71
                                        ; implicit-def: $sgpr68_sgpr69
                                        ; implicit-def: $sgpr74_sgpr75
                                        ; implicit-def: $sgpr76_sgpr77
                                        ; implicit-def: $sgpr72_sgpr73
	s_branch .LBB138_20
.LBB138_17:                             ;   in Loop: Header=BB138_20 Depth=1
	s_or_b64 exec, exec, s[22:23]
	s_and_b64 s[12:13], s[12:13], exec
	s_andn2_b64 s[78:79], s[78:79], exec
	s_andn2_b64 s[28:29], s[28:29], exec
	s_orn2_b64 s[22:23], s[14:15], exec
.LBB138_18:                             ;   in Loop: Header=BB138_20 Depth=1
	s_or_b64 exec, exec, s[10:11]
	s_andn2_b64 s[10:11], s[72:73], exec
	s_and_b64 s[12:13], s[12:13], exec
	s_or_b64 s[72:73], s[10:11], s[12:13]
	s_andn2_b64 s[10:11], s[76:77], exec
	s_and_b64 s[12:13], s[78:79], exec
	s_or_b64 s[76:77], s[10:11], s[12:13]
	;; [unrolled: 3-line block ×3, first 2 shown]
	s_orn2_b64 s[22:23], s[22:23], exec
.LBB138_19:                             ;   in Loop: Header=BB138_20 Depth=1
	s_or_b64 exec, exec, s[6:7]
	s_and_b64 s[6:7], exec, s[22:23]
	s_or_b64 s[64:65], s[6:7], s[64:65]
	s_andn2_b64 s[6:7], s[68:69], exec
	s_and_b64 s[10:11], s[72:73], exec
	s_or_b64 s[68:69], s[6:7], s[10:11]
	s_andn2_b64 s[6:7], s[70:71], exec
	s_and_b64 s[10:11], s[76:77], exec
	;; [unrolled: 3-line block ×3, first 2 shown]
	s_or_b64 s[66:67], s[6:7], s[10:11]
	s_mov_b32 s35, s20
	v_mov_b32_e32 v48, v4
	s_andn2_b64 exec, exec, s[64:65]
	s_cbranch_execz .LBB138_256
.LBB138_20:                             ; =>This Loop Header: Depth=1
                                        ;     Child Loop BB138_25 Depth 2
                                        ;     Child Loop BB138_46 Depth 2
	;; [unrolled: 1-line block ×18, first 2 shown]
	ds_read_b64 v[1:2], v7 offset:4104
	s_waitcnt lgkmcnt(0)
	v_readfirstlane_b32 s30, v1
	s_cmp_lg_u32 s30, 0
	s_cbranch_scc1 .LBB138_65
; %bb.21:                               ;   in Loop: Header=BB138_20 Depth=1
	s_and_b64 vcc, exec, s[54:55]
	s_cbranch_vccz .LBB138_33
; %bb.22:                               ;   in Loop: Header=BB138_20 Depth=1
	s_movk_i32 s6, 0x601
	v_cmp_gt_u32_e32 vcc, s6, v2
	s_mov_b64 s[26:27], 0
	s_mov_b64 s[6:7], 0
	s_cbranch_vccz .LBB138_34
; %bb.23:                               ;   in Loop: Header=BB138_20 Depth=1
	v_readlane_b32 s6, v53, 23
	v_readlane_b32 s7, v53, 24
	s_nop 4
	global_load_ushort v1, v7, s[6:7]
	global_load_ushort v4, v[8:9], off
	s_mov_b64 s[10:11], 0
	v_mov_b32_e32 v3, v0
	s_waitcnt vmcnt(1)
	v_add_u32_e32 v2, v0, v1
	v_mul_lo_u32 v6, s38, v2
	v_mul_lo_u32 v2, s38, v1
	s_branch .LBB138_25
.LBB138_24:                             ;   in Loop: Header=BB138_25 Depth=2
	s_or_b64 exec, exec, s[6:7]
	v_add_u32_e32 v6, v6, v2
	v_mov_b32_e32 v4, v12
	s_andn2_b64 exec, exec, s[10:11]
	s_cbranch_execz .LBB138_40
.LBB138_25:                             ;   Parent Loop BB138_20 Depth=1
                                        ; =>  This Inner Loop Header: Depth=2
	v_add_u32_e32 v3, v3, v1
	v_cmp_gt_u32_e64 s[6:7], s36, v3
	v_cmp_le_u32_e32 vcc, s36, v3
	s_waitcnt lgkmcnt(0)
	v_mov_b32_e32 v13, 0
	v_mov_b32_e32 v12, 0
	s_and_saveexec_b64 s[12:13], s[6:7]
	s_cbranch_execz .LBB138_27
; %bb.26:                               ;   in Loop: Header=BB138_25 Depth=2
	v_lshlrev_b64 v[14:15], 1, v[6:7]
	v_mov_b32_e32 v12, s37
	v_add_co_u32_e64 v14, s[6:7], s46, v14
	v_addc_co_u32_e64 v15, s[6:7], v12, v15, s[6:7]
	global_load_ushort v12, v[14:15], off
.LBB138_27:                             ;   in Loop: Header=BB138_25 Depth=2
	s_or_b64 exec, exec, s[12:13]
	s_waitcnt vmcnt(0)
	v_cmp_lt_i16_e64 s[6:7], -1, v4
	v_cndmask_b32_e64 v14, v41, v42, s[6:7]
	v_lshlrev_b32_e32 v15, 16, v4
	v_xor_b32_sdwa v14, v14, v4 dst_sel:DWORD dst_unused:UNUSED_PAD src0_sel:DWORD src1_sel:WORD_0
	v_cmp_o_f32_e64 s[6:7], v15, v15
	v_cndmask_b32_e64 v14, v41, v14, s[6:7]
	v_and_b32_e32 v14, v14, v46
	v_cmp_eq_u32_e64 s[22:23], v14, v38
	s_cmp_lg_u64 s[22:23], 0
	s_cselect_b64 s[6:7], -1, 0
	s_and_b64 s[6:7], s[4:5], s[6:7]
	s_and_saveexec_b64 s[12:13], s[6:7]
	s_cbranch_execz .LBB138_31
; %bb.28:                               ;   in Loop: Header=BB138_25 Depth=2
	s_mov_b64 s[28:29], exec
	v_mbcnt_lo_u32_b32 v13, s28, 0
	v_mbcnt_hi_u32_b32 v13, s29, v13
	s_bcnt1_i32_b64 s20, s[22:23]
	v_cmp_eq_u32_e64 s[6:7], 0, v13
                                        ; implicit-def: $vgpr14
	s_and_saveexec_b64 s[14:15], s[6:7]
; %bb.29:                               ;   in Loop: Header=BB138_25 Depth=2
	s_bcnt1_i32_b64 s6, s[28:29]
	s_mul_i32 s6, s20, s6
	v_mov_b32_e32 v14, s6
	ds_add_rtn_u32 v14, v7, v14 offset:4112
; %bb.30:                               ;   in Loop: Header=BB138_25 Depth=2
	s_or_b64 exec, exec, s[14:15]
	s_waitcnt lgkmcnt(0)
	v_readfirstlane_b32 s6, v14
	v_mov_b32_e32 v14, s6
	v_mad_u32_u24 v13, s20, v13, v14
.LBB138_31:                             ;   in Loop: Header=BB138_25 Depth=2
	s_or_b64 exec, exec, s[12:13]
	ds_bpermute_b32 v13, v24, v13
	s_and_b64 s[6:7], exec, vcc
	s_or_b64 s[10:11], s[6:7], s[10:11]
	s_and_saveexec_b64 s[6:7], s[22:23]
	s_cbranch_execz .LBB138_24
; %bb.32:                               ;   in Loop: Header=BB138_25 Depth=2
	v_and_b32_e32 v15, s22, v26
	v_and_b32_e32 v14, s23, v25
	v_bcnt_u32_b32 v15, v15, 0
	v_bcnt_u32_b32 v14, v14, v15
	v_lshlrev_b32_e32 v14, 1, v14
	s_waitcnt lgkmcnt(0)
	v_lshl_add_u32 v13, v13, 1, v14
	ds_write_b16 v13, v4
	s_branch .LBB138_24
.LBB138_33:                             ;   in Loop: Header=BB138_20 Depth=1
	s_mov_b64 s[26:27], -1
	s_mov_b64 s[6:7], 0
.LBB138_34:                             ;   in Loop: Header=BB138_20 Depth=1
	s_and_b64 vcc, exec, s[26:27]
	s_cbranch_vccz .LBB138_63
.LBB138_35:                             ;   in Loop: Header=BB138_20 Depth=1
	s_mov_b64 s[22:23], exec
	v_readlane_b32 s6, v53, 21
	v_readlane_b32 s7, v53, 22
	s_and_b64 s[6:7], s[22:23], s[6:7]
	s_mov_b64 exec, s[6:7]
	s_cbranch_execz .LBB138_60
; %bb.36:                               ;   in Loop: Header=BB138_20 Depth=1
	v_readlane_b32 s6, v53, 23
	v_readlane_b32 s7, v53, 24
	s_nop 4
	global_load_ushort v1, v7, s[6:7]
	global_load_ushort v16, v[8:9], off
	s_waitcnt vmcnt(1)
	v_add_u32_e32 v12, v0, v1
	v_readfirstlane_b32 s14, v1
	v_cmp_gt_u32_e32 vcc, s36, v12
	v_mov_b32_e32 v1, v0
	s_and_saveexec_b64 s[26:27], vcc
	s_cbranch_execz .LBB138_59
; %bb.37:                               ;   in Loop: Header=BB138_20 Depth=1
	s_mov_b64 s[10:11], 0
	s_mul_i32 s15, s38, s14
                                        ; implicit-def: $vgpr1
                                        ; implicit-def: $vgpr3
                                        ; implicit-def: $vgpr2
	s_mov_b64 s[6:7], exec
	v_readlane_b32 s12, v53, 25
	v_readlane_b32 s13, v53, 26
	s_and_b64 s[12:13], s[6:7], s[12:13]
	s_xor_b64 s[28:29], s[12:13], s[6:7]
	s_mov_b64 exec, s[12:13]
	s_cbranch_execnz .LBB138_43
; %bb.38:                               ;   in Loop: Header=BB138_20 Depth=1
	s_andn2_saveexec_b64 s[6:7], s[28:29]
	s_cbranch_execnz .LBB138_54
.LBB138_39:                             ;   in Loop: Header=BB138_20 Depth=1
	s_or_b64 exec, exec, s[6:7]
	s_and_saveexec_b64 s[6:7], s[10:11]
	s_cbranch_execnz .LBB138_55
	s_branch .LBB138_58
.LBB138_40:                             ;   in Loop: Header=BB138_20 Depth=1
	s_or_b64 exec, exec, s[10:11]
	s_waitcnt lgkmcnt(0)
	s_barrier
	s_and_saveexec_b64 s[6:7], s[2:3]
	s_cbranch_execz .LBB138_42
; %bb.41:                               ;   in Loop: Header=BB138_20 Depth=1
	ds_read_b32 v1, v7 offset:4112
	s_waitcnt lgkmcnt(0)
	ds_write_b32 v7, v1 offset:4104
.LBB138_42:                             ;   in Loop: Header=BB138_20 Depth=1
	s_or_b64 exec, exec, s[6:7]
	s_waitcnt lgkmcnt(0)
	s_barrier
	s_mov_b64 s[6:7], -1
	s_and_b64 vcc, exec, s[26:27]
	s_cbranch_vccnz .LBB138_35
	s_branch .LBB138_63
.LBB138_43:                             ;   in Loop: Header=BB138_20 Depth=1
	v_cvt_f32_u32_e32 v1, s14
	s_sub_i32 s7, 0, s14
	v_add_u32_e32 v2, s14, v12
	v_max_u32_e32 v2, s36, v2
	v_rcp_iflag_f32_e32 v1, v1
	s_lshl_b32 s6, s14, 1
	v_sub_u32_e32 v2, v2, v0
	v_cmp_ne_u32_e32 vcc, s6, v2
	v_mul_f32_e32 v1, 0x4f7ffffe, v1
	v_cvt_u32_f32_e32 v1, v1
	v_cndmask_b32_e64 v6, 0, 1, vcc
	v_or_b32_e32 v6, s6, v6
	v_sub_u32_e32 v2, v2, v6
	v_mul_lo_u32 v3, s7, v1
	s_not_b32 s6, s15
	s_ashr_i32 s20, s6, 31
	s_abs_i32 s12, s15
	v_mul_hi_u32 v3, v1, v3
	v_mul_lo_u32 v4, s38, v12
	s_cmp_eq_u32 s14, 1
	s_mov_b64 s[10:11], -1
	v_add_u32_e32 v1, v1, v3
	v_mul_hi_u32 v3, v2, v1
	v_xor_b32_e32 v4, s20, v4
                                        ; implicit-def: $vgpr1
	v_mul_lo_u32 v6, v3, s14
	v_add_u32_e32 v13, 1, v3
	v_sub_u32_e32 v2, v2, v6
	v_subrev_u32_e32 v6, s14, v2
	v_cmp_le_u32_e64 s[6:7], s14, v2
	v_cndmask_b32_e64 v3, v3, v13, s[6:7]
	v_cndmask_b32_e64 v2, v2, v6, s[6:7]
	v_add_u32_e32 v6, 1, v3
	v_cmp_le_u32_e64 s[6:7], s14, v2
	v_cndmask_b32_e64 v2, v3, v6, s[6:7]
	v_addc_co_u32_e32 v2, vcc, 0, v2, vcc
	v_mul_hi_u32 v3, s12, v2
	v_mul_lo_u32 v2, s12, v2
	s_cselect_b64 s[12:13], -1, 0
	v_cmp_eq_u32_e32 vcc, 0, v3
	v_cmp_le_u32_e64 s[6:7], v2, v4
	s_and_b64 s[12:13], vcc, s[12:13]
	s_and_b64 s[12:13], s[12:13], s[6:7]
	v_mov_b32_e32 v3, v0
	s_and_saveexec_b64 s[6:7], s[12:13]
	s_cbranch_execz .LBB138_53
; %bb.44:                               ;   in Loop: Header=BB138_20 Depth=1
	v_add_u32_e32 v13, 1, v12
	v_mov_b32_e32 v15, v13
	s_waitcnt vmcnt(0)
	v_lshlrev_b32_e32 v17, 16, v16
	v_mov_b32_e32 v1, 0
	v_mov_b32_e32 v14, v12
                                        ; implicit-def: $vgpr16
	s_mov_b64 s[78:79], exec
	v_readlane_b32 s10, v53, 27
	v_readlane_b32 s11, v53, 28
	s_and_b64 s[10:11], s[78:79], s[10:11]
	s_mov_b64 exec, s[10:11]
	s_cbranch_execz .LBB138_48
; %bb.45:                               ;   in Loop: Header=BB138_20 Depth=1
	v_mov_b32_e32 v15, v13
	s_mov_b32 s10, 0
	s_mov_b64 s[80:81], 0
	v_mov_b32_e32 v49, v30
	v_mov_b32_e32 v50, v22
	;; [unrolled: 1-line block ×3, first 2 shown]
.LBB138_46:                             ;   Parent Loop BB138_20 Depth=1
                                        ; =>  This Inner Loop Header: Depth=2
	v_mul_lo_u32 v6, v14, s38
	v_mul_lo_u32 v1, v15, s8
	v_mov_b32_e32 v13, s37
	v_add_u32_e32 v49, -8, v49
	v_lshlrev_b64 v[2:3], 1, v[6:7]
	s_add_i32 s10, s10, 16
	v_add_co_u32_e32 v18, vcc, s46, v2
	v_mov_b32_e32 v2, v7
	v_lshlrev_b64 v[1:2], 1, v[1:2]
	v_addc_co_u32_e32 v19, vcc, v13, v3, vcc
	v_add_co_u32_e32 v1, vcc, s46, v1
	v_addc_co_u32_e32 v2, vcc, v13, v2, vcc
	global_load_ushort v3, v[18:19], off
	s_nop 0
	global_load_ushort v18, v[1:2], off
	v_add_u32_e32 v2, 2, v15
	v_mul_lo_u32 v2, v2, s8
	s_waitcnt vmcnt(1)
	v_alignbit_b32 v1, v3, v17, 16
	v_add_u32_e32 v3, 2, v14
	v_mul_lo_u32 v6, v3, s38
	v_lshlrev_b64 v[3:4], 1, v[6:7]
	v_add_co_u32_e32 v16, vcc, s46, v3
	v_mov_b32_e32 v3, v7
	v_lshlrev_b64 v[2:3], 1, v[2:3]
	v_addc_co_u32_e32 v17, vcc, v13, v4, vcc
	v_add_co_u32_e32 v2, vcc, s46, v2
	v_addc_co_u32_e32 v3, vcc, v13, v3, vcc
	global_load_ushort v4, v[16:17], off
	global_load_ushort v19, v[2:3], off
	v_add_u32_e32 v3, 4, v15
	v_mul_lo_u32 v3, v3, s8
	s_waitcnt vmcnt(1)
	v_perm_b32 v2, v4, v18, s50
	v_add_u32_e32 v4, 4, v14
	v_mul_lo_u32 v6, v4, s38
	v_mov_b32_e32 v4, v7
	v_lshlrev_b64 v[3:4], 1, v[3:4]
	v_lshlrev_b64 v[16:17], 1, v[6:7]
	v_add_co_u32_e32 v16, vcc, s46, v16
	v_addc_co_u32_e32 v17, vcc, v13, v17, vcc
	v_add_co_u32_e32 v3, vcc, s46, v3
	v_addc_co_u32_e32 v4, vcc, v13, v4, vcc
	global_load_ushort v6, v[16:17], off
	s_nop 0
	global_load_ushort v4, v[3:4], off
	v_add_u32_e32 v16, 6, v15
	v_mul_lo_u32 v16, v16, s8
	s_waitcnt vmcnt(1)
	v_perm_b32 v3, v6, v19, s50
	v_add_u32_e32 v6, 6, v14
	v_mul_lo_u32 v6, v6, s38
	v_lshlrev_b64 v[17:18], 1, v[6:7]
	v_add_co_u32_e32 v51, vcc, s46, v17
	v_mov_b32_e32 v17, v7
	v_lshlrev_b64 v[16:17], 1, v[16:17]
	v_addc_co_u32_e32 v52, vcc, v13, v18, vcc
	v_add_co_u32_e32 v16, vcc, s46, v16
	v_addc_co_u32_e32 v17, vcc, v13, v17, vcc
	global_load_ushort v6, v[51:52], off
	global_load_ushort v18, v[16:17], off
	s_waitcnt vmcnt(1)
	v_perm_b32 v4, v6, v4, s50
	ds_write_b128 v50, v[1:4]
	v_add_u32_e32 v2, 8, v14
	v_mul_lo_u32 v6, v2, s38
	v_add_u32_e32 v1, 8, v15
	v_mul_lo_u32 v1, v1, s8
	v_lshlrev_b64 v[2:3], 1, v[6:7]
	v_add_co_u32_e32 v16, vcc, s46, v2
	v_mov_b32_e32 v2, v7
	v_lshlrev_b64 v[1:2], 1, v[1:2]
	v_addc_co_u32_e32 v17, vcc, v13, v3, vcc
	v_add_co_u32_e32 v1, vcc, s46, v1
	v_addc_co_u32_e32 v2, vcc, v13, v2, vcc
	global_load_ushort v3, v[16:17], off
	global_load_ushort v19, v[1:2], off
	v_add_u32_e32 v2, 10, v15
	v_mul_lo_u32 v2, v2, s8
	s_waitcnt vmcnt(1)
	v_perm_b32 v1, v3, v18, s50
	v_add_u32_e32 v3, 10, v14
	v_mul_lo_u32 v6, v3, s38
	v_lshlrev_b64 v[3:4], 1, v[6:7]
	v_add_co_u32_e32 v16, vcc, s46, v3
	v_mov_b32_e32 v3, v7
	v_lshlrev_b64 v[2:3], 1, v[2:3]
	v_addc_co_u32_e32 v17, vcc, v13, v4, vcc
	v_add_co_u32_e32 v2, vcc, s46, v2
	v_addc_co_u32_e32 v3, vcc, v13, v3, vcc
	global_load_ushort v4, v[16:17], off
	global_load_ushort v18, v[2:3], off
	v_add_u32_e32 v3, 12, v15
	v_mul_lo_u32 v3, v3, s8
	s_waitcnt vmcnt(1)
	v_perm_b32 v2, v4, v19, s50
	v_add_u32_e32 v4, 12, v14
	v_mul_lo_u32 v6, v4, s38
	v_mov_b32_e32 v4, v7
	v_lshlrev_b64 v[3:4], 1, v[3:4]
	v_mov_b32_e32 v19, v7
	v_lshlrev_b64 v[16:17], 1, v[6:7]
	v_add_co_u32_e32 v16, vcc, s46, v16
	v_addc_co_u32_e32 v17, vcc, v13, v17, vcc
	v_add_co_u32_e32 v3, vcc, s46, v3
	v_addc_co_u32_e32 v4, vcc, v13, v4, vcc
	global_load_ushort v6, v[16:17], off
	s_nop 0
	global_load_ushort v4, v[3:4], off
	v_add_u32_e32 v16, 14, v15
	v_add_u32_e32 v15, 16, v15
	s_waitcnt vmcnt(1)
	v_perm_b32 v3, v6, v18, s50
	v_add_u32_e32 v6, 14, v14
	v_mul_lo_u32 v6, v6, s38
	v_mul_lo_u32 v18, v16, s8
	v_add_u32_e32 v14, 16, v14
	v_lshlrev_b64 v[16:17], 1, v[6:7]
	v_lshlrev_b64 v[18:19], 1, v[18:19]
	v_add_co_u32_e32 v16, vcc, s46, v16
	v_addc_co_u32_e32 v17, vcc, v13, v17, vcc
	v_add_co_u32_e32 v18, vcc, s46, v18
	v_addc_co_u32_e32 v19, vcc, v13, v19, vcc
	global_load_ushort v6, v[16:17], off
	s_nop 0
	global_load_ushort v16, v[18:19], off
	v_cmp_eq_u32_e32 vcc, 0, v49
	s_or_b64 s[80:81], vcc, s[80:81]
	s_waitcnt vmcnt(1)
	v_perm_b32 v4, v6, v4, s50
	s_waitcnt vmcnt(0)
	v_perm_b32 v17, v16, v6, s50
	ds_write_b128 v50, v[1:4] offset:16
	v_add_u32_e32 v50, 32, v50
	v_mov_b32_e32 v1, s10
	s_andn2_b64 exec, exec, s[80:81]
	s_cbranch_execnz .LBB138_46
; %bb.47:                               ;   in Loop: Header=BB138_20 Depth=1
	s_or_b64 exec, exec, s[80:81]
.LBB138_48:                             ;   in Loop: Header=BB138_20 Depth=1
	s_or_b64 exec, exec, s[78:79]
	s_mov_b64 s[10:11], exec
	v_readlane_b32 s12, v53, 29
	v_readlane_b32 s13, v53, 30
	s_and_b64 s[12:13], s[10:11], s[12:13]
	s_mov_b64 exec, s[12:13]
	s_cbranch_execz .LBB138_52
; %bb.49:                               ;   in Loop: Header=BB138_20 Depth=1
	v_lshl_add_u32 v1, v1, 1, v22
	s_mov_b64 s[12:13], 0
	v_mov_b32_e32 v2, v32
.LBB138_50:                             ;   Parent Loop BB138_20 Depth=1
                                        ; =>  This Inner Loop Header: Depth=2
	v_mul_lo_u32 v6, v14, s38
	v_mul_lo_u32 v3, v15, s8
	v_mov_b32_e32 v4, v7
	v_mov_b32_e32 v13, s37
	v_lshlrev_b64 v[18:19], 1, v[6:7]
	v_lshlrev_b64 v[3:4], 1, v[3:4]
	v_add_co_u32_e32 v18, vcc, s46, v18
	v_addc_co_u32_e32 v19, vcc, v13, v19, vcc
	v_add_co_u32_e32 v3, vcc, s46, v3
	v_addc_co_u32_e32 v4, vcc, v13, v4, vcc
	global_load_ushort v6, v[18:19], off
	global_load_ushort v16, v[3:4], off
	v_add_u32_e32 v2, -4, v2
	v_cmp_eq_u32_e32 vcc, 0, v2
	v_add_u32_e32 v15, 2, v15
	v_add_u32_e32 v14, 2, v14
	s_or_b64 s[12:13], vcc, s[12:13]
	s_waitcnt vmcnt(1)
	v_alignbit_b32 v4, v6, v17, 16
	s_waitcnt vmcnt(0)
	v_perm_b32 v3, v16, v6, s50
	ds_write_b32 v1, v4
	v_add_u32_e32 v1, 4, v1
	v_mov_b32_e32 v17, v3
	s_andn2_b64 exec, exec, s[12:13]
	s_cbranch_execnz .LBB138_50
; %bb.51:                               ;   in Loop: Header=BB138_20 Depth=1
	s_or_b64 exec, exec, s[12:13]
.LBB138_52:                             ;   in Loop: Header=BB138_20 Depth=1
	s_or_b64 exec, exec, s[10:11]
	v_readlane_b32 s10, v53, 31
	v_add_u32_e32 v12, v12, v28
	v_readlane_b32 s11, v53, 32
	v_add_u32_e32 v1, -1, v12
	s_orn2_b64 s[10:11], s[10:11], exec
	v_mov_b32_e32 v3, v29
.LBB138_53:                             ;   in Loop: Header=BB138_20 Depth=1
	s_or_b64 exec, exec, s[6:7]
	v_mov_b32_e32 v2, s15
	s_and_b64 s[10:11], s[10:11], exec
	s_andn2_saveexec_b64 s[6:7], s[28:29]
	s_cbranch_execz .LBB138_39
.LBB138_54:                             ;   in Loop: Header=BB138_20 Depth=1
	v_mov_b32_e32 v2, s15
	s_or_b64 s[10:11], s[10:11], exec
	v_mov_b32_e32 v3, v0
	s_or_b64 exec, exec, s[6:7]
	s_and_saveexec_b64 s[6:7], s[10:11]
	s_cbranch_execz .LBB138_58
.LBB138_55:                             ;   in Loop: Header=BB138_20 Depth=1
	v_mul_lo_u32 v6, s38, v12
	s_sub_i32 s12, 0, s14
	s_mov_b64 s[10:11], 0
.LBB138_56:                             ;   Parent Loop BB138_20 Depth=1
                                        ; =>  This Inner Loop Header: Depth=2
	v_mov_b32_e32 v4, v12
	v_lshlrev_b64 v[12:13], 1, v[6:7]
	v_mov_b32_e32 v14, s37
	v_add_co_u32_e32 v12, vcc, s46, v12
	v_addc_co_u32_e32 v13, vcc, v14, v13, vcc
	s_waitcnt vmcnt(0)
	v_mov_b32_e32 v1, v16
	global_load_ushort v16, v[12:13], off
	v_add_u32_e32 v12, s14, v4
	v_lshlrev_b32_e32 v3, 1, v3
	v_cmp_le_u32_e32 vcc, s36, v12
	ds_write_b16 v3, v1
	v_add_u32_e32 v6, v6, v2
	s_or_b64 s[10:11], vcc, s[10:11]
	v_mov_b32_e32 v3, v4
	s_andn2_b64 exec, exec, s[10:11]
	s_cbranch_execnz .LBB138_56
; %bb.57:                               ;   in Loop: Header=BB138_20 Depth=1
	s_or_b64 exec, exec, s[10:11]
	v_add_u32_e32 v1, s12, v12
.LBB138_58:                             ;   in Loop: Header=BB138_20 Depth=1
	s_or_b64 exec, exec, s[6:7]
.LBB138_59:                             ;   in Loop: Header=BB138_20 Depth=1
	s_or_b64 exec, exec, s[26:27]
	v_lshlrev_b32_e32 v1, 1, v1
	s_waitcnt vmcnt(0)
	ds_write_b16 v1, v16
.LBB138_60:                             ;   in Loop: Header=BB138_20 Depth=1
	s_or_b64 exec, exec, s[22:23]
	s_waitcnt lgkmcnt(0)
	s_barrier
	s_and_saveexec_b64 s[6:7], s[2:3]
; %bb.61:                               ;   in Loop: Header=BB138_20 Depth=1
	v_mov_b32_e32 v1, s36
	ds_write_b32 v7, v1 offset:4104
; %bb.62:                               ;   in Loop: Header=BB138_20 Depth=1
	s_or_b64 exec, exec, s[6:7]
	s_mov_b64 s[6:7], -1
	s_waitcnt lgkmcnt(0)
	s_barrier
.LBB138_63:                             ;   in Loop: Header=BB138_20 Depth=1
	s_mov_b32 s30, 0
	s_and_b64 vcc, exec, s[6:7]
	s_cbranch_vccz .LBB138_65
; %bb.64:                               ;   in Loop: Header=BB138_20 Depth=1
	ds_read_b32 v1, v7 offset:4104
	s_waitcnt lgkmcnt(0)
	v_readfirstlane_b32 s30, v1
.LBB138_65:                             ;   in Loop: Header=BB138_20 Depth=1
	s_cmp_lt_i32 s30, 1
	s_mov_b64 s[6:7], -1
                                        ; implicit-def: $vgpr1
	s_cbranch_scc1 .LBB138_75
; %bb.66:                               ;   in Loop: Header=BB138_20 Depth=1
	s_and_b64 vcc, exec, s[6:7]
	s_cbranch_vccnz .LBB138_86
.LBB138_67:                             ;   in Loop: Header=BB138_20 Depth=1
	s_lshl_b32 s10, s35, 6
	s_and_saveexec_b64 s[6:7], s[4:5]
.LBB138_68:                             ;   in Loop: Header=BB138_20 Depth=1
	v_lshl_add_u32 v6, s10, 2, v27
	ds_write_b128 v6, v[1:4]
.LBB138_69:                             ;   in Loop: Header=BB138_20 Depth=1
	s_or_b64 exec, exec, s[6:7]
	s_waitcnt lgkmcnt(0)
	s_barrier
	s_and_saveexec_b64 s[6:7], s[52:53]
	s_cbranch_execz .LBB138_100
; %bb.70:                               ;   in Loop: Header=BB138_20 Depth=1
	s_andn2_b64 vcc, exec, s[56:57]
	v_mov_b32_e32 v1, 0
	s_cbranch_vccnz .LBB138_99
; %bb.71:                               ;   in Loop: Header=BB138_20 Depth=1
	v_readlane_b32 s12, v53, 33
	v_readlane_b32 s13, v53, 34
	s_andn2_b64 vcc, exec, s[12:13]
	s_cbranch_vccnz .LBB138_95
; %bb.72:                               ;   in Loop: Header=BB138_20 Depth=1
	v_lshl_add_u32 v2, s35, 8, v39
	s_mov_b32 s11, 0
	v_mov_b32_e32 v1, 0
.LBB138_73:                             ;   Parent Loop BB138_20 Depth=1
                                        ; =>  This Inner Loop Header: Depth=2
	ds_read2_b32 v[3:4], v2 offset1:4
	ds_read2_b32 v[12:13], v2 offset0:8 offset1:12
	ds_read2_b32 v[14:15], v2 offset0:16 offset1:20
	;; [unrolled: 1-line block ×3, first 2 shown]
	s_add_i32 s11, s11, 8
	s_waitcnt lgkmcnt(3)
	v_add3_u32 v1, v3, v1, v4
	s_waitcnt lgkmcnt(2)
	v_add3_u32 v1, v12, v1, v13
	s_waitcnt lgkmcnt(1)
	v_add3_u32 v1, v14, v1, v15
	v_add_u32_e32 v2, 0x80, v2
	s_cmp_eq_u32 s9, s11
	s_waitcnt lgkmcnt(0)
	v_add3_u32 v1, v16, v1, v17
	s_cbranch_scc0 .LBB138_73
; %bb.74:                               ;   in Loop: Header=BB138_20 Depth=1
	s_mov_b32 s11, s9
	s_branch .LBB138_96
.LBB138_75:                             ;   in Loop: Header=BB138_20 Depth=1
	v_mov_b32_e32 v1, 0
	v_mov_b32_e32 v2, 0
	;; [unrolled: 1-line block ×4, first 2 shown]
	s_and_saveexec_b64 s[78:79], s[16:17]
	s_cbranch_execz .LBB138_79
; %bb.76:                               ;   in Loop: Header=BB138_20 Depth=1
	s_mov_b32 s10, 0
	s_mov_b64 s[80:81], 0
	s_mov_b32 s11, 0
	s_mov_b32 s12, 0
	;; [unrolled: 1-line block ×4, first 2 shown]
	v_mov_b32_e32 v12, v20
.LBB138_77:                             ;   Parent Loop BB138_20 Depth=1
                                        ; =>  This Inner Loop Header: Depth=2
	v_add_u32_e32 v6, s10, v36
	v_lshlrev_b64 v[1:2], 1, v[6:7]
	v_mov_b32_e32 v3, s37
	v_add_co_u32_e32 v1, vcc, s46, v1
	v_addc_co_u32_e32 v2, vcc, v3, v2, vcc
	v_add_u32_e32 v6, s10, v33
	global_load_ushort v4, v[1:2], off
	v_lshlrev_b64 v[1:2], 1, v[6:7]
	v_add_u32_e32 v6, s10, v34
	v_add_co_u32_e32 v1, vcc, s46, v1
	v_addc_co_u32_e32 v2, vcc, v3, v2, vcc
	global_load_ushort v13, v[1:2], off
	v_lshlrev_b64 v[1:2], 1, v[6:7]
	v_add_u32_e32 v6, s10, v35
	v_add_co_u32_e32 v1, vcc, s46, v1
	v_addc_co_u32_e32 v2, vcc, v3, v2, vcc
	;; [unrolled: 5-line block ×3, first 2 shown]
	global_load_ushort v1, v[1:2], off
	s_add_i32 s10, s10, s61
	s_waitcnt vmcnt(3)
	v_cmp_lt_i16_e32 vcc, -1, v4
	v_cndmask_b32_e32 v2, v41, v42, vcc
	v_lshlrev_b32_e32 v3, 16, v4
	v_cmp_o_f32_e32 vcc, v3, v3
	v_xor_b32_sdwa v2, v2, v4 dst_sel:DWORD dst_unused:UNUSED_PAD src0_sel:DWORD src1_sel:WORD_0
	v_cndmask_b32_e32 v2, v41, v2, vcc
	s_waitcnt vmcnt(2)
	v_cmp_lt_i16_e32 vcc, -1, v13
	v_cndmask_b32_e32 v3, v41, v42, vcc
	v_lshlrev_b32_e32 v4, 16, v13
	v_cmp_o_f32_e32 vcc, v4, v4
	v_xor_b32_sdwa v3, v3, v13 dst_sel:DWORD dst_unused:UNUSED_PAD src0_sel:DWORD src1_sel:WORD_0
	v_cndmask_b32_e32 v3, v41, v3, vcc
	;; [unrolled: 7-line block ×3, first 2 shown]
	s_waitcnt vmcnt(0)
	v_cmp_lt_i16_e32 vcc, -1, v1
	v_cndmask_b32_e32 v6, v41, v42, vcc
	v_lshlrev_b32_e32 v13, 16, v1
	v_cmp_o_f32_e32 vcc, v13, v13
	v_xor_b32_sdwa v1, v6, v1 dst_sel:DWORD dst_unused:UNUSED_PAD src0_sel:DWORD src1_sel:WORD_0
	v_and_b32_e32 v6, v2, v46
	v_bfe_u32 v2, v2, v45, 2
	v_cndmask_b32_e32 v1, v41, v1, vcc
	v_cmp_eq_u32_e32 vcc, v6, v38
	v_and_b32_e32 v6, v3, v46
	v_bfe_u32 v3, v3, v45, 2
	v_cmp_eq_u32_e64 s[28:29], 0, v2
	v_cmp_eq_u32_e64 s[6:7], v6, v38
	v_and_b32_e32 v6, v4, v46
	v_bfe_u32 v4, v4, v45, 2
	s_and_b64 s[20:21], vcc, s[28:29]
	v_cmp_eq_u32_e64 s[28:29], 0, v3
	v_cmp_eq_u32_e64 s[22:23], v6, v38
	v_and_b32_e32 v6, v1, v46
	v_bfe_u32 v1, v1, v45, 2
	s_and_b64 s[40:41], s[6:7], s[28:29]
	v_cmp_eq_u32_e64 s[28:29], 0, v4
	v_cmp_eq_u32_e64 s[26:27], v6, v38
	s_and_b64 s[42:43], s[22:23], s[28:29]
	v_cmp_eq_u32_e64 s[28:29], 0, v1
	v_cndmask_b32_e64 v6, 0, 1, s[20:21]
	s_and_b64 s[44:45], s[26:27], s[28:29]
	v_cmp_ne_u32_e64 s[28:29], 0, v6
	v_cndmask_b32_e64 v6, 0, 1, s[40:41]
	s_bcnt1_i32_b64 s15, s[28:29]
	v_cmp_ne_u32_e64 s[28:29], 0, v6
	v_cndmask_b32_e64 v6, 0, 1, s[42:43]
	s_bcnt1_i32_b64 s20, s[28:29]
	v_cmp_ne_u32_e64 s[28:29], 0, v6
	v_cndmask_b32_e64 v6, 0, 1, s[44:45]
	s_add_i32 s14, s14, s15
	s_bcnt1_i32_b64 s21, s[28:29]
	v_cmp_ne_u32_e64 s[28:29], 0, v6
	s_add_i32 s14, s14, s20
	s_bcnt1_i32_b64 s28, s[28:29]
	s_add_i32 s14, s14, s21
	s_add_i32 s14, s14, s28
	v_cmp_eq_u32_e64 s[28:29], 1, v2
	s_and_b64 s[20:21], vcc, s[28:29]
	v_cmp_eq_u32_e64 s[28:29], 1, v3
	s_and_b64 s[40:41], s[6:7], s[28:29]
	v_cmp_eq_u32_e64 s[28:29], 1, v4
	s_and_b64 s[42:43], s[22:23], s[28:29]
	v_cmp_eq_u32_e64 s[28:29], 1, v1
	v_cndmask_b32_e64 v6, 0, 1, s[20:21]
	s_and_b64 s[44:45], s[26:27], s[28:29]
	v_cmp_ne_u32_e64 s[28:29], 0, v6
	v_cndmask_b32_e64 v6, 0, 1, s[40:41]
	s_bcnt1_i32_b64 s15, s[28:29]
	v_cmp_ne_u32_e64 s[28:29], 0, v6
	v_cndmask_b32_e64 v6, 0, 1, s[42:43]
	s_bcnt1_i32_b64 s20, s[28:29]
	v_cmp_ne_u32_e64 s[28:29], 0, v6
	v_cndmask_b32_e64 v6, 0, 1, s[44:45]
	s_add_i32 s13, s13, s15
	s_bcnt1_i32_b64 s21, s[28:29]
	v_cmp_ne_u32_e64 s[28:29], 0, v6
	s_add_i32 s13, s13, s20
	s_bcnt1_i32_b64 s28, s[28:29]
	s_add_i32 s13, s13, s21
	s_add_i32 s13, s13, s28
	v_cmp_eq_u32_e64 s[28:29], 2, v2
	s_and_b64 s[20:21], vcc, s[28:29]
	v_cmp_eq_u32_e64 s[28:29], 2, v3
	s_and_b64 s[40:41], s[6:7], s[28:29]
	v_cmp_eq_u32_e64 s[28:29], 2, v4
	s_and_b64 s[42:43], s[22:23], s[28:29]
	v_cmp_eq_u32_e64 s[28:29], 2, v1
	v_cndmask_b32_e64 v6, 0, 1, s[20:21]
	s_and_b64 s[44:45], s[26:27], s[28:29]
	v_cmp_ne_u32_e64 s[28:29], 0, v6
	v_cndmask_b32_e64 v6, 0, 1, s[40:41]
	s_bcnt1_i32_b64 s15, s[28:29]
	v_cmp_ne_u32_e64 s[28:29], 0, v6
	v_cndmask_b32_e64 v6, 0, 1, s[42:43]
	s_bcnt1_i32_b64 s20, s[28:29]
	v_cmp_ne_u32_e64 s[28:29], 0, v6
	v_cndmask_b32_e64 v6, 0, 1, s[44:45]
	s_add_i32 s12, s12, s15
	s_bcnt1_i32_b64 s21, s[28:29]
	v_cmp_ne_u32_e64 s[28:29], 0, v6
	s_add_i32 s12, s12, s20
	s_bcnt1_i32_b64 s28, s[28:29]
	s_add_i32 s12, s12, s21
	s_add_i32 s12, s12, s28
	v_cmp_eq_u32_e64 s[28:29], 3, v2
	s_and_b64 s[20:21], vcc, s[28:29]
	v_cmp_eq_u32_e32 vcc, 3, v3
	s_and_b64 s[6:7], s[6:7], vcc
	v_cmp_eq_u32_e32 vcc, 3, v4
	s_and_b64 s[22:23], s[22:23], vcc
	v_cmp_eq_u32_e32 vcc, 3, v1
	v_cndmask_b32_e64 v1, 0, 1, s[20:21]
	s_and_b64 s[26:27], s[26:27], vcc
	v_cmp_ne_u32_e32 vcc, 0, v1
	v_cndmask_b32_e64 v1, 0, 1, s[6:7]
	s_bcnt1_i32_b64 s15, vcc
	v_cmp_ne_u32_e32 vcc, 0, v1
	v_cndmask_b32_e64 v1, 0, 1, s[22:23]
	s_bcnt1_i32_b64 s6, vcc
	v_cmp_ne_u32_e32 vcc, 0, v1
	v_cndmask_b32_e64 v1, 0, 1, s[26:27]
	s_add_i32 s11, s11, s15
	s_bcnt1_i32_b64 s7, vcc
	v_cmp_ne_u32_e32 vcc, 0, v1
	s_add_i32 s6, s11, s6
	s_bcnt1_i32_b64 s20, vcc
	s_add_i32 s6, s6, s7
	s_add_i32 s11, s6, s20
	v_cmp_le_u32_e32 vcc, s58, v12
	s_or_b64 s[80:81], vcc, s[80:81]
	v_mov_b32_e32 v1, s14
	v_mov_b32_e32 v2, s13
	;; [unrolled: 1-line block ×4, first 2 shown]
	s_andn2_b64 exec, exec, s[80:81]
	s_cbranch_execnz .LBB138_77
; %bb.78:                               ;   in Loop: Header=BB138_20 Depth=1
	s_or_b64 exec, exec, s[80:81]
.LBB138_79:                             ;   in Loop: Header=BB138_20 Depth=1
	s_or_b64 exec, exec, s[78:79]
	s_and_saveexec_b64 s[10:11], s[18:19]
	s_cbranch_execz .LBB138_85
; %bb.80:                               ;   in Loop: Header=BB138_20 Depth=1
	global_load_ushort v13, v[10:11], off
	s_mov_b64 s[12:13], 0
	v_mov_b32_e32 v6, v37
	v_mov_b32_e32 v12, v31
	s_branch .LBB138_82
.LBB138_81:                             ;   in Loop: Header=BB138_82 Depth=2
	s_or_b64 exec, exec, s[14:15]
	s_and_b64 s[6:7], exec, vcc
	s_waitcnt vmcnt(0)
	v_cmp_lt_i16_e32 vcc, -1, v13
	v_cndmask_b32_e32 v15, v41, v42, vcc
	v_lshlrev_b32_e32 v16, 16, v13
	v_xor_b32_sdwa v13, v15, v13 dst_sel:DWORD dst_unused:UNUSED_PAD src0_sel:DWORD src1_sel:WORD_0
	v_cmp_o_f32_e32 vcc, v16, v16
	v_cndmask_b32_e32 v13, v41, v13, vcc
	v_and_b32_e32 v15, v13, v46
	v_bfe_u32 v13, v13, v45, 2
	s_or_b64 s[12:13], s[6:7], s[12:13]
	v_cmp_eq_u32_e32 vcc, v15, v38
	v_cmp_eq_u32_e64 s[6:7], 0, v13
	s_and_b64 s[6:7], vcc, s[6:7]
	v_cndmask_b32_e64 v15, 0, 1, s[6:7]
	v_cmp_ne_u32_e64 s[6:7], 0, v15
	s_bcnt1_i32_b64 s6, s[6:7]
	v_add_u32_e32 v1, s6, v1
	v_cmp_eq_u32_e64 s[6:7], 1, v13
	s_and_b64 s[6:7], vcc, s[6:7]
	v_cndmask_b32_e64 v15, 0, 1, s[6:7]
	v_cmp_ne_u32_e64 s[6:7], 0, v15
	s_bcnt1_i32_b64 s6, s[6:7]
	v_add_u32_e32 v2, s6, v2
	;; [unrolled: 6-line block ×3, first 2 shown]
	v_cmp_eq_u32_e64 s[6:7], 3, v13
	s_and_b64 s[6:7], vcc, s[6:7]
	v_cndmask_b32_e64 v13, 0, 1, s[6:7]
	v_cmp_ne_u32_e32 vcc, 0, v13
	s_bcnt1_i32_b64 s6, vcc
	v_add_u32_e32 v4, s6, v4
	v_add_u32_e32 v6, s47, v6
	v_mov_b32_e32 v13, v14
	s_andn2_b64 exec, exec, s[12:13]
	s_cbranch_execz .LBB138_84
.LBB138_82:                             ;   Parent Loop BB138_20 Depth=1
                                        ; =>  This Inner Loop Header: Depth=2
	v_add_u32_e32 v12, s39, v12
	v_cmp_gt_u32_e64 s[6:7], s36, v12
	v_cmp_le_u32_e32 vcc, s36, v12
	v_mov_b32_e32 v14, 0
	s_and_saveexec_b64 s[14:15], s[6:7]
	s_cbranch_execz .LBB138_81
; %bb.83:                               ;   in Loop: Header=BB138_82 Depth=2
	v_lshlrev_b64 v[14:15], 1, v[6:7]
	v_mov_b32_e32 v16, s37
	v_add_co_u32_e64 v14, s[6:7], s46, v14
	v_addc_co_u32_e64 v15, s[6:7], v16, v15, s[6:7]
	global_load_ushort v14, v[14:15], off
	s_branch .LBB138_81
.LBB138_84:                             ;   in Loop: Header=BB138_20 Depth=1
	s_or_b64 exec, exec, s[12:13]
.LBB138_85:                             ;   in Loop: Header=BB138_20 Depth=1
	s_or_b64 exec, exec, s[10:11]
	s_branch .LBB138_67
.LBB138_86:                             ;   in Loop: Header=BB138_20 Depth=1
	s_mul_hi_u32 s6, s30, s34
	s_mul_i32 s6, s6, s0
	s_sub_i32 s6, s30, s6
	s_sub_i32 s7, s6, s0
	s_cmp_ge_u32 s6, s0
	s_cselect_b32 s6, s7, s6
	s_sub_i32 s7, s6, s0
	s_cmp_ge_u32 s6, s0
	s_cselect_b32 s6, s7, s6
	s_sub_i32 s10, s30, s6
	v_cmp_gt_u32_e32 vcc, s10, v20
	v_mov_b32_e32 v1, 0
	v_mov_b32_e32 v2, 0
	v_mov_b32_e32 v3, 0
	v_mov_b32_e32 v4, 0
	s_and_saveexec_b64 s[78:79], vcc
	s_cbranch_execz .LBB138_90
; %bb.87:                               ;   in Loop: Header=BB138_20 Depth=1
	s_mov_b32 s11, 0
	s_mov_b64 s[80:81], 0
	v_mov_b32_e32 v6, v40
	s_mov_b32 s12, 0
	s_mov_b32 s13, 0
	;; [unrolled: 1-line block ×3, first 2 shown]
	v_mov_b32_e32 v12, v20
.LBB138_88:                             ;   Parent Loop BB138_20 Depth=1
                                        ; =>  This Inner Loop Header: Depth=2
	ds_read_b64 v[1:2], v6
	v_add_u32_e32 v12, s0, v12
	v_add_u32_e32 v6, s62, v6
	s_waitcnt lgkmcnt(0)
	v_cmp_lt_i16_e32 vcc, -1, v1
	v_cndmask_b32_e32 v3, v41, v42, vcc
	v_lshlrev_b32_e32 v4, 16, v1
	v_cmp_o_f32_e32 vcc, v4, v4
	v_xor_b32_sdwa v3, v3, v1 dst_sel:DWORD dst_unused:UNUSED_PAD src0_sel:DWORD src1_sel:WORD_0
	v_cndmask_b32_e32 v3, v41, v3, vcc
	v_cmp_gt_i16_sdwa vcc, v1, v43 src0_sel:WORD_1 src1_sel:DWORD
	v_cndmask_b32_e32 v4, v41, v42, vcc
	v_and_b32_e32 v13, 0xffff0000, v1
	v_cmp_o_f32_e32 vcc, v13, v13
	v_xor_b32_sdwa v1, v4, v1 dst_sel:DWORD dst_unused:UNUSED_PAD src0_sel:DWORD src1_sel:WORD_1
	v_cndmask_b32_e32 v1, v41, v1, vcc
	v_cmp_lt_i16_e32 vcc, -1, v2
	v_cndmask_b32_e32 v4, v41, v42, vcc
	v_lshlrev_b32_e32 v13, 16, v2
	v_cmp_o_f32_e32 vcc, v13, v13
	v_xor_b32_sdwa v4, v4, v2 dst_sel:DWORD dst_unused:UNUSED_PAD src0_sel:DWORD src1_sel:WORD_0
	v_cndmask_b32_e32 v4, v41, v4, vcc
	v_cmp_gt_i16_sdwa vcc, v2, v43 src0_sel:WORD_1 src1_sel:DWORD
	v_cndmask_b32_e32 v13, v41, v42, vcc
	v_and_b32_e32 v14, 0xffff0000, v2
	v_cmp_o_f32_e32 vcc, v14, v14
	v_xor_b32_sdwa v2, v13, v2 dst_sel:DWORD dst_unused:UNUSED_PAD src0_sel:DWORD src1_sel:WORD_1
	v_and_b32_e32 v13, v3, v46
	v_bfe_u32 v3, v3, v45, 2
	v_cndmask_b32_e32 v2, v41, v2, vcc
	v_cmp_eq_u32_e32 vcc, v13, v38
	v_and_b32_e32 v13, v1, v46
	v_bfe_u32 v1, v1, v45, 2
	v_cmp_eq_u32_e64 s[28:29], 0, v3
	v_cmp_eq_u32_e64 s[6:7], v13, v38
	v_and_b32_e32 v13, v4, v46
	v_bfe_u32 v4, v4, v45, 2
	s_and_b64 s[20:21], vcc, s[28:29]
	v_cmp_eq_u32_e64 s[28:29], 0, v1
	v_cmp_eq_u32_e64 s[22:23], v13, v38
	v_and_b32_e32 v13, v2, v46
	v_bfe_u32 v2, v2, v45, 2
	s_and_b64 s[40:41], s[6:7], s[28:29]
	v_cmp_eq_u32_e64 s[28:29], 0, v4
	v_cmp_eq_u32_e64 s[26:27], v13, v38
	s_and_b64 s[42:43], s[22:23], s[28:29]
	v_cmp_eq_u32_e64 s[28:29], 0, v2
	v_cndmask_b32_e64 v13, 0, 1, s[20:21]
	s_and_b64 s[44:45], s[26:27], s[28:29]
	v_cmp_ne_u32_e64 s[28:29], 0, v13
	v_cndmask_b32_e64 v13, 0, 1, s[40:41]
	s_bcnt1_i32_b64 s15, s[28:29]
	v_cmp_ne_u32_e64 s[28:29], 0, v13
	v_cndmask_b32_e64 v13, 0, 1, s[42:43]
	s_bcnt1_i32_b64 s20, s[28:29]
	v_cmp_ne_u32_e64 s[28:29], 0, v13
	v_cndmask_b32_e64 v13, 0, 1, s[44:45]
	s_add_i32 s14, s14, s15
	s_bcnt1_i32_b64 s21, s[28:29]
	v_cmp_ne_u32_e64 s[28:29], 0, v13
	s_add_i32 s14, s14, s20
	s_bcnt1_i32_b64 s28, s[28:29]
	s_add_i32 s14, s14, s21
	s_add_i32 s14, s14, s28
	v_cmp_eq_u32_e64 s[28:29], 1, v3
	s_and_b64 s[20:21], vcc, s[28:29]
	v_cmp_eq_u32_e64 s[28:29], 1, v1
	s_and_b64 s[40:41], s[6:7], s[28:29]
	v_cmp_eq_u32_e64 s[28:29], 1, v4
	s_and_b64 s[42:43], s[22:23], s[28:29]
	v_cmp_eq_u32_e64 s[28:29], 1, v2
	v_cndmask_b32_e64 v13, 0, 1, s[20:21]
	s_and_b64 s[44:45], s[26:27], s[28:29]
	v_cmp_ne_u32_e64 s[28:29], 0, v13
	v_cndmask_b32_e64 v13, 0, 1, s[40:41]
	s_bcnt1_i32_b64 s15, s[28:29]
	v_cmp_ne_u32_e64 s[28:29], 0, v13
	v_cndmask_b32_e64 v13, 0, 1, s[42:43]
	s_bcnt1_i32_b64 s20, s[28:29]
	v_cmp_ne_u32_e64 s[28:29], 0, v13
	v_cndmask_b32_e64 v13, 0, 1, s[44:45]
	s_add_i32 s13, s13, s15
	s_bcnt1_i32_b64 s21, s[28:29]
	v_cmp_ne_u32_e64 s[28:29], 0, v13
	s_add_i32 s13, s13, s20
	s_bcnt1_i32_b64 s28, s[28:29]
	s_add_i32 s13, s13, s21
	s_add_i32 s13, s13, s28
	v_cmp_eq_u32_e64 s[28:29], 2, v3
	s_and_b64 s[20:21], vcc, s[28:29]
	v_cmp_eq_u32_e64 s[28:29], 2, v1
	s_and_b64 s[40:41], s[6:7], s[28:29]
	v_cmp_eq_u32_e64 s[28:29], 2, v4
	s_and_b64 s[42:43], s[22:23], s[28:29]
	v_cmp_eq_u32_e64 s[28:29], 2, v2
	v_cndmask_b32_e64 v13, 0, 1, s[20:21]
	s_and_b64 s[44:45], s[26:27], s[28:29]
	v_cmp_ne_u32_e64 s[28:29], 0, v13
	v_cndmask_b32_e64 v13, 0, 1, s[40:41]
	s_bcnt1_i32_b64 s15, s[28:29]
	v_cmp_ne_u32_e64 s[28:29], 0, v13
	v_cndmask_b32_e64 v13, 0, 1, s[42:43]
	s_bcnt1_i32_b64 s20, s[28:29]
	v_cmp_ne_u32_e64 s[28:29], 0, v13
	v_cndmask_b32_e64 v13, 0, 1, s[44:45]
	s_add_i32 s12, s12, s15
	s_bcnt1_i32_b64 s21, s[28:29]
	v_cmp_ne_u32_e64 s[28:29], 0, v13
	s_add_i32 s12, s12, s20
	s_bcnt1_i32_b64 s28, s[28:29]
	s_add_i32 s12, s12, s21
	s_add_i32 s12, s12, s28
	v_cmp_eq_u32_e64 s[28:29], 3, v3
	s_and_b64 s[20:21], vcc, s[28:29]
	v_cmp_eq_u32_e32 vcc, 3, v1
	s_and_b64 s[6:7], s[6:7], vcc
	v_cmp_eq_u32_e32 vcc, 3, v4
	s_and_b64 s[22:23], s[22:23], vcc
	v_cmp_eq_u32_e32 vcc, 3, v2
	v_cndmask_b32_e64 v1, 0, 1, s[20:21]
	s_and_b64 s[26:27], s[26:27], vcc
	v_cmp_ne_u32_e32 vcc, 0, v1
	v_cndmask_b32_e64 v1, 0, 1, s[6:7]
	s_bcnt1_i32_b64 s15, vcc
	v_cmp_ne_u32_e32 vcc, 0, v1
	v_cndmask_b32_e64 v1, 0, 1, s[22:23]
	s_bcnt1_i32_b64 s6, vcc
	v_cmp_ne_u32_e32 vcc, 0, v1
	v_cndmask_b32_e64 v1, 0, 1, s[26:27]
	s_add_i32 s11, s11, s15
	s_bcnt1_i32_b64 s7, vcc
	v_cmp_ne_u32_e32 vcc, 0, v1
	s_add_i32 s6, s11, s6
	s_bcnt1_i32_b64 s20, vcc
	s_add_i32 s6, s6, s7
	s_add_i32 s11, s6, s20
	v_cmp_le_u32_e32 vcc, s10, v12
	s_or_b64 s[80:81], vcc, s[80:81]
	v_mov_b32_e32 v1, s14
	v_mov_b32_e32 v2, s13
	;; [unrolled: 1-line block ×4, first 2 shown]
	s_andn2_b64 exec, exec, s[80:81]
	s_cbranch_execnz .LBB138_88
; %bb.89:                               ;   in Loop: Header=BB138_20 Depth=1
	s_or_b64 exec, exec, s[80:81]
.LBB138_90:                             ;   in Loop: Header=BB138_20 Depth=1
	s_or_b64 exec, exec, s[78:79]
	v_add_u32_e32 v6, s10, v0
	v_cmp_gt_u32_e32 vcc, s30, v6
	s_and_saveexec_b64 s[22:23], vcc
	s_cbranch_execz .LBB138_94
; %bb.91:                               ;   in Loop: Header=BB138_20 Depth=1
	v_lshlrev_b32_e32 v12, 1, v6
	s_mov_b64 s[26:27], 0
.LBB138_92:                             ;   Parent Loop BB138_20 Depth=1
                                        ; =>  This Inner Loop Header: Depth=2
	ds_read_u16 v13, v12
	v_add_u32_e32 v6, s39, v6
	v_add_u32_e32 v12, s63, v12
	s_waitcnt lgkmcnt(0)
	v_cmp_lt_i16_e32 vcc, -1, v13
	v_cndmask_b32_e32 v14, v41, v42, vcc
	v_lshlrev_b32_e32 v15, 16, v13
	v_cmp_o_f32_e32 vcc, v15, v15
	v_xor_b32_sdwa v13, v14, v13 dst_sel:DWORD dst_unused:UNUSED_PAD src0_sel:DWORD src1_sel:WORD_0
	v_cndmask_b32_e32 v13, v41, v13, vcc
	v_and_b32_e32 v14, v13, v46
	v_bfe_u32 v13, v13, v45, 2
	v_cmp_eq_u32_e32 vcc, v14, v38
	v_cmp_eq_u32_e64 s[6:7], 0, v13
	s_and_b64 s[6:7], vcc, s[6:7]
	v_cndmask_b32_e64 v14, 0, 1, s[6:7]
	v_cmp_ne_u32_e64 s[6:7], 0, v14
	s_bcnt1_i32_b64 s6, s[6:7]
	v_add_u32_e32 v1, s6, v1
	v_cmp_eq_u32_e64 s[6:7], 1, v13
	s_and_b64 s[6:7], vcc, s[6:7]
	v_cndmask_b32_e64 v14, 0, 1, s[6:7]
	v_cmp_ne_u32_e64 s[6:7], 0, v14
	s_bcnt1_i32_b64 s6, s[6:7]
	v_add_u32_e32 v2, s6, v2
	;; [unrolled: 6-line block ×3, first 2 shown]
	v_cmp_eq_u32_e64 s[6:7], 3, v13
	s_and_b64 s[6:7], vcc, s[6:7]
	v_cndmask_b32_e64 v13, 0, 1, s[6:7]
	v_cmp_ne_u32_e32 vcc, 0, v13
	s_bcnt1_i32_b64 s6, vcc
	v_cmp_le_u32_e32 vcc, s30, v6
	v_add_u32_e32 v4, s6, v4
	s_or_b64 s[26:27], vcc, s[26:27]
	s_andn2_b64 exec, exec, s[26:27]
	s_cbranch_execnz .LBB138_92
; %bb.93:                               ;   in Loop: Header=BB138_20 Depth=1
	s_or_b64 exec, exec, s[26:27]
.LBB138_94:                             ;   in Loop: Header=BB138_20 Depth=1
	s_or_b64 exec, exec, s[22:23]
	s_lshl_b32 s10, s35, 6
	s_and_saveexec_b64 s[6:7], s[4:5]
	s_cbranch_execnz .LBB138_68
	s_branch .LBB138_69
.LBB138_95:                             ;   in Loop: Header=BB138_20 Depth=1
	v_mov_b32_e32 v1, 0
	s_mov_b32 s11, 0
.LBB138_96:                             ;   in Loop: Header=BB138_20 Depth=1
	v_readlane_b32 s12, v53, 36
	v_readlane_b32 s13, v53, 37
	s_andn2_b64 vcc, exec, s[12:13]
	s_cbranch_vccnz .LBB138_99
; %bb.97:                               ;   in Loop: Header=BB138_20 Depth=1
	s_lshl_b32 s12, s35, 8
	s_lshl_b32 s11, s11, 4
	s_add_i32 s12, s12, s11
	v_add_u32_e32 v2, s12, v39
	v_readlane_b32 s11, v53, 35
.LBB138_98:                             ;   Parent Loop BB138_20 Depth=1
                                        ; =>  This Inner Loop Header: Depth=2
	ds_read_b32 v3, v2
	s_add_i32 s11, s11, -1
	v_add_u32_e32 v2, 16, v2
	s_cmp_lg_u32 s11, 0
	s_waitcnt lgkmcnt(0)
	v_add_u32_e32 v1, v3, v1
	s_cbranch_scc1 .LBB138_98
.LBB138_99:                             ;   in Loop: Header=BB138_20 Depth=1
	v_add_lshl_u32 v2, s10, v21, 2
	ds_write_b32 v2, v1 offset:3072
.LBB138_100:                            ;   in Loop: Header=BB138_20 Depth=1
	s_or_b64 exec, exec, s[6:7]
	s_lshl_b32 s6, s10, 2
	v_mov_b32_e32 v1, s6
	s_waitcnt lgkmcnt(0)
	s_barrier
	ds_read_b128 v[1:4], v1 offset:3072
	v_cmp_eq_u32_e32 vcc, 1, v48
	s_mov_b64 s[22:23], -1
	s_mov_b64 s[10:11], -1
                                        ; implicit-def: $sgpr30_sgpr31
                                        ; implicit-def: $sgpr28_sgpr29
	s_waitcnt lgkmcnt(0)
	v_readfirstlane_b32 s78, v1
	s_cmp_eq_u32 s78, 1
	v_lshlrev_b32_e64 v1, v45, 3
	s_cselect_b64 s[6:7], -1, 0
	v_readfirstlane_b32 s45, v2
	v_readfirstlane_b32 s44, v3
	;; [unrolled: 1-line block ×3, first 2 shown]
	v_not_b32_e32 v3, v1
	s_and_b64 s[26:27], s[6:7], vcc
	s_and_saveexec_b64 s[6:7], s[26:27]
	s_cbranch_execz .LBB138_126
; %bb.101:                              ;   in Loop: Header=BB138_20 Depth=1
	ds_read_b32 v2, v7 offset:4104
	s_waitcnt lgkmcnt(0)
	s_barrier
	v_readfirstlane_b32 s20, v2
	s_and_saveexec_b64 s[10:11], s[24:25]
; %bb.102:                              ;   in Loop: Header=BB138_20 Depth=1
	ds_write_b16 v23, v7
; %bb.103:                              ;   in Loop: Header=BB138_20 Depth=1
	s_or_b64 exec, exec, s[10:11]
	v_and_b32_e32 v38, v38, v3
	v_or_b32_e32 v46, v46, v1
	s_mov_b64 s[28:29], -1
	s_mov_b64 s[30:31], 0
	s_cmp_eq_u32 s20, 0
	s_mov_b64 s[40:41], 0
	s_mov_b64 s[42:43], -1
	s_waitcnt lgkmcnt(0)
	s_barrier
                                        ; implicit-def: $vgpr47
	s_cbranch_scc1 .LBB138_114
; %bb.104:                              ;   in Loop: Header=BB138_20 Depth=1
	s_add_i32 s10, s20, s1
	s_mul_hi_u32 s11, s10, s59
	s_mul_i32 s11, s11, s39
	s_sub_i32 s11, s10, s11
	s_sub_i32 s12, s11, s39
	s_cmp_ge_u32 s11, s39
	s_cselect_b32 s11, s12, s11
	s_sub_i32 s12, s11, s39
	s_cmp_ge_u32 s11, s39
	s_cselect_b32 s11, s12, s11
	s_sub_i32 s21, s10, s11
	v_cmp_gt_u32_e32 vcc, s21, v0
	s_mov_b64 s[42:43], 0
                                        ; implicit-def: $vgpr47
	s_and_saveexec_b64 s[10:11], vcc
	s_cbranch_execz .LBB138_113
; %bb.105:                              ;   in Loop: Header=BB138_20 Depth=1
	s_mov_b64 s[12:13], 0
	v_mov_b32_e32 v2, v22
	v_mov_b32_e32 v4, v0
                                        ; implicit-def: $sgpr14_sgpr15
	s_branch .LBB138_108
.LBB138_106:                            ;   in Loop: Header=BB138_108 Depth=2
	s_or_b64 exec, exec, s[40:41]
	s_waitcnt lgkmcnt(0)
	s_barrier
	ds_read_b32 v6, v7 offset:3072
	s_mov_b64 s[40:41], -1
	s_mov_b64 s[48:49], -1
	s_waitcnt lgkmcnt(0)
	s_barrier
	v_and_b32_e32 v12, 0x7fff, v6
	v_cmp_ne_u32_e32 vcc, 0, v12
	s_cbranch_vccz .LBB138_111
.LBB138_107:                            ;   in Loop: Header=BB138_108 Depth=2
	s_and_b64 s[40:41], exec, s[40:41]
	s_or_b64 s[12:13], s[40:41], s[12:13]
	s_andn2_b64 s[14:15], s[14:15], exec
	s_and_b64 s[40:41], s[48:49], exec
	s_or_b64 s[14:15], s[14:15], s[40:41]
	s_andn2_b64 exec, exec, s[12:13]
	s_cbranch_execz .LBB138_112
.LBB138_108:                            ;   Parent Loop BB138_20 Depth=1
                                        ; =>  This Inner Loop Header: Depth=2
	v_cmp_gt_u32_e32 vcc, s20, v4
	s_and_saveexec_b64 s[40:41], vcc
	s_cbranch_execz .LBB138_106
; %bb.109:                              ;   in Loop: Header=BB138_108 Depth=2
	ds_read_u16 v6, v2
	s_waitcnt lgkmcnt(0)
	v_cmp_lt_i16_e32 vcc, -1, v6
	v_cndmask_b32_e32 v12, v41, v42, vcc
	v_lshlrev_b32_e32 v13, 16, v6
	v_cmp_o_f32_e32 vcc, v13, v13
	v_xor_b32_sdwa v12, v12, v6 dst_sel:DWORD dst_unused:UNUSED_PAD src0_sel:DWORD src1_sel:WORD_0
	v_cndmask_b32_e32 v12, v41, v12, vcc
	v_and_b32_e32 v12, v12, v46
	v_cmp_eq_u32_e32 vcc, v12, v38
	s_and_b64 exec, exec, vcc
	s_cbranch_execz .LBB138_106
; %bb.110:                              ;   in Loop: Header=BB138_108 Depth=2
	v_perm_b32 v6, v6, s51, v44
	ds_write_b32 v7, v6 offset:3072
	s_branch .LBB138_106
.LBB138_111:                            ;   in Loop: Header=BB138_108 Depth=2
	v_add_u32_e32 v4, s39, v4
	v_cmp_le_u32_e32 vcc, s21, v4
	v_add_u32_e32 v2, s63, v2
	s_mov_b64 s[48:49], 0
	s_orn2_b64 s[40:41], vcc, exec
	s_branch .LBB138_107
.LBB138_112:                            ;   in Loop: Header=BB138_20 Depth=1
	s_or_b64 exec, exec, s[12:13]
	v_lshrrev_b32_e32 v47, 16, v6
	s_and_b64 s[40:41], s[14:15], exec
.LBB138_113:                            ;   in Loop: Header=BB138_20 Depth=1
	s_or_b64 exec, exec, s[10:11]
.LBB138_114:                            ;   in Loop: Header=BB138_20 Depth=1
	s_and_b64 vcc, exec, s[42:43]
	s_cbranch_vccz .LBB138_125
; %bb.115:                              ;   in Loop: Header=BB138_20 Depth=1
                                        ; implicit-def: $vgpr47
	s_mov_b64 s[10:11], exec
	v_readlane_b32 s12, v53, 38
	v_readlane_b32 s13, v53, 39
	s_and_b64 s[12:13], s[10:11], s[12:13]
	s_mov_b64 exec, s[12:13]
	s_cbranch_execz .LBB138_124
; %bb.116:                              ;   in Loop: Header=BB138_20 Depth=1
	s_mov_b64 s[12:13], 0
	v_mov_b32_e32 v6, v5
	v_mov_b32_e32 v2, v0
                                        ; implicit-def: $sgpr28_sgpr29
	s_branch .LBB138_119
.LBB138_117:                            ;   in Loop: Header=BB138_119 Depth=2
	s_or_b64 exec, exec, s[14:15]
	s_waitcnt lgkmcnt(0)
	s_barrier
	ds_read_b32 v4, v7 offset:3072
	s_mov_b64 s[14:15], -1
	s_mov_b64 s[30:31], -1
	s_waitcnt lgkmcnt(0)
	s_barrier
	v_and_b32_e32 v12, 0x7fff, v4
	v_cmp_ne_u32_e32 vcc, 0, v12
	s_cbranch_vccz .LBB138_122
.LBB138_118:                            ;   in Loop: Header=BB138_119 Depth=2
	s_and_b64 s[14:15], exec, s[14:15]
	s_or_b64 s[12:13], s[14:15], s[12:13]
	s_andn2_b64 s[14:15], s[28:29], exec
	s_and_b64 s[20:21], s[30:31], exec
	s_or_b64 s[28:29], s[14:15], s[20:21]
	s_andn2_b64 exec, exec, s[12:13]
	s_cbranch_execz .LBB138_123
.LBB138_119:                            ;   Parent Loop BB138_20 Depth=1
                                        ; =>  This Inner Loop Header: Depth=2
	v_cmp_gt_u32_e32 vcc, s36, v2
	s_and_saveexec_b64 s[14:15], vcc
	s_cbranch_execz .LBB138_117
; %bb.120:                              ;   in Loop: Header=BB138_119 Depth=2
	v_lshlrev_b64 v[12:13], 1, v[6:7]
	v_mov_b32_e32 v4, s37
	v_add_co_u32_e32 v12, vcc, s46, v12
	v_addc_co_u32_e32 v13, vcc, v4, v13, vcc
	global_load_ushort v4, v[12:13], off
	s_waitcnt vmcnt(0)
	v_cmp_lt_i16_e32 vcc, -1, v4
	v_cndmask_b32_e32 v12, v41, v42, vcc
	v_lshlrev_b32_e32 v13, 16, v4
	v_xor_b32_sdwa v12, v12, v4 dst_sel:DWORD dst_unused:UNUSED_PAD src0_sel:DWORD src1_sel:WORD_0
	v_cmp_o_f32_e32 vcc, v13, v13
	v_cndmask_b32_e32 v12, v41, v12, vcc
	v_and_b32_e32 v12, v12, v46
	v_cmp_eq_u32_e32 vcc, v12, v38
	s_and_b64 exec, exec, vcc
	s_cbranch_execz .LBB138_117
; %bb.121:                              ;   in Loop: Header=BB138_119 Depth=2
	v_perm_b32 v4, v4, s51, v44
	ds_write_b32 v7, v4 offset:3072
	s_branch .LBB138_117
.LBB138_122:                            ;   in Loop: Header=BB138_119 Depth=2
	v_add_u32_e32 v2, s39, v2
	v_cmp_le_u32_e32 vcc, s60, v2
	v_add_u32_e32 v6, s47, v6
	s_mov_b64 s[30:31], 0
	s_orn2_b64 s[14:15], vcc, exec
	s_branch .LBB138_118
.LBB138_123:                            ;   in Loop: Header=BB138_20 Depth=1
	s_or_b64 exec, exec, s[12:13]
	s_andn2_b64 s[12:13], s[40:41], exec
	s_and_b64 s[14:15], s[28:29], exec
	v_lshrrev_b32_e32 v47, 16, v4
	s_or_b64 s[40:41], s[12:13], s[14:15]
.LBB138_124:                            ;   in Loop: Header=BB138_20 Depth=1
	s_or_b64 exec, exec, s[10:11]
	s_mov_b64 s[28:29], 0
	s_mov_b64 s[30:31], -1
.LBB138_125:                            ;   in Loop: Header=BB138_20 Depth=1
	s_orn2_b64 s[10:11], s[40:41], exec
.LBB138_126:                            ;   in Loop: Header=BB138_20 Depth=1
	s_or_b64 exec, exec, s[6:7]
	s_andn2_b64 s[6:7], s[76:77], exec
	s_and_b64 s[12:13], s[30:31], exec
	s_or_b64 s[76:77], s[6:7], s[12:13]
	s_andn2_b64 s[6:7], s[74:75], exec
	s_and_b64 s[12:13], s[28:29], exec
	v_readfirstlane_b32 s20, v0
	s_andn2_b64 s[72:73], s[72:73], exec
	s_or_b64 s[74:75], s[6:7], s[12:13]
                                        ; implicit-def: $vgpr4
	s_and_saveexec_b64 s[6:7], s[10:11]
	s_cbranch_execz .LBB138_19
; %bb.127:                              ;   in Loop: Header=BB138_20 Depth=1
	s_xor_b64 s[14:15], s[26:27], -1
	s_mov_b64 s[12:13], 0
	v_mov_b32_e32 v4, 1
	v_mov_b32_e32 v2, 1
	s_and_saveexec_b64 s[10:11], s[14:15]
	s_cbranch_execz .LBB138_136
; %bb.128:                              ;   in Loop: Header=BB138_20 Depth=1
	v_cmp_ge_u32_e32 vcc, s78, v48
	s_and_saveexec_b64 s[12:13], vcc
	s_xor_b64 s[12:13], exec, s[12:13]
	s_cbranch_execz .LBB138_133
; %bb.129:                              ;   in Loop: Header=BB138_20 Depth=1
	ds_read_b32 v2, v7 offset:4104
	v_and_b32_e32 v38, v38, v3
	v_or_b32_e32 v46, v46, v1
	s_waitcnt lgkmcnt(0)
	v_cmp_ne_u32_e32 vcc, 0, v2
	s_cbranch_vccnz .LBB138_133
; %bb.130:                              ;   in Loop: Header=BB138_20 Depth=1
	s_and_saveexec_b64 s[14:15], s[2:3]
; %bb.131:                              ;   in Loop: Header=BB138_20 Depth=1
	v_mov_b32_e32 v2, s78
	ds_write_b32 v7, v2 offset:4108
; %bb.132:                              ;   in Loop: Header=BB138_20 Depth=1
	s_or_b64 exec, exec, s[14:15]
	s_waitcnt lgkmcnt(0)
	s_barrier
.LBB138_133:                            ;   in Loop: Header=BB138_20 Depth=1
	s_or_saveexec_b64 s[12:13], s[12:13]
	s_mov_b64 s[14:15], 0
	v_mov_b32_e32 v2, 8
	s_xor_b64 exec, exec, s[12:13]
; %bb.134:                              ;   in Loop: Header=BB138_20 Depth=1
	s_mov_b64 s[14:15], exec
	v_subrev_u32_e32 v48, s78, v48
	v_mov_b32_e32 v2, 0
; %bb.135:                              ;   in Loop: Header=BB138_20 Depth=1
	s_or_b64 exec, exec, s[12:13]
	s_and_b64 s[12:13], s[14:15], exec
	v_mov_b32_e32 v4, v48
.LBB138_136:                            ;   in Loop: Header=BB138_20 Depth=1
	s_or_b64 exec, exec, s[10:11]
	s_mov_b64 s[22:23], -1
	s_mov_b64 s[10:11], -1
                                        ; implicit-def: $sgpr28_sgpr29
                                        ; implicit-def: $sgpr78_sgpr79
	s_and_saveexec_b64 s[14:15], s[12:13]
	s_xor_b64 s[26:27], exec, s[14:15]
	s_cbranch_execz .LBB138_253
; %bb.137:                              ;   in Loop: Header=BB138_20 Depth=1
	s_cmp_eq_u32 s45, 1
	s_cselect_b64 s[10:11], -1, 0
	v_cmp_eq_u32_e32 vcc, 1, v4
	s_and_b64 s[82:83], s[10:11], vcc
	s_mov_b64 s[10:11], -1
                                        ; implicit-def: $sgpr78_sgpr79
                                        ; implicit-def: $sgpr28_sgpr29
	s_and_saveexec_b64 s[30:31], s[82:83]
	s_cbranch_execz .LBB138_163
; %bb.138:                              ;   in Loop: Header=BB138_20 Depth=1
	ds_read_b32 v6, v7 offset:4104
	s_waitcnt lgkmcnt(0)
	s_barrier
	v_readfirstlane_b32 s80, v6
	s_and_saveexec_b64 s[10:11], s[24:25]
; %bb.139:                              ;   in Loop: Header=BB138_20 Depth=1
	ds_write_b16 v23, v7
; %bb.140:                              ;   in Loop: Header=BB138_20 Depth=1
	s_or_b64 exec, exec, s[10:11]
	v_and_b32_e32 v6, v38, v3
	v_lshl_or_b32 v38, 1, v45, v6
	v_or_b32_e32 v46, v46, v1
	s_mov_b64 s[28:29], -1
	s_mov_b64 s[78:79], 0
	s_cmp_eq_u32 s80, 0
	s_mov_b64 s[40:41], 0
	s_mov_b64 s[42:43], -1
	s_waitcnt lgkmcnt(0)
	s_barrier
                                        ; implicit-def: $vgpr47
	s_cbranch_scc1 .LBB138_151
; %bb.141:                              ;   in Loop: Header=BB138_20 Depth=1
	s_add_i32 s10, s80, s1
	s_mul_hi_u32 s11, s10, s59
	s_mul_i32 s11, s11, s39
	s_sub_i32 s11, s10, s11
	s_sub_i32 s12, s11, s39
	s_cmp_ge_u32 s11, s39
	s_cselect_b32 s11, s12, s11
	s_sub_i32 s12, s11, s39
	s_cmp_ge_u32 s11, s39
	s_cselect_b32 s11, s12, s11
	s_sub_i32 s20, s10, s11
	v_cmp_gt_u32_e32 vcc, s20, v0
	s_mov_b64 s[42:43], 0
                                        ; implicit-def: $vgpr47
	s_and_saveexec_b64 s[10:11], vcc
	s_cbranch_execz .LBB138_150
; %bb.142:                              ;   in Loop: Header=BB138_20 Depth=1
	s_mov_b64 s[12:13], 0
	v_mov_b32_e32 v6, v22
	v_mov_b32_e32 v12, v0
                                        ; implicit-def: $sgpr40_sgpr41
	s_branch .LBB138_145
.LBB138_143:                            ;   in Loop: Header=BB138_145 Depth=2
	s_or_b64 exec, exec, s[14:15]
	s_waitcnt lgkmcnt(0)
	s_barrier
	ds_read_b32 v13, v7 offset:3072
	s_mov_b64 s[14:15], -1
	s_mov_b64 s[48:49], -1
	s_waitcnt lgkmcnt(0)
	s_barrier
	v_and_b32_e32 v14, 0x7fff, v13
	v_cmp_ne_u32_e32 vcc, 0, v14
	s_cbranch_vccz .LBB138_148
.LBB138_144:                            ;   in Loop: Header=BB138_145 Depth=2
	s_and_b64 s[14:15], exec, s[14:15]
	s_or_b64 s[12:13], s[14:15], s[12:13]
	s_andn2_b64 s[14:15], s[40:41], exec
	s_and_b64 s[40:41], s[48:49], exec
	s_or_b64 s[40:41], s[14:15], s[40:41]
	s_andn2_b64 exec, exec, s[12:13]
	s_cbranch_execz .LBB138_149
.LBB138_145:                            ;   Parent Loop BB138_20 Depth=1
                                        ; =>  This Inner Loop Header: Depth=2
	v_cmp_gt_u32_e32 vcc, s80, v12
	s_and_saveexec_b64 s[14:15], vcc
	s_cbranch_execz .LBB138_143
; %bb.146:                              ;   in Loop: Header=BB138_145 Depth=2
	ds_read_u16 v13, v6
	s_waitcnt lgkmcnt(0)
	v_cmp_lt_i16_e32 vcc, -1, v13
	v_cndmask_b32_e32 v14, v41, v42, vcc
	v_lshlrev_b32_e32 v15, 16, v13
	v_cmp_o_f32_e32 vcc, v15, v15
	v_xor_b32_sdwa v14, v14, v13 dst_sel:DWORD dst_unused:UNUSED_PAD src0_sel:DWORD src1_sel:WORD_0
	v_cndmask_b32_e32 v14, v41, v14, vcc
	v_and_b32_e32 v14, v14, v46
	v_cmp_eq_u32_e32 vcc, v14, v38
	s_and_b64 exec, exec, vcc
	s_cbranch_execz .LBB138_143
; %bb.147:                              ;   in Loop: Header=BB138_145 Depth=2
	v_perm_b32 v13, v13, s51, v44
	ds_write_b32 v7, v13 offset:3072
	s_branch .LBB138_143
.LBB138_148:                            ;   in Loop: Header=BB138_145 Depth=2
	v_add_u32_e32 v12, s39, v12
	v_cmp_le_u32_e32 vcc, s20, v12
	v_add_u32_e32 v6, s63, v6
	s_mov_b64 s[48:49], 0
	s_orn2_b64 s[14:15], vcc, exec
	s_branch .LBB138_144
.LBB138_149:                            ;   in Loop: Header=BB138_20 Depth=1
	s_or_b64 exec, exec, s[12:13]
	v_lshrrev_b32_e32 v47, 16, v13
	s_and_b64 s[40:41], s[40:41], exec
.LBB138_150:                            ;   in Loop: Header=BB138_20 Depth=1
	s_or_b64 exec, exec, s[10:11]
.LBB138_151:                            ;   in Loop: Header=BB138_20 Depth=1
	s_and_b64 vcc, exec, s[42:43]
	s_cbranch_vccz .LBB138_162
; %bb.152:                              ;   in Loop: Header=BB138_20 Depth=1
                                        ; implicit-def: $vgpr47
	s_mov_b64 s[10:11], exec
	v_readlane_b32 s12, v53, 38
	v_readlane_b32 s13, v53, 39
	s_and_b64 s[12:13], s[10:11], s[12:13]
	s_mov_b64 exec, s[12:13]
	s_cbranch_execz .LBB138_161
; %bb.153:                              ;   in Loop: Header=BB138_20 Depth=1
	s_mov_b64 s[12:13], 0
	v_mov_b32_e32 v6, v5
	v_mov_b32_e32 v12, v0
                                        ; implicit-def: $sgpr28_sgpr29
	s_branch .LBB138_156
.LBB138_154:                            ;   in Loop: Header=BB138_156 Depth=2
	s_or_b64 exec, exec, s[14:15]
	s_waitcnt lgkmcnt(0)
	s_barrier
	ds_read_b32 v13, v7 offset:3072
	s_mov_b64 s[14:15], -1
	s_mov_b64 s[42:43], -1
	s_waitcnt lgkmcnt(0)
	s_barrier
	v_and_b32_e32 v14, 0x7fff, v13
	v_cmp_eq_u32_e32 vcc, 0, v14
	s_cbranch_vccnz .LBB138_159
.LBB138_155:                            ;   in Loop: Header=BB138_156 Depth=2
	s_and_b64 s[14:15], exec, s[14:15]
	s_or_b64 s[12:13], s[14:15], s[12:13]
	s_andn2_b64 s[14:15], s[28:29], exec
	s_and_b64 s[20:21], s[42:43], exec
	s_or_b64 s[28:29], s[14:15], s[20:21]
	s_andn2_b64 exec, exec, s[12:13]
	s_cbranch_execz .LBB138_160
.LBB138_156:                            ;   Parent Loop BB138_20 Depth=1
                                        ; =>  This Inner Loop Header: Depth=2
	v_cmp_gt_u32_e32 vcc, s36, v12
	s_and_saveexec_b64 s[14:15], vcc
	s_cbranch_execz .LBB138_154
; %bb.157:                              ;   in Loop: Header=BB138_156 Depth=2
	v_lshlrev_b64 v[13:14], 1, v[6:7]
	v_mov_b32_e32 v15, s37
	v_add_co_u32_e32 v13, vcc, s46, v13
	v_addc_co_u32_e32 v14, vcc, v15, v14, vcc
	global_load_ushort v13, v[13:14], off
	s_waitcnt vmcnt(0)
	v_cmp_lt_i16_e32 vcc, -1, v13
	v_cndmask_b32_e32 v14, v41, v42, vcc
	v_lshlrev_b32_e32 v15, 16, v13
	v_xor_b32_sdwa v14, v14, v13 dst_sel:DWORD dst_unused:UNUSED_PAD src0_sel:DWORD src1_sel:WORD_0
	v_cmp_o_f32_e32 vcc, v15, v15
	v_cndmask_b32_e32 v14, v41, v14, vcc
	v_and_b32_e32 v14, v14, v46
	v_cmp_eq_u32_e32 vcc, v14, v38
	s_and_b64 exec, exec, vcc
	s_cbranch_execz .LBB138_154
; %bb.158:                              ;   in Loop: Header=BB138_156 Depth=2
	v_perm_b32 v13, v13, s51, v44
	ds_write_b32 v7, v13 offset:3072
	s_branch .LBB138_154
.LBB138_159:                            ;   in Loop: Header=BB138_156 Depth=2
	v_add_u32_e32 v12, s39, v12
	v_cmp_le_u32_e32 vcc, s60, v12
	v_add_u32_e32 v6, s47, v6
	s_mov_b64 s[42:43], 0
	s_orn2_b64 s[14:15], vcc, exec
	s_branch .LBB138_155
.LBB138_160:                            ;   in Loop: Header=BB138_20 Depth=1
	s_or_b64 exec, exec, s[12:13]
	s_andn2_b64 s[12:13], s[40:41], exec
	s_and_b64 s[14:15], s[28:29], exec
	v_lshrrev_b32_e32 v47, 16, v13
	s_or_b64 s[40:41], s[12:13], s[14:15]
.LBB138_161:                            ;   in Loop: Header=BB138_20 Depth=1
	s_or_b64 exec, exec, s[10:11]
	s_mov_b64 s[28:29], 0
	s_mov_b64 s[78:79], -1
.LBB138_162:                            ;   in Loop: Header=BB138_20 Depth=1
	s_orn2_b64 s[10:11], s[40:41], exec
.LBB138_163:                            ;   in Loop: Header=BB138_20 Depth=1
	s_or_b64 exec, exec, s[30:31]
	s_mov_b64 s[12:13], 0
	s_and_saveexec_b64 s[80:81], s[10:11]
	s_cbranch_execz .LBB138_252
; %bb.164:                              ;   in Loop: Header=BB138_20 Depth=1
	s_xor_b64 s[10:11], s[82:83], -1
	v_mov_b32_e32 v12, 1
	v_mov_b32_e32 v2, 1
	s_and_saveexec_b64 s[30:31], s[10:11]
	s_cbranch_execz .LBB138_173
; %bb.165:                              ;   in Loop: Header=BB138_20 Depth=1
	v_cmp_ge_u32_e32 vcc, s45, v4
	s_and_saveexec_b64 s[10:11], vcc
	s_xor_b64 s[10:11], exec, s[10:11]
	s_cbranch_execz .LBB138_170
; %bb.166:                              ;   in Loop: Header=BB138_20 Depth=1
	v_and_b32_e32 v2, v38, v3
	v_lshl_or_b32 v38, 1, v45, v2
	ds_read_b32 v2, v7 offset:4104
	v_or_b32_e32 v46, v46, v1
	s_waitcnt lgkmcnt(0)
	v_cmp_ne_u32_e32 vcc, 0, v2
	s_cbranch_vccnz .LBB138_170
; %bb.167:                              ;   in Loop: Header=BB138_20 Depth=1
	s_and_saveexec_b64 s[12:13], s[2:3]
; %bb.168:                              ;   in Loop: Header=BB138_20 Depth=1
	v_mov_b32_e32 v2, s45
	ds_write_b32 v7, v2 offset:4108
; %bb.169:                              ;   in Loop: Header=BB138_20 Depth=1
	s_or_b64 exec, exec, s[12:13]
	s_waitcnt lgkmcnt(0)
	s_barrier
.LBB138_170:                            ;   in Loop: Header=BB138_20 Depth=1
	s_or_saveexec_b64 s[10:11], s[10:11]
	s_mov_b64 s[12:13], 0
	v_mov_b32_e32 v2, 8
	s_xor_b64 exec, exec, s[10:11]
; %bb.171:                              ;   in Loop: Header=BB138_20 Depth=1
	v_subrev_u32_e32 v4, s45, v4
	v_mov_b32_e32 v2, 0
	s_mov_b64 s[12:13], exec
; %bb.172:                              ;   in Loop: Header=BB138_20 Depth=1
	s_or_b64 exec, exec, s[10:11]
	s_and_b64 s[12:13], s[12:13], exec
	v_mov_b32_e32 v12, v4
.LBB138_173:                            ;   in Loop: Header=BB138_20 Depth=1
	s_or_b64 exec, exec, s[30:31]
	s_mov_b64 s[10:11], -1
                                        ; implicit-def: $sgpr84_sgpr85
                                        ; implicit-def: $sgpr86_sgpr87
	s_and_saveexec_b64 s[82:83], s[12:13]
	s_cbranch_execz .LBB138_251
; %bb.174:                              ;   in Loop: Header=BB138_20 Depth=1
	s_cmp_eq_u32 s44, 1
	s_cselect_b64 s[10:11], -1, 0
	v_cmp_eq_u32_e32 vcc, 1, v12
	s_and_b64 s[90:91], s[10:11], vcc
	s_mov_b64 s[10:11], -1
                                        ; implicit-def: $sgpr86_sgpr87
                                        ; implicit-def: $sgpr84_sgpr85
	s_and_saveexec_b64 s[30:31], s[90:91]
	s_cbranch_execz .LBB138_200
; %bb.175:                              ;   in Loop: Header=BB138_20 Depth=1
	ds_read_b32 v4, v7 offset:4104
	s_waitcnt lgkmcnt(0)
	s_barrier
	v_readfirstlane_b32 s45, v4
	s_and_saveexec_b64 s[10:11], s[24:25]
; %bb.176:                              ;   in Loop: Header=BB138_20 Depth=1
	ds_write_b16 v23, v7
; %bb.177:                              ;   in Loop: Header=BB138_20 Depth=1
	s_or_b64 exec, exec, s[10:11]
	v_and_b32_e32 v4, v38, v3
	v_lshl_or_b32 v38, 2, v45, v4
	v_or_b32_e32 v46, v46, v1
	s_mov_b64 s[84:85], -1
	s_mov_b64 s[86:87], 0
	s_cmp_eq_u32 s45, 0
	s_mov_b64 s[40:41], 0
	s_mov_b64 s[42:43], -1
	s_waitcnt lgkmcnt(0)
	s_barrier
                                        ; implicit-def: $vgpr47
	s_cbranch_scc1 .LBB138_188
; %bb.178:                              ;   in Loop: Header=BB138_20 Depth=1
	s_add_i32 s10, s45, s1
	s_mul_hi_u32 s11, s10, s59
	s_mul_i32 s11, s11, s39
	s_sub_i32 s11, s10, s11
	s_sub_i32 s12, s11, s39
	s_cmp_ge_u32 s11, s39
	s_cselect_b32 s11, s12, s11
	s_sub_i32 s12, s11, s39
	s_cmp_ge_u32 s11, s39
	s_cselect_b32 s11, s12, s11
	s_sub_i32 s20, s10, s11
	v_cmp_gt_u32_e32 vcc, s20, v0
	s_mov_b64 s[42:43], 0
                                        ; implicit-def: $vgpr47
	s_and_saveexec_b64 s[10:11], vcc
	s_cbranch_execz .LBB138_187
; %bb.179:                              ;   in Loop: Header=BB138_20 Depth=1
	s_mov_b64 s[12:13], 0
	v_mov_b32_e32 v4, v22
	v_mov_b32_e32 v6, v0
                                        ; implicit-def: $sgpr40_sgpr41
	s_branch .LBB138_182
.LBB138_180:                            ;   in Loop: Header=BB138_182 Depth=2
	s_or_b64 exec, exec, s[14:15]
	s_waitcnt lgkmcnt(0)
	s_barrier
	ds_read_b32 v13, v7 offset:3072
	s_mov_b64 s[14:15], -1
	s_mov_b64 s[48:49], -1
	s_waitcnt lgkmcnt(0)
	s_barrier
	v_and_b32_e32 v14, 0x7fff, v13
	v_cmp_ne_u32_e32 vcc, 0, v14
	s_cbranch_vccz .LBB138_185
.LBB138_181:                            ;   in Loop: Header=BB138_182 Depth=2
	s_and_b64 s[14:15], exec, s[14:15]
	s_or_b64 s[12:13], s[14:15], s[12:13]
	s_andn2_b64 s[14:15], s[40:41], exec
	s_and_b64 s[40:41], s[48:49], exec
	s_or_b64 s[40:41], s[14:15], s[40:41]
	s_andn2_b64 exec, exec, s[12:13]
	s_cbranch_execz .LBB138_186
.LBB138_182:                            ;   Parent Loop BB138_20 Depth=1
                                        ; =>  This Inner Loop Header: Depth=2
	v_cmp_gt_u32_e32 vcc, s45, v6
	s_and_saveexec_b64 s[14:15], vcc
	s_cbranch_execz .LBB138_180
; %bb.183:                              ;   in Loop: Header=BB138_182 Depth=2
	ds_read_u16 v13, v4
	s_waitcnt lgkmcnt(0)
	v_cmp_lt_i16_e32 vcc, -1, v13
	v_cndmask_b32_e32 v14, v41, v42, vcc
	v_lshlrev_b32_e32 v15, 16, v13
	v_cmp_o_f32_e32 vcc, v15, v15
	v_xor_b32_sdwa v14, v14, v13 dst_sel:DWORD dst_unused:UNUSED_PAD src0_sel:DWORD src1_sel:WORD_0
	v_cndmask_b32_e32 v14, v41, v14, vcc
	v_and_b32_e32 v14, v14, v46
	v_cmp_eq_u32_e32 vcc, v14, v38
	s_and_b64 exec, exec, vcc
	s_cbranch_execz .LBB138_180
; %bb.184:                              ;   in Loop: Header=BB138_182 Depth=2
	v_perm_b32 v13, v13, s51, v44
	ds_write_b32 v7, v13 offset:3072
	s_branch .LBB138_180
.LBB138_185:                            ;   in Loop: Header=BB138_182 Depth=2
	v_add_u32_e32 v6, s39, v6
	v_cmp_le_u32_e32 vcc, s20, v6
	v_add_u32_e32 v4, s63, v4
	s_mov_b64 s[48:49], 0
	s_orn2_b64 s[14:15], vcc, exec
	s_branch .LBB138_181
.LBB138_186:                            ;   in Loop: Header=BB138_20 Depth=1
	s_or_b64 exec, exec, s[12:13]
	v_lshrrev_b32_e32 v47, 16, v13
	s_and_b64 s[40:41], s[40:41], exec
.LBB138_187:                            ;   in Loop: Header=BB138_20 Depth=1
	s_or_b64 exec, exec, s[10:11]
.LBB138_188:                            ;   in Loop: Header=BB138_20 Depth=1
	s_and_b64 vcc, exec, s[42:43]
	s_cbranch_vccz .LBB138_199
; %bb.189:                              ;   in Loop: Header=BB138_20 Depth=1
                                        ; implicit-def: $vgpr47
	s_mov_b64 s[10:11], exec
	v_readlane_b32 s12, v53, 38
	v_readlane_b32 s13, v53, 39
	s_and_b64 s[12:13], s[10:11], s[12:13]
	s_mov_b64 exec, s[12:13]
	s_cbranch_execz .LBB138_198
; %bb.190:                              ;   in Loop: Header=BB138_20 Depth=1
	s_mov_b64 s[12:13], 0
	v_mov_b32_e32 v6, v5
	v_mov_b32_e32 v4, v0
                                        ; implicit-def: $sgpr42_sgpr43
	s_branch .LBB138_193
.LBB138_191:                            ;   in Loop: Header=BB138_193 Depth=2
	s_or_b64 exec, exec, s[14:15]
	s_waitcnt lgkmcnt(0)
	s_barrier
	ds_read_b32 v13, v7 offset:3072
	s_mov_b64 s[14:15], -1
	s_mov_b64 s[48:49], -1
	s_waitcnt lgkmcnt(0)
	s_barrier
	v_and_b32_e32 v14, 0x7fff, v13
	v_cmp_eq_u32_e32 vcc, 0, v14
	s_cbranch_vccnz .LBB138_196
.LBB138_192:                            ;   in Loop: Header=BB138_193 Depth=2
	s_and_b64 s[14:15], exec, s[14:15]
	s_or_b64 s[12:13], s[14:15], s[12:13]
	s_andn2_b64 s[14:15], s[42:43], exec
	s_and_b64 s[20:21], s[48:49], exec
	s_or_b64 s[42:43], s[14:15], s[20:21]
	s_andn2_b64 exec, exec, s[12:13]
	s_cbranch_execz .LBB138_197
.LBB138_193:                            ;   Parent Loop BB138_20 Depth=1
                                        ; =>  This Inner Loop Header: Depth=2
	v_cmp_gt_u32_e32 vcc, s36, v4
	s_and_saveexec_b64 s[14:15], vcc
	s_cbranch_execz .LBB138_191
; %bb.194:                              ;   in Loop: Header=BB138_193 Depth=2
	v_lshlrev_b64 v[13:14], 1, v[6:7]
	v_mov_b32_e32 v15, s37
	v_add_co_u32_e32 v13, vcc, s46, v13
	v_addc_co_u32_e32 v14, vcc, v15, v14, vcc
	global_load_ushort v13, v[13:14], off
	s_waitcnt vmcnt(0)
	v_cmp_lt_i16_e32 vcc, -1, v13
	v_cndmask_b32_e32 v14, v41, v42, vcc
	v_lshlrev_b32_e32 v15, 16, v13
	v_xor_b32_sdwa v14, v14, v13 dst_sel:DWORD dst_unused:UNUSED_PAD src0_sel:DWORD src1_sel:WORD_0
	v_cmp_o_f32_e32 vcc, v15, v15
	v_cndmask_b32_e32 v14, v41, v14, vcc
	v_and_b32_e32 v14, v14, v46
	v_cmp_eq_u32_e32 vcc, v14, v38
	s_and_b64 exec, exec, vcc
	s_cbranch_execz .LBB138_191
; %bb.195:                              ;   in Loop: Header=BB138_193 Depth=2
	v_perm_b32 v13, v13, s51, v44
	ds_write_b32 v7, v13 offset:3072
	s_branch .LBB138_191
.LBB138_196:                            ;   in Loop: Header=BB138_193 Depth=2
	v_add_u32_e32 v4, s39, v4
	v_cmp_le_u32_e32 vcc, s60, v4
	v_add_u32_e32 v6, s47, v6
	s_mov_b64 s[48:49], 0
	s_orn2_b64 s[14:15], vcc, exec
	s_branch .LBB138_192
.LBB138_197:                            ;   in Loop: Header=BB138_20 Depth=1
	s_or_b64 exec, exec, s[12:13]
	s_andn2_b64 s[12:13], s[40:41], exec
	s_and_b64 s[14:15], s[42:43], exec
	v_lshrrev_b32_e32 v47, 16, v13
	s_or_b64 s[40:41], s[12:13], s[14:15]
.LBB138_198:                            ;   in Loop: Header=BB138_20 Depth=1
	s_or_b64 exec, exec, s[10:11]
	s_mov_b64 s[84:85], 0
	s_mov_b64 s[86:87], -1
.LBB138_199:                            ;   in Loop: Header=BB138_20 Depth=1
	s_orn2_b64 s[10:11], s[40:41], exec
.LBB138_200:                            ;   in Loop: Header=BB138_20 Depth=1
	s_or_b64 exec, exec, s[30:31]
	s_mov_b64 s[12:13], 0
	s_and_saveexec_b64 s[88:89], s[10:11]
	s_cbranch_execz .LBB138_250
; %bb.201:                              ;   in Loop: Header=BB138_20 Depth=1
	s_xor_b64 s[10:11], s[90:91], -1
	v_mov_b32_e32 v4, 1
	v_mov_b32_e32 v2, 1
	s_and_saveexec_b64 s[30:31], s[10:11]
	s_cbranch_execz .LBB138_210
; %bb.202:                              ;   in Loop: Header=BB138_20 Depth=1
	v_cmp_ge_u32_e32 vcc, s44, v12
	s_and_saveexec_b64 s[10:11], vcc
	s_xor_b64 s[10:11], exec, s[10:11]
	s_cbranch_execz .LBB138_207
; %bb.203:                              ;   in Loop: Header=BB138_20 Depth=1
	v_and_b32_e32 v2, v38, v3
	v_lshl_or_b32 v38, 2, v45, v2
	ds_read_b32 v2, v7 offset:4104
	v_or_b32_e32 v46, v46, v1
	s_waitcnt lgkmcnt(0)
	v_cmp_ne_u32_e32 vcc, 0, v2
	s_cbranch_vccnz .LBB138_207
; %bb.204:                              ;   in Loop: Header=BB138_20 Depth=1
	s_and_saveexec_b64 s[12:13], s[2:3]
; %bb.205:                              ;   in Loop: Header=BB138_20 Depth=1
	v_mov_b32_e32 v2, s44
	ds_write_b32 v7, v2 offset:4108
; %bb.206:                              ;   in Loop: Header=BB138_20 Depth=1
	s_or_b64 exec, exec, s[12:13]
	s_waitcnt lgkmcnt(0)
	s_barrier
.LBB138_207:                            ;   in Loop: Header=BB138_20 Depth=1
	s_or_saveexec_b64 s[10:11], s[10:11]
	s_mov_b64 s[12:13], 0
	v_mov_b32_e32 v2, 8
	s_xor_b64 exec, exec, s[10:11]
; %bb.208:                              ;   in Loop: Header=BB138_20 Depth=1
	v_subrev_u32_e32 v12, s44, v12
	v_mov_b32_e32 v2, 0
	s_mov_b64 s[12:13], exec
; %bb.209:                              ;   in Loop: Header=BB138_20 Depth=1
	s_or_b64 exec, exec, s[10:11]
	s_and_b64 s[12:13], s[12:13], exec
	v_mov_b32_e32 v4, v12
.LBB138_210:                            ;   in Loop: Header=BB138_20 Depth=1
	s_or_b64 exec, exec, s[30:31]
	s_mov_b64 s[10:11], -1
                                        ; implicit-def: $sgpr94_sgpr95
                                        ; implicit-def: $sgpr92_sgpr93
	s_and_saveexec_b64 s[90:91], s[12:13]
	s_cbranch_execz .LBB138_249
; %bb.211:                              ;   in Loop: Header=BB138_20 Depth=1
	s_cmp_eq_u32 s33, 1
	s_cselect_b64 s[10:11], -1, 0
	v_cmp_eq_u32_e32 vcc, 1, v4
	s_and_b64 s[30:31], s[10:11], vcc
	s_mov_b64 s[12:13], -1
                                        ; implicit-def: $sgpr94_sgpr95
                                        ; implicit-def: $sgpr92_sgpr93
	s_and_saveexec_b64 s[40:41], s[30:31]
	s_cbranch_execz .LBB138_237
; %bb.212:                              ;   in Loop: Header=BB138_20 Depth=1
	ds_read_b32 v3, v7 offset:4104
	s_waitcnt lgkmcnt(0)
	s_barrier
	v_readfirstlane_b32 s20, v3
	s_and_saveexec_b64 s[10:11], s[24:25]
; %bb.213:                              ;   in Loop: Header=BB138_20 Depth=1
	ds_write_b16 v23, v7
; %bb.214:                              ;   in Loop: Header=BB138_20 Depth=1
	s_or_b64 exec, exec, s[10:11]
	v_or_b32_e32 v38, v38, v1
	v_or_b32_e32 v46, v46, v1
	s_mov_b64 s[92:93], -1
	s_mov_b64 s[94:95], 0
	s_cmp_eq_u32 s20, 0
	s_mov_b64 s[42:43], 0
	s_mov_b64 s[10:11], -1
	s_waitcnt lgkmcnt(0)
	s_barrier
                                        ; implicit-def: $vgpr47
	s_cbranch_scc1 .LBB138_225
; %bb.215:                              ;   in Loop: Header=BB138_20 Depth=1
	s_add_i32 s10, s20, s1
	s_mul_hi_u32 s11, s10, s59
	s_mul_i32 s11, s11, s39
	s_sub_i32 s11, s10, s11
	s_sub_i32 s12, s11, s39
	s_cmp_ge_u32 s11, s39
	s_cselect_b32 s11, s12, s11
	s_sub_i32 s12, s11, s39
	s_cmp_ge_u32 s11, s39
	s_cselect_b32 s11, s12, s11
	s_sub_i32 s21, s10, s11
	v_cmp_gt_u32_e32 vcc, s21, v0
	s_mov_b64 s[10:11], 0
                                        ; implicit-def: $vgpr47
	s_and_saveexec_b64 s[12:13], vcc
	s_cbranch_execz .LBB138_224
; %bb.216:                              ;   in Loop: Header=BB138_20 Depth=1
	v_mov_b32_e32 v3, v22
	v_mov_b32_e32 v6, v0
                                        ; implicit-def: $sgpr14_sgpr15
	s_branch .LBB138_219
.LBB138_217:                            ;   in Loop: Header=BB138_219 Depth=2
	s_or_b64 exec, exec, s[48:49]
	s_waitcnt lgkmcnt(0)
	s_barrier
	ds_read_b32 v12, v7 offset:3072
	s_mov_b64 s[48:49], -1
	s_mov_b64 s[44:45], -1
	s_waitcnt lgkmcnt(0)
	s_barrier
	v_and_b32_e32 v13, 0x7fff, v12
	v_cmp_ne_u32_e32 vcc, 0, v13
	s_cbranch_vccz .LBB138_222
.LBB138_218:                            ;   in Loop: Header=BB138_219 Depth=2
	s_and_b64 s[48:49], exec, s[48:49]
	s_or_b64 s[42:43], s[48:49], s[42:43]
	s_andn2_b64 s[14:15], s[14:15], exec
	s_and_b64 s[44:45], s[44:45], exec
	s_or_b64 s[14:15], s[14:15], s[44:45]
	s_andn2_b64 exec, exec, s[42:43]
	s_cbranch_execz .LBB138_223
.LBB138_219:                            ;   Parent Loop BB138_20 Depth=1
                                        ; =>  This Inner Loop Header: Depth=2
	v_cmp_gt_u32_e32 vcc, s20, v6
	s_and_saveexec_b64 s[48:49], vcc
	s_cbranch_execz .LBB138_217
; %bb.220:                              ;   in Loop: Header=BB138_219 Depth=2
	ds_read_u16 v12, v3
	s_waitcnt lgkmcnt(0)
	v_cmp_lt_i16_e32 vcc, -1, v12
	v_cndmask_b32_e32 v13, v41, v42, vcc
	v_lshlrev_b32_e32 v14, 16, v12
	v_cmp_o_f32_e32 vcc, v14, v14
	v_xor_b32_sdwa v13, v13, v12 dst_sel:DWORD dst_unused:UNUSED_PAD src0_sel:DWORD src1_sel:WORD_0
	v_cndmask_b32_e32 v13, v41, v13, vcc
	v_and_b32_e32 v13, v13, v46
	v_cmp_eq_u32_e32 vcc, v13, v38
	s_and_b64 exec, exec, vcc
	s_cbranch_execz .LBB138_217
; %bb.221:                              ;   in Loop: Header=BB138_219 Depth=2
	v_perm_b32 v12, v12, s51, v44
	ds_write_b32 v7, v12 offset:3072
	s_branch .LBB138_217
.LBB138_222:                            ;   in Loop: Header=BB138_219 Depth=2
	v_add_u32_e32 v6, s39, v6
	v_cmp_le_u32_e32 vcc, s21, v6
	v_add_u32_e32 v3, s63, v3
	s_mov_b64 s[44:45], 0
	s_orn2_b64 s[48:49], vcc, exec
	s_branch .LBB138_218
.LBB138_223:                            ;   in Loop: Header=BB138_20 Depth=1
	s_or_b64 exec, exec, s[42:43]
	v_lshrrev_b32_e32 v47, 16, v12
	s_and_b64 s[42:43], s[14:15], exec
.LBB138_224:                            ;   in Loop: Header=BB138_20 Depth=1
	s_or_b64 exec, exec, s[12:13]
.LBB138_225:                            ;   in Loop: Header=BB138_20 Depth=1
	s_and_b64 vcc, exec, s[10:11]
	s_cbranch_vccz .LBB138_236
; %bb.226:                              ;   in Loop: Header=BB138_20 Depth=1
                                        ; implicit-def: $vgpr47
	s_mov_b64 s[10:11], exec
	v_readlane_b32 s12, v53, 38
	v_readlane_b32 s13, v53, 39
	s_and_b64 s[12:13], s[10:11], s[12:13]
	s_mov_b64 exec, s[12:13]
	s_cbranch_execz .LBB138_235
; %bb.227:                              ;   in Loop: Header=BB138_20 Depth=1
	s_mov_b64 s[12:13], 0
	v_mov_b32_e32 v6, v5
	v_mov_b32_e32 v3, v0
                                        ; implicit-def: $sgpr92_sgpr93
	s_branch .LBB138_230
.LBB138_228:                            ;   in Loop: Header=BB138_230 Depth=2
	s_or_b64 exec, exec, s[14:15]
	s_waitcnt lgkmcnt(0)
	s_barrier
	ds_read_b32 v12, v7 offset:3072
	s_mov_b64 s[14:15], -1
	s_mov_b64 s[44:45], -1
	s_waitcnt lgkmcnt(0)
	s_barrier
	v_and_b32_e32 v13, 0x7fff, v12
	v_cmp_eq_u32_e32 vcc, 0, v13
	s_cbranch_vccnz .LBB138_233
.LBB138_229:                            ;   in Loop: Header=BB138_230 Depth=2
	s_and_b64 s[14:15], exec, s[14:15]
	s_or_b64 s[12:13], s[14:15], s[12:13]
	s_andn2_b64 s[14:15], s[92:93], exec
	s_and_b64 s[20:21], s[44:45], exec
	s_or_b64 s[92:93], s[14:15], s[20:21]
	s_andn2_b64 exec, exec, s[12:13]
	s_cbranch_execz .LBB138_234
.LBB138_230:                            ;   Parent Loop BB138_20 Depth=1
                                        ; =>  This Inner Loop Header: Depth=2
	v_cmp_gt_u32_e32 vcc, s36, v3
	s_and_saveexec_b64 s[14:15], vcc
	s_cbranch_execz .LBB138_228
; %bb.231:                              ;   in Loop: Header=BB138_230 Depth=2
	v_lshlrev_b64 v[12:13], 1, v[6:7]
	v_mov_b32_e32 v14, s37
	v_add_co_u32_e32 v12, vcc, s46, v12
	v_addc_co_u32_e32 v13, vcc, v14, v13, vcc
	global_load_ushort v12, v[12:13], off
	s_waitcnt vmcnt(0)
	v_cmp_lt_i16_e32 vcc, -1, v12
	v_cndmask_b32_e32 v13, v41, v42, vcc
	v_lshlrev_b32_e32 v14, 16, v12
	v_xor_b32_sdwa v13, v13, v12 dst_sel:DWORD dst_unused:UNUSED_PAD src0_sel:DWORD src1_sel:WORD_0
	v_cmp_o_f32_e32 vcc, v14, v14
	v_cndmask_b32_e32 v13, v41, v13, vcc
	v_and_b32_e32 v13, v13, v46
	v_cmp_eq_u32_e32 vcc, v13, v38
	s_and_b64 exec, exec, vcc
	s_cbranch_execz .LBB138_228
; %bb.232:                              ;   in Loop: Header=BB138_230 Depth=2
	v_perm_b32 v12, v12, s51, v44
	ds_write_b32 v7, v12 offset:3072
	s_branch .LBB138_228
.LBB138_233:                            ;   in Loop: Header=BB138_230 Depth=2
	v_add_u32_e32 v3, s39, v3
	v_cmp_le_u32_e32 vcc, s60, v3
	v_add_u32_e32 v6, s47, v6
	s_mov_b64 s[44:45], 0
	s_orn2_b64 s[14:15], vcc, exec
	s_branch .LBB138_229
.LBB138_234:                            ;   in Loop: Header=BB138_20 Depth=1
	s_or_b64 exec, exec, s[12:13]
	s_andn2_b64 s[12:13], s[42:43], exec
	s_and_b64 s[14:15], s[92:93], exec
	v_lshrrev_b32_e32 v47, 16, v12
	s_or_b64 s[42:43], s[12:13], s[14:15]
.LBB138_235:                            ;   in Loop: Header=BB138_20 Depth=1
	s_or_b64 exec, exec, s[10:11]
	s_mov_b64 s[92:93], 0
	s_mov_b64 s[94:95], -1
.LBB138_236:                            ;   in Loop: Header=BB138_20 Depth=1
	s_orn2_b64 s[12:13], s[42:43], exec
.LBB138_237:                            ;   in Loop: Header=BB138_20 Depth=1
	s_or_b64 exec, exec, s[40:41]
	s_mov_b64 s[14:15], 0
	s_and_saveexec_b64 s[10:11], s[12:13]
	s_cbranch_execz .LBB138_248
; %bb.238:                              ;   in Loop: Header=BB138_20 Depth=1
	s_xor_b64 s[14:15], s[30:31], -1
	v_mov_b32_e32 v2, 1
	v_mov_b32_e32 v3, 1
	s_and_saveexec_b64 s[12:13], s[14:15]
	s_cbranch_execz .LBB138_247
; %bb.239:                              ;   in Loop: Header=BB138_20 Depth=1
	v_cmp_ge_u32_e32 vcc, s33, v4
	s_and_saveexec_b64 s[14:15], vcc
	s_xor_b64 s[14:15], exec, s[14:15]
	s_cbranch_execz .LBB138_244
; %bb.240:                              ;   in Loop: Header=BB138_20 Depth=1
	v_or_b32_e32 v38, v38, v1
	v_or_b32_e32 v46, v46, v1
	ds_read_b32 v1, v7 offset:4104
	s_waitcnt lgkmcnt(0)
	v_cmp_ne_u32_e32 vcc, 0, v1
	s_cbranch_vccnz .LBB138_244
; %bb.241:                              ;   in Loop: Header=BB138_20 Depth=1
	s_and_saveexec_b64 s[30:31], s[2:3]
; %bb.242:                              ;   in Loop: Header=BB138_20 Depth=1
	v_mov_b32_e32 v1, s33
	ds_write_b32 v7, v1 offset:4108
; %bb.243:                              ;   in Loop: Header=BB138_20 Depth=1
	s_or_b64 exec, exec, s[30:31]
	s_waitcnt lgkmcnt(0)
	s_barrier
.LBB138_244:                            ;   in Loop: Header=BB138_20 Depth=1
	s_andn2_saveexec_b64 s[14:15], s[14:15]
; %bb.245:                              ;   in Loop: Header=BB138_20 Depth=1
	v_subrev_u32_e32 v4, s33, v4
; %bb.246:                              ;   in Loop: Header=BB138_20 Depth=1
	s_or_b64 exec, exec, s[14:15]
	v_mov_b32_e32 v2, 8
	v_mov_b32_e32 v3, v4
.LBB138_247:                            ;   in Loop: Header=BB138_20 Depth=1
	s_or_b64 exec, exec, s[12:13]
	s_mov_b64 s[14:15], exec
	v_mov_b32_e32 v4, v3
.LBB138_248:                            ;   in Loop: Header=BB138_20 Depth=1
	s_or_b64 exec, exec, s[10:11]
	s_orn2_b64 s[10:11], s[14:15], exec
.LBB138_249:                            ;   in Loop: Header=BB138_20 Depth=1
	s_or_b64 exec, exec, s[90:91]
	s_andn2_b64 s[12:13], s[86:87], exec
	s_and_b64 s[14:15], s[94:95], exec
	s_or_b64 s[86:87], s[12:13], s[14:15]
	s_andn2_b64 s[12:13], s[84:85], exec
	s_and_b64 s[14:15], s[92:93], exec
	s_or_b64 s[84:85], s[12:13], s[14:15]
	s_and_b64 s[12:13], s[10:11], exec
	v_mov_b32_e32 v12, v4
.LBB138_250:                            ;   in Loop: Header=BB138_20 Depth=1
	s_or_b64 exec, exec, s[88:89]
	s_orn2_b64 s[10:11], s[12:13], exec
.LBB138_251:                            ;   in Loop: Header=BB138_20 Depth=1
	s_or_b64 exec, exec, s[82:83]
	s_andn2_b64 s[12:13], s[78:79], exec
	s_and_b64 s[14:15], s[86:87], exec
	s_or_b64 s[78:79], s[12:13], s[14:15]
	s_andn2_b64 s[12:13], s[28:29], exec
	s_and_b64 s[14:15], s[84:85], exec
	s_or_b64 s[28:29], s[12:13], s[14:15]
	s_and_b64 s[12:13], s[10:11], exec
	v_mov_b32_e32 v4, v12
.LBB138_252:                            ;   in Loop: Header=BB138_20 Depth=1
	s_or_b64 exec, exec, s[80:81]
	s_orn2_b64 s[10:11], s[12:13], exec
.LBB138_253:                            ;   in Loop: Header=BB138_20 Depth=1
	s_or_b64 exec, exec, s[26:27]
	s_mov_b64 s[12:13], 0
                                        ; implicit-def: $sgpr20
	s_and_saveexec_b64 s[14:15], s[10:11]
	s_xor_b64 s[10:11], exec, s[14:15]
	s_cbranch_execz .LBB138_18
; %bb.254:                              ;   in Loop: Header=BB138_20 Depth=1
	v_and_b32_e32 v1, 7, v2
	v_cmp_eq_u32_e32 vcc, 0, v1
	s_mov_b64 s[14:15], -1
	s_mov_b64 s[12:13], -1
                                        ; implicit-def: $sgpr20
	s_and_saveexec_b64 s[22:23], vcc
	s_cbranch_execz .LBB138_17
; %bb.255:                              ;   in Loop: Header=BB138_20 Depth=1
	v_add_u32_e32 v1, -2, v45
	v_cmp_eq_u32_e32 vcc, 0, v45
	s_xor_b32 s20, s35, 1
	s_xor_b64 s[12:13], exec, -1
	s_orn2_b64 s[14:15], vcc, exec
	v_mov_b32_e32 v45, v1
	s_branch .LBB138_17
.LBB138_256:
	s_or_b64 exec, exec, s[64:65]
	s_xor_b64 s[8:9], s[70:71], -1
	s_xor_b64 s[0:1], s[66:67], -1
	;; [unrolled: 1-line block ×3, first 2 shown]
	s_mov_b64 s[4:5], 0
	s_and_saveexec_b64 s[2:3], s[0:1]
	s_xor_b64 s[2:3], exec, s[2:3]
	s_cbranch_execnz .LBB138_261
; %bb.257:
	s_andn2_saveexec_b64 s[0:1], s[2:3]
	s_cbranch_execnz .LBB138_274
.LBB138_258:
	s_or_b64 exec, exec, s[0:1]
	s_and_saveexec_b64 s[0:1], s[4:5]
.LBB138_259:
	; divergent unreachable
.LBB138_260:
	s_endpgm
.LBB138_261:
	s_and_saveexec_b64 s[0:1], s[8:9]
	s_xor_b64 s[4:5], exec, s[0:1]
	s_cbranch_execz .LBB138_272
; %bb.262:
	s_and_saveexec_b64 s[0:1], s[6:7]
	s_xor_b64 s[6:7], exec, s[0:1]
; %bb.263:
	v_and_b32_e32 v1, 0x8000, v38
	v_mov_b32_e32 v2, 0x8000
	v_mov_b32_e32 v3, 0xffff
	v_cmp_eq_u32_e32 vcc, 0, v1
	v_cndmask_b32_e32 v1, v2, v3, vcc
	v_xor_b32_e32 v47, v1, v38
; %bb.264:
	s_or_b64 exec, exec, s[6:7]
	v_readlane_b32 s8, v53, 12
	v_readlane_b32 s9, v53, 13
	;; [unrolled: 1-line block ×3, first 2 shown]
	s_mul_i32 s0, s10, s9
	v_readlane_b32 s1, v53, 20
	v_readlane_b32 s9, v53, 15
	s_sub_i32 s0, s1, s0
	s_mul_i32 s1, s9, s8
	s_sub_i32 s1, s10, s1
	s_add_i32 s6, s9, 1
	s_sub_i32 s7, s1, s8
	s_cmp_ge_u32 s1, s8
	s_cselect_b32 s6, s6, s9
	s_cselect_b32 s1, s7, s1
	s_add_i32 s7, s6, 1
	s_cmp_ge_u32 s1, s8
	s_cselect_b32 s1, s7, s6
	v_readlane_b32 s12, v53, 8
	s_mul_i32 s6, s1, s8
	v_readlane_b32 s13, v53, 9
	v_readlane_b32 s14, v53, 10
	s_sub_i32 s6, s10, s6
	s_mul_i32 s0, s0, s14
	s_mul_i32 s6, s6, s13
	s_add_i32 s0, s6, s0
	s_mul_i32 s1, s1, s12
	s_add_i32 s0, s0, s1
	s_mov_b32 s1, 0
	s_lshl_b64 s[0:1], s[0:1], 1
	v_readlane_b32 s6, v53, 0
	v_readlane_b32 s7, v53, 1
	s_add_u32 s0, s6, s0
	s_addc_u32 s1, s7, s1
	v_mov_b32_e32 v6, 0
	v_readlane_b32 s15, v53, 11
	global_store_short v6, v47, s[0:1]
	s_mov_b64 s[6:7], exec
	v_readlane_b32 s0, v53, 21
	v_readlane_b32 s1, v53, 22
	s_and_b64 s[0:1], s[6:7], s[0:1]
	s_mov_b64 exec, s[0:1]
	s_cbranch_execz .LBB138_271
; %bb.265:
	v_lshlrev_b32_e32 v2, 16, v47
	v_cmp_u_f32_e32 vcc, v2, v2
	s_mov_b64 s[8:9], 0
	v_mov_b32_e32 v3, s37
	s_xor_b64 s[12:13], vcc, -1
                                        ; implicit-def: $sgpr10_sgpr11
                                        ; implicit-def: $sgpr16_sgpr17
                                        ; implicit-def: $sgpr14_sgpr15
	s_branch .LBB138_267
.LBB138_266:                            ;   in Loop: Header=BB138_267 Depth=1
	s_or_b64 exec, exec, s[0:1]
	s_and_b64 s[0:1], exec, s[16:17]
	s_or_b64 s[8:9], s[0:1], s[8:9]
	s_andn2_b64 s[0:1], s[10:11], exec
	s_and_b64 s[10:11], s[14:15], exec
	s_or_b64 s[10:11], s[0:1], s[10:11]
	s_andn2_b64 exec, exec, s[8:9]
	s_cbranch_execz .LBB138_269
.LBB138_267:                            ; =>This Inner Loop Header: Depth=1
	v_lshlrev_b64 v[7:8], 1, v[5:6]
	v_mov_b32_e32 v1, v0
	v_add_co_u32_e32 v7, vcc, s46, v7
	v_addc_co_u32_e32 v8, vcc, v3, v8, vcc
	global_load_ushort v4, v[7:8], off
	s_or_b64 s[14:15], s[14:15], exec
	s_or_b64 s[16:17], s[16:17], exec
	s_waitcnt vmcnt(0)
	v_lshlrev_b32_e32 v0, 16, v4
	v_cmp_o_f32_e64 s[0:1], v0, v0
	v_cmp_neq_f32_e32 vcc, v0, v2
	s_or_b64 s[0:1], s[12:13], s[0:1]
	s_and_b64 s[18:19], vcc, s[0:1]
                                        ; implicit-def: $vgpr0
	s_and_saveexec_b64 s[0:1], s[18:19]
	s_cbranch_execz .LBB138_266
; %bb.268:                              ;   in Loop: Header=BB138_267 Depth=1
	v_add_u32_e32 v0, s39, v1
	v_cmp_le_u32_e32 vcc, s36, v0
	s_andn2_b64 s[16:17], s[16:17], exec
	s_and_b64 s[18:19], vcc, exec
	v_add_u32_e32 v5, s47, v5
	s_andn2_b64 s[14:15], s[14:15], exec
	s_or_b64 s[16:17], s[16:17], s[18:19]
	s_branch .LBB138_266
.LBB138_269:
	s_or_b64 exec, exec, s[8:9]
	s_and_saveexec_b64 s[0:1], s[10:11]
	s_xor_b64 s[0:1], exec, s[0:1]
	s_cbranch_execz .LBB138_271
; %bb.270:
	v_readlane_b32 s8, v53, 2
	v_readlane_b32 s16, v53, 16
	;; [unrolled: 1-line block ×6, first 2 shown]
	s_mov_b32 s14, s10
	s_mul_i32 s0, s15, s17
	v_readlane_b32 s1, v53, 20
	s_mov_b64 s[12:13], s[8:9]
	v_readlane_b32 s10, v53, 19
	s_sub_i32 s0, s1, s0
	s_mul_i32 s1, s10, s16
	s_sub_i32 s1, s15, s1
	s_add_i32 s8, s10, 1
	s_sub_i32 s9, s1, s16
	s_cmp_ge_u32 s1, s16
	s_cselect_b32 s8, s8, s10
	s_cselect_b32 s1, s9, s1
	s_add_i32 s9, s8, 1
	s_cmp_ge_u32 s1, s16
	s_cselect_b32 s1, s9, s8
	s_mul_i32 s8, s1, s16
	s_sub_i32 s8, s15, s8
	s_mul_i32 s0, s0, s14
	s_mul_i32 s8, s8, s13
	s_add_i32 s0, s8, s0
	s_mul_i32 s1, s1, s12
	s_add_i32 s0, s0, s1
	s_mov_b32 s1, 0
	s_lshl_b64 s[0:1], s[0:1], 3
	v_readlane_b32 s8, v53, 6
	v_readlane_b32 s9, v53, 7
	s_add_u32 s0, s8, s0
	s_addc_u32 s1, s9, s1
	v_mov_b32_e32 v2, 0
	v_readlane_b32 s11, v53, 5
	global_store_dwordx2 v2, v[1:2], s[0:1]
.LBB138_271:
	s_or_b64 exec, exec, s[6:7]
.LBB138_272:
	s_or_saveexec_b64 s[0:1], s[4:5]
	s_mov_b64 s[4:5], 0
	s_xor_b64 exec, exec, s[0:1]
	s_cbranch_execnz .LBB138_275
.LBB138_273:
	s_or_b64 exec, exec, s[0:1]
	s_and_b64 s[4:5], s[4:5], exec
	s_andn2_saveexec_b64 s[0:1], s[2:3]
	s_cbranch_execz .LBB138_258
.LBB138_274:
	s_or_b64 s[4:5], s[4:5], exec
	s_trap 2
	s_or_b64 exec, exec, s[0:1]
	s_and_saveexec_b64 s[0:1], s[4:5]
	s_cbranch_execnz .LBB138_259
	s_branch .LBB138_260
.LBB138_275:
	s_mov_b64 s[4:5], exec
	s_trap 2
	s_branch .LBB138_273
	.section	.rodata,"a",@progbits
	.p2align	6, 0x0
	.amdhsa_kernel _ZN2at6native12_GLOBAL__N_112gatherMedianIN3c108BFloat16EjLi3EEEvNS_4cuda6detail10TensorInfoIT_T0_EENS7_IlS9_EENS7_IKS8_S9_EES9_S9_S9_b
		.amdhsa_group_segment_fixed_size 4120
		.amdhsa_private_segment_fixed_size 0
		.amdhsa_kernarg_size 920
		.amdhsa_user_sgpr_count 6
		.amdhsa_user_sgpr_private_segment_buffer 1
		.amdhsa_user_sgpr_dispatch_ptr 0
		.amdhsa_user_sgpr_queue_ptr 0
		.amdhsa_user_sgpr_kernarg_segment_ptr 1
		.amdhsa_user_sgpr_dispatch_id 0
		.amdhsa_user_sgpr_flat_scratch_init 0
		.amdhsa_user_sgpr_private_segment_size 0
		.amdhsa_uses_dynamic_stack 0
		.amdhsa_system_sgpr_private_segment_wavefront_offset 0
		.amdhsa_system_sgpr_workgroup_id_x 1
		.amdhsa_system_sgpr_workgroup_id_y 1
		.amdhsa_system_sgpr_workgroup_id_z 1
		.amdhsa_system_sgpr_workgroup_info 0
		.amdhsa_system_vgpr_workitem_id 0
		.amdhsa_next_free_vgpr 54
		.amdhsa_next_free_sgpr 96
		.amdhsa_reserve_vcc 1
		.amdhsa_reserve_flat_scratch 0
		.amdhsa_float_round_mode_32 0
		.amdhsa_float_round_mode_16_64 0
		.amdhsa_float_denorm_mode_32 3
		.amdhsa_float_denorm_mode_16_64 3
		.amdhsa_dx10_clamp 1
		.amdhsa_ieee_mode 1
		.amdhsa_fp16_overflow 0
		.amdhsa_exception_fp_ieee_invalid_op 0
		.amdhsa_exception_fp_denorm_src 0
		.amdhsa_exception_fp_ieee_div_zero 0
		.amdhsa_exception_fp_ieee_overflow 0
		.amdhsa_exception_fp_ieee_underflow 0
		.amdhsa_exception_fp_ieee_inexact 0
		.amdhsa_exception_int_div_zero 0
	.end_amdhsa_kernel
	.section	.text._ZN2at6native12_GLOBAL__N_112gatherMedianIN3c108BFloat16EjLi3EEEvNS_4cuda6detail10TensorInfoIT_T0_EENS7_IlS9_EENS7_IKS8_S9_EES9_S9_S9_b,"axG",@progbits,_ZN2at6native12_GLOBAL__N_112gatherMedianIN3c108BFloat16EjLi3EEEvNS_4cuda6detail10TensorInfoIT_T0_EENS7_IlS9_EENS7_IKS8_S9_EES9_S9_S9_b,comdat
.Lfunc_end138:
	.size	_ZN2at6native12_GLOBAL__N_112gatherMedianIN3c108BFloat16EjLi3EEEvNS_4cuda6detail10TensorInfoIT_T0_EENS7_IlS9_EENS7_IKS8_S9_EES9_S9_S9_b, .Lfunc_end138-_ZN2at6native12_GLOBAL__N_112gatherMedianIN3c108BFloat16EjLi3EEEvNS_4cuda6detail10TensorInfoIT_T0_EENS7_IlS9_EENS7_IKS8_S9_EES9_S9_S9_b
                                        ; -- End function
	.set _ZN2at6native12_GLOBAL__N_112gatherMedianIN3c108BFloat16EjLi3EEEvNS_4cuda6detail10TensorInfoIT_T0_EENS7_IlS9_EENS7_IKS8_S9_EES9_S9_S9_b.num_vgpr, 54
	.set _ZN2at6native12_GLOBAL__N_112gatherMedianIN3c108BFloat16EjLi3EEEvNS_4cuda6detail10TensorInfoIT_T0_EENS7_IlS9_EENS7_IKS8_S9_EES9_S9_S9_b.num_agpr, 0
	.set _ZN2at6native12_GLOBAL__N_112gatherMedianIN3c108BFloat16EjLi3EEEvNS_4cuda6detail10TensorInfoIT_T0_EENS7_IlS9_EENS7_IKS8_S9_EES9_S9_S9_b.numbered_sgpr, 96
	.set _ZN2at6native12_GLOBAL__N_112gatherMedianIN3c108BFloat16EjLi3EEEvNS_4cuda6detail10TensorInfoIT_T0_EENS7_IlS9_EENS7_IKS8_S9_EES9_S9_S9_b.num_named_barrier, 0
	.set _ZN2at6native12_GLOBAL__N_112gatherMedianIN3c108BFloat16EjLi3EEEvNS_4cuda6detail10TensorInfoIT_T0_EENS7_IlS9_EENS7_IKS8_S9_EES9_S9_S9_b.private_seg_size, 0
	.set _ZN2at6native12_GLOBAL__N_112gatherMedianIN3c108BFloat16EjLi3EEEvNS_4cuda6detail10TensorInfoIT_T0_EENS7_IlS9_EENS7_IKS8_S9_EES9_S9_S9_b.uses_vcc, 1
	.set _ZN2at6native12_GLOBAL__N_112gatherMedianIN3c108BFloat16EjLi3EEEvNS_4cuda6detail10TensorInfoIT_T0_EENS7_IlS9_EENS7_IKS8_S9_EES9_S9_S9_b.uses_flat_scratch, 0
	.set _ZN2at6native12_GLOBAL__N_112gatherMedianIN3c108BFloat16EjLi3EEEvNS_4cuda6detail10TensorInfoIT_T0_EENS7_IlS9_EENS7_IKS8_S9_EES9_S9_S9_b.has_dyn_sized_stack, 0
	.set _ZN2at6native12_GLOBAL__N_112gatherMedianIN3c108BFloat16EjLi3EEEvNS_4cuda6detail10TensorInfoIT_T0_EENS7_IlS9_EENS7_IKS8_S9_EES9_S9_S9_b.has_recursion, 0
	.set _ZN2at6native12_GLOBAL__N_112gatherMedianIN3c108BFloat16EjLi3EEEvNS_4cuda6detail10TensorInfoIT_T0_EENS7_IlS9_EENS7_IKS8_S9_EES9_S9_S9_b.has_indirect_call, 0
	.section	.AMDGPU.csdata,"",@progbits
; Kernel info:
; codeLenInByte = 11812
; TotalNumSgprs: 100
; NumVgprs: 54
; ScratchSize: 0
; MemoryBound: 0
; FloatMode: 240
; IeeeMode: 1
; LDSByteSize: 4120 bytes/workgroup (compile time only)
; SGPRBlocks: 12
; VGPRBlocks: 13
; NumSGPRsForWavesPerEU: 100
; NumVGPRsForWavesPerEU: 54
; Occupancy: 4
; WaveLimiterHint : 1
; COMPUTE_PGM_RSRC2:SCRATCH_EN: 0
; COMPUTE_PGM_RSRC2:USER_SGPR: 6
; COMPUTE_PGM_RSRC2:TRAP_HANDLER: 0
; COMPUTE_PGM_RSRC2:TGID_X_EN: 1
; COMPUTE_PGM_RSRC2:TGID_Y_EN: 1
; COMPUTE_PGM_RSRC2:TGID_Z_EN: 1
; COMPUTE_PGM_RSRC2:TIDIG_COMP_CNT: 0
	.section	.text._ZN2at6native12_GLOBAL__N_112gatherMedianIN3c108BFloat16EjLin1EEEvNS_4cuda6detail10TensorInfoIT_T0_EENS7_IlS9_EENS7_IKS8_S9_EES9_S9_S9_b,"axG",@progbits,_ZN2at6native12_GLOBAL__N_112gatherMedianIN3c108BFloat16EjLin1EEEvNS_4cuda6detail10TensorInfoIT_T0_EENS7_IlS9_EENS7_IKS8_S9_EES9_S9_S9_b,comdat
	.globl	_ZN2at6native12_GLOBAL__N_112gatherMedianIN3c108BFloat16EjLin1EEEvNS_4cuda6detail10TensorInfoIT_T0_EENS7_IlS9_EENS7_IKS8_S9_EES9_S9_S9_b ; -- Begin function _ZN2at6native12_GLOBAL__N_112gatherMedianIN3c108BFloat16EjLin1EEEvNS_4cuda6detail10TensorInfoIT_T0_EENS7_IlS9_EENS7_IKS8_S9_EES9_S9_S9_b
	.p2align	8
	.type	_ZN2at6native12_GLOBAL__N_112gatherMedianIN3c108BFloat16EjLin1EEEvNS_4cuda6detail10TensorInfoIT_T0_EENS7_IlS9_EENS7_IKS8_S9_EES9_S9_S9_b,@function
_ZN2at6native12_GLOBAL__N_112gatherMedianIN3c108BFloat16EjLin1EEEvNS_4cuda6detail10TensorInfoIT_T0_EENS7_IlS9_EENS7_IKS8_S9_EES9_S9_S9_b: ; @_ZN2at6native12_GLOBAL__N_112gatherMedianIN3c108BFloat16EjLin1EEEvNS_4cuda6detail10TensorInfoIT_T0_EENS7_IlS9_EENS7_IKS8_S9_EES9_S9_S9_b
; %bb.0:
	s_load_dwordx2 s[12:13], s[4:5], 0x298
	s_load_dwordx4 s[36:39], s[4:5], 0x288
	s_add_u32 s10, s4, 0x298
	s_addc_u32 s11, s5, 0
	s_waitcnt lgkmcnt(0)
	s_mul_i32 s0, s13, s8
	s_add_i32 s0, s0, s7
	s_mul_i32 s0, s0, s12
	s_add_i32 s7, s0, s6
	s_cmp_ge_u32 s7, s37
	s_cbranch_scc1 .LBB139_269
; %bb.1:
	s_load_dword s0, s[4:5], 0xd0
	s_mov_b32 s35, 0
	s_mov_b32 s33, s7
	s_waitcnt lgkmcnt(0)
	s_cmp_lt_i32 s0, 2
	s_cbranch_scc1 .LBB139_4
; %bb.2:
	s_add_i32 s34, s0, -1
	s_add_i32 s2, s0, 1
	s_lshl_b64 s[0:1], s[34:35], 2
	s_add_u32 s0, s4, s0
	s_addc_u32 s1, s5, s1
	s_add_u32 s0, s0, 8
	s_addc_u32 s1, s1, 0
	s_mov_b32 s33, s7
.LBB139_3:                              ; =>This Inner Loop Header: Depth=1
	s_load_dword s3, s[0:1], 0x0
	s_load_dword s9, s[0:1], 0x64
	s_mov_b32 s8, s33
	s_waitcnt lgkmcnt(0)
	v_cvt_f32_u32_e32 v1, s3
	s_sub_i32 s13, 0, s3
	v_rcp_iflag_f32_e32 v1, v1
	v_mul_f32_e32 v1, 0x4f7ffffe, v1
	v_cvt_u32_f32_e32 v1, v1
	v_readfirstlane_b32 s14, v1
	s_mul_i32 s13, s13, s14
	s_mul_hi_u32 s13, s14, s13
	s_add_i32 s14, s14, s13
	s_mul_hi_u32 s13, s33, s14
	s_mul_i32 s14, s13, s3
	s_sub_i32 s14, s33, s14
	s_add_i32 s15, s13, 1
	s_sub_i32 s16, s14, s3
	s_cmp_ge_u32 s14, s3
	s_cselect_b32 s13, s15, s13
	s_cselect_b32 s14, s16, s14
	s_add_i32 s15, s13, 1
	s_cmp_ge_u32 s14, s3
	s_cselect_b32 s33, s15, s13
	s_mul_i32 s3, s33, s3
	s_sub_i32 s3, s8, s3
	s_mul_i32 s3, s9, s3
	s_add_i32 s2, s2, -1
	s_add_i32 s35, s3, s35
	s_add_u32 s0, s0, -4
	s_addc_u32 s1, s1, -1
	s_cmp_gt_u32 s2, 2
	s_cbranch_scc1 .LBB139_3
.LBB139_4:
	s_load_dword s2, s[4:5], 0x1a8
	s_add_u32 s0, s4, 0xd8
	s_addc_u32 s1, s5, 0
	s_mov_b32 s41, 0
	s_mov_b32 s34, s7
	s_waitcnt lgkmcnt(0)
	s_cmp_lt_i32 s2, 2
	s_cbranch_scc1 .LBB139_7
; %bb.5:
	s_add_i32 s40, s2, -1
	s_add_i32 s8, s2, 1
	s_lshl_b64 s[2:3], s[40:41], 2
	s_add_u32 s2, s0, s2
	s_addc_u32 s3, s1, s3
	s_add_u32 s2, s2, 8
	s_addc_u32 s3, s3, 0
	s_mov_b32 s34, s7
.LBB139_6:                              ; =>This Inner Loop Header: Depth=1
	s_load_dword s9, s[2:3], 0x0
	s_load_dword s14, s[2:3], 0x64
	s_mov_b32 s13, s34
	s_waitcnt lgkmcnt(0)
	v_cvt_f32_u32_e32 v1, s9
	s_sub_i32 s15, 0, s9
	v_rcp_iflag_f32_e32 v1, v1
	v_mul_f32_e32 v1, 0x4f7ffffe, v1
	v_cvt_u32_f32_e32 v1, v1
	v_readfirstlane_b32 s16, v1
	s_mul_i32 s15, s15, s16
	s_mul_hi_u32 s15, s16, s15
	s_add_i32 s16, s16, s15
	s_mul_hi_u32 s15, s34, s16
	s_mul_i32 s16, s15, s9
	s_sub_i32 s16, s34, s16
	s_add_i32 s17, s15, 1
	s_sub_i32 s18, s16, s9
	s_cmp_ge_u32 s16, s9
	s_cselect_b32 s15, s17, s15
	s_cselect_b32 s16, s18, s16
	s_add_i32 s17, s15, 1
	s_cmp_ge_u32 s16, s9
	s_cselect_b32 s34, s17, s15
	s_mul_i32 s9, s34, s9
	s_sub_i32 s9, s13, s9
	s_mul_i32 s9, s14, s9
	s_add_i32 s8, s8, -1
	s_add_i32 s41, s9, s41
	s_add_u32 s2, s2, -4
	s_addc_u32 s3, s3, -1
	s_cmp_gt_u32 s8, 2
	s_cbranch_scc1 .LBB139_6
.LBB139_7:
	s_load_dword s2, s[4:5], 0x6c
                                        ; implicit-def: $vgpr53 : SGPR spill to VGPR lane
	s_add_u32 s8, s4, 0x1b0
	s_addc_u32 s9, s5, 0
	s_mov_b32 s3, 0
	s_waitcnt lgkmcnt(0)
	v_writelane_b32 v53, s2, 0
	s_load_dword s2, s[4:5], 0x280
	s_waitcnt lgkmcnt(0)
	s_cmp_lt_i32 s2, 2
	s_cbranch_scc1 .LBB139_10
; %bb.8:
	s_add_i32 s13, s2, 1
	s_add_i32 s2, s2, -1
	s_lshl_b64 s[14:15], s[2:3], 2
	s_add_u32 s2, s8, s14
	s_addc_u32 s9, s9, s15
	s_add_u32 s8, s2, 8
	s_addc_u32 s9, s9, 0
.LBB139_9:                              ; =>This Inner Loop Header: Depth=1
	s_load_dword s2, s[8:9], 0x0
	s_load_dword s15, s[8:9], 0x64
	s_mov_b32 s14, s7
	s_waitcnt lgkmcnt(0)
	v_cvt_f32_u32_e32 v1, s2
	s_sub_i32 s7, 0, s2
	v_rcp_iflag_f32_e32 v1, v1
	v_mul_f32_e32 v1, 0x4f7ffffe, v1
	v_cvt_u32_f32_e32 v1, v1
	v_readfirstlane_b32 s16, v1
	s_mul_i32 s7, s7, s16
	s_mul_hi_u32 s7, s16, s7
	s_add_i32 s16, s16, s7
	s_mul_hi_u32 s7, s14, s16
	s_mul_i32 s16, s7, s2
	s_sub_i32 s16, s14, s16
	s_add_i32 s17, s7, 1
	s_sub_i32 s18, s16, s2
	s_cmp_ge_u32 s16, s2
	s_cselect_b32 s7, s17, s7
	s_cselect_b32 s16, s18, s16
	s_add_i32 s17, s7, 1
	s_cmp_ge_u32 s16, s2
	s_cselect_b32 s7, s17, s7
	s_mul_i32 s2, s7, s2
	s_sub_i32 s2, s14, s2
	s_mul_i32 s2, s15, s2
	s_add_i32 s13, s13, -1
	s_add_i32 s3, s2, s3
	s_add_u32 s8, s8, -4
	s_addc_u32 s9, s9, -1
	s_cmp_gt_u32 s13, 2
	s_cbranch_scc1 .LBB139_9
.LBB139_10:
	s_load_dword s0, s[0:1], 0x6c
                                        ; kill: killed $sgpr4 killed $sgpr5
	v_mov_b32_e32 v3, 0
	s_waitcnt lgkmcnt(0)
	v_writelane_b32 v53, s0, 1
	s_load_dword s2, s[4:5], 0x21c
	s_load_dwordx2 s[0:1], s[4:5], 0x0
	s_waitcnt lgkmcnt(0)
	s_mul_i32 s2, s2, s7
	v_writelane_b32 v53, s0, 2
	v_writelane_b32 v53, s1, 3
	s_load_dwordx2 s[0:1], s[4:5], 0xd8
	s_waitcnt lgkmcnt(0)
	v_writelane_b32 v53, s0, 4
	v_writelane_b32 v53, s1, 5
	s_load_dwordx2 s[0:1], s[4:5], 0x1b0
	s_mov_b32 s5, 0
	s_add_i32 s4, s2, s3
	s_lshl_b64 s[2:3], s[4:5], 1
	s_waitcnt lgkmcnt(0)
	s_add_u32 s37, s0, s2
	s_addc_u32 s40, s1, s3
	v_cmp_gt_u32_e64 s[0:1], s36, v0
	s_mov_b64 s[2:3], exec
	v_writelane_b32 v53, s0, 6
	v_writelane_b32 v53, s1, 7
	s_and_b64 s[0:1], s[2:3], s[0:1]
	s_mov_b64 exec, s[0:1]
	s_cbranch_execz .LBB139_14
; %bb.11:
	s_load_dword s0, s[10:11], 0xc
	v_mul_lo_u32 v1, v0, s38
	v_mov_b32_e32 v2, 0
	s_mov_b64 s[4:5], 0
	v_mov_b32_e32 v4, s40
	s_waitcnt lgkmcnt(0)
	s_and_b32 s0, s0, 0xffff
	s_mul_i32 s1, s38, s0
	v_mov_b32_e32 v3, v2
	v_mov_b32_e32 v5, v0
.LBB139_12:                             ; =>This Inner Loop Header: Depth=1
	v_lshlrev_b64 v[6:7], 1, v[1:2]
	v_add_u32_e32 v5, s0, v5
	v_add_co_u32_e32 v6, vcc, s37, v6
	v_addc_co_u32_e32 v7, vcc, v4, v7, vcc
	global_load_ushort v6, v[6:7], off
	v_cmp_le_u32_e32 vcc, s36, v5
	s_or_b64 s[4:5], vcc, s[4:5]
	v_add_u32_e32 v1, s1, v1
	s_waitcnt vmcnt(0)
	v_lshlrev_b32_e32 v6, 16, v6
	v_cmp_u_f32_e32 vcc, v6, v6
	v_addc_co_u32_e32 v3, vcc, 0, v3, vcc
	s_andn2_b64 exec, exec, s[4:5]
	s_cbranch_execnz .LBB139_12
; %bb.13:
	s_or_b64 exec, exec, s[4:5]
.LBB139_14:
	s_or_b64 exec, exec, s[2:3]
	v_cmp_eq_u32_e64 s[0:1], 0, v0
	s_mov_b64 s[4:5], exec
	v_writelane_b32 v53, s0, 8
	v_writelane_b32 v53, s1, 9
	s_and_b64 s[0:1], s[4:5], s[0:1]
	s_mov_b64 exec, s[0:1]
; %bb.15:
	v_mov_b32_e32 v1, 0
	v_mov_b32_e32 v2, v1
	ds_write_b64 v1, v[1:2] offset:4096
; %bb.16:
	s_or_b64 exec, exec, s[4:5]
	v_cmp_ne_u32_e32 vcc, 0, v3
	s_waitcnt lgkmcnt(0)
	s_barrier
	s_and_saveexec_b64 s[4:5], vcc
	s_cbranch_execz .LBB139_21
; %bb.17:
	s_mov_b64 s[14:15], exec
	v_mov_b32_e32 v1, 0
	s_mov_b64 s[8:9], 0
.LBB139_18:                             ; =>This Inner Loop Header: Depth=1
	s_ff1_i32_b64 s0, s[14:15]
	v_readlane_b32 s2, v3, s0
	v_readlane_b32 s1, v1, s0
	s_add_u32 s8, s8, s2
	s_addc_u32 s9, s9, s1
	s_lshl_b64 s[0:1], 1, s0
	s_andn2_b64 s[14:15], s[14:15], s[0:1]
	s_cmp_lg_u64 s[14:15], 0
	s_cbranch_scc1 .LBB139_18
; %bb.19:
	v_mbcnt_lo_u32_b32 v1, exec_lo, 0
	v_mbcnt_hi_u32_b32 v1, exec_hi, v1
	v_cmp_eq_u32_e32 vcc, 0, v1
	s_and_saveexec_b64 s[0:1], vcc
	s_xor_b64 s[0:1], exec, s[0:1]
; %bb.20:
	v_mov_b32_e32 v1, s8
	v_mov_b32_e32 v3, 0
	;; [unrolled: 1-line block ×3, first 2 shown]
	ds_add_u64 v3, v[1:2] offset:4096
.LBB139_21:
	s_or_b64 exec, exec, s[4:5]
	v_mov_b32_e32 v1, 0
	s_waitcnt lgkmcnt(0)
	s_barrier
	ds_read_b64 v[1:2], v1 offset:4096
	s_bitcmp1_b32 s39, 0
	s_cselect_b64 s[2:3], -1, 0
	s_mov_b32 s7, s36
	s_waitcnt lgkmcnt(0)
	v_readfirstlane_b32 s4, v1
	v_readfirstlane_b32 s5, v2
	v_cmp_lt_i64_e64 s[0:1], s[4:5], 1
	s_or_b64 s[0:1], s[2:3], s[0:1]
	s_andn2_b64 vcc, exec, s[0:1]
	s_cbranch_vccnz .LBB139_23
; %bb.22:
	s_not_b64 s[0:1], s[4:5]
	s_add_u32 s0, s0, s36
	s_addc_u32 s1, s1, 0
	s_lshr_b32 s2, s1, 31
	s_add_u32 s0, s0, s2
	s_addc_u32 s1, s1, 0
	s_lshr_b64 s[0:1], s[0:1], 1
	s_add_i32 s7, s0, 1
.LBB139_23:
	s_mov_b64 s[4:5], exec
	v_readlane_b32 s0, v53, 8
	v_readlane_b32 s1, v53, 9
	s_and_b64 s[0:1], s[4:5], s[0:1]
	s_mov_b64 exec, s[0:1]
	s_cbranch_execz .LBB139_25
; %bb.24:
	v_mov_b32_e32 v1, 0
	v_mov_b32_e32 v2, s36
	ds_write_b32 v1, v1 offset:4112
	ds_write_b64 v1, v[1:2] offset:4104
.LBB139_25:
	s_or_b64 exec, exec, s[4:5]
	s_waitcnt lgkmcnt(0)
	s_barrier
	s_load_dword s0, s[10:11], 0xc
	v_mul_lo_u32 v5, s38, v0
	v_mbcnt_lo_u32_b32 v1, -1, 0
	v_mov_b32_e32 v7, 0
	v_mbcnt_hi_u32_b32 v21, -1, v1
	v_mov_b32_e32 v6, v7
	s_waitcnt lgkmcnt(0)
	s_and_b32 s39, s0, 0xffff
	v_cmp_gt_u32_e32 vcc, 64, v0
	v_cmp_gt_i32_e64 s[8:9], 4, v21
	v_lshlrev_b64 v[1:2], 1, v[5:6]
	s_and_b64 s[46:47], vcc, s[8:9]
	s_add_i32 s8, s39, -1
	s_lshl_b32 s44, s39, 2
	s_bfe_u32 s0, s0, 0xa0006
	s_add_i32 s2, s8, s36
	v_mov_b32_e32 v3, s40
	v_add_co_u32_e32 v8, vcc, s37, v1
	s_cmpk_gt_u32 s36, 0x600
	v_addc_co_u32_e32 v9, vcc, v3, v2, vcc
	v_lshlrev_b64 v[2:3], v21, -1
	s_cselect_b64 s[14:15], -1, 0
	s_cmp_gt_u32 s39, 63
	s_cselect_b64 s[50:51], -1, 0
	v_not_b32_e32 v26, v2
	v_lshrrev_b32_e32 v2, 2, v0
	s_cmp_lt_u32 s6, s12
	v_and_b32_e32 v2, 0xf0, v2
	s_cselect_b32 s1, 12, 18
	v_writelane_b32 v53, s14, 10
	v_or_b32_e32 v27, 0xc00, v2
	s_add_u32 s10, s10, s1
	v_add_u32_e32 v2, 2, v0
	v_writelane_b32 v53, s15, 11
	s_addc_u32 s11, s11, 0
	v_max_u32_e32 v2, s36, v2
	v_writelane_b32 v53, s10, 12
	v_xad_u32 v2, v0, -1, v2
	v_not_b32_e32 v25, v3
	v_writelane_b32 v53, s11, 13
	v_add_u32_e32 v3, -2, v2
	v_cmp_lt_u32_e64 s[10:11], 31, v2
	v_lshrrev_b32_e32 v4, 1, v3
	v_writelane_b32 v53, s10, 14
	v_add_u32_e32 v4, 1, v4
	v_writelane_b32 v53, s11, 15
	v_cmp_lt_u32_e64 s[10:11], 13, v3
	v_and_b32_e32 v12, 7, v4
	v_writelane_b32 v53, s10, 16
	v_writelane_b32 v53, s11, 17
	v_cmp_ne_u32_e64 s[10:11], 0, v12
	v_and_b32_e32 v28, -2, v2
	v_writelane_b32 v53, s10, 18
	v_writelane_b32 v53, s11, 19
	v_cmp_ne_u32_e64 s[10:11], v2, v28
	v_cvt_f32_u32_e32 v2, s44
	s_add_i32 s1, s0, -1
	s_bfe_u32 s3, s39, 0x30006
	s_and_b32 s1, s1, 0xffff
	v_rcp_iflag_f32_e32 v2, v2
	v_writelane_b32 v53, s10, 20
	s_cmp_gt_u32 s1, 6
	v_writelane_b32 v53, s11, 21
	v_mul_f32_e32 v2, 0x4f7ffffe, v2
	v_cvt_u32_f32_e32 v2, v2
	s_cselect_b64 s[10:11], -1, 0
	v_writelane_b32 v53, s10, 22
	s_and_b32 s0, s0, 0x3f8
	v_writelane_b32 v53, s11, 23
	s_cmp_lg_u32 s3, 0
	v_writelane_b32 v53, s3, 24
	s_cselect_b64 s[10:11], -1, 0
	s_sub_i32 s1, 0, s44
	v_readfirstlane_b32 s3, v2
	v_cvt_f32_u32_e32 v2, s39
	s_mul_i32 s1, s1, s3
	s_mul_hi_u32 s1, s3, s1
	s_add_i32 s1, s3, s1
	v_and_b32_e32 v30, -8, v4
	s_mul_hi_u32 s3, s36, s1
	v_rcp_iflag_f32_e32 v4, v2
	s_mul_i32 s3, s3, s44
	s_sub_i32 s3, s36, s3
	s_sub_i32 s6, s3, s44
	s_cmp_ge_u32 s3, s44
	v_mul_f32_e32 v4, 0x4f7ffffe, v4
	s_cselect_b32 s3, s6, s3
	v_cvt_u32_f32_e32 v4, v4
	s_sub_i32 s6, s3, s44
	s_cmp_ge_u32 s3, s44
	v_writelane_b32 v53, s10, 25
	s_cselect_b32 s3, s6, s3
	v_writelane_b32 v53, s11, 26
	s_sub_i32 s53, s36, s3
	s_sub_i32 s6, 0, s39
	v_readfirstlane_b32 s10, v4
	v_add_u32_e32 v31, s53, v0
	s_mul_i32 s6, s6, s10
	v_mul_lo_u32 v6, v31, s38
	s_mul_hi_u32 s6, s10, s6
	s_add_i32 s54, s10, s6
	s_mul_hi_u32 s6, s2, s54
	s_mul_i32 s6, s6, s39
	v_lshlrev_b64 v[2:3], 1, v[6:7]
	s_sub_i32 s6, s2, s6
	v_lshlrev_b32_e32 v20, 2, v0
	s_sub_i32 s10, s6, s39
	v_add_co_u32_e32 v10, vcc, s37, v2
	s_cmp_ge_u32 s6, s39
	v_mul_lo_u32 v2, s38, v20
	s_cselect_b32 s6, s10, s6
	s_sub_i32 s10, s6, s39
	s_cmp_ge_u32 s6, s39
	s_cselect_b32 s6, s10, s6
	v_add_u32_e32 v33, s38, v2
	v_or_b32_e32 v2, 2, v20
	s_sub_i32 s55, s2, s6
	v_mul_lo_u32 v34, s38, v2
	v_or_b32_e32 v2, 3, v20
	s_add_i32 s2, s39, s36
	v_mul_lo_u32 v35, s38, v2
	v_add_u32_e32 v2, s2, v0
	v_subrev_u32_e32 v2, s3, v2
	v_mul_lo_u32 v37, s38, v2
	v_lshlrev_b32_e32 v22, 1, v0
	v_lshlrev_b32_e32 v1, 2, v21
	v_mov_b32_e32 v6, s40
	v_cmp_gt_u32_e64 s[10:11], s55, v0
	s_mul_i32 s45, s38, s39
	s_mov_b32 s52, 0
	v_cmp_eq_u32_e64 s[4:5], 0, v21
	v_cmp_gt_u32_e64 s[24:25], 2, v0
	v_add_u32_e32 v23, 0xc00, v22
	v_and_b32_e32 v24, 0x100, v1
	v_add_u32_e32 v29, v0, v28
	s_mov_b32 s9, s38
	v_cmp_gt_u32_e64 s[16:17], s53, v20
	v_cmp_gt_u32_e64 s[18:19], s36, v31
	v_addc_co_u32_e32 v11, vcc, v6, v3, vcc
	v_writelane_b32 v53, s10, 27
	v_lshlrev_b32_e32 v32, 2, v12
	s_lshl_b32 s56, s45, 2
	v_lshlrev_b32_e32 v36, 2, v5
	s_lshl_b32 s57, s39, 3
	s_lshl_b32 s20, s39, 1
	v_or_b32_e32 v39, 0xc00, v1
	s_mov_b64 s[58:59], 0
	s_mov_b32 s21, 0x5040100
	s_movk_i32 s48, 0x3f80
	v_lshlrev_b32_e32 v40, 3, v0
	v_mov_b32_e32 v45, 14
	v_mov_b32_e32 v48, s7
	v_mov_b32_e32 v41, 0xffff
	v_mov_b32_e32 v42, 0x8000
	v_mov_b32_e32 v43, -1
	v_mov_b32_e32 v44, 0x5040100
	v_mov_b32_e32 v47, 0
	;; [unrolled: 1-line block ×4, first 2 shown]
	v_writelane_b32 v53, s11, 28
                                        ; implicit-def: $sgpr60_sgpr61
                                        ; implicit-def: $sgpr64_sgpr65
                                        ; implicit-def: $sgpr62_sgpr63
                                        ; implicit-def: $sgpr68_sgpr69
                                        ; implicit-def: $sgpr70_sgpr71
                                        ; implicit-def: $sgpr66_sgpr67
	s_branch .LBB139_29
.LBB139_26:                             ;   in Loop: Header=BB139_29 Depth=1
	s_or_b64 exec, exec, s[14:15]
	s_and_b64 s[26:27], s[22:23], exec
	s_andn2_b64 s[30:31], s[30:31], exec
	s_andn2_b64 s[28:29], s[28:29], exec
	s_orn2_b64 s[22:23], s[12:13], exec
.LBB139_27:                             ;   in Loop: Header=BB139_29 Depth=1
	s_or_b64 exec, exec, s[10:11]
	s_andn2_b64 s[10:11], s[66:67], exec
	s_and_b64 s[12:13], s[26:27], exec
	s_or_b64 s[66:67], s[10:11], s[12:13]
	s_andn2_b64 s[10:11], s[70:71], exec
	s_and_b64 s[12:13], s[30:31], exec
	s_or_b64 s[70:71], s[10:11], s[12:13]
	;; [unrolled: 3-line block ×3, first 2 shown]
	s_orn2_b64 s[22:23], s[22:23], exec
.LBB139_28:                             ;   in Loop: Header=BB139_29 Depth=1
	s_or_b64 exec, exec, s[6:7]
	s_and_b64 s[6:7], exec, s[22:23]
	s_or_b64 s[58:59], s[6:7], s[58:59]
	s_andn2_b64 s[6:7], s[62:63], exec
	s_and_b64 s[10:11], s[66:67], exec
	s_or_b64 s[62:63], s[6:7], s[10:11]
	s_andn2_b64 s[6:7], s[64:65], exec
	s_and_b64 s[10:11], s[70:71], exec
	;; [unrolled: 3-line block ×3, first 2 shown]
	s_or_b64 s[60:61], s[6:7], s[10:11]
	s_mov_b32 s52, s2
	v_mov_b32_e32 v48, v4
	s_andn2_b64 exec, exec, s[58:59]
	s_cbranch_execz .LBB139_265
.LBB139_29:                             ; =>This Loop Header: Depth=1
                                        ;     Child Loop BB139_34 Depth 2
                                        ;     Child Loop BB139_55 Depth 2
	;; [unrolled: 1-line block ×18, first 2 shown]
	ds_read_b64 v[1:2], v7 offset:4104
	s_waitcnt lgkmcnt(0)
	v_readfirstlane_b32 s12, v1
	s_cmp_lg_u32 s12, 0
	s_cbranch_scc1 .LBB139_74
; %bb.30:                               ;   in Loop: Header=BB139_29 Depth=1
	v_readlane_b32 s2, v53, 10
	v_readlane_b32 s3, v53, 11
	s_and_b64 vcc, exec, s[2:3]
	s_cbranch_vccz .LBB139_42
; %bb.31:                               ;   in Loop: Header=BB139_29 Depth=1
	s_movk_i32 s2, 0x601
	v_cmp_gt_u32_e32 vcc, s2, v2
	s_mov_b64 s[26:27], 0
	s_mov_b64 s[6:7], 0
	s_cbranch_vccz .LBB139_43
; %bb.32:                               ;   in Loop: Header=BB139_29 Depth=1
	v_readlane_b32 s2, v53, 12
	v_readlane_b32 s3, v53, 13
	s_nop 4
	global_load_ushort v1, v7, s[2:3]
	global_load_ushort v4, v[8:9], off
	s_mov_b64 s[28:29], 0
	v_mov_b32_e32 v3, v0
	s_waitcnt vmcnt(1)
	v_add_u32_e32 v2, v0, v1
	v_mul_lo_u32 v6, s38, v2
	v_mul_lo_u32 v2, s38, v1
	s_branch .LBB139_34
.LBB139_33:                             ;   in Loop: Header=BB139_34 Depth=2
	s_or_b64 exec, exec, s[6:7]
	v_add_u32_e32 v6, v6, v2
	v_mov_b32_e32 v4, v12
	s_andn2_b64 exec, exec, s[28:29]
	s_cbranch_execz .LBB139_49
.LBB139_34:                             ;   Parent Loop BB139_29 Depth=1
                                        ; =>  This Inner Loop Header: Depth=2
	v_add_u32_e32 v3, v3, v1
	v_cmp_gt_u32_e64 s[6:7], s36, v3
	v_cmp_le_u32_e32 vcc, s36, v3
	s_waitcnt lgkmcnt(0)
	v_mov_b32_e32 v13, 0
	v_mov_b32_e32 v12, 0
	s_and_saveexec_b64 s[10:11], s[6:7]
	s_cbranch_execz .LBB139_36
; %bb.35:                               ;   in Loop: Header=BB139_34 Depth=2
	v_lshlrev_b64 v[14:15], 1, v[6:7]
	v_mov_b32_e32 v12, s40
	v_add_co_u32_e64 v14, s[6:7], s37, v14
	v_addc_co_u32_e64 v15, s[6:7], v12, v15, s[6:7]
	global_load_ushort v12, v[14:15], off
.LBB139_36:                             ;   in Loop: Header=BB139_34 Depth=2
	s_or_b64 exec, exec, s[10:11]
	s_waitcnt vmcnt(0)
	v_cmp_lt_i16_e64 s[6:7], -1, v4
	v_cndmask_b32_e64 v14, v41, v42, s[6:7]
	v_lshlrev_b32_e32 v15, 16, v4
	v_xor_b32_sdwa v14, v14, v4 dst_sel:DWORD dst_unused:UNUSED_PAD src0_sel:DWORD src1_sel:WORD_0
	v_cmp_o_f32_e64 s[6:7], v15, v15
	v_cndmask_b32_e64 v14, v41, v14, s[6:7]
	v_and_b32_e32 v14, v14, v46
	v_cmp_eq_u32_e64 s[22:23], v14, v38
	s_cmp_lg_u64 s[22:23], 0
	s_cselect_b64 s[2:3], -1, 0
	s_and_b64 s[2:3], s[4:5], s[2:3]
	s_and_saveexec_b64 s[10:11], s[2:3]
	s_cbranch_execz .LBB139_40
; %bb.37:                               ;   in Loop: Header=BB139_34 Depth=2
	s_mov_b64 s[14:15], exec
	v_mbcnt_lo_u32_b32 v13, s14, 0
	v_mbcnt_hi_u32_b32 v13, s15, v13
	s_bcnt1_i32_b64 s2, s[22:23]
	v_cmp_eq_u32_e64 s[6:7], 0, v13
                                        ; implicit-def: $vgpr14
	s_and_saveexec_b64 s[12:13], s[6:7]
; %bb.38:                               ;   in Loop: Header=BB139_34 Depth=2
	s_bcnt1_i32_b64 s3, s[14:15]
	s_mul_i32 s3, s2, s3
	v_mov_b32_e32 v14, s3
	ds_add_rtn_u32 v14, v7, v14 offset:4112
; %bb.39:                               ;   in Loop: Header=BB139_34 Depth=2
	s_or_b64 exec, exec, s[12:13]
	s_waitcnt lgkmcnt(0)
	v_readfirstlane_b32 s3, v14
	v_mov_b32_e32 v14, s3
	v_mad_u32_u24 v13, s2, v13, v14
.LBB139_40:                             ;   in Loop: Header=BB139_34 Depth=2
	s_or_b64 exec, exec, s[10:11]
	ds_bpermute_b32 v13, v24, v13
	s_and_b64 s[2:3], exec, vcc
	s_or_b64 s[28:29], s[2:3], s[28:29]
	s_and_saveexec_b64 s[6:7], s[22:23]
	s_cbranch_execz .LBB139_33
; %bb.41:                               ;   in Loop: Header=BB139_34 Depth=2
	v_and_b32_e32 v15, s22, v26
	v_and_b32_e32 v14, s23, v25
	v_bcnt_u32_b32 v15, v15, 0
	v_bcnt_u32_b32 v14, v14, v15
	v_lshlrev_b32_e32 v14, 1, v14
	s_waitcnt lgkmcnt(0)
	v_lshl_add_u32 v13, v13, 1, v14
	ds_write_b16 v13, v4
	s_branch .LBB139_33
.LBB139_42:                             ;   in Loop: Header=BB139_29 Depth=1
	s_mov_b64 s[26:27], -1
	s_mov_b64 s[6:7], 0
.LBB139_43:                             ;   in Loop: Header=BB139_29 Depth=1
	s_and_b64 vcc, exec, s[26:27]
	s_cbranch_vccz .LBB139_72
.LBB139_44:                             ;   in Loop: Header=BB139_29 Depth=1
	s_mov_b64 s[22:23], exec
	v_readlane_b32 s2, v53, 6
	v_readlane_b32 s3, v53, 7
	s_and_b64 s[2:3], s[22:23], s[2:3]
	s_mov_b64 exec, s[2:3]
	s_cbranch_execz .LBB139_69
; %bb.45:                               ;   in Loop: Header=BB139_29 Depth=1
	v_readlane_b32 s2, v53, 12
	v_readlane_b32 s3, v53, 13
	s_nop 4
	global_load_ushort v1, v7, s[2:3]
	global_load_ushort v16, v[8:9], off
	s_waitcnt vmcnt(1)
	v_add_u32_e32 v12, v0, v1
	v_readfirstlane_b32 s12, v1
	v_cmp_gt_u32_e32 vcc, s36, v12
	v_mov_b32_e32 v1, v0
	s_and_saveexec_b64 s[26:27], vcc
	s_cbranch_execz .LBB139_68
; %bb.46:                               ;   in Loop: Header=BB139_29 Depth=1
	s_mov_b64 s[6:7], 0
	s_mul_i32 s13, s38, s12
                                        ; implicit-def: $vgpr1
                                        ; implicit-def: $vgpr2
                                        ; implicit-def: $vgpr3
	s_mov_b64 s[2:3], exec
	v_readlane_b32 s10, v53, 14
	v_readlane_b32 s11, v53, 15
	s_and_b64 s[10:11], s[2:3], s[10:11]
	s_xor_b64 s[28:29], s[10:11], s[2:3]
	s_mov_b64 exec, s[10:11]
	s_cbranch_execnz .LBB139_52
; %bb.47:                               ;   in Loop: Header=BB139_29 Depth=1
	s_andn2_saveexec_b64 s[10:11], s[28:29]
	s_cbranch_execnz .LBB139_63
.LBB139_48:                             ;   in Loop: Header=BB139_29 Depth=1
	s_or_b64 exec, exec, s[10:11]
	s_and_saveexec_b64 s[10:11], s[6:7]
	s_cbranch_execnz .LBB139_64
	s_branch .LBB139_67
.LBB139_49:                             ;   in Loop: Header=BB139_29 Depth=1
	s_or_b64 exec, exec, s[28:29]
	s_waitcnt lgkmcnt(0)
	s_barrier
	s_mov_b64 s[6:7], exec
	v_readlane_b32 s2, v53, 8
	v_readlane_b32 s3, v53, 9
	s_and_b64 s[2:3], s[6:7], s[2:3]
	s_mov_b64 exec, s[2:3]
	s_cbranch_execz .LBB139_51
; %bb.50:                               ;   in Loop: Header=BB139_29 Depth=1
	ds_read_b32 v1, v7 offset:4112
	s_waitcnt lgkmcnt(0)
	ds_write_b32 v7, v1 offset:4104
.LBB139_51:                             ;   in Loop: Header=BB139_29 Depth=1
	s_or_b64 exec, exec, s[6:7]
	s_waitcnt lgkmcnt(0)
	s_barrier
	s_mov_b64 s[6:7], -1
	s_and_b64 vcc, exec, s[26:27]
	s_cbranch_vccnz .LBB139_44
	s_branch .LBB139_72
.LBB139_52:                             ;   in Loop: Header=BB139_29 Depth=1
	v_cvt_f32_u32_e32 v1, s12
	s_sub_i32 s3, 0, s12
	v_add_u32_e32 v3, s12, v12
	v_max_u32_e32 v3, s36, v3
	v_rcp_iflag_f32_e32 v1, v1
	s_lshl_b32 s2, s12, 1
	v_sub_u32_e32 v3, v3, v0
	v_cmp_ne_u32_e32 vcc, s2, v3
	v_mul_f32_e32 v1, 0x4f7ffffe, v1
	v_cvt_u32_f32_e32 v1, v1
	v_cndmask_b32_e64 v4, 0, 1, vcc
	v_or_b32_e32 v4, s2, v4
	v_sub_u32_e32 v3, v3, v4
	v_mul_lo_u32 v2, s3, v1
	s_abs_i32 s2, s13
	s_not_b32 s3, s13
	s_ashr_i32 s10, s3, 31
	v_mul_hi_u32 v2, v1, v2
	s_cmp_eq_u32 s12, 1
	v_add_u32_e32 v1, v1, v2
	v_mul_hi_u32 v1, v3, v1
	v_mul_lo_u32 v2, s38, v12
	v_mul_lo_u32 v4, v1, s12
	v_add_u32_e32 v6, 1, v1
	v_xor_b32_e32 v2, s10, v2
	s_mov_b64 s[10:11], -1
	v_sub_u32_e32 v3, v3, v4
	v_cmp_le_u32_e64 s[6:7], s12, v3
	v_subrev_u32_e32 v4, s12, v3
	v_cndmask_b32_e64 v1, v1, v6, s[6:7]
	v_cndmask_b32_e64 v3, v3, v4, s[6:7]
	v_add_u32_e32 v4, 1, v1
	v_cmp_le_u32_e64 s[6:7], s12, v3
	v_cndmask_b32_e64 v1, v1, v4, s[6:7]
	v_addc_co_u32_e32 v1, vcc, 0, v1, vcc
	v_mul_hi_u32 v3, s2, v1
	v_mul_lo_u32 v1, s2, v1
	s_cselect_b64 s[2:3], -1, 0
	v_cmp_eq_u32_e32 vcc, 0, v3
	v_cmp_le_u32_e64 s[6:7], v1, v2
	s_and_b64 s[2:3], vcc, s[2:3]
	s_and_b64 s[2:3], s[2:3], s[6:7]
	v_mov_b32_e32 v2, v0
                                        ; implicit-def: $vgpr1
	s_and_saveexec_b64 s[6:7], s[2:3]
	s_cbranch_execz .LBB139_62
; %bb.53:                               ;   in Loop: Header=BB139_29 Depth=1
	v_add_u32_e32 v13, 1, v12
	v_mov_b32_e32 v15, v13
	s_waitcnt vmcnt(0)
	v_lshlrev_b32_e32 v17, 16, v16
	v_mov_b32_e32 v1, 0
	v_mov_b32_e32 v14, v12
                                        ; implicit-def: $vgpr16
	s_mov_b64 s[30:31], exec
	v_readlane_b32 s2, v53, 16
	v_readlane_b32 s3, v53, 17
	s_and_b64 s[2:3], s[30:31], s[2:3]
	s_mov_b64 exec, s[2:3]
	s_cbranch_execz .LBB139_57
; %bb.54:                               ;   in Loop: Header=BB139_29 Depth=1
	v_mov_b32_e32 v15, v13
	s_mov_b32 s10, 0
	s_mov_b64 s[72:73], 0
	v_mov_b32_e32 v49, v30
	v_mov_b32_e32 v50, v22
	v_mov_b32_e32 v14, v12
.LBB139_55:                             ;   Parent Loop BB139_29 Depth=1
                                        ; =>  This Inner Loop Header: Depth=2
	v_mul_lo_u32 v6, v14, s38
	v_mul_lo_u32 v1, v15, s9
	v_mov_b32_e32 v13, s40
	v_add_u32_e32 v49, -8, v49
	v_lshlrev_b64 v[2:3], 1, v[6:7]
	s_add_i32 s10, s10, 16
	v_add_co_u32_e32 v18, vcc, s37, v2
	v_mov_b32_e32 v2, v7
	v_lshlrev_b64 v[1:2], 1, v[1:2]
	v_addc_co_u32_e32 v19, vcc, v13, v3, vcc
	v_add_co_u32_e32 v1, vcc, s37, v1
	v_addc_co_u32_e32 v2, vcc, v13, v2, vcc
	global_load_ushort v3, v[18:19], off
	s_nop 0
	global_load_ushort v18, v[1:2], off
	v_add_u32_e32 v2, 2, v15
	v_mul_lo_u32 v2, v2, s9
	s_waitcnt vmcnt(1)
	v_alignbit_b32 v1, v3, v17, 16
	v_add_u32_e32 v3, 2, v14
	v_mul_lo_u32 v6, v3, s38
	v_lshlrev_b64 v[3:4], 1, v[6:7]
	v_add_co_u32_e32 v16, vcc, s37, v3
	v_mov_b32_e32 v3, v7
	v_lshlrev_b64 v[2:3], 1, v[2:3]
	v_addc_co_u32_e32 v17, vcc, v13, v4, vcc
	v_add_co_u32_e32 v2, vcc, s37, v2
	v_addc_co_u32_e32 v3, vcc, v13, v3, vcc
	global_load_ushort v4, v[16:17], off
	global_load_ushort v19, v[2:3], off
	v_add_u32_e32 v3, 4, v15
	v_mul_lo_u32 v3, v3, s9
	s_waitcnt vmcnt(1)
	v_perm_b32 v2, v4, v18, s21
	v_add_u32_e32 v4, 4, v14
	v_mul_lo_u32 v6, v4, s38
	v_mov_b32_e32 v4, v7
	v_lshlrev_b64 v[3:4], 1, v[3:4]
	v_lshlrev_b64 v[16:17], 1, v[6:7]
	v_add_co_u32_e32 v16, vcc, s37, v16
	v_addc_co_u32_e32 v17, vcc, v13, v17, vcc
	v_add_co_u32_e32 v3, vcc, s37, v3
	v_addc_co_u32_e32 v4, vcc, v13, v4, vcc
	global_load_ushort v6, v[16:17], off
	s_nop 0
	global_load_ushort v4, v[3:4], off
	v_add_u32_e32 v16, 6, v15
	v_mul_lo_u32 v16, v16, s9
	s_waitcnt vmcnt(1)
	v_perm_b32 v3, v6, v19, s21
	v_add_u32_e32 v6, 6, v14
	v_mul_lo_u32 v6, v6, s38
	v_lshlrev_b64 v[17:18], 1, v[6:7]
	v_add_co_u32_e32 v51, vcc, s37, v17
	v_mov_b32_e32 v17, v7
	v_lshlrev_b64 v[16:17], 1, v[16:17]
	v_addc_co_u32_e32 v52, vcc, v13, v18, vcc
	v_add_co_u32_e32 v16, vcc, s37, v16
	v_addc_co_u32_e32 v17, vcc, v13, v17, vcc
	global_load_ushort v6, v[51:52], off
	global_load_ushort v18, v[16:17], off
	s_waitcnt vmcnt(1)
	v_perm_b32 v4, v6, v4, s21
	ds_write_b128 v50, v[1:4]
	v_add_u32_e32 v2, 8, v14
	v_mul_lo_u32 v6, v2, s38
	v_add_u32_e32 v1, 8, v15
	v_mul_lo_u32 v1, v1, s9
	v_lshlrev_b64 v[2:3], 1, v[6:7]
	v_add_co_u32_e32 v16, vcc, s37, v2
	v_mov_b32_e32 v2, v7
	v_lshlrev_b64 v[1:2], 1, v[1:2]
	v_addc_co_u32_e32 v17, vcc, v13, v3, vcc
	v_add_co_u32_e32 v1, vcc, s37, v1
	v_addc_co_u32_e32 v2, vcc, v13, v2, vcc
	global_load_ushort v3, v[16:17], off
	global_load_ushort v19, v[1:2], off
	v_add_u32_e32 v2, 10, v15
	v_mul_lo_u32 v2, v2, s9
	s_waitcnt vmcnt(1)
	v_perm_b32 v1, v3, v18, s21
	v_add_u32_e32 v3, 10, v14
	v_mul_lo_u32 v6, v3, s38
	v_lshlrev_b64 v[3:4], 1, v[6:7]
	v_add_co_u32_e32 v16, vcc, s37, v3
	v_mov_b32_e32 v3, v7
	v_lshlrev_b64 v[2:3], 1, v[2:3]
	v_addc_co_u32_e32 v17, vcc, v13, v4, vcc
	v_add_co_u32_e32 v2, vcc, s37, v2
	v_addc_co_u32_e32 v3, vcc, v13, v3, vcc
	global_load_ushort v4, v[16:17], off
	global_load_ushort v18, v[2:3], off
	v_add_u32_e32 v3, 12, v15
	v_mul_lo_u32 v3, v3, s9
	s_waitcnt vmcnt(1)
	v_perm_b32 v2, v4, v19, s21
	v_add_u32_e32 v4, 12, v14
	v_mul_lo_u32 v6, v4, s38
	v_mov_b32_e32 v4, v7
	v_lshlrev_b64 v[3:4], 1, v[3:4]
	v_mov_b32_e32 v19, v7
	v_lshlrev_b64 v[16:17], 1, v[6:7]
	v_add_co_u32_e32 v16, vcc, s37, v16
	v_addc_co_u32_e32 v17, vcc, v13, v17, vcc
	v_add_co_u32_e32 v3, vcc, s37, v3
	v_addc_co_u32_e32 v4, vcc, v13, v4, vcc
	global_load_ushort v6, v[16:17], off
	s_nop 0
	global_load_ushort v4, v[3:4], off
	v_add_u32_e32 v16, 14, v15
	v_add_u32_e32 v15, 16, v15
	s_waitcnt vmcnt(1)
	v_perm_b32 v3, v6, v18, s21
	v_add_u32_e32 v6, 14, v14
	v_mul_lo_u32 v6, v6, s38
	v_mul_lo_u32 v18, v16, s9
	v_add_u32_e32 v14, 16, v14
	v_lshlrev_b64 v[16:17], 1, v[6:7]
	v_lshlrev_b64 v[18:19], 1, v[18:19]
	v_add_co_u32_e32 v16, vcc, s37, v16
	v_addc_co_u32_e32 v17, vcc, v13, v17, vcc
	v_add_co_u32_e32 v18, vcc, s37, v18
	v_addc_co_u32_e32 v19, vcc, v13, v19, vcc
	global_load_ushort v6, v[16:17], off
	s_nop 0
	global_load_ushort v16, v[18:19], off
	v_cmp_eq_u32_e32 vcc, 0, v49
	s_or_b64 s[72:73], vcc, s[72:73]
	s_waitcnt vmcnt(1)
	v_perm_b32 v4, v6, v4, s21
	s_waitcnt vmcnt(0)
	v_perm_b32 v17, v16, v6, s21
	ds_write_b128 v50, v[1:4] offset:16
	v_add_u32_e32 v50, 32, v50
	v_mov_b32_e32 v1, s10
	s_andn2_b64 exec, exec, s[72:73]
	s_cbranch_execnz .LBB139_55
; %bb.56:                               ;   in Loop: Header=BB139_29 Depth=1
	s_or_b64 exec, exec, s[72:73]
.LBB139_57:                             ;   in Loop: Header=BB139_29 Depth=1
	s_or_b64 exec, exec, s[30:31]
	s_mov_b64 s[10:11], exec
	v_readlane_b32 s2, v53, 18
	v_readlane_b32 s3, v53, 19
	s_and_b64 s[2:3], s[10:11], s[2:3]
	s_mov_b64 exec, s[2:3]
	s_cbranch_execz .LBB139_61
; %bb.58:                               ;   in Loop: Header=BB139_29 Depth=1
	v_lshl_add_u32 v1, v1, 1, v22
	s_mov_b64 s[30:31], 0
	v_mov_b32_e32 v2, v32
.LBB139_59:                             ;   Parent Loop BB139_29 Depth=1
                                        ; =>  This Inner Loop Header: Depth=2
	v_mul_lo_u32 v6, v14, s38
	v_mul_lo_u32 v3, v15, s9
	v_mov_b32_e32 v4, v7
	v_mov_b32_e32 v13, s40
	v_lshlrev_b64 v[18:19], 1, v[6:7]
	v_lshlrev_b64 v[3:4], 1, v[3:4]
	v_add_co_u32_e32 v18, vcc, s37, v18
	v_addc_co_u32_e32 v19, vcc, v13, v19, vcc
	v_add_co_u32_e32 v3, vcc, s37, v3
	v_addc_co_u32_e32 v4, vcc, v13, v4, vcc
	global_load_ushort v6, v[18:19], off
	global_load_ushort v16, v[3:4], off
	v_add_u32_e32 v2, -4, v2
	v_cmp_eq_u32_e32 vcc, 0, v2
	v_add_u32_e32 v15, 2, v15
	v_add_u32_e32 v14, 2, v14
	s_or_b64 s[30:31], vcc, s[30:31]
	s_waitcnt vmcnt(1)
	v_alignbit_b32 v4, v6, v17, 16
	s_waitcnt vmcnt(0)
	v_perm_b32 v3, v16, v6, s21
	ds_write_b32 v1, v4
	v_add_u32_e32 v1, 4, v1
	v_mov_b32_e32 v17, v3
	s_andn2_b64 exec, exec, s[30:31]
	s_cbranch_execnz .LBB139_59
; %bb.60:                               ;   in Loop: Header=BB139_29 Depth=1
	s_or_b64 exec, exec, s[30:31]
.LBB139_61:                             ;   in Loop: Header=BB139_29 Depth=1
	s_or_b64 exec, exec, s[10:11]
	v_readlane_b32 s2, v53, 20
	v_add_u32_e32 v12, v12, v28
	v_readlane_b32 s3, v53, 21
	v_add_u32_e32 v1, -1, v12
	s_orn2_b64 s[10:11], s[2:3], exec
	v_mov_b32_e32 v2, v29
.LBB139_62:                             ;   in Loop: Header=BB139_29 Depth=1
	s_or_b64 exec, exec, s[6:7]
	v_mov_b32_e32 v3, s13
	s_and_b64 s[6:7], s[10:11], exec
	s_andn2_saveexec_b64 s[10:11], s[28:29]
	s_cbranch_execz .LBB139_48
.LBB139_63:                             ;   in Loop: Header=BB139_29 Depth=1
	v_mov_b32_e32 v3, s13
	s_or_b64 s[6:7], s[6:7], exec
	v_mov_b32_e32 v2, v0
	s_or_b64 exec, exec, s[10:11]
	s_and_saveexec_b64 s[10:11], s[6:7]
	s_cbranch_execz .LBB139_67
.LBB139_64:                             ;   in Loop: Header=BB139_29 Depth=1
	v_mul_lo_u32 v6, s38, v12
	s_sub_i32 s2, 0, s12
	s_mov_b64 s[6:7], 0
.LBB139_65:                             ;   Parent Loop BB139_29 Depth=1
                                        ; =>  This Inner Loop Header: Depth=2
	v_lshlrev_b64 v[13:14], 1, v[6:7]
	v_mov_b32_e32 v4, s40
	v_add_co_u32_e32 v13, vcc, s37, v13
	v_addc_co_u32_e32 v14, vcc, v4, v14, vcc
	s_waitcnt vmcnt(0)
	v_mov_b32_e32 v1, v16
	global_load_ushort v16, v[13:14], off
	v_mov_b32_e32 v4, v12
	v_add_u32_e32 v12, s12, v4
	v_lshlrev_b32_e32 v2, 1, v2
	v_cmp_le_u32_e32 vcc, s36, v12
	v_add_u32_e32 v6, v6, v3
	ds_write_b16 v2, v1
	s_or_b64 s[6:7], vcc, s[6:7]
	v_mov_b32_e32 v2, v4
	s_andn2_b64 exec, exec, s[6:7]
	s_cbranch_execnz .LBB139_65
; %bb.66:                               ;   in Loop: Header=BB139_29 Depth=1
	s_or_b64 exec, exec, s[6:7]
	v_add_u32_e32 v1, s2, v12
.LBB139_67:                             ;   in Loop: Header=BB139_29 Depth=1
	s_or_b64 exec, exec, s[10:11]
.LBB139_68:                             ;   in Loop: Header=BB139_29 Depth=1
	s_or_b64 exec, exec, s[26:27]
	v_lshlrev_b32_e32 v1, 1, v1
	s_waitcnt vmcnt(0)
	ds_write_b16 v1, v16
.LBB139_69:                             ;   in Loop: Header=BB139_29 Depth=1
	s_or_b64 exec, exec, s[22:23]
	s_waitcnt lgkmcnt(0)
	s_barrier
	s_mov_b64 s[6:7], exec
	v_readlane_b32 s2, v53, 8
	v_readlane_b32 s3, v53, 9
	s_and_b64 s[2:3], s[6:7], s[2:3]
	s_mov_b64 exec, s[2:3]
; %bb.70:                               ;   in Loop: Header=BB139_29 Depth=1
	v_mov_b32_e32 v1, s36
	ds_write_b32 v7, v1 offset:4104
; %bb.71:                               ;   in Loop: Header=BB139_29 Depth=1
	s_or_b64 exec, exec, s[6:7]
	s_mov_b64 s[6:7], -1
	s_waitcnt lgkmcnt(0)
	s_barrier
.LBB139_72:                             ;   in Loop: Header=BB139_29 Depth=1
	s_mov_b32 s12, 0
	s_and_b64 vcc, exec, s[6:7]
	s_cbranch_vccz .LBB139_74
; %bb.73:                               ;   in Loop: Header=BB139_29 Depth=1
	ds_read_b32 v1, v7 offset:4104
	s_waitcnt lgkmcnt(0)
	v_readfirstlane_b32 s12, v1
.LBB139_74:                             ;   in Loop: Header=BB139_29 Depth=1
	s_cmp_lt_i32 s12, 1
	s_mov_b64 s[6:7], -1
                                        ; implicit-def: $vgpr1
	s_cbranch_scc1 .LBB139_84
; %bb.75:                               ;   in Loop: Header=BB139_29 Depth=1
	s_and_b64 vcc, exec, s[6:7]
	s_cbranch_vccnz .LBB139_95
.LBB139_76:                             ;   in Loop: Header=BB139_29 Depth=1
	s_lshl_b32 s10, s52, 6
	s_and_saveexec_b64 s[6:7], s[4:5]
.LBB139_77:                             ;   in Loop: Header=BB139_29 Depth=1
	v_lshl_add_u32 v6, s10, 2, v27
	ds_write_b128 v6, v[1:4]
.LBB139_78:                             ;   in Loop: Header=BB139_29 Depth=1
	s_or_b64 exec, exec, s[6:7]
	s_waitcnt lgkmcnt(0)
	s_barrier
	s_and_saveexec_b64 s[6:7], s[46:47]
	s_cbranch_execz .LBB139_109
; %bb.79:                               ;   in Loop: Header=BB139_29 Depth=1
	s_andn2_b64 vcc, exec, s[50:51]
	v_mov_b32_e32 v1, 0
	s_cbranch_vccnz .LBB139_108
; %bb.80:                               ;   in Loop: Header=BB139_29 Depth=1
	v_readlane_b32 s2, v53, 22
	v_readlane_b32 s3, v53, 23
	s_andn2_b64 vcc, exec, s[2:3]
	s_cbranch_vccnz .LBB139_104
; %bb.81:                               ;   in Loop: Header=BB139_29 Depth=1
	v_lshl_add_u32 v2, s52, 8, v39
	s_mov_b32 s2, 0
	v_mov_b32_e32 v1, 0
.LBB139_82:                             ;   Parent Loop BB139_29 Depth=1
                                        ; =>  This Inner Loop Header: Depth=2
	ds_read2_b32 v[3:4], v2 offset1:4
	ds_read2_b32 v[12:13], v2 offset0:8 offset1:12
	ds_read2_b32 v[14:15], v2 offset0:16 offset1:20
	ds_read2_b32 v[16:17], v2 offset0:24 offset1:28
	s_add_i32 s2, s2, 8
	s_waitcnt lgkmcnt(3)
	v_add3_u32 v1, v3, v1, v4
	s_waitcnt lgkmcnt(2)
	v_add3_u32 v1, v12, v1, v13
	;; [unrolled: 2-line block ×3, first 2 shown]
	v_add_u32_e32 v2, 0x80, v2
	s_cmp_eq_u32 s0, s2
	s_waitcnt lgkmcnt(0)
	v_add3_u32 v1, v16, v1, v17
	s_cbranch_scc0 .LBB139_82
; %bb.83:                               ;   in Loop: Header=BB139_29 Depth=1
	s_mov_b32 s2, s0
	s_branch .LBB139_105
.LBB139_84:                             ;   in Loop: Header=BB139_29 Depth=1
	v_mov_b32_e32 v1, 0
	v_mov_b32_e32 v2, 0
	;; [unrolled: 1-line block ×4, first 2 shown]
	s_and_saveexec_b64 s[30:31], s[16:17]
	s_cbranch_execz .LBB139_88
; %bb.85:                               ;   in Loop: Header=BB139_29 Depth=1
	s_mov_b32 s10, 0
	s_mov_b64 s[72:73], 0
	s_mov_b32 s11, 0
	s_mov_b32 s13, 0
	;; [unrolled: 1-line block ×4, first 2 shown]
	v_mov_b32_e32 v12, v20
.LBB139_86:                             ;   Parent Loop BB139_29 Depth=1
                                        ; =>  This Inner Loop Header: Depth=2
	v_add_u32_e32 v6, s10, v36
	v_lshlrev_b64 v[1:2], 1, v[6:7]
	v_mov_b32_e32 v3, s40
	v_add_co_u32_e32 v1, vcc, s37, v1
	v_addc_co_u32_e32 v2, vcc, v3, v2, vcc
	v_add_u32_e32 v6, s10, v33
	global_load_ushort v4, v[1:2], off
	v_lshlrev_b64 v[1:2], 1, v[6:7]
	v_add_u32_e32 v6, s10, v34
	v_add_co_u32_e32 v1, vcc, s37, v1
	v_addc_co_u32_e32 v2, vcc, v3, v2, vcc
	global_load_ushort v13, v[1:2], off
	v_lshlrev_b64 v[1:2], 1, v[6:7]
	v_add_u32_e32 v6, s10, v35
	v_add_co_u32_e32 v1, vcc, s37, v1
	v_addc_co_u32_e32 v2, vcc, v3, v2, vcc
	global_load_ushort v14, v[1:2], off
	v_lshlrev_b64 v[1:2], 1, v[6:7]
	v_add_u32_e32 v12, s44, v12
	v_add_co_u32_e32 v1, vcc, s37, v1
	v_addc_co_u32_e32 v2, vcc, v3, v2, vcc
	global_load_ushort v1, v[1:2], off
	s_add_i32 s10, s10, s56
	s_waitcnt vmcnt(3)
	v_cmp_lt_i16_e32 vcc, -1, v4
	v_cndmask_b32_e32 v2, v41, v42, vcc
	v_lshlrev_b32_e32 v3, 16, v4
	v_cmp_o_f32_e32 vcc, v3, v3
	v_xor_b32_sdwa v2, v2, v4 dst_sel:DWORD dst_unused:UNUSED_PAD src0_sel:DWORD src1_sel:WORD_0
	v_cndmask_b32_e32 v2, v41, v2, vcc
	s_waitcnt vmcnt(2)
	v_cmp_lt_i16_e32 vcc, -1, v13
	v_cndmask_b32_e32 v3, v41, v42, vcc
	v_lshlrev_b32_e32 v4, 16, v13
	v_cmp_o_f32_e32 vcc, v4, v4
	v_xor_b32_sdwa v3, v3, v13 dst_sel:DWORD dst_unused:UNUSED_PAD src0_sel:DWORD src1_sel:WORD_0
	v_cndmask_b32_e32 v3, v41, v3, vcc
	;; [unrolled: 7-line block ×3, first 2 shown]
	s_waitcnt vmcnt(0)
	v_cmp_lt_i16_e32 vcc, -1, v1
	v_cndmask_b32_e32 v6, v41, v42, vcc
	v_lshlrev_b32_e32 v13, 16, v1
	v_cmp_o_f32_e32 vcc, v13, v13
	v_xor_b32_sdwa v1, v6, v1 dst_sel:DWORD dst_unused:UNUSED_PAD src0_sel:DWORD src1_sel:WORD_0
	v_and_b32_e32 v6, v2, v46
	v_bfe_u32 v2, v2, v45, 2
	v_cndmask_b32_e32 v1, v41, v1, vcc
	v_cmp_eq_u32_e32 vcc, v6, v38
	v_and_b32_e32 v6, v3, v46
	v_bfe_u32 v3, v3, v45, 2
	v_cmp_eq_u32_e64 s[28:29], 0, v2
	v_cmp_eq_u32_e64 s[6:7], v6, v38
	v_and_b32_e32 v6, v4, v46
	v_bfe_u32 v4, v4, v45, 2
	s_and_b64 s[2:3], vcc, s[28:29]
	v_cmp_eq_u32_e64 s[28:29], 0, v3
	v_cmp_eq_u32_e64 s[22:23], v6, v38
	v_and_b32_e32 v6, v1, v46
	v_bfe_u32 v1, v1, v45, 2
	s_and_b64 s[42:43], s[6:7], s[28:29]
	v_cmp_eq_u32_e64 s[28:29], 0, v4
	v_cmp_eq_u32_e64 s[26:27], v6, v38
	s_and_b64 s[74:75], s[22:23], s[28:29]
	v_cmp_eq_u32_e64 s[28:29], 0, v1
	v_cndmask_b32_e64 v6, 0, 1, s[2:3]
	s_and_b64 s[76:77], s[26:27], s[28:29]
	v_cmp_ne_u32_e64 s[28:29], 0, v6
	v_cndmask_b32_e64 v6, 0, 1, s[42:43]
	s_bcnt1_i32_b64 s2, s[28:29]
	v_cmp_ne_u32_e64 s[28:29], 0, v6
	v_cndmask_b32_e64 v6, 0, 1, s[74:75]
	s_bcnt1_i32_b64 s3, s[28:29]
	v_cmp_ne_u32_e64 s[28:29], 0, v6
	v_cndmask_b32_e64 v6, 0, 1, s[76:77]
	s_add_i32 s2, s15, s2
	s_bcnt1_i32_b64 s42, s[28:29]
	v_cmp_ne_u32_e64 s[28:29], 0, v6
	s_add_i32 s2, s2, s3
	s_bcnt1_i32_b64 s28, s[28:29]
	s_add_i32 s2, s2, s42
	s_add_i32 s15, s2, s28
	v_cmp_eq_u32_e64 s[28:29], 1, v2
	s_and_b64 s[2:3], vcc, s[28:29]
	v_cmp_eq_u32_e64 s[28:29], 1, v3
	s_and_b64 s[42:43], s[6:7], s[28:29]
	v_cmp_eq_u32_e64 s[28:29], 1, v4
	s_and_b64 s[74:75], s[22:23], s[28:29]
	v_cmp_eq_u32_e64 s[28:29], 1, v1
	v_cndmask_b32_e64 v6, 0, 1, s[2:3]
	s_and_b64 s[76:77], s[26:27], s[28:29]
	v_cmp_ne_u32_e64 s[28:29], 0, v6
	v_cndmask_b32_e64 v6, 0, 1, s[42:43]
	s_bcnt1_i32_b64 s2, s[28:29]
	v_cmp_ne_u32_e64 s[28:29], 0, v6
	v_cndmask_b32_e64 v6, 0, 1, s[74:75]
	s_bcnt1_i32_b64 s3, s[28:29]
	v_cmp_ne_u32_e64 s[28:29], 0, v6
	v_cndmask_b32_e64 v6, 0, 1, s[76:77]
	s_add_i32 s2, s14, s2
	s_bcnt1_i32_b64 s42, s[28:29]
	v_cmp_ne_u32_e64 s[28:29], 0, v6
	s_add_i32 s2, s2, s3
	s_bcnt1_i32_b64 s28, s[28:29]
	s_add_i32 s2, s2, s42
	s_add_i32 s14, s2, s28
	v_cmp_eq_u32_e64 s[28:29], 2, v2
	s_and_b64 s[2:3], vcc, s[28:29]
	v_cmp_eq_u32_e64 s[28:29], 2, v3
	s_and_b64 s[42:43], s[6:7], s[28:29]
	v_cmp_eq_u32_e64 s[28:29], 2, v4
	s_and_b64 s[74:75], s[22:23], s[28:29]
	v_cmp_eq_u32_e64 s[28:29], 2, v1
	v_cndmask_b32_e64 v6, 0, 1, s[2:3]
	s_and_b64 s[76:77], s[26:27], s[28:29]
	v_cmp_ne_u32_e64 s[28:29], 0, v6
	v_cndmask_b32_e64 v6, 0, 1, s[42:43]
	s_bcnt1_i32_b64 s2, s[28:29]
	v_cmp_ne_u32_e64 s[28:29], 0, v6
	v_cndmask_b32_e64 v6, 0, 1, s[74:75]
	s_bcnt1_i32_b64 s3, s[28:29]
	v_cmp_ne_u32_e64 s[28:29], 0, v6
	v_cndmask_b32_e64 v6, 0, 1, s[76:77]
	s_add_i32 s2, s13, s2
	s_bcnt1_i32_b64 s42, s[28:29]
	v_cmp_ne_u32_e64 s[28:29], 0, v6
	s_add_i32 s2, s2, s3
	s_bcnt1_i32_b64 s28, s[28:29]
	s_add_i32 s2, s2, s42
	s_add_i32 s13, s2, s28
	v_cmp_eq_u32_e64 s[28:29], 3, v2
	s_and_b64 s[2:3], vcc, s[28:29]
	v_cmp_eq_u32_e32 vcc, 3, v3
	s_and_b64 s[6:7], s[6:7], vcc
	v_cmp_eq_u32_e32 vcc, 3, v4
	s_and_b64 s[22:23], s[22:23], vcc
	v_cmp_eq_u32_e32 vcc, 3, v1
	v_cndmask_b32_e64 v1, 0, 1, s[2:3]
	s_and_b64 s[26:27], s[26:27], vcc
	v_cmp_ne_u32_e32 vcc, 0, v1
	v_cndmask_b32_e64 v1, 0, 1, s[6:7]
	s_bcnt1_i32_b64 s2, vcc
	v_cmp_ne_u32_e32 vcc, 0, v1
	v_cndmask_b32_e64 v1, 0, 1, s[22:23]
	s_bcnt1_i32_b64 s3, vcc
	v_cmp_ne_u32_e32 vcc, 0, v1
	v_cndmask_b32_e64 v1, 0, 1, s[26:27]
	s_add_i32 s2, s11, s2
	s_bcnt1_i32_b64 s6, vcc
	v_cmp_ne_u32_e32 vcc, 0, v1
	s_add_i32 s2, s2, s3
	s_bcnt1_i32_b64 s7, vcc
	s_add_i32 s2, s2, s6
	s_add_i32 s11, s2, s7
	v_cmp_le_u32_e32 vcc, s53, v12
	s_or_b64 s[72:73], vcc, s[72:73]
	v_mov_b32_e32 v1, s15
	v_mov_b32_e32 v2, s14
	;; [unrolled: 1-line block ×4, first 2 shown]
	s_andn2_b64 exec, exec, s[72:73]
	s_cbranch_execnz .LBB139_86
; %bb.87:                               ;   in Loop: Header=BB139_29 Depth=1
	s_or_b64 exec, exec, s[72:73]
.LBB139_88:                             ;   in Loop: Header=BB139_29 Depth=1
	s_or_b64 exec, exec, s[30:31]
	s_and_saveexec_b64 s[22:23], s[18:19]
	s_cbranch_execz .LBB139_94
; %bb.89:                               ;   in Loop: Header=BB139_29 Depth=1
	global_load_ushort v13, v[10:11], off
	s_mov_b64 s[26:27], 0
	v_mov_b32_e32 v6, v37
	v_mov_b32_e32 v12, v31
	s_branch .LBB139_91
.LBB139_90:                             ;   in Loop: Header=BB139_91 Depth=2
	s_or_b64 exec, exec, s[10:11]
	s_and_b64 s[2:3], exec, vcc
	s_waitcnt vmcnt(0)
	v_cmp_lt_i16_e32 vcc, -1, v13
	v_cndmask_b32_e32 v15, v41, v42, vcc
	v_lshlrev_b32_e32 v16, 16, v13
	v_xor_b32_sdwa v13, v15, v13 dst_sel:DWORD dst_unused:UNUSED_PAD src0_sel:DWORD src1_sel:WORD_0
	v_cmp_o_f32_e32 vcc, v16, v16
	v_cndmask_b32_e32 v13, v41, v13, vcc
	v_and_b32_e32 v15, v13, v46
	v_bfe_u32 v13, v13, v45, 2
	s_or_b64 s[26:27], s[2:3], s[26:27]
	v_cmp_eq_u32_e32 vcc, v15, v38
	v_cmp_eq_u32_e64 s[6:7], 0, v13
	s_and_b64 s[2:3], vcc, s[6:7]
	v_cndmask_b32_e64 v15, 0, 1, s[2:3]
	v_cmp_ne_u32_e64 s[6:7], 0, v15
	s_bcnt1_i32_b64 s2, s[6:7]
	v_cmp_eq_u32_e64 s[6:7], 1, v13
	v_add_u32_e32 v1, s2, v1
	s_and_b64 s[2:3], vcc, s[6:7]
	v_cndmask_b32_e64 v15, 0, 1, s[2:3]
	v_cmp_ne_u32_e64 s[6:7], 0, v15
	s_bcnt1_i32_b64 s2, s[6:7]
	v_cmp_eq_u32_e64 s[6:7], 2, v13
	v_add_u32_e32 v2, s2, v2
	;; [unrolled: 6-line block ×3, first 2 shown]
	s_and_b64 s[2:3], vcc, s[6:7]
	v_cndmask_b32_e64 v13, 0, 1, s[2:3]
	v_cmp_ne_u32_e32 vcc, 0, v13
	s_bcnt1_i32_b64 s2, vcc
	v_add_u32_e32 v4, s2, v4
	v_add_u32_e32 v6, s45, v6
	v_mov_b32_e32 v13, v14
	s_andn2_b64 exec, exec, s[26:27]
	s_cbranch_execz .LBB139_93
.LBB139_91:                             ;   Parent Loop BB139_29 Depth=1
                                        ; =>  This Inner Loop Header: Depth=2
	v_add_u32_e32 v12, s39, v12
	v_cmp_gt_u32_e64 s[6:7], s36, v12
	v_cmp_le_u32_e32 vcc, s36, v12
	v_mov_b32_e32 v14, 0
	s_and_saveexec_b64 s[10:11], s[6:7]
	s_cbranch_execz .LBB139_90
; %bb.92:                               ;   in Loop: Header=BB139_91 Depth=2
	v_lshlrev_b64 v[14:15], 1, v[6:7]
	v_mov_b32_e32 v16, s40
	v_add_co_u32_e64 v14, s[6:7], s37, v14
	v_addc_co_u32_e64 v15, s[6:7], v16, v15, s[6:7]
	global_load_ushort v14, v[14:15], off
	s_branch .LBB139_90
.LBB139_93:                             ;   in Loop: Header=BB139_29 Depth=1
	s_or_b64 exec, exec, s[26:27]
.LBB139_94:                             ;   in Loop: Header=BB139_29 Depth=1
	s_or_b64 exec, exec, s[22:23]
	s_branch .LBB139_76
.LBB139_95:                             ;   in Loop: Header=BB139_29 Depth=1
	s_mul_hi_u32 s2, s12, s1
	s_mul_i32 s2, s2, s44
	s_sub_i32 s2, s12, s2
	s_sub_i32 s3, s2, s44
	s_cmp_ge_u32 s2, s44
	s_cselect_b32 s2, s3, s2
	s_sub_i32 s3, s2, s44
	s_cmp_ge_u32 s2, s44
	s_cselect_b32 s2, s3, s2
	s_sub_i32 s10, s12, s2
	v_cmp_gt_u32_e32 vcc, s10, v20
	v_mov_b32_e32 v1, 0
	v_mov_b32_e32 v2, 0
	;; [unrolled: 1-line block ×4, first 2 shown]
	s_and_saveexec_b64 s[30:31], vcc
	s_cbranch_execz .LBB139_99
; %bb.96:                               ;   in Loop: Header=BB139_29 Depth=1
	s_mov_b32 s11, 0
	s_mov_b64 s[72:73], 0
	v_mov_b32_e32 v6, v40
	s_mov_b32 s13, 0
	s_mov_b32 s14, 0
	;; [unrolled: 1-line block ×3, first 2 shown]
	v_mov_b32_e32 v12, v20
.LBB139_97:                             ;   Parent Loop BB139_29 Depth=1
                                        ; =>  This Inner Loop Header: Depth=2
	ds_read_b64 v[1:2], v6
	v_add_u32_e32 v12, s44, v12
	v_add_u32_e32 v6, s57, v6
	s_waitcnt lgkmcnt(0)
	v_cmp_lt_i16_e32 vcc, -1, v1
	v_cndmask_b32_e32 v3, v41, v42, vcc
	v_lshlrev_b32_e32 v4, 16, v1
	v_cmp_o_f32_e32 vcc, v4, v4
	v_xor_b32_sdwa v3, v3, v1 dst_sel:DWORD dst_unused:UNUSED_PAD src0_sel:DWORD src1_sel:WORD_0
	v_cndmask_b32_e32 v3, v41, v3, vcc
	v_cmp_gt_i16_sdwa vcc, v1, v43 src0_sel:WORD_1 src1_sel:DWORD
	v_cndmask_b32_e32 v4, v41, v42, vcc
	v_and_b32_e32 v13, 0xffff0000, v1
	v_cmp_o_f32_e32 vcc, v13, v13
	v_xor_b32_sdwa v1, v4, v1 dst_sel:DWORD dst_unused:UNUSED_PAD src0_sel:DWORD src1_sel:WORD_1
	v_cndmask_b32_e32 v1, v41, v1, vcc
	v_cmp_lt_i16_e32 vcc, -1, v2
	v_cndmask_b32_e32 v4, v41, v42, vcc
	v_lshlrev_b32_e32 v13, 16, v2
	v_cmp_o_f32_e32 vcc, v13, v13
	v_xor_b32_sdwa v4, v4, v2 dst_sel:DWORD dst_unused:UNUSED_PAD src0_sel:DWORD src1_sel:WORD_0
	v_cndmask_b32_e32 v4, v41, v4, vcc
	v_cmp_gt_i16_sdwa vcc, v2, v43 src0_sel:WORD_1 src1_sel:DWORD
	v_cndmask_b32_e32 v13, v41, v42, vcc
	v_and_b32_e32 v14, 0xffff0000, v2
	v_cmp_o_f32_e32 vcc, v14, v14
	v_xor_b32_sdwa v2, v13, v2 dst_sel:DWORD dst_unused:UNUSED_PAD src0_sel:DWORD src1_sel:WORD_1
	v_and_b32_e32 v13, v3, v46
	v_bfe_u32 v3, v3, v45, 2
	v_cndmask_b32_e32 v2, v41, v2, vcc
	v_cmp_eq_u32_e32 vcc, v13, v38
	v_and_b32_e32 v13, v1, v46
	v_bfe_u32 v1, v1, v45, 2
	v_cmp_eq_u32_e64 s[28:29], 0, v3
	v_cmp_eq_u32_e64 s[6:7], v13, v38
	v_and_b32_e32 v13, v4, v46
	v_bfe_u32 v4, v4, v45, 2
	s_and_b64 s[2:3], vcc, s[28:29]
	v_cmp_eq_u32_e64 s[28:29], 0, v1
	v_cmp_eq_u32_e64 s[22:23], v13, v38
	v_and_b32_e32 v13, v2, v46
	v_bfe_u32 v2, v2, v45, 2
	s_and_b64 s[42:43], s[6:7], s[28:29]
	v_cmp_eq_u32_e64 s[28:29], 0, v4
	v_cmp_eq_u32_e64 s[26:27], v13, v38
	s_and_b64 s[74:75], s[22:23], s[28:29]
	v_cmp_eq_u32_e64 s[28:29], 0, v2
	v_cndmask_b32_e64 v13, 0, 1, s[2:3]
	s_and_b64 s[76:77], s[26:27], s[28:29]
	v_cmp_ne_u32_e64 s[28:29], 0, v13
	v_cndmask_b32_e64 v13, 0, 1, s[42:43]
	s_bcnt1_i32_b64 s2, s[28:29]
	v_cmp_ne_u32_e64 s[28:29], 0, v13
	v_cndmask_b32_e64 v13, 0, 1, s[74:75]
	s_bcnt1_i32_b64 s3, s[28:29]
	v_cmp_ne_u32_e64 s[28:29], 0, v13
	v_cndmask_b32_e64 v13, 0, 1, s[76:77]
	s_add_i32 s2, s15, s2
	s_bcnt1_i32_b64 s42, s[28:29]
	v_cmp_ne_u32_e64 s[28:29], 0, v13
	s_add_i32 s2, s2, s3
	s_bcnt1_i32_b64 s28, s[28:29]
	s_add_i32 s2, s2, s42
	s_add_i32 s15, s2, s28
	v_cmp_eq_u32_e64 s[28:29], 1, v3
	s_and_b64 s[2:3], vcc, s[28:29]
	v_cmp_eq_u32_e64 s[28:29], 1, v1
	s_and_b64 s[42:43], s[6:7], s[28:29]
	v_cmp_eq_u32_e64 s[28:29], 1, v4
	s_and_b64 s[74:75], s[22:23], s[28:29]
	v_cmp_eq_u32_e64 s[28:29], 1, v2
	v_cndmask_b32_e64 v13, 0, 1, s[2:3]
	s_and_b64 s[76:77], s[26:27], s[28:29]
	v_cmp_ne_u32_e64 s[28:29], 0, v13
	v_cndmask_b32_e64 v13, 0, 1, s[42:43]
	s_bcnt1_i32_b64 s2, s[28:29]
	v_cmp_ne_u32_e64 s[28:29], 0, v13
	v_cndmask_b32_e64 v13, 0, 1, s[74:75]
	s_bcnt1_i32_b64 s3, s[28:29]
	v_cmp_ne_u32_e64 s[28:29], 0, v13
	v_cndmask_b32_e64 v13, 0, 1, s[76:77]
	s_add_i32 s2, s14, s2
	s_bcnt1_i32_b64 s42, s[28:29]
	v_cmp_ne_u32_e64 s[28:29], 0, v13
	s_add_i32 s2, s2, s3
	s_bcnt1_i32_b64 s28, s[28:29]
	s_add_i32 s2, s2, s42
	s_add_i32 s14, s2, s28
	v_cmp_eq_u32_e64 s[28:29], 2, v3
	s_and_b64 s[2:3], vcc, s[28:29]
	v_cmp_eq_u32_e64 s[28:29], 2, v1
	s_and_b64 s[42:43], s[6:7], s[28:29]
	v_cmp_eq_u32_e64 s[28:29], 2, v4
	s_and_b64 s[74:75], s[22:23], s[28:29]
	v_cmp_eq_u32_e64 s[28:29], 2, v2
	v_cndmask_b32_e64 v13, 0, 1, s[2:3]
	s_and_b64 s[76:77], s[26:27], s[28:29]
	v_cmp_ne_u32_e64 s[28:29], 0, v13
	v_cndmask_b32_e64 v13, 0, 1, s[42:43]
	s_bcnt1_i32_b64 s2, s[28:29]
	v_cmp_ne_u32_e64 s[28:29], 0, v13
	v_cndmask_b32_e64 v13, 0, 1, s[74:75]
	s_bcnt1_i32_b64 s3, s[28:29]
	v_cmp_ne_u32_e64 s[28:29], 0, v13
	v_cndmask_b32_e64 v13, 0, 1, s[76:77]
	s_add_i32 s2, s13, s2
	s_bcnt1_i32_b64 s42, s[28:29]
	v_cmp_ne_u32_e64 s[28:29], 0, v13
	s_add_i32 s2, s2, s3
	s_bcnt1_i32_b64 s28, s[28:29]
	s_add_i32 s2, s2, s42
	s_add_i32 s13, s2, s28
	v_cmp_eq_u32_e64 s[28:29], 3, v3
	s_and_b64 s[2:3], vcc, s[28:29]
	v_cmp_eq_u32_e32 vcc, 3, v1
	s_and_b64 s[6:7], s[6:7], vcc
	v_cmp_eq_u32_e32 vcc, 3, v4
	s_and_b64 s[22:23], s[22:23], vcc
	v_cmp_eq_u32_e32 vcc, 3, v2
	v_cndmask_b32_e64 v1, 0, 1, s[2:3]
	s_and_b64 s[26:27], s[26:27], vcc
	v_cmp_ne_u32_e32 vcc, 0, v1
	v_cndmask_b32_e64 v1, 0, 1, s[6:7]
	s_bcnt1_i32_b64 s2, vcc
	v_cmp_ne_u32_e32 vcc, 0, v1
	v_cndmask_b32_e64 v1, 0, 1, s[22:23]
	s_bcnt1_i32_b64 s3, vcc
	v_cmp_ne_u32_e32 vcc, 0, v1
	v_cndmask_b32_e64 v1, 0, 1, s[26:27]
	s_add_i32 s2, s11, s2
	s_bcnt1_i32_b64 s6, vcc
	v_cmp_ne_u32_e32 vcc, 0, v1
	s_add_i32 s2, s2, s3
	s_bcnt1_i32_b64 s7, vcc
	s_add_i32 s2, s2, s6
	s_add_i32 s11, s2, s7
	v_cmp_le_u32_e32 vcc, s10, v12
	s_or_b64 s[72:73], vcc, s[72:73]
	v_mov_b32_e32 v1, s15
	v_mov_b32_e32 v2, s14
	v_mov_b32_e32 v3, s13
	v_mov_b32_e32 v4, s11
	s_andn2_b64 exec, exec, s[72:73]
	s_cbranch_execnz .LBB139_97
; %bb.98:                               ;   in Loop: Header=BB139_29 Depth=1
	s_or_b64 exec, exec, s[72:73]
.LBB139_99:                             ;   in Loop: Header=BB139_29 Depth=1
	s_or_b64 exec, exec, s[30:31]
	v_add_u32_e32 v6, s10, v0
	v_cmp_gt_u32_e32 vcc, s12, v6
	s_and_saveexec_b64 s[72:73], vcc
	s_cbranch_execz .LBB139_103
; %bb.100:                              ;   in Loop: Header=BB139_29 Depth=1
	v_lshlrev_b32_e32 v12, 1, v6
	s_mov_b64 s[42:43], 0
.LBB139_101:                            ;   Parent Loop BB139_29 Depth=1
                                        ; =>  This Inner Loop Header: Depth=2
	ds_read_u16 v13, v12
	v_add_u32_e32 v6, s39, v6
	v_cmp_le_u32_e32 vcc, s12, v6
	v_add_u32_e32 v12, s20, v12
	s_waitcnt lgkmcnt(0)
	v_cmp_lt_i16_e64 s[6:7], -1, v13
	v_cndmask_b32_e64 v14, v41, v42, s[6:7]
	v_lshlrev_b32_e32 v15, 16, v13
	v_xor_b32_sdwa v13, v14, v13 dst_sel:DWORD dst_unused:UNUSED_PAD src0_sel:DWORD src1_sel:WORD_0
	v_cmp_o_f32_e64 s[6:7], v15, v15
	v_cndmask_b32_e64 v13, v41, v13, s[6:7]
	v_and_b32_e32 v14, v13, v46
	v_bfe_u32 v13, v13, v45, 2
	v_cmp_eq_u32_e64 s[6:7], v14, v38
	v_cmp_eq_u32_e64 s[22:23], 0, v13
	;; [unrolled: 1-line block ×3, first 2 shown]
	s_and_b64 s[2:3], s[6:7], s[22:23]
	v_cmp_eq_u32_e64 s[28:29], 2, v13
	v_cmp_eq_u32_e64 s[30:31], 3, v13
	v_cndmask_b32_e64 v13, 0, 1, s[2:3]
	s_and_b64 s[2:3], s[6:7], s[26:27]
	v_cndmask_b32_e64 v14, 0, 1, s[2:3]
	s_and_b64 s[2:3], s[6:7], s[28:29]
	;; [unrolled: 2-line block ×3, first 2 shown]
	v_cndmask_b32_e64 v16, 0, 1, s[2:3]
	v_cmp_ne_u32_e64 s[6:7], 0, v13
	v_cmp_ne_u32_e64 s[22:23], 0, v14
	;; [unrolled: 1-line block ×4, first 2 shown]
	s_bcnt1_i32_b64 s2, s[6:7]
	s_bcnt1_i32_b64 s3, s[22:23]
	;; [unrolled: 1-line block ×4, first 2 shown]
	v_add_u32_e32 v1, s2, v1
	v_add_u32_e32 v2, s3, v2
	;; [unrolled: 1-line block ×3, first 2 shown]
	s_or_b64 s[42:43], vcc, s[42:43]
	v_add_u32_e32 v4, s7, v4
	s_andn2_b64 exec, exec, s[42:43]
	s_cbranch_execnz .LBB139_101
; %bb.102:                              ;   in Loop: Header=BB139_29 Depth=1
	s_or_b64 exec, exec, s[42:43]
.LBB139_103:                            ;   in Loop: Header=BB139_29 Depth=1
	s_or_b64 exec, exec, s[72:73]
	s_lshl_b32 s10, s52, 6
	s_and_saveexec_b64 s[6:7], s[4:5]
	s_cbranch_execnz .LBB139_77
	s_branch .LBB139_78
.LBB139_104:                            ;   in Loop: Header=BB139_29 Depth=1
	v_mov_b32_e32 v1, 0
	s_mov_b32 s2, 0
.LBB139_105:                            ;   in Loop: Header=BB139_29 Depth=1
	v_readlane_b32 s12, v53, 25
	v_readlane_b32 s13, v53, 26
	s_andn2_b64 vcc, exec, s[12:13]
	s_cbranch_vccnz .LBB139_108
; %bb.106:                              ;   in Loop: Header=BB139_29 Depth=1
	s_lshl_b32 s3, s52, 8
	s_lshl_b32 s2, s2, 4
	s_add_i32 s3, s3, s2
	v_add_u32_e32 v2, s3, v39
	v_readlane_b32 s2, v53, 24
.LBB139_107:                            ;   Parent Loop BB139_29 Depth=1
                                        ; =>  This Inner Loop Header: Depth=2
	ds_read_b32 v3, v2
	s_add_i32 s2, s2, -1
	v_add_u32_e32 v2, 16, v2
	s_cmp_lg_u32 s2, 0
	s_waitcnt lgkmcnt(0)
	v_add_u32_e32 v1, v3, v1
	s_cbranch_scc1 .LBB139_107
.LBB139_108:                            ;   in Loop: Header=BB139_29 Depth=1
	v_add_lshl_u32 v2, s10, v21, 2
	ds_write_b32 v2, v1 offset:3072
.LBB139_109:                            ;   in Loop: Header=BB139_29 Depth=1
	s_or_b64 exec, exec, s[6:7]
	s_lshl_b32 s2, s10, 2
	v_mov_b32_e32 v1, s2
	s_waitcnt lgkmcnt(0)
	s_barrier
	ds_read_b128 v[1:4], v1 offset:3072
	v_cmp_eq_u32_e32 vcc, 1, v48
	s_mov_b64 s[22:23], -1
	s_mov_b64 s[10:11], -1
                                        ; implicit-def: $sgpr30_sgpr31
                                        ; implicit-def: $sgpr28_sgpr29
	s_waitcnt lgkmcnt(0)
	v_readfirstlane_b32 s78, v1
	s_cmp_eq_u32 s78, 1
	v_lshlrev_b32_e64 v1, v45, 3
	s_cselect_b64 s[2:3], -1, 0
	v_readfirstlane_b32 s15, v2
	v_readfirstlane_b32 s14, v3
	;; [unrolled: 1-line block ×3, first 2 shown]
	v_not_b32_e32 v3, v1
	s_and_b64 s[26:27], s[2:3], vcc
	s_and_saveexec_b64 s[6:7], s[26:27]
	s_cbranch_execz .LBB139_135
; %bb.110:                              ;   in Loop: Header=BB139_29 Depth=1
	ds_read_b32 v2, v7 offset:4104
	s_waitcnt lgkmcnt(0)
	s_barrier
	v_readfirstlane_b32 s2, v2
	s_and_saveexec_b64 s[10:11], s[24:25]
; %bb.111:                              ;   in Loop: Header=BB139_29 Depth=1
	ds_write_b16 v23, v7
; %bb.112:                              ;   in Loop: Header=BB139_29 Depth=1
	s_or_b64 exec, exec, s[10:11]
	v_and_b32_e32 v38, v38, v3
	v_or_b32_e32 v46, v46, v1
	s_mov_b64 s[28:29], -1
	s_mov_b64 s[30:31], 0
	s_cmp_eq_u32 s2, 0
	s_mov_b64 s[72:73], 0
	s_mov_b64 s[74:75], -1
	s_waitcnt lgkmcnt(0)
	s_barrier
                                        ; implicit-def: $vgpr47
	s_cbranch_scc1 .LBB139_123
; %bb.113:                              ;   in Loop: Header=BB139_29 Depth=1
	s_add_i32 s3, s2, s8
	s_mul_hi_u32 s10, s3, s54
	s_mul_i32 s10, s10, s39
	s_sub_i32 s10, s3, s10
	s_sub_i32 s11, s10, s39
	s_cmp_ge_u32 s10, s39
	s_cselect_b32 s10, s11, s10
	s_sub_i32 s11, s10, s39
	s_cmp_ge_u32 s10, s39
	s_cselect_b32 s10, s11, s10
	s_sub_i32 s3, s3, s10
	v_cmp_gt_u32_e32 vcc, s3, v0
	s_mov_b64 s[74:75], 0
                                        ; implicit-def: $vgpr47
	s_and_saveexec_b64 s[42:43], vcc
	s_cbranch_execz .LBB139_122
; %bb.114:                              ;   in Loop: Header=BB139_29 Depth=1
	v_mov_b32_e32 v2, v22
	v_mov_b32_e32 v4, v0
                                        ; implicit-def: $sgpr10_sgpr11
	s_branch .LBB139_117
.LBB139_115:                            ;   in Loop: Header=BB139_117 Depth=2
	s_or_b64 exec, exec, s[12:13]
	s_waitcnt lgkmcnt(0)
	s_barrier
	ds_read_b32 v6, v7 offset:3072
	s_mov_b64 s[12:13], -1
	s_mov_b64 s[76:77], -1
	s_waitcnt lgkmcnt(0)
	s_barrier
	v_and_b32_e32 v12, 0x7fff, v6
	v_cmp_ne_u32_e32 vcc, 0, v12
	s_cbranch_vccz .LBB139_120
.LBB139_116:                            ;   in Loop: Header=BB139_117 Depth=2
	s_and_b64 s[12:13], exec, s[12:13]
	s_or_b64 s[72:73], s[12:13], s[72:73]
	s_andn2_b64 s[10:11], s[10:11], exec
	s_and_b64 s[12:13], s[76:77], exec
	s_or_b64 s[10:11], s[10:11], s[12:13]
	s_andn2_b64 exec, exec, s[72:73]
	s_cbranch_execz .LBB139_121
.LBB139_117:                            ;   Parent Loop BB139_29 Depth=1
                                        ; =>  This Inner Loop Header: Depth=2
	v_cmp_gt_u32_e32 vcc, s2, v4
	s_and_saveexec_b64 s[12:13], vcc
	s_cbranch_execz .LBB139_115
; %bb.118:                              ;   in Loop: Header=BB139_117 Depth=2
	ds_read_u16 v6, v2
	s_waitcnt lgkmcnt(0)
	v_cmp_lt_i16_e32 vcc, -1, v6
	v_cndmask_b32_e32 v12, v41, v42, vcc
	v_lshlrev_b32_e32 v13, 16, v6
	v_cmp_o_f32_e32 vcc, v13, v13
	v_xor_b32_sdwa v12, v12, v6 dst_sel:DWORD dst_unused:UNUSED_PAD src0_sel:DWORD src1_sel:WORD_0
	v_cndmask_b32_e32 v12, v41, v12, vcc
	v_and_b32_e32 v12, v12, v46
	v_cmp_eq_u32_e32 vcc, v12, v38
	s_and_b64 exec, exec, vcc
	s_cbranch_execz .LBB139_115
; %bb.119:                              ;   in Loop: Header=BB139_117 Depth=2
	v_perm_b32 v6, v6, s48, v44
	ds_write_b32 v7, v6 offset:3072
	s_branch .LBB139_115
.LBB139_120:                            ;   in Loop: Header=BB139_117 Depth=2
	v_add_u32_e32 v4, s39, v4
	v_cmp_le_u32_e32 vcc, s3, v4
	v_add_u32_e32 v2, s20, v2
	s_mov_b64 s[76:77], 0
	s_orn2_b64 s[12:13], vcc, exec
	s_branch .LBB139_116
.LBB139_121:                            ;   in Loop: Header=BB139_29 Depth=1
	s_or_b64 exec, exec, s[72:73]
	v_lshrrev_b32_e32 v47, 16, v6
	s_and_b64 s[72:73], s[10:11], exec
.LBB139_122:                            ;   in Loop: Header=BB139_29 Depth=1
	s_or_b64 exec, exec, s[42:43]
.LBB139_123:                            ;   in Loop: Header=BB139_29 Depth=1
	s_and_b64 vcc, exec, s[74:75]
	s_cbranch_vccz .LBB139_134
; %bb.124:                              ;   in Loop: Header=BB139_29 Depth=1
                                        ; implicit-def: $vgpr47
	s_mov_b64 s[28:29], exec
	v_readlane_b32 s2, v53, 27
	v_readlane_b32 s3, v53, 28
	s_and_b64 s[2:3], s[28:29], s[2:3]
	s_mov_b64 exec, s[2:3]
	s_cbranch_execz .LBB139_133
; %bb.125:                              ;   in Loop: Header=BB139_29 Depth=1
	s_mov_b64 s[30:31], 0
	v_mov_b32_e32 v6, v5
	v_mov_b32_e32 v2, v0
                                        ; implicit-def: $sgpr42_sgpr43
	s_branch .LBB139_128
.LBB139_126:                            ;   in Loop: Header=BB139_128 Depth=2
	s_or_b64 exec, exec, s[10:11]
	s_waitcnt lgkmcnt(0)
	s_barrier
	ds_read_b32 v4, v7 offset:3072
	s_mov_b64 s[10:11], -1
	s_mov_b64 s[12:13], -1
	s_waitcnt lgkmcnt(0)
	s_barrier
	v_and_b32_e32 v12, 0x7fff, v4
	v_cmp_ne_u32_e32 vcc, 0, v12
	s_cbranch_vccz .LBB139_131
.LBB139_127:                            ;   in Loop: Header=BB139_128 Depth=2
	s_and_b64 s[2:3], exec, s[10:11]
	s_or_b64 s[30:31], s[2:3], s[30:31]
	s_andn2_b64 s[2:3], s[42:43], exec
	s_and_b64 s[10:11], s[12:13], exec
	s_or_b64 s[42:43], s[2:3], s[10:11]
	s_andn2_b64 exec, exec, s[30:31]
	s_cbranch_execz .LBB139_132
.LBB139_128:                            ;   Parent Loop BB139_29 Depth=1
                                        ; =>  This Inner Loop Header: Depth=2
	v_cmp_gt_u32_e32 vcc, s36, v2
	s_and_saveexec_b64 s[10:11], vcc
	s_cbranch_execz .LBB139_126
; %bb.129:                              ;   in Loop: Header=BB139_128 Depth=2
	v_lshlrev_b64 v[12:13], 1, v[6:7]
	v_mov_b32_e32 v4, s40
	v_add_co_u32_e32 v12, vcc, s37, v12
	v_addc_co_u32_e32 v13, vcc, v4, v13, vcc
	global_load_ushort v4, v[12:13], off
	s_waitcnt vmcnt(0)
	v_cmp_lt_i16_e32 vcc, -1, v4
	v_cndmask_b32_e32 v12, v41, v42, vcc
	v_lshlrev_b32_e32 v13, 16, v4
	v_xor_b32_sdwa v12, v12, v4 dst_sel:DWORD dst_unused:UNUSED_PAD src0_sel:DWORD src1_sel:WORD_0
	v_cmp_o_f32_e32 vcc, v13, v13
	v_cndmask_b32_e32 v12, v41, v12, vcc
	v_and_b32_e32 v12, v12, v46
	v_cmp_eq_u32_e32 vcc, v12, v38
	s_and_b64 exec, exec, vcc
	s_cbranch_execz .LBB139_126
; %bb.130:                              ;   in Loop: Header=BB139_128 Depth=2
	v_perm_b32 v4, v4, s48, v44
	ds_write_b32 v7, v4 offset:3072
	s_branch .LBB139_126
.LBB139_131:                            ;   in Loop: Header=BB139_128 Depth=2
	v_add_u32_e32 v2, s39, v2
	v_cmp_le_u32_e32 vcc, s55, v2
	v_add_u32_e32 v6, s45, v6
	s_mov_b64 s[12:13], 0
	s_orn2_b64 s[10:11], vcc, exec
	s_branch .LBB139_127
.LBB139_132:                            ;   in Loop: Header=BB139_29 Depth=1
	s_or_b64 exec, exec, s[30:31]
	s_andn2_b64 s[2:3], s[72:73], exec
	s_and_b64 s[10:11], s[42:43], exec
	v_lshrrev_b32_e32 v47, 16, v4
	s_or_b64 s[72:73], s[2:3], s[10:11]
.LBB139_133:                            ;   in Loop: Header=BB139_29 Depth=1
	s_or_b64 exec, exec, s[28:29]
	s_mov_b64 s[28:29], 0
	s_mov_b64 s[30:31], -1
.LBB139_134:                            ;   in Loop: Header=BB139_29 Depth=1
	s_orn2_b64 s[10:11], s[72:73], exec
.LBB139_135:                            ;   in Loop: Header=BB139_29 Depth=1
	s_or_b64 exec, exec, s[6:7]
	s_andn2_b64 s[6:7], s[70:71], exec
	s_and_b64 s[12:13], s[30:31], exec
	s_or_b64 s[70:71], s[6:7], s[12:13]
	s_andn2_b64 s[6:7], s[68:69], exec
	s_and_b64 s[12:13], s[28:29], exec
	v_readfirstlane_b32 s2, v0
	s_andn2_b64 s[66:67], s[66:67], exec
	s_or_b64 s[68:69], s[6:7], s[12:13]
                                        ; implicit-def: $vgpr4
	s_and_saveexec_b64 s[6:7], s[10:11]
	s_cbranch_execz .LBB139_28
; %bb.136:                              ;   in Loop: Header=BB139_29 Depth=1
	s_xor_b64 s[2:3], s[26:27], -1
	s_mov_b64 s[26:27], 0
	v_mov_b32_e32 v4, 1
	v_mov_b32_e32 v2, 1
	s_and_saveexec_b64 s[22:23], s[2:3]
	s_cbranch_execz .LBB139_145
; %bb.137:                              ;   in Loop: Header=BB139_29 Depth=1
	v_cmp_ge_u32_e32 vcc, s78, v48
	s_and_saveexec_b64 s[2:3], vcc
	s_xor_b64 s[10:11], exec, s[2:3]
	s_cbranch_execz .LBB139_142
; %bb.138:                              ;   in Loop: Header=BB139_29 Depth=1
	ds_read_b32 v2, v7 offset:4104
	v_and_b32_e32 v38, v38, v3
	v_or_b32_e32 v46, v46, v1
	s_waitcnt lgkmcnt(0)
	v_cmp_ne_u32_e32 vcc, 0, v2
	s_cbranch_vccnz .LBB139_142
; %bb.139:                              ;   in Loop: Header=BB139_29 Depth=1
	s_mov_b64 s[12:13], exec
	v_readlane_b32 s2, v53, 8
	v_readlane_b32 s3, v53, 9
	s_and_b64 s[2:3], s[12:13], s[2:3]
	s_mov_b64 exec, s[2:3]
; %bb.140:                              ;   in Loop: Header=BB139_29 Depth=1
	v_mov_b32_e32 v2, s78
	ds_write_b32 v7, v2 offset:4108
; %bb.141:                              ;   in Loop: Header=BB139_29 Depth=1
	s_or_b64 exec, exec, s[12:13]
	s_waitcnt lgkmcnt(0)
	s_barrier
.LBB139_142:                            ;   in Loop: Header=BB139_29 Depth=1
	s_or_saveexec_b64 s[10:11], s[10:11]
	s_mov_b64 s[12:13], 0
	v_mov_b32_e32 v2, 8
	s_xor_b64 exec, exec, s[10:11]
; %bb.143:                              ;   in Loop: Header=BB139_29 Depth=1
	s_mov_b64 s[12:13], exec
	v_subrev_u32_e32 v48, s78, v48
	v_mov_b32_e32 v2, 0
; %bb.144:                              ;   in Loop: Header=BB139_29 Depth=1
	s_or_b64 exec, exec, s[10:11]
	s_and_b64 s[26:27], s[12:13], exec
	v_mov_b32_e32 v4, v48
.LBB139_145:                            ;   in Loop: Header=BB139_29 Depth=1
	s_or_b64 exec, exec, s[22:23]
	s_mov_b64 s[22:23], -1
	s_mov_b64 s[10:11], -1
                                        ; implicit-def: $sgpr28_sgpr29
                                        ; implicit-def: $sgpr30_sgpr31
	s_and_saveexec_b64 s[2:3], s[26:27]
	s_xor_b64 s[26:27], exec, s[2:3]
	s_cbranch_execz .LBB139_262
; %bb.146:                              ;   in Loop: Header=BB139_29 Depth=1
	s_cmp_eq_u32 s15, 1
	s_cselect_b64 s[2:3], -1, 0
	v_cmp_eq_u32_e32 vcc, 1, v4
	s_and_b64 s[74:75], s[2:3], vcc
                                        ; implicit-def: $sgpr30_sgpr31
                                        ; implicit-def: $sgpr28_sgpr29
	s_and_saveexec_b64 s[72:73], s[74:75]
	s_cbranch_execz .LBB139_172
; %bb.147:                              ;   in Loop: Header=BB139_29 Depth=1
	ds_read_b32 v6, v7 offset:4104
	s_waitcnt lgkmcnt(0)
	s_barrier
	v_readfirstlane_b32 s82, v6
	s_and_saveexec_b64 s[10:11], s[24:25]
; %bb.148:                              ;   in Loop: Header=BB139_29 Depth=1
	ds_write_b16 v23, v7
; %bb.149:                              ;   in Loop: Header=BB139_29 Depth=1
	s_or_b64 exec, exec, s[10:11]
	v_and_b32_e32 v6, v38, v3
	v_lshl_or_b32 v38, 1, v45, v6
	v_or_b32_e32 v46, v46, v1
	s_mov_b64 s[28:29], -1
	s_mov_b64 s[30:31], 0
	s_cmp_eq_u32 s82, 0
	s_mov_b64 s[76:77], 0
	s_mov_b64 s[78:79], -1
	s_waitcnt lgkmcnt(0)
	s_barrier
                                        ; implicit-def: $vgpr47
	s_cbranch_scc1 .LBB139_160
; %bb.150:                              ;   in Loop: Header=BB139_29 Depth=1
	s_add_i32 s2, s82, s8
	s_mul_hi_u32 s3, s2, s54
	s_mul_i32 s3, s3, s39
	s_sub_i32 s3, s2, s3
	s_sub_i32 s10, s3, s39
	s_cmp_ge_u32 s3, s39
	s_cselect_b32 s3, s10, s3
	s_sub_i32 s10, s3, s39
	s_cmp_ge_u32 s3, s39
	s_cselect_b32 s3, s10, s3
	s_sub_i32 s2, s2, s3
	v_cmp_gt_u32_e32 vcc, s2, v0
	s_mov_b64 s[78:79], 0
                                        ; implicit-def: $vgpr47
	s_and_saveexec_b64 s[80:81], vcc
	s_cbranch_execz .LBB139_159
; %bb.151:                              ;   in Loop: Header=BB139_29 Depth=1
	s_mov_b64 s[42:43], 0
	v_mov_b32_e32 v6, v22
	v_mov_b32_e32 v12, v0
                                        ; implicit-def: $sgpr76_sgpr77
	s_branch .LBB139_154
.LBB139_152:                            ;   in Loop: Header=BB139_154 Depth=2
	s_or_b64 exec, exec, s[10:11]
	s_waitcnt lgkmcnt(0)
	s_barrier
	ds_read_b32 v13, v7 offset:3072
	s_mov_b64 s[10:11], -1
	s_mov_b64 s[12:13], -1
	s_waitcnt lgkmcnt(0)
	s_barrier
	v_and_b32_e32 v14, 0x7fff, v13
	v_cmp_ne_u32_e32 vcc, 0, v14
	s_cbranch_vccz .LBB139_157
.LBB139_153:                            ;   in Loop: Header=BB139_154 Depth=2
	s_and_b64 s[10:11], exec, s[10:11]
	s_or_b64 s[42:43], s[10:11], s[42:43]
	s_andn2_b64 s[10:11], s[76:77], exec
	s_and_b64 s[12:13], s[12:13], exec
	s_or_b64 s[76:77], s[10:11], s[12:13]
	s_andn2_b64 exec, exec, s[42:43]
	s_cbranch_execz .LBB139_158
.LBB139_154:                            ;   Parent Loop BB139_29 Depth=1
                                        ; =>  This Inner Loop Header: Depth=2
	v_cmp_gt_u32_e32 vcc, s82, v12
	s_and_saveexec_b64 s[10:11], vcc
	s_cbranch_execz .LBB139_152
; %bb.155:                              ;   in Loop: Header=BB139_154 Depth=2
	ds_read_u16 v13, v6
	s_waitcnt lgkmcnt(0)
	v_cmp_lt_i16_e32 vcc, -1, v13
	v_cndmask_b32_e32 v14, v41, v42, vcc
	v_lshlrev_b32_e32 v15, 16, v13
	v_cmp_o_f32_e32 vcc, v15, v15
	v_xor_b32_sdwa v14, v14, v13 dst_sel:DWORD dst_unused:UNUSED_PAD src0_sel:DWORD src1_sel:WORD_0
	v_cndmask_b32_e32 v14, v41, v14, vcc
	v_and_b32_e32 v14, v14, v46
	v_cmp_eq_u32_e32 vcc, v14, v38
	s_and_b64 exec, exec, vcc
	s_cbranch_execz .LBB139_152
; %bb.156:                              ;   in Loop: Header=BB139_154 Depth=2
	v_perm_b32 v13, v13, s48, v44
	ds_write_b32 v7, v13 offset:3072
	s_branch .LBB139_152
.LBB139_157:                            ;   in Loop: Header=BB139_154 Depth=2
	v_add_u32_e32 v12, s39, v12
	v_cmp_le_u32_e32 vcc, s2, v12
	v_add_u32_e32 v6, s20, v6
	s_mov_b64 s[12:13], 0
	s_orn2_b64 s[10:11], vcc, exec
	s_branch .LBB139_153
.LBB139_158:                            ;   in Loop: Header=BB139_29 Depth=1
	s_or_b64 exec, exec, s[42:43]
	v_lshrrev_b32_e32 v47, 16, v13
	s_and_b64 s[76:77], s[76:77], exec
.LBB139_159:                            ;   in Loop: Header=BB139_29 Depth=1
	s_or_b64 exec, exec, s[80:81]
.LBB139_160:                            ;   in Loop: Header=BB139_29 Depth=1
	s_and_b64 vcc, exec, s[78:79]
	s_cbranch_vccz .LBB139_171
; %bb.161:                              ;   in Loop: Header=BB139_29 Depth=1
                                        ; implicit-def: $vgpr47
	s_mov_b64 s[28:29], exec
	v_readlane_b32 s2, v53, 27
	v_readlane_b32 s3, v53, 28
	s_and_b64 s[2:3], s[28:29], s[2:3]
	s_mov_b64 exec, s[2:3]
	s_cbranch_execz .LBB139_170
; %bb.162:                              ;   in Loop: Header=BB139_29 Depth=1
	s_mov_b64 s[30:31], 0
	v_mov_b32_e32 v6, v5
	v_mov_b32_e32 v12, v0
                                        ; implicit-def: $sgpr42_sgpr43
	s_branch .LBB139_165
.LBB139_163:                            ;   in Loop: Header=BB139_165 Depth=2
	s_or_b64 exec, exec, s[10:11]
	s_waitcnt lgkmcnt(0)
	s_barrier
	ds_read_b32 v13, v7 offset:3072
	s_mov_b64 s[10:11], -1
	s_mov_b64 s[12:13], -1
	s_waitcnt lgkmcnt(0)
	s_barrier
	v_and_b32_e32 v14, 0x7fff, v13
	v_cmp_eq_u32_e32 vcc, 0, v14
	s_cbranch_vccnz .LBB139_168
.LBB139_164:                            ;   in Loop: Header=BB139_165 Depth=2
	s_and_b64 s[2:3], exec, s[10:11]
	s_or_b64 s[30:31], s[2:3], s[30:31]
	s_andn2_b64 s[2:3], s[42:43], exec
	s_and_b64 s[10:11], s[12:13], exec
	s_or_b64 s[42:43], s[2:3], s[10:11]
	s_andn2_b64 exec, exec, s[30:31]
	s_cbranch_execz .LBB139_169
.LBB139_165:                            ;   Parent Loop BB139_29 Depth=1
                                        ; =>  This Inner Loop Header: Depth=2
	v_cmp_gt_u32_e32 vcc, s36, v12
	s_and_saveexec_b64 s[10:11], vcc
	s_cbranch_execz .LBB139_163
; %bb.166:                              ;   in Loop: Header=BB139_165 Depth=2
	v_lshlrev_b64 v[13:14], 1, v[6:7]
	v_mov_b32_e32 v15, s40
	v_add_co_u32_e32 v13, vcc, s37, v13
	v_addc_co_u32_e32 v14, vcc, v15, v14, vcc
	global_load_ushort v13, v[13:14], off
	s_waitcnt vmcnt(0)
	v_cmp_lt_i16_e32 vcc, -1, v13
	v_cndmask_b32_e32 v14, v41, v42, vcc
	v_lshlrev_b32_e32 v15, 16, v13
	v_xor_b32_sdwa v14, v14, v13 dst_sel:DWORD dst_unused:UNUSED_PAD src0_sel:DWORD src1_sel:WORD_0
	v_cmp_o_f32_e32 vcc, v15, v15
	v_cndmask_b32_e32 v14, v41, v14, vcc
	v_and_b32_e32 v14, v14, v46
	v_cmp_eq_u32_e32 vcc, v14, v38
	s_and_b64 exec, exec, vcc
	s_cbranch_execz .LBB139_163
; %bb.167:                              ;   in Loop: Header=BB139_165 Depth=2
	v_perm_b32 v13, v13, s48, v44
	ds_write_b32 v7, v13 offset:3072
	s_branch .LBB139_163
.LBB139_168:                            ;   in Loop: Header=BB139_165 Depth=2
	v_add_u32_e32 v12, s39, v12
	v_cmp_le_u32_e32 vcc, s55, v12
	v_add_u32_e32 v6, s45, v6
	s_mov_b64 s[12:13], 0
	s_orn2_b64 s[10:11], vcc, exec
	s_branch .LBB139_164
.LBB139_169:                            ;   in Loop: Header=BB139_29 Depth=1
	s_or_b64 exec, exec, s[30:31]
	s_andn2_b64 s[2:3], s[76:77], exec
	s_and_b64 s[10:11], s[42:43], exec
	v_lshrrev_b32_e32 v47, 16, v13
	s_or_b64 s[76:77], s[2:3], s[10:11]
.LBB139_170:                            ;   in Loop: Header=BB139_29 Depth=1
	s_or_b64 exec, exec, s[28:29]
	s_mov_b64 s[28:29], 0
	s_mov_b64 s[30:31], -1
.LBB139_171:                            ;   in Loop: Header=BB139_29 Depth=1
	s_orn2_b64 s[10:11], s[76:77], exec
.LBB139_172:                            ;   in Loop: Header=BB139_29 Depth=1
	s_or_b64 exec, exec, s[72:73]
	s_mov_b64 s[42:43], 0
	s_and_saveexec_b64 s[72:73], s[10:11]
	s_cbranch_execz .LBB139_261
; %bb.173:                              ;   in Loop: Header=BB139_29 Depth=1
	s_xor_b64 s[2:3], s[74:75], -1
	s_mov_b64 s[80:81], 0
	v_mov_b32_e32 v12, 1
	v_mov_b32_e32 v2, 1
	s_and_saveexec_b64 s[42:43], s[2:3]
	s_cbranch_execz .LBB139_182
; %bb.174:                              ;   in Loop: Header=BB139_29 Depth=1
	v_cmp_ge_u32_e32 vcc, s15, v4
	s_and_saveexec_b64 s[2:3], vcc
	s_xor_b64 s[10:11], exec, s[2:3]
	s_cbranch_execz .LBB139_179
; %bb.175:                              ;   in Loop: Header=BB139_29 Depth=1
	ds_read_b32 v2, v7 offset:4104
	v_and_b32_e32 v6, v38, v3
	v_lshl_or_b32 v38, 1, v45, v6
	v_or_b32_e32 v46, v46, v1
	s_waitcnt lgkmcnt(0)
	v_cmp_ne_u32_e32 vcc, 0, v2
	s_cbranch_vccnz .LBB139_179
; %bb.176:                              ;   in Loop: Header=BB139_29 Depth=1
	s_mov_b64 s[12:13], exec
	v_readlane_b32 s2, v53, 8
	v_readlane_b32 s3, v53, 9
	s_and_b64 s[2:3], s[12:13], s[2:3]
	s_mov_b64 exec, s[2:3]
; %bb.177:                              ;   in Loop: Header=BB139_29 Depth=1
	v_mov_b32_e32 v2, s15
	ds_write_b32 v7, v2 offset:4108
; %bb.178:                              ;   in Loop: Header=BB139_29 Depth=1
	s_or_b64 exec, exec, s[12:13]
	s_waitcnt lgkmcnt(0)
	s_barrier
.LBB139_179:                            ;   in Loop: Header=BB139_29 Depth=1
	s_or_saveexec_b64 s[10:11], s[10:11]
	s_mov_b64 s[12:13], 0
	v_mov_b32_e32 v2, 8
	s_xor_b64 exec, exec, s[10:11]
; %bb.180:                              ;   in Loop: Header=BB139_29 Depth=1
	s_mov_b64 s[12:13], exec
	v_subrev_u32_e32 v4, s15, v4
	v_mov_b32_e32 v2, 0
; %bb.181:                              ;   in Loop: Header=BB139_29 Depth=1
	s_or_b64 exec, exec, s[10:11]
	s_and_b64 s[80:81], s[12:13], exec
	v_mov_b32_e32 v12, v4
.LBB139_182:                            ;   in Loop: Header=BB139_29 Depth=1
	s_or_b64 exec, exec, s[42:43]
	s_mov_b64 s[10:11], -1
                                        ; implicit-def: $sgpr76_sgpr77
                                        ; implicit-def: $sgpr78_sgpr79
	s_and_saveexec_b64 s[74:75], s[80:81]
	s_cbranch_execz .LBB139_260
; %bb.183:                              ;   in Loop: Header=BB139_29 Depth=1
	s_cmp_eq_u32 s14, 1
	s_cselect_b64 s[2:3], -1, 0
	v_cmp_eq_u32_e32 vcc, 1, v12
	s_and_b64 s[82:83], s[2:3], vcc
                                        ; implicit-def: $sgpr78_sgpr79
                                        ; implicit-def: $sgpr76_sgpr77
	s_and_saveexec_b64 s[80:81], s[82:83]
	s_cbranch_execz .LBB139_209
; %bb.184:                              ;   in Loop: Header=BB139_29 Depth=1
	ds_read_b32 v4, v7 offset:4104
	s_waitcnt lgkmcnt(0)
	s_barrier
	v_readfirstlane_b32 s15, v4
	s_and_saveexec_b64 s[10:11], s[24:25]
; %bb.185:                              ;   in Loop: Header=BB139_29 Depth=1
	ds_write_b16 v23, v7
; %bb.186:                              ;   in Loop: Header=BB139_29 Depth=1
	s_or_b64 exec, exec, s[10:11]
	v_and_b32_e32 v4, v38, v3
	v_lshl_or_b32 v38, 2, v45, v4
	v_or_b32_e32 v46, v46, v1
	s_mov_b64 s[76:77], -1
	s_mov_b64 s[78:79], 0
	s_cmp_eq_u32 s15, 0
	s_mov_b64 s[84:85], 0
	s_mov_b64 s[86:87], -1
	s_waitcnt lgkmcnt(0)
	s_barrier
                                        ; implicit-def: $vgpr47
	s_cbranch_scc1 .LBB139_197
; %bb.187:                              ;   in Loop: Header=BB139_29 Depth=1
	s_add_i32 s2, s15, s8
	s_mul_hi_u32 s3, s2, s54
	s_mul_i32 s3, s3, s39
	s_sub_i32 s3, s2, s3
	s_sub_i32 s10, s3, s39
	s_cmp_ge_u32 s3, s39
	s_cselect_b32 s3, s10, s3
	s_sub_i32 s10, s3, s39
	s_cmp_ge_u32 s3, s39
	s_cselect_b32 s3, s10, s3
	s_sub_i32 s2, s2, s3
	v_cmp_gt_u32_e32 vcc, s2, v0
	s_mov_b64 s[86:87], 0
                                        ; implicit-def: $vgpr47
	s_and_saveexec_b64 s[88:89], vcc
	s_cbranch_execz .LBB139_196
; %bb.188:                              ;   in Loop: Header=BB139_29 Depth=1
	s_mov_b64 s[42:43], 0
	v_mov_b32_e32 v4, v22
	v_mov_b32_e32 v6, v0
                                        ; implicit-def: $sgpr84_sgpr85
	s_branch .LBB139_191
.LBB139_189:                            ;   in Loop: Header=BB139_191 Depth=2
	s_or_b64 exec, exec, s[10:11]
	s_waitcnt lgkmcnt(0)
	s_barrier
	ds_read_b32 v13, v7 offset:3072
	s_mov_b64 s[10:11], -1
	s_mov_b64 s[12:13], -1
	s_waitcnt lgkmcnt(0)
	s_barrier
	v_and_b32_e32 v14, 0x7fff, v13
	v_cmp_ne_u32_e32 vcc, 0, v14
	s_cbranch_vccz .LBB139_194
.LBB139_190:                            ;   in Loop: Header=BB139_191 Depth=2
	s_and_b64 s[10:11], exec, s[10:11]
	s_or_b64 s[42:43], s[10:11], s[42:43]
	s_andn2_b64 s[10:11], s[84:85], exec
	s_and_b64 s[12:13], s[12:13], exec
	s_or_b64 s[84:85], s[10:11], s[12:13]
	s_andn2_b64 exec, exec, s[42:43]
	s_cbranch_execz .LBB139_195
.LBB139_191:                            ;   Parent Loop BB139_29 Depth=1
                                        ; =>  This Inner Loop Header: Depth=2
	v_cmp_gt_u32_e32 vcc, s15, v6
	s_and_saveexec_b64 s[10:11], vcc
	s_cbranch_execz .LBB139_189
; %bb.192:                              ;   in Loop: Header=BB139_191 Depth=2
	ds_read_u16 v13, v4
	s_waitcnt lgkmcnt(0)
	v_cmp_lt_i16_e32 vcc, -1, v13
	v_cndmask_b32_e32 v14, v41, v42, vcc
	v_lshlrev_b32_e32 v15, 16, v13
	v_cmp_o_f32_e32 vcc, v15, v15
	v_xor_b32_sdwa v14, v14, v13 dst_sel:DWORD dst_unused:UNUSED_PAD src0_sel:DWORD src1_sel:WORD_0
	v_cndmask_b32_e32 v14, v41, v14, vcc
	v_and_b32_e32 v14, v14, v46
	v_cmp_eq_u32_e32 vcc, v14, v38
	s_and_b64 exec, exec, vcc
	s_cbranch_execz .LBB139_189
; %bb.193:                              ;   in Loop: Header=BB139_191 Depth=2
	v_perm_b32 v13, v13, s48, v44
	ds_write_b32 v7, v13 offset:3072
	s_branch .LBB139_189
.LBB139_194:                            ;   in Loop: Header=BB139_191 Depth=2
	v_add_u32_e32 v6, s39, v6
	v_cmp_le_u32_e32 vcc, s2, v6
	v_add_u32_e32 v4, s20, v4
	s_mov_b64 s[12:13], 0
	s_orn2_b64 s[10:11], vcc, exec
	s_branch .LBB139_190
.LBB139_195:                            ;   in Loop: Header=BB139_29 Depth=1
	s_or_b64 exec, exec, s[42:43]
	v_lshrrev_b32_e32 v47, 16, v13
	s_and_b64 s[84:85], s[84:85], exec
.LBB139_196:                            ;   in Loop: Header=BB139_29 Depth=1
	s_or_b64 exec, exec, s[88:89]
.LBB139_197:                            ;   in Loop: Header=BB139_29 Depth=1
	s_and_b64 vcc, exec, s[86:87]
	s_cbranch_vccz .LBB139_208
; %bb.198:                              ;   in Loop: Header=BB139_29 Depth=1
                                        ; implicit-def: $vgpr47
	s_mov_b64 s[76:77], exec
	v_readlane_b32 s2, v53, 27
	v_readlane_b32 s3, v53, 28
	s_and_b64 s[2:3], s[76:77], s[2:3]
	s_mov_b64 exec, s[2:3]
	s_cbranch_execz .LBB139_207
; %bb.199:                              ;   in Loop: Header=BB139_29 Depth=1
	s_mov_b64 s[42:43], 0
	v_mov_b32_e32 v6, v5
	v_mov_b32_e32 v4, v0
                                        ; implicit-def: $sgpr78_sgpr79
	s_branch .LBB139_202
.LBB139_200:                            ;   in Loop: Header=BB139_202 Depth=2
	s_or_b64 exec, exec, s[10:11]
	s_waitcnt lgkmcnt(0)
	s_barrier
	ds_read_b32 v13, v7 offset:3072
	s_mov_b64 s[10:11], -1
	s_mov_b64 s[12:13], -1
	s_waitcnt lgkmcnt(0)
	s_barrier
	v_and_b32_e32 v14, 0x7fff, v13
	v_cmp_eq_u32_e32 vcc, 0, v14
	s_cbranch_vccnz .LBB139_205
.LBB139_201:                            ;   in Loop: Header=BB139_202 Depth=2
	s_and_b64 s[2:3], exec, s[10:11]
	s_or_b64 s[42:43], s[2:3], s[42:43]
	s_andn2_b64 s[2:3], s[78:79], exec
	s_and_b64 s[10:11], s[12:13], exec
	s_or_b64 s[78:79], s[2:3], s[10:11]
	s_andn2_b64 exec, exec, s[42:43]
	s_cbranch_execz .LBB139_206
.LBB139_202:                            ;   Parent Loop BB139_29 Depth=1
                                        ; =>  This Inner Loop Header: Depth=2
	v_cmp_gt_u32_e32 vcc, s36, v4
	s_and_saveexec_b64 s[10:11], vcc
	s_cbranch_execz .LBB139_200
; %bb.203:                              ;   in Loop: Header=BB139_202 Depth=2
	v_lshlrev_b64 v[13:14], 1, v[6:7]
	v_mov_b32_e32 v15, s40
	v_add_co_u32_e32 v13, vcc, s37, v13
	v_addc_co_u32_e32 v14, vcc, v15, v14, vcc
	global_load_ushort v13, v[13:14], off
	s_waitcnt vmcnt(0)
	v_cmp_lt_i16_e32 vcc, -1, v13
	v_cndmask_b32_e32 v14, v41, v42, vcc
	v_lshlrev_b32_e32 v15, 16, v13
	v_xor_b32_sdwa v14, v14, v13 dst_sel:DWORD dst_unused:UNUSED_PAD src0_sel:DWORD src1_sel:WORD_0
	v_cmp_o_f32_e32 vcc, v15, v15
	v_cndmask_b32_e32 v14, v41, v14, vcc
	v_and_b32_e32 v14, v14, v46
	v_cmp_eq_u32_e32 vcc, v14, v38
	s_and_b64 exec, exec, vcc
	s_cbranch_execz .LBB139_200
; %bb.204:                              ;   in Loop: Header=BB139_202 Depth=2
	v_perm_b32 v13, v13, s48, v44
	ds_write_b32 v7, v13 offset:3072
	s_branch .LBB139_200
.LBB139_205:                            ;   in Loop: Header=BB139_202 Depth=2
	v_add_u32_e32 v4, s39, v4
	v_cmp_le_u32_e32 vcc, s55, v4
	v_add_u32_e32 v6, s45, v6
	s_mov_b64 s[12:13], 0
	s_orn2_b64 s[10:11], vcc, exec
	s_branch .LBB139_201
.LBB139_206:                            ;   in Loop: Header=BB139_29 Depth=1
	s_or_b64 exec, exec, s[42:43]
	s_andn2_b64 s[2:3], s[84:85], exec
	s_and_b64 s[10:11], s[78:79], exec
	v_lshrrev_b32_e32 v47, 16, v13
	s_or_b64 s[84:85], s[2:3], s[10:11]
.LBB139_207:                            ;   in Loop: Header=BB139_29 Depth=1
	s_or_b64 exec, exec, s[76:77]
	s_mov_b64 s[76:77], 0
	s_mov_b64 s[78:79], -1
.LBB139_208:                            ;   in Loop: Header=BB139_29 Depth=1
	s_orn2_b64 s[10:11], s[84:85], exec
.LBB139_209:                            ;   in Loop: Header=BB139_29 Depth=1
	s_or_b64 exec, exec, s[80:81]
	s_mov_b64 s[42:43], 0
	s_and_saveexec_b64 s[80:81], s[10:11]
	s_cbranch_execz .LBB139_259
; %bb.210:                              ;   in Loop: Header=BB139_29 Depth=1
	s_xor_b64 s[2:3], s[82:83], -1
	v_mov_b32_e32 v4, 1
	v_mov_b32_e32 v2, 1
	s_and_saveexec_b64 s[82:83], s[2:3]
	s_cbranch_execz .LBB139_219
; %bb.211:                              ;   in Loop: Header=BB139_29 Depth=1
	v_cmp_ge_u32_e32 vcc, s14, v12
	s_and_saveexec_b64 s[2:3], vcc
	s_xor_b64 s[10:11], exec, s[2:3]
	s_cbranch_execz .LBB139_216
; %bb.212:                              ;   in Loop: Header=BB139_29 Depth=1
	v_and_b32_e32 v2, v38, v3
	v_lshl_or_b32 v38, 2, v45, v2
	ds_read_b32 v2, v7 offset:4104
	v_or_b32_e32 v46, v46, v1
	s_waitcnt lgkmcnt(0)
	v_cmp_ne_u32_e32 vcc, 0, v2
	s_cbranch_vccnz .LBB139_216
; %bb.213:                              ;   in Loop: Header=BB139_29 Depth=1
	s_mov_b64 s[12:13], exec
	v_readlane_b32 s2, v53, 8
	v_readlane_b32 s3, v53, 9
	s_and_b64 s[2:3], s[12:13], s[2:3]
	s_mov_b64 exec, s[2:3]
; %bb.214:                              ;   in Loop: Header=BB139_29 Depth=1
	v_mov_b32_e32 v2, s14
	ds_write_b32 v7, v2 offset:4108
; %bb.215:                              ;   in Loop: Header=BB139_29 Depth=1
	s_or_b64 exec, exec, s[12:13]
	s_waitcnt lgkmcnt(0)
	s_barrier
.LBB139_216:                            ;   in Loop: Header=BB139_29 Depth=1
	s_or_saveexec_b64 s[10:11], s[10:11]
	v_mov_b32_e32 v2, 8
	s_xor_b64 exec, exec, s[10:11]
; %bb.217:                              ;   in Loop: Header=BB139_29 Depth=1
	v_subrev_u32_e32 v12, s14, v12
	v_mov_b32_e32 v2, 0
	s_mov_b64 s[42:43], exec
; %bb.218:                              ;   in Loop: Header=BB139_29 Depth=1
	s_or_b64 exec, exec, s[10:11]
	s_and_b64 s[42:43], s[42:43], exec
	v_mov_b32_e32 v4, v12
.LBB139_219:                            ;   in Loop: Header=BB139_29 Depth=1
	s_or_b64 exec, exec, s[82:83]
	s_mov_b64 s[10:11], -1
                                        ; implicit-def: $sgpr86_sgpr87
                                        ; implicit-def: $sgpr84_sgpr85
	s_and_saveexec_b64 s[82:83], s[42:43]
	s_cbranch_execz .LBB139_258
; %bb.220:                              ;   in Loop: Header=BB139_29 Depth=1
	s_cmp_eq_u32 s49, 1
	s_cselect_b64 s[2:3], -1, 0
	v_cmp_eq_u32_e32 vcc, 1, v4
	s_and_b64 s[88:89], s[2:3], vcc
                                        ; implicit-def: $sgpr86_sgpr87
                                        ; implicit-def: $sgpr84_sgpr85
	s_and_saveexec_b64 s[90:91], s[88:89]
	s_cbranch_execz .LBB139_246
; %bb.221:                              ;   in Loop: Header=BB139_29 Depth=1
	ds_read_b32 v3, v7 offset:4104
	s_waitcnt lgkmcnt(0)
	s_barrier
	v_readfirstlane_b32 s2, v3
	s_and_saveexec_b64 s[10:11], s[24:25]
; %bb.222:                              ;   in Loop: Header=BB139_29 Depth=1
	ds_write_b16 v23, v7
; %bb.223:                              ;   in Loop: Header=BB139_29 Depth=1
	s_or_b64 exec, exec, s[10:11]
	v_or_b32_e32 v38, v38, v1
	v_or_b32_e32 v46, v46, v1
	s_mov_b64 s[84:85], -1
	s_mov_b64 s[86:87], 0
	s_cmp_eq_u32 s2, 0
	s_mov_b64 s[92:93], 0
	s_mov_b64 s[94:95], -1
	s_waitcnt lgkmcnt(0)
	s_barrier
                                        ; implicit-def: $vgpr47
	s_cbranch_scc1 .LBB139_234
; %bb.224:                              ;   in Loop: Header=BB139_29 Depth=1
	s_add_i32 s3, s2, s8
	s_mul_hi_u32 s10, s3, s54
	s_mul_i32 s10, s10, s39
	s_sub_i32 s10, s3, s10
	s_sub_i32 s11, s10, s39
	s_cmp_ge_u32 s10, s39
	s_cselect_b32 s10, s11, s10
	s_sub_i32 s11, s10, s39
	s_cmp_ge_u32 s10, s39
	s_cselect_b32 s10, s11, s10
	s_sub_i32 s3, s3, s10
	v_cmp_gt_u32_e32 vcc, s3, v0
	s_mov_b64 s[94:95], 0
                                        ; implicit-def: $vgpr47
	s_and_saveexec_b64 s[42:43], vcc
	s_cbranch_execz .LBB139_233
; %bb.225:                              ;   in Loop: Header=BB139_29 Depth=1
	v_mov_b32_e32 v3, v22
	v_mov_b32_e32 v6, v0
                                        ; implicit-def: $sgpr10_sgpr11
	s_branch .LBB139_228
.LBB139_226:                            ;   in Loop: Header=BB139_228 Depth=2
	s_or_b64 exec, exec, s[12:13]
	s_waitcnt lgkmcnt(0)
	s_barrier
	ds_read_b32 v12, v7 offset:3072
	s_mov_b64 s[12:13], -1
	s_mov_b64 s[14:15], -1
	s_waitcnt lgkmcnt(0)
	s_barrier
	v_and_b32_e32 v13, 0x7fff, v12
	v_cmp_ne_u32_e32 vcc, 0, v13
	s_cbranch_vccz .LBB139_231
.LBB139_227:                            ;   in Loop: Header=BB139_228 Depth=2
	s_and_b64 s[12:13], exec, s[12:13]
	s_or_b64 s[92:93], s[12:13], s[92:93]
	s_andn2_b64 s[10:11], s[10:11], exec
	s_and_b64 s[12:13], s[14:15], exec
	s_or_b64 s[10:11], s[10:11], s[12:13]
	s_andn2_b64 exec, exec, s[92:93]
	s_cbranch_execz .LBB139_232
.LBB139_228:                            ;   Parent Loop BB139_29 Depth=1
                                        ; =>  This Inner Loop Header: Depth=2
	v_cmp_gt_u32_e32 vcc, s2, v6
	s_and_saveexec_b64 s[12:13], vcc
	s_cbranch_execz .LBB139_226
; %bb.229:                              ;   in Loop: Header=BB139_228 Depth=2
	ds_read_u16 v12, v3
	s_waitcnt lgkmcnt(0)
	v_cmp_lt_i16_e32 vcc, -1, v12
	v_cndmask_b32_e32 v13, v41, v42, vcc
	v_lshlrev_b32_e32 v14, 16, v12
	v_cmp_o_f32_e32 vcc, v14, v14
	v_xor_b32_sdwa v13, v13, v12 dst_sel:DWORD dst_unused:UNUSED_PAD src0_sel:DWORD src1_sel:WORD_0
	v_cndmask_b32_e32 v13, v41, v13, vcc
	v_and_b32_e32 v13, v13, v46
	v_cmp_eq_u32_e32 vcc, v13, v38
	s_and_b64 exec, exec, vcc
	s_cbranch_execz .LBB139_226
; %bb.230:                              ;   in Loop: Header=BB139_228 Depth=2
	v_perm_b32 v12, v12, s48, v44
	ds_write_b32 v7, v12 offset:3072
	s_branch .LBB139_226
.LBB139_231:                            ;   in Loop: Header=BB139_228 Depth=2
	v_add_u32_e32 v6, s39, v6
	v_cmp_le_u32_e32 vcc, s3, v6
	v_add_u32_e32 v3, s20, v3
	s_mov_b64 s[14:15], 0
	s_orn2_b64 s[12:13], vcc, exec
	s_branch .LBB139_227
.LBB139_232:                            ;   in Loop: Header=BB139_29 Depth=1
	s_or_b64 exec, exec, s[92:93]
	v_lshrrev_b32_e32 v47, 16, v12
	s_and_b64 s[92:93], s[10:11], exec
.LBB139_233:                            ;   in Loop: Header=BB139_29 Depth=1
	s_or_b64 exec, exec, s[42:43]
.LBB139_234:                            ;   in Loop: Header=BB139_29 Depth=1
	s_and_b64 vcc, exec, s[94:95]
	s_cbranch_vccz .LBB139_245
; %bb.235:                              ;   in Loop: Header=BB139_29 Depth=1
                                        ; implicit-def: $vgpr47
	s_mov_b64 s[84:85], exec
	v_readlane_b32 s2, v53, 27
	v_readlane_b32 s3, v53, 28
	s_and_b64 s[2:3], s[84:85], s[2:3]
	s_mov_b64 exec, s[2:3]
	s_cbranch_execz .LBB139_244
; %bb.236:                              ;   in Loop: Header=BB139_29 Depth=1
	s_mov_b64 s[42:43], 0
	v_mov_b32_e32 v6, v5
	v_mov_b32_e32 v3, v0
                                        ; implicit-def: $sgpr86_sgpr87
	s_branch .LBB139_239
.LBB139_237:                            ;   in Loop: Header=BB139_239 Depth=2
	s_or_b64 exec, exec, s[10:11]
	s_waitcnt lgkmcnt(0)
	s_barrier
	ds_read_b32 v12, v7 offset:3072
	s_mov_b64 s[10:11], -1
	s_mov_b64 s[12:13], -1
	s_waitcnt lgkmcnt(0)
	s_barrier
	v_and_b32_e32 v13, 0x7fff, v12
	v_cmp_eq_u32_e32 vcc, 0, v13
	s_cbranch_vccnz .LBB139_242
.LBB139_238:                            ;   in Loop: Header=BB139_239 Depth=2
	s_and_b64 s[2:3], exec, s[10:11]
	s_or_b64 s[42:43], s[2:3], s[42:43]
	s_andn2_b64 s[2:3], s[86:87], exec
	s_and_b64 s[10:11], s[12:13], exec
	s_or_b64 s[86:87], s[2:3], s[10:11]
	s_andn2_b64 exec, exec, s[42:43]
	s_cbranch_execz .LBB139_243
.LBB139_239:                            ;   Parent Loop BB139_29 Depth=1
                                        ; =>  This Inner Loop Header: Depth=2
	v_cmp_gt_u32_e32 vcc, s36, v3
	s_and_saveexec_b64 s[10:11], vcc
	s_cbranch_execz .LBB139_237
; %bb.240:                              ;   in Loop: Header=BB139_239 Depth=2
	v_lshlrev_b64 v[12:13], 1, v[6:7]
	v_mov_b32_e32 v14, s40
	v_add_co_u32_e32 v12, vcc, s37, v12
	v_addc_co_u32_e32 v13, vcc, v14, v13, vcc
	global_load_ushort v12, v[12:13], off
	s_waitcnt vmcnt(0)
	v_cmp_lt_i16_e32 vcc, -1, v12
	v_cndmask_b32_e32 v13, v41, v42, vcc
	v_lshlrev_b32_e32 v14, 16, v12
	v_xor_b32_sdwa v13, v13, v12 dst_sel:DWORD dst_unused:UNUSED_PAD src0_sel:DWORD src1_sel:WORD_0
	v_cmp_o_f32_e32 vcc, v14, v14
	v_cndmask_b32_e32 v13, v41, v13, vcc
	v_and_b32_e32 v13, v13, v46
	v_cmp_eq_u32_e32 vcc, v13, v38
	s_and_b64 exec, exec, vcc
	s_cbranch_execz .LBB139_237
; %bb.241:                              ;   in Loop: Header=BB139_239 Depth=2
	v_perm_b32 v12, v12, s48, v44
	ds_write_b32 v7, v12 offset:3072
	s_branch .LBB139_237
.LBB139_242:                            ;   in Loop: Header=BB139_239 Depth=2
	v_add_u32_e32 v3, s39, v3
	v_cmp_le_u32_e32 vcc, s55, v3
	v_add_u32_e32 v6, s45, v6
	s_mov_b64 s[12:13], 0
	s_orn2_b64 s[10:11], vcc, exec
	s_branch .LBB139_238
.LBB139_243:                            ;   in Loop: Header=BB139_29 Depth=1
	s_or_b64 exec, exec, s[42:43]
	s_andn2_b64 s[2:3], s[92:93], exec
	s_and_b64 s[10:11], s[86:87], exec
	v_lshrrev_b32_e32 v47, 16, v12
	s_or_b64 s[92:93], s[2:3], s[10:11]
.LBB139_244:                            ;   in Loop: Header=BB139_29 Depth=1
	s_or_b64 exec, exec, s[84:85]
	s_mov_b64 s[84:85], 0
	s_mov_b64 s[86:87], -1
.LBB139_245:                            ;   in Loop: Header=BB139_29 Depth=1
	s_orn2_b64 s[10:11], s[92:93], exec
.LBB139_246:                            ;   in Loop: Header=BB139_29 Depth=1
	s_or_b64 exec, exec, s[90:91]
	s_mov_b64 s[12:13], 0
	s_and_saveexec_b64 s[90:91], s[10:11]
	s_cbranch_execz .LBB139_257
; %bb.247:                              ;   in Loop: Header=BB139_29 Depth=1
	s_xor_b64 s[2:3], s[88:89], -1
	v_mov_b32_e32 v2, 1
	v_mov_b32_e32 v3, 1
	s_and_saveexec_b64 s[42:43], s[2:3]
	s_cbranch_execz .LBB139_256
; %bb.248:                              ;   in Loop: Header=BB139_29 Depth=1
	v_cmp_ge_u32_e32 vcc, s49, v4
	s_and_saveexec_b64 s[2:3], vcc
	s_xor_b64 s[10:11], exec, s[2:3]
	s_cbranch_execz .LBB139_253
; %bb.249:                              ;   in Loop: Header=BB139_29 Depth=1
	v_or_b32_e32 v38, v38, v1
	v_or_b32_e32 v46, v46, v1
	ds_read_b32 v1, v7 offset:4104
	s_waitcnt lgkmcnt(0)
	v_cmp_ne_u32_e32 vcc, 0, v1
	s_cbranch_vccnz .LBB139_253
; %bb.250:                              ;   in Loop: Header=BB139_29 Depth=1
	s_mov_b64 s[12:13], exec
	v_readlane_b32 s2, v53, 8
	v_readlane_b32 s3, v53, 9
	s_and_b64 s[2:3], s[12:13], s[2:3]
	s_mov_b64 exec, s[2:3]
; %bb.251:                              ;   in Loop: Header=BB139_29 Depth=1
	v_mov_b32_e32 v1, s49
	ds_write_b32 v7, v1 offset:4108
; %bb.252:                              ;   in Loop: Header=BB139_29 Depth=1
	s_or_b64 exec, exec, s[12:13]
	s_waitcnt lgkmcnt(0)
	s_barrier
.LBB139_253:                            ;   in Loop: Header=BB139_29 Depth=1
	s_andn2_saveexec_b64 s[10:11], s[10:11]
; %bb.254:                              ;   in Loop: Header=BB139_29 Depth=1
	v_subrev_u32_e32 v4, s49, v4
; %bb.255:                              ;   in Loop: Header=BB139_29 Depth=1
	s_or_b64 exec, exec, s[10:11]
	v_mov_b32_e32 v2, 8
	v_mov_b32_e32 v3, v4
.LBB139_256:                            ;   in Loop: Header=BB139_29 Depth=1
	s_or_b64 exec, exec, s[42:43]
	s_mov_b64 s[12:13], exec
	v_mov_b32_e32 v4, v3
.LBB139_257:                            ;   in Loop: Header=BB139_29 Depth=1
	s_or_b64 exec, exec, s[90:91]
	s_orn2_b64 s[10:11], s[12:13], exec
.LBB139_258:                            ;   in Loop: Header=BB139_29 Depth=1
	s_or_b64 exec, exec, s[82:83]
	s_andn2_b64 s[2:3], s[78:79], exec
	s_and_b64 s[12:13], s[86:87], exec
	s_or_b64 s[78:79], s[2:3], s[12:13]
	s_andn2_b64 s[2:3], s[76:77], exec
	s_and_b64 s[12:13], s[84:85], exec
	s_or_b64 s[76:77], s[2:3], s[12:13]
	s_and_b64 s[42:43], s[10:11], exec
	v_mov_b32_e32 v12, v4
.LBB139_259:                            ;   in Loop: Header=BB139_29 Depth=1
	s_or_b64 exec, exec, s[80:81]
	s_orn2_b64 s[10:11], s[42:43], exec
.LBB139_260:                            ;   in Loop: Header=BB139_29 Depth=1
	s_or_b64 exec, exec, s[74:75]
	s_andn2_b64 s[2:3], s[30:31], exec
	s_and_b64 s[12:13], s[78:79], exec
	s_or_b64 s[30:31], s[2:3], s[12:13]
	s_andn2_b64 s[2:3], s[28:29], exec
	s_and_b64 s[12:13], s[76:77], exec
	s_or_b64 s[28:29], s[2:3], s[12:13]
	s_and_b64 s[42:43], s[10:11], exec
	v_mov_b32_e32 v4, v12
.LBB139_261:                            ;   in Loop: Header=BB139_29 Depth=1
	s_or_b64 exec, exec, s[72:73]
	s_orn2_b64 s[10:11], s[42:43], exec
.LBB139_262:                            ;   in Loop: Header=BB139_29 Depth=1
	s_or_b64 exec, exec, s[26:27]
	s_mov_b64 s[26:27], 0
                                        ; implicit-def: $sgpr2
	s_and_saveexec_b64 s[12:13], s[10:11]
	s_xor_b64 s[10:11], exec, s[12:13]
	s_cbranch_execz .LBB139_27
; %bb.263:                              ;   in Loop: Header=BB139_29 Depth=1
	v_and_b32_e32 v1, 7, v2
	v_cmp_eq_u32_e32 vcc, 0, v1
	s_mov_b64 s[12:13], -1
	s_mov_b64 s[22:23], -1
                                        ; implicit-def: $sgpr2
	s_and_saveexec_b64 s[14:15], vcc
	s_cbranch_execz .LBB139_26
; %bb.264:                              ;   in Loop: Header=BB139_29 Depth=1
	v_add_u32_e32 v1, -2, v45
	v_cmp_eq_u32_e32 vcc, 0, v45
	s_xor_b32 s2, s52, 1
	s_xor_b64 s[22:23], exec, -1
	s_orn2_b64 s[12:13], vcc, exec
	v_mov_b32_e32 v45, v1
	s_branch .LBB139_26
.LBB139_265:
	s_or_b64 exec, exec, s[58:59]
	s_xor_b64 s[8:9], s[64:65], -1
	s_xor_b64 s[0:1], s[60:61], -1
	;; [unrolled: 1-line block ×3, first 2 shown]
	s_mov_b64 s[4:5], 0
	s_and_saveexec_b64 s[2:3], s[0:1]
	s_xor_b64 s[2:3], exec, s[2:3]
	s_cbranch_execnz .LBB139_270
; %bb.266:
	s_andn2_saveexec_b64 s[0:1], s[2:3]
	s_cbranch_execnz .LBB139_283
.LBB139_267:
	s_or_b64 exec, exec, s[0:1]
	s_and_saveexec_b64 s[0:1], s[4:5]
.LBB139_268:
	; divergent unreachable
.LBB139_269:
	s_endpgm
.LBB139_270:
	s_and_saveexec_b64 s[0:1], s[8:9]
	s_xor_b64 s[4:5], exec, s[0:1]
	s_cbranch_execz .LBB139_281
; %bb.271:
	s_and_saveexec_b64 s[0:1], s[6:7]
	s_xor_b64 s[6:7], exec, s[0:1]
; %bb.272:
	v_and_b32_e32 v1, 0x8000, v38
	v_mov_b32_e32 v2, 0x8000
	v_mov_b32_e32 v3, 0xffff
	v_cmp_eq_u32_e32 vcc, 0, v1
	v_cndmask_b32_e32 v1, v2, v3, vcc
	v_xor_b32_e32 v47, v1, v38
; %bb.273:
	s_or_b64 exec, exec, s[6:7]
	v_readlane_b32 s0, v53, 0
	s_mul_i32 s0, s0, s33
	s_add_i32 s0, s0, s35
	s_mov_b32 s1, 0
	s_lshl_b64 s[0:1], s[0:1], 1
	v_readlane_b32 s6, v53, 2
	v_readlane_b32 s7, v53, 3
	s_add_u32 s0, s6, s0
	s_addc_u32 s1, s7, s1
	v_mov_b32_e32 v6, 0
	global_store_short v6, v47, s[0:1]
	s_mov_b64 s[6:7], exec
	v_readlane_b32 s0, v53, 6
	v_readlane_b32 s1, v53, 7
	s_and_b64 s[0:1], s[6:7], s[0:1]
	s_mov_b64 exec, s[0:1]
	s_cbranch_execz .LBB139_280
; %bb.274:
	v_lshlrev_b32_e32 v2, 16, v47
	v_cmp_u_f32_e32 vcc, v2, v2
	s_mov_b64 s[8:9], 0
	v_mov_b32_e32 v3, s40
	s_xor_b64 s[12:13], vcc, -1
                                        ; implicit-def: $sgpr10_sgpr11
                                        ; implicit-def: $sgpr16_sgpr17
                                        ; implicit-def: $sgpr14_sgpr15
	s_branch .LBB139_276
.LBB139_275:                            ;   in Loop: Header=BB139_276 Depth=1
	s_or_b64 exec, exec, s[0:1]
	s_and_b64 s[0:1], exec, s[16:17]
	s_or_b64 s[8:9], s[0:1], s[8:9]
	s_andn2_b64 s[0:1], s[10:11], exec
	s_and_b64 s[10:11], s[14:15], exec
	s_or_b64 s[10:11], s[0:1], s[10:11]
	s_andn2_b64 exec, exec, s[8:9]
	s_cbranch_execz .LBB139_278
.LBB139_276:                            ; =>This Inner Loop Header: Depth=1
	v_lshlrev_b64 v[7:8], 1, v[5:6]
	v_mov_b32_e32 v1, v0
	v_add_co_u32_e32 v7, vcc, s37, v7
	v_addc_co_u32_e32 v8, vcc, v3, v8, vcc
	global_load_ushort v4, v[7:8], off
	s_or_b64 s[14:15], s[14:15], exec
	s_or_b64 s[16:17], s[16:17], exec
	s_waitcnt vmcnt(0)
	v_lshlrev_b32_e32 v0, 16, v4
	v_cmp_o_f32_e64 s[0:1], v0, v0
	v_cmp_neq_f32_e32 vcc, v0, v2
	s_or_b64 s[0:1], s[12:13], s[0:1]
	s_and_b64 s[18:19], vcc, s[0:1]
                                        ; implicit-def: $vgpr0
	s_and_saveexec_b64 s[0:1], s[18:19]
	s_cbranch_execz .LBB139_275
; %bb.277:                              ;   in Loop: Header=BB139_276 Depth=1
	v_add_u32_e32 v0, s39, v1
	v_cmp_le_u32_e32 vcc, s36, v0
	s_andn2_b64 s[16:17], s[16:17], exec
	s_and_b64 s[18:19], vcc, exec
	v_add_u32_e32 v5, s45, v5
	s_andn2_b64 s[14:15], s[14:15], exec
	s_or_b64 s[16:17], s[16:17], s[18:19]
	s_branch .LBB139_275
.LBB139_278:
	s_or_b64 exec, exec, s[8:9]
	s_and_saveexec_b64 s[0:1], s[10:11]
	s_xor_b64 s[0:1], exec, s[0:1]
	s_cbranch_execz .LBB139_280
; %bb.279:
	v_readlane_b32 s0, v53, 1
	s_mul_i32 s0, s0, s34
	s_add_i32 s0, s0, s41
	s_mov_b32 s1, 0
	s_lshl_b64 s[0:1], s[0:1], 3
	v_readlane_b32 s8, v53, 4
	v_readlane_b32 s9, v53, 5
	s_add_u32 s0, s8, s0
	s_addc_u32 s1, s9, s1
	v_mov_b32_e32 v2, 0
	global_store_dwordx2 v2, v[1:2], s[0:1]
.LBB139_280:
	s_or_b64 exec, exec, s[6:7]
.LBB139_281:
	s_or_saveexec_b64 s[0:1], s[4:5]
	s_mov_b64 s[4:5], 0
	s_xor_b64 exec, exec, s[0:1]
	s_cbranch_execnz .LBB139_284
.LBB139_282:
	s_or_b64 exec, exec, s[0:1]
	s_and_b64 s[4:5], s[4:5], exec
	s_andn2_saveexec_b64 s[0:1], s[2:3]
	s_cbranch_execz .LBB139_267
.LBB139_283:
	s_or_b64 s[4:5], s[4:5], exec
	s_trap 2
	s_or_b64 exec, exec, s[0:1]
	s_and_saveexec_b64 s[0:1], s[4:5]
	s_cbranch_execnz .LBB139_268
	s_branch .LBB139_269
.LBB139_284:
	s_mov_b64 s[4:5], exec
	s_trap 2
	s_branch .LBB139_282
	.section	.rodata,"a",@progbits
	.p2align	6, 0x0
	.amdhsa_kernel _ZN2at6native12_GLOBAL__N_112gatherMedianIN3c108BFloat16EjLin1EEEvNS_4cuda6detail10TensorInfoIT_T0_EENS7_IlS9_EENS7_IKS8_S9_EES9_S9_S9_b
		.amdhsa_group_segment_fixed_size 4120
		.amdhsa_private_segment_fixed_size 0
		.amdhsa_kernarg_size 920
		.amdhsa_user_sgpr_count 6
		.amdhsa_user_sgpr_private_segment_buffer 1
		.amdhsa_user_sgpr_dispatch_ptr 0
		.amdhsa_user_sgpr_queue_ptr 0
		.amdhsa_user_sgpr_kernarg_segment_ptr 1
		.amdhsa_user_sgpr_dispatch_id 0
		.amdhsa_user_sgpr_flat_scratch_init 0
		.amdhsa_user_sgpr_private_segment_size 0
		.amdhsa_uses_dynamic_stack 0
		.amdhsa_system_sgpr_private_segment_wavefront_offset 0
		.amdhsa_system_sgpr_workgroup_id_x 1
		.amdhsa_system_sgpr_workgroup_id_y 1
		.amdhsa_system_sgpr_workgroup_id_z 1
		.amdhsa_system_sgpr_workgroup_info 0
		.amdhsa_system_vgpr_workitem_id 0
		.amdhsa_next_free_vgpr 54
		.amdhsa_next_free_sgpr 96
		.amdhsa_reserve_vcc 1
		.amdhsa_reserve_flat_scratch 0
		.amdhsa_float_round_mode_32 0
		.amdhsa_float_round_mode_16_64 0
		.amdhsa_float_denorm_mode_32 3
		.amdhsa_float_denorm_mode_16_64 3
		.amdhsa_dx10_clamp 1
		.amdhsa_ieee_mode 1
		.amdhsa_fp16_overflow 0
		.amdhsa_exception_fp_ieee_invalid_op 0
		.amdhsa_exception_fp_denorm_src 0
		.amdhsa_exception_fp_ieee_div_zero 0
		.amdhsa_exception_fp_ieee_overflow 0
		.amdhsa_exception_fp_ieee_underflow 0
		.amdhsa_exception_fp_ieee_inexact 0
		.amdhsa_exception_int_div_zero 0
	.end_amdhsa_kernel
	.section	.text._ZN2at6native12_GLOBAL__N_112gatherMedianIN3c108BFloat16EjLin1EEEvNS_4cuda6detail10TensorInfoIT_T0_EENS7_IlS9_EENS7_IKS8_S9_EES9_S9_S9_b,"axG",@progbits,_ZN2at6native12_GLOBAL__N_112gatherMedianIN3c108BFloat16EjLin1EEEvNS_4cuda6detail10TensorInfoIT_T0_EENS7_IlS9_EENS7_IKS8_S9_EES9_S9_S9_b,comdat
.Lfunc_end139:
	.size	_ZN2at6native12_GLOBAL__N_112gatherMedianIN3c108BFloat16EjLin1EEEvNS_4cuda6detail10TensorInfoIT_T0_EENS7_IlS9_EENS7_IKS8_S9_EES9_S9_S9_b, .Lfunc_end139-_ZN2at6native12_GLOBAL__N_112gatherMedianIN3c108BFloat16EjLin1EEEvNS_4cuda6detail10TensorInfoIT_T0_EENS7_IlS9_EENS7_IKS8_S9_EES9_S9_S9_b
                                        ; -- End function
	.set _ZN2at6native12_GLOBAL__N_112gatherMedianIN3c108BFloat16EjLin1EEEvNS_4cuda6detail10TensorInfoIT_T0_EENS7_IlS9_EENS7_IKS8_S9_EES9_S9_S9_b.num_vgpr, 54
	.set _ZN2at6native12_GLOBAL__N_112gatherMedianIN3c108BFloat16EjLin1EEEvNS_4cuda6detail10TensorInfoIT_T0_EENS7_IlS9_EENS7_IKS8_S9_EES9_S9_S9_b.num_agpr, 0
	.set _ZN2at6native12_GLOBAL__N_112gatherMedianIN3c108BFloat16EjLin1EEEvNS_4cuda6detail10TensorInfoIT_T0_EENS7_IlS9_EENS7_IKS8_S9_EES9_S9_S9_b.numbered_sgpr, 96
	.set _ZN2at6native12_GLOBAL__N_112gatherMedianIN3c108BFloat16EjLin1EEEvNS_4cuda6detail10TensorInfoIT_T0_EENS7_IlS9_EENS7_IKS8_S9_EES9_S9_S9_b.num_named_barrier, 0
	.set _ZN2at6native12_GLOBAL__N_112gatherMedianIN3c108BFloat16EjLin1EEEvNS_4cuda6detail10TensorInfoIT_T0_EENS7_IlS9_EENS7_IKS8_S9_EES9_S9_S9_b.private_seg_size, 0
	.set _ZN2at6native12_GLOBAL__N_112gatherMedianIN3c108BFloat16EjLin1EEEvNS_4cuda6detail10TensorInfoIT_T0_EENS7_IlS9_EENS7_IKS8_S9_EES9_S9_S9_b.uses_vcc, 1
	.set _ZN2at6native12_GLOBAL__N_112gatherMedianIN3c108BFloat16EjLin1EEEvNS_4cuda6detail10TensorInfoIT_T0_EENS7_IlS9_EENS7_IKS8_S9_EES9_S9_S9_b.uses_flat_scratch, 0
	.set _ZN2at6native12_GLOBAL__N_112gatherMedianIN3c108BFloat16EjLin1EEEvNS_4cuda6detail10TensorInfoIT_T0_EENS7_IlS9_EENS7_IKS8_S9_EES9_S9_S9_b.has_dyn_sized_stack, 0
	.set _ZN2at6native12_GLOBAL__N_112gatherMedianIN3c108BFloat16EjLin1EEEvNS_4cuda6detail10TensorInfoIT_T0_EENS7_IlS9_EENS7_IKS8_S9_EES9_S9_S9_b.has_recursion, 0
	.set _ZN2at6native12_GLOBAL__N_112gatherMedianIN3c108BFloat16EjLin1EEEvNS_4cuda6detail10TensorInfoIT_T0_EENS7_IlS9_EENS7_IKS8_S9_EES9_S9_S9_b.has_indirect_call, 0
	.section	.AMDGPU.csdata,"",@progbits
; Kernel info:
; codeLenInByte = 11816
; TotalNumSgprs: 100
; NumVgprs: 54
; ScratchSize: 0
; MemoryBound: 0
; FloatMode: 240
; IeeeMode: 1
; LDSByteSize: 4120 bytes/workgroup (compile time only)
; SGPRBlocks: 12
; VGPRBlocks: 13
; NumSGPRsForWavesPerEU: 100
; NumVGPRsForWavesPerEU: 54
; Occupancy: 4
; WaveLimiterHint : 1
; COMPUTE_PGM_RSRC2:SCRATCH_EN: 0
; COMPUTE_PGM_RSRC2:USER_SGPR: 6
; COMPUTE_PGM_RSRC2:TRAP_HANDLER: 0
; COMPUTE_PGM_RSRC2:TGID_X_EN: 1
; COMPUTE_PGM_RSRC2:TGID_Y_EN: 1
; COMPUTE_PGM_RSRC2:TGID_Z_EN: 1
; COMPUTE_PGM_RSRC2:TIDIG_COMP_CNT: 0
	.section	.text._ZN2at6native12_GLOBAL__N_112gatherMedianIN3c108BFloat16EmLi1EEEvNS_4cuda6detail10TensorInfoIT_T0_EENS7_IlS9_EENS7_IKS8_S9_EES9_S9_S9_b,"axG",@progbits,_ZN2at6native12_GLOBAL__N_112gatherMedianIN3c108BFloat16EmLi1EEEvNS_4cuda6detail10TensorInfoIT_T0_EENS7_IlS9_EENS7_IKS8_S9_EES9_S9_S9_b,comdat
	.globl	_ZN2at6native12_GLOBAL__N_112gatherMedianIN3c108BFloat16EmLi1EEEvNS_4cuda6detail10TensorInfoIT_T0_EENS7_IlS9_EENS7_IKS8_S9_EES9_S9_S9_b ; -- Begin function _ZN2at6native12_GLOBAL__N_112gatherMedianIN3c108BFloat16EmLi1EEEvNS_4cuda6detail10TensorInfoIT_T0_EENS7_IlS9_EENS7_IKS8_S9_EES9_S9_S9_b
	.p2align	8
	.type	_ZN2at6native12_GLOBAL__N_112gatherMedianIN3c108BFloat16EmLi1EEEvNS_4cuda6detail10TensorInfoIT_T0_EENS7_IlS9_EENS7_IKS8_S9_EES9_S9_S9_b,@function
_ZN2at6native12_GLOBAL__N_112gatherMedianIN3c108BFloat16EmLi1EEEvNS_4cuda6detail10TensorInfoIT_T0_EENS7_IlS9_EENS7_IKS8_S9_EES9_S9_S9_b: ; @_ZN2at6native12_GLOBAL__N_112gatherMedianIN3c108BFloat16EmLi1EEEvNS_4cuda6detail10TensorInfoIT_T0_EENS7_IlS9_EENS7_IKS8_S9_EES9_S9_S9_b
; %bb.0:
	s_load_dwordx2 s[14:15], s[4:5], 0x500
	s_load_dwordx4 s[24:27], s[4:5], 0x4e0
	s_add_u32 s18, s4, 0x500
	s_addc_u32 s19, s5, 0
	s_mov_b32 s3, 0
	s_waitcnt lgkmcnt(0)
	s_mul_i32 s0, s15, s8
	s_add_i32 s0, s0, s7
	s_mul_i32 s0, s0, s14
	s_add_i32 s2, s0, s6
	v_mov_b32_e32 v1, s2
	v_mov_b32_e32 v2, s3
	v_cmp_le_u64_e32 vcc, s[26:27], v[1:2]
	s_cbranch_vccnz .LBB140_287
; %bb.1:
	s_load_dwordx2 s[38:39], s[4:5], 0x4f0
	s_load_dwordx2 s[0:1], s[4:5], 0x410
	;; [unrolled: 1-line block ×4, first 2 shown]
                                        ; implicit-def: $vgpr60 : SGPR spill to VGPR lane
	v_mov_b32_e32 v1, 0
	v_cmp_gt_u64_e64 s[12:13], s[24:25], v[0:1]
	s_waitcnt lgkmcnt(0)
	s_mul_i32 s1, s1, s2
	v_mov_b32_e32 v2, 0
	v_writelane_b32 v60, s10, 0
	v_writelane_b32 v60, s11, 1
	s_load_dwordx2 s[10:11], s[4:5], 0x1a0
	v_mov_b32_e32 v3, 0
	s_waitcnt lgkmcnt(0)
	v_writelane_b32 v60, s10, 2
	v_writelane_b32 v60, s11, 3
	s_load_dwordx2 s[10:11], s[4:5], 0xd0
	s_waitcnt lgkmcnt(0)
	v_writelane_b32 v60, s10, 4
	v_writelane_b32 v60, s11, 5
	s_load_dwordx2 s[10:11], s[4:5], 0x0
	s_waitcnt lgkmcnt(0)
	v_writelane_b32 v60, s10, 6
	v_writelane_b32 v60, s11, 7
	s_mov_b32 s10, s2
	s_mul_hi_u32 s2, s0, s2
	s_add_i32 s11, s2, s1
	s_mov_b32 s2, s10
	v_writelane_b32 v60, s2, 8
	v_writelane_b32 v60, s3, 9
	s_mul_i32 s10, s0, s10
	v_writelane_b32 v60, s12, 10
	v_writelane_b32 v60, s13, 11
	s_and_saveexec_b64 s[0:1], s[12:13]
	s_cbranch_execz .LBB140_5
; %bb.2:
	v_mad_u64_u32 v[2:3], s[2:3], s38, v0, 0
	s_load_dword s7, s[18:19], 0xc
	v_mov_b32_e32 v7, v1
	v_mad_u64_u32 v[3:4], s[2:3], s39, v0, v[3:4]
	s_lshl_b64 s[2:3], s[10:11], 1
	s_waitcnt lgkmcnt(0)
	s_and_b32 s7, s7, 0xffff
	s_add_u32 s2, s8, s2
	v_lshlrev_b64 v[2:3], 1, v[2:3]
	s_addc_u32 s3, s9, s3
	v_mov_b32_e32 v5, s3
	v_add_co_u32_e32 v4, vcc, s2, v2
	s_mul_i32 s2, s39, s7
	s_mul_hi_u32 s3, s38, s7
	s_add_i32 s3, s3, s2
	s_mul_i32 s2, s38, s7
	v_addc_co_u32_e32 v5, vcc, v5, v3, vcc
	s_lshl_b64 s[12:13], s[2:3], 1
	v_mov_b32_e32 v2, 0
	s_mov_b64 s[2:3], 0
	v_mov_b32_e32 v3, 0
	v_mov_b32_e32 v8, s13
	;; [unrolled: 1-line block ×3, first 2 shown]
.LBB140_3:                              ; =>This Inner Loop Header: Depth=1
	global_load_ushort v9, v[4:5], off
	v_add_co_u32_e32 v6, vcc, s7, v6
	v_addc_co_u32_e32 v7, vcc, 0, v7, vcc
	v_add_co_u32_e32 v4, vcc, s12, v4
	v_addc_co_u32_e32 v5, vcc, v5, v8, vcc
	v_cmp_le_u64_e32 vcc, s[24:25], v[6:7]
	s_or_b64 s[2:3], vcc, s[2:3]
	s_waitcnt vmcnt(0)
	v_lshlrev_b32_e32 v9, 16, v9
	v_cmp_u_f32_e32 vcc, v9, v9
	v_cndmask_b32_e64 v9, 0, 1, vcc
	v_add_co_u32_e32 v2, vcc, v2, v9
	v_addc_co_u32_e32 v3, vcc, 0, v3, vcc
	s_andn2_b64 exec, exec, s[2:3]
	s_cbranch_execnz .LBB140_3
; %bb.4:
	s_or_b64 exec, exec, s[2:3]
.LBB140_5:
	s_or_b64 exec, exec, s[0:1]
	v_cmp_eq_u32_e64 s[2:3], 0, v0
	s_mov_b64 s[0:1], exec
	v_writelane_b32 v60, s2, 12
	v_writelane_b32 v60, s3, 13
	s_and_b64 s[2:3], s[0:1], s[2:3]
	s_mov_b64 exec, s[2:3]
; %bb.6:
	v_mov_b32_e32 v4, 0
	v_mov_b32_e32 v5, v4
	ds_write_b64 v4, v[4:5] offset:5136
; %bb.7:
	s_or_b64 exec, exec, s[0:1]
	v_cmp_ne_u64_e32 vcc, 0, v[2:3]
	s_mov_b64 s[12:13], 0
	s_waitcnt lgkmcnt(0)
	s_barrier
	s_and_saveexec_b64 s[0:1], vcc
	s_cbranch_execz .LBB140_12
; %bb.8:
	s_mov_b64 s[16:17], exec
.LBB140_9:                              ; =>This Inner Loop Header: Depth=1
	s_ff1_i32_b64 s2, s[16:17]
	v_readlane_b32 s7, v2, s2
	v_readlane_b32 s3, v3, s2
	s_add_u32 s12, s12, s7
	s_addc_u32 s13, s13, s3
	s_lshl_b64 s[2:3], 1, s2
	s_andn2_b64 s[16:17], s[16:17], s[2:3]
	s_cmp_lg_u64 s[16:17], 0
	s_cbranch_scc1 .LBB140_9
; %bb.10:
	v_mbcnt_lo_u32_b32 v2, exec_lo, 0
	v_mbcnt_hi_u32_b32 v2, exec_hi, v2
	v_cmp_eq_u32_e32 vcc, 0, v2
	s_and_saveexec_b64 s[2:3], vcc
	s_xor_b64 s[2:3], exec, s[2:3]
; %bb.11:
	v_mov_b32_e32 v2, s12
	v_mov_b32_e32 v4, 0
	;; [unrolled: 1-line block ×3, first 2 shown]
	ds_add_u64 v4, v[2:3] offset:5136
.LBB140_12:
	s_or_b64 exec, exec, s[0:1]
	v_mov_b32_e32 v2, 0
	s_load_dword s0, s[4:5], 0x4f8
	s_waitcnt lgkmcnt(0)
	s_barrier
	ds_read_b64 v[2:3], v2 offset:5136
	s_bitcmp1_b32 s0, 0
	s_cselect_b64 s[0:1], -1, 0
	v_mov_b32_e32 v24, s24
	v_mov_b32_e32 v25, s25
	s_waitcnt lgkmcnt(0)
	v_cmp_gt_i64_e32 vcc, 1, v[2:3]
	s_or_b64 s[0:1], s[0:1], vcc
	s_andn2_b64 vcc, exec, s[0:1]
	s_cbranch_vccnz .LBB140_14
; %bb.13:
	v_not_b32_e32 v2, v2
	v_not_b32_e32 v3, v3
	v_mov_b32_e32 v4, s25
	v_add_co_u32_e32 v2, vcc, s24, v2
	v_addc_co_u32_e32 v3, vcc, v4, v3, vcc
	v_lshrrev_b64 v[2:3], 1, v[2:3]
	v_add_co_u32_e32 v24, vcc, 1, v2
	v_addc_co_u32_e32 v25, vcc, 0, v3, vcc
.LBB140_14:
	s_mov_b64 s[0:1], exec
	v_readlane_b32 s2, v60, 12
	v_readlane_b32 s3, v60, 13
	s_and_b64 s[2:3], s[0:1], s[2:3]
	s_mov_b64 exec, s[2:3]
	s_cbranch_execz .LBB140_16
; %bb.15:
	v_mov_b32_e32 v2, 0
	v_mov_b32_e32 v4, s24
	v_mov_b32_e32 v5, s25
	v_mov_b32_e32 v3, v2
	ds_write_b32 v2, v2 offset:5144
	ds_write_b128 v2, v[2:5] offset:5120
.LBB140_16:
	s_or_b64 exec, exec, s[0:1]
	s_lshl_b64 s[0:1], s[10:11], 1
	s_add_u32 s40, s8, s0
	s_addc_u32 s41, s9, s1
	v_mad_u64_u32 v[4:5], s[0:1], s38, v0, 0
	v_mbcnt_lo_u32_b32 v2, -1, 0
	v_mbcnt_hi_u32_b32 v28, -1, v2
	v_mov_b32_e32 v2, v5
	v_mad_u64_u32 v[2:3], s[0:1], s39, v0, v[2:3]
	v_mov_b32_e32 v5, 0x600
	v_mov_b32_e32 v6, 0
	v_cmp_gt_u64_e64 s[0:1], s[24:25], v[5:6]
	v_mov_b32_e32 v5, v2
	v_lshlrev_b64 v[2:3], 1, v[4:5]
	v_cmp_gt_u32_e32 vcc, 64, v0
	v_cmp_gt_i32_e64 s[8:9], 4, v28
	s_and_b64 s[44:45], vcc, s[8:9]
	v_mov_b32_e32 v6, s41
	v_add_co_u32_e32 v12, vcc, s40, v2
	v_addc_co_u32_e32 v13, vcc, v6, v3, vcc
	v_mov_b32_e32 v3, 0
	v_lshlrev_b64 v[6:7], v28, -1
	v_add_u32_e32 v2, 2, v0
	v_cmp_gt_u64_e32 vcc, s[24:25], v[2:3]
	v_not_b32_e32 v30, v6
	v_mov_b32_e32 v6, s25
	v_not_b32_e32 v29, v7
	v_cndmask_b32_e32 v7, 0, v6, vcc
	v_mov_b32_e32 v6, s24
	v_cndmask_b32_e32 v2, v2, v6, vcc
	v_not_b32_e32 v6, v0
	v_add_co_u32_e32 v6, vcc, v2, v6
	v_writelane_b32 v60, s0, 14
	v_addc_co_u32_e32 v7, vcc, -1, v7, vcc
	v_writelane_b32 v60, s1, 15
	v_cmp_lt_u64_e64 s[0:1], 1, v[6:7]
	v_and_b32_e32 v16, -2, v6
	v_writelane_b32 v60, s0, 16
	v_mov_b32_e32 v17, v7
	v_writelane_b32 v60, s1, 17
	v_cmp_ne_u64_e64 s[0:1], v[6:7], v[16:17]
	v_lshlrev_b32_e32 v9, 3, v0
	v_writelane_b32 v60, s0, 18
	v_or_b32_e32 v6, 6, v9
	v_writelane_b32 v60, s1, 19
	v_mad_u64_u32 v[18:19], s[0:1], s38, v6, 0
	v_or_b32_e32 v8, 4, v9
	v_mad_u64_u32 v[20:21], s[0:1], s38, v8, 0
	v_mov_b32_e32 v2, v19
	v_mad_u64_u32 v[6:7], s[0:1], s39, v6, v[2:3]
	v_mov_b32_e32 v2, v21
	v_mad_u64_u32 v[7:8], s[0:1], s39, v8, v[2:3]
	v_or_b32_e32 v8, 2, v9
	v_mad_u64_u32 v[21:22], s[0:1], s38, v8, 0
	s_waitcnt lgkmcnt(0)
	s_barrier
	s_load_dword s2, s[18:19], 0xc
	v_mov_b32_e32 v2, v22
	v_mov_b32_e32 v31, v6
	;; [unrolled: 1-line block ×3, first 2 shown]
	v_mad_u64_u32 v[6:7], s[0:1], s39, v8, v[2:3]
	s_waitcnt lgkmcnt(0)
	s_and_b32 s29, s2, 0xffff
	s_bfe_u32 s0, s2, 0xa0006
	s_cmp_gt_u32 s29, 63
	s_cselect_b64 s[54:55], -1, 0
	s_add_u32 s93, s29, -1
	s_addc_u32 s57, 0, -1
	s_add_u32 s8, s93, s24
	s_addc_u32 s51, s57, s25
	s_cmp_lt_u32 s6, s14
	s_cselect_b32 s1, 12, 18
	s_add_u32 s52, s18, s1
	s_addc_u32 s53, s19, 0
	s_add_i32 s1, s0, -1
	s_bfe_u32 s6, s29, 0x30006
	s_and_b32 s1, s1, 0xffff
	s_cmp_gt_u32 s1, 6
	s_cselect_b64 s[10:11], -1, 0
	v_writelane_b32 v60, s10, 20
	s_and_b32 s3, s0, 0x3f8
	v_writelane_b32 v60, s11, 21
	s_cmp_lg_u32 s6, 0
	v_lshlrev_b32_e32 v2, 2, v28
	v_writelane_b32 v60, s6, 22
	s_cselect_b64 s[0:1], -1, 0
	v_and_b32_e32 v33, 0x100, v2
	v_lshrrev_b32_e32 v2, 1, v0
	v_writelane_b32 v60, s0, 23
	v_and_b32_e32 v2, 0x1e0, v2
	v_writelane_b32 v60, s1, 24
	s_mul_i32 s0, s39, s29
	s_mul_hi_u32 s1, s38, s29
	v_or_b32_e32 v35, 0xc00, v2
	v_lshlrev_b64 v[22:23], 3, v[4:5]
	v_mov_b32_e32 v2, 0xc00
	s_add_i32 s1, s1, s0
	s_mul_i32 s0, s38, s29
	v_lshlrev_b32_e32 v38, 1, v0
	s_mov_b32 s43, 0
	v_cmp_eq_u32_e64 s[4:5], 0, v28
	v_cmp_gt_u32_e64 s[16:17], 2, v0
	v_lshlrev_b32_e32 v14, 2, v0
	v_mov_b32_e32 v15, v3
	v_mov_b32_e32 v34, v6
	s_mov_b32 s9, s38
	s_mov_b32 s2, s39
	s_lshl_b64 s[58:59], s[38:39], 1
	s_lshl_b64 s[60:61], s[38:39], 3
	v_lshl_or_b32 v36, v28, 3, v2
	s_lshl_b32 s33, s29, 1
	s_lshl_b64 s[46:47], s[0:1], 1
	s_mov_b32 s48, 14
	s_mov_b64 s[62:63], 0
	s_movk_i32 s28, 0x3f80
	s_mov_b32 s49, 0
	v_add_u32_e32 v39, 0xc00, v38
	v_lshlrev_b32_e32 v40, 3, v0
	v_mov_b32_e32 v41, 0xffff
	v_mov_b32_e32 v42, 0x8000
	;; [unrolled: 1-line block ×3, first 2 shown]
	v_mov_b32_e32 v44, -1
	v_mov_b32_e32 v45, 0x5040100
	v_mov_b32_e32 v47, 0
	;; [unrolled: 1-line block ×4, first 2 shown]
	v_add_co_u32_e32 v19, vcc, v16, v0
	v_writelane_b32 v60, s54, 25
                                        ; implicit-def: $sgpr64_sgpr65
                                        ; implicit-def: $sgpr68_sgpr69
                                        ; implicit-def: $sgpr66_sgpr67
                                        ; implicit-def: $sgpr72_sgpr73
                                        ; implicit-def: $sgpr74_sgpr75
                                        ; implicit-def: $sgpr70_sgpr71
	v_writelane_b32 v60, s55, 26
	s_branch .LBB140_20
.LBB140_17:                             ;   in Loop: Header=BB140_20 Depth=1
	s_or_b64 exec, exec, s[14:15]
	s_and_b64 s[10:11], s[10:11], exec
	s_andn2_b64 s[78:79], s[78:79], exec
	s_andn2_b64 s[6:7], s[6:7], exec
	s_orn2_b64 s[20:21], s[12:13], exec
.LBB140_18:                             ;   in Loop: Header=BB140_20 Depth=1
	s_or_b64 exec, exec, s[0:1]
	s_andn2_b64 s[0:1], s[70:71], exec
	s_and_b64 s[10:11], s[10:11], exec
	s_or_b64 s[70:71], s[0:1], s[10:11]
	s_andn2_b64 s[0:1], s[74:75], exec
	s_and_b64 s[10:11], s[78:79], exec
	s_or_b64 s[74:75], s[0:1], s[10:11]
	;; [unrolled: 3-line block ×3, first 2 shown]
	s_orn2_b64 s[6:7], s[20:21], exec
.LBB140_19:                             ;   in Loop: Header=BB140_20 Depth=1
	s_or_b64 exec, exec, s[18:19]
	s_and_b64 s[0:1], exec, s[6:7]
	s_or_b64 s[62:63], s[0:1], s[62:63]
	s_andn2_b64 s[0:1], s[66:67], exec
	s_and_b64 s[6:7], s[70:71], exec
	s_or_b64 s[66:67], s[0:1], s[6:7]
	s_andn2_b64 s[0:1], s[68:69], exec
	s_and_b64 s[6:7], s[74:75], exec
	;; [unrolled: 3-line block ×3, first 2 shown]
	v_mov_b32_e32 v25, v9
	s_or_b64 s[64:65], s[0:1], s[6:7]
	v_mov_b32_e32 v24, v8
	s_andn2_b64 exec, exec, s[62:63]
	s_cbranch_execz .LBB140_283
.LBB140_20:                             ; =>This Loop Header: Depth=1
                                        ;     Child Loop BB140_25 Depth 2
                                        ;     Child Loop BB140_39 Depth 2
	;; [unrolled: 1-line block ×17, first 2 shown]
	ds_read_b128 v[4:7], v3 offset:5120
	s_waitcnt lgkmcnt(0)
	v_readfirstlane_b32 s23, v5
	v_readfirstlane_b32 s22, v4
	s_cmp_lg_u64 s[22:23], 0
	s_cbranch_scc1 .LBB140_52
; %bb.21:                               ;   in Loop: Header=BB140_20 Depth=1
	v_readlane_b32 s0, v60, 14
	v_readlane_b32 s1, v60, 15
	s_and_b64 vcc, exec, s[0:1]
	s_cbranch_vccz .LBB140_33
; %bb.22:                               ;   in Loop: Header=BB140_20 Depth=1
	s_mov_b64 s[0:1], 0x601
	v_cmp_gt_u64_e32 vcc, s[0:1], v[6:7]
	s_mov_b64 s[18:19], 0
	s_mov_b64 s[0:1], 0
	s_cbranch_vccz .LBB140_34
; %bb.23:                               ;   in Loop: Header=BB140_20 Depth=1
	global_load_ushort v2, v3, s[52:53]
	global_load_ushort v8, v[12:13], off
	v_mov_b32_e32 v4, s40
	v_mov_b32_e32 v5, s41
	s_mov_b64 s[20:21], 0
	s_waitcnt vmcnt(1)
	v_readfirstlane_b32 s0, v2
	s_and_b32 s6, 0xffff, s0
	v_add_u32_e32 v6, s6, v0
	v_mad_u64_u32 v[4:5], s[0:1], s58, v6, v[4:5]
	s_mul_i32 s7, s59, s6
	s_mul_i32 s22, s58, s6
	v_mad_u64_u32 v[5:6], s[0:1], s59, v6, v[5:6]
	s_mul_hi_u32 s0, s58, s6
	v_mov_b32_e32 v7, v1
	s_add_i32 s23, s0, s7
	v_mov_b32_e32 v6, v0
	s_branch .LBB140_25
.LBB140_24:                             ;   in Loop: Header=BB140_25 Depth=2
	s_or_b64 exec, exec, s[0:1]
	v_mov_b32_e32 v8, s23
	v_add_co_u32_e32 v4, vcc, s22, v4
	v_addc_co_u32_e32 v5, vcc, v5, v8, vcc
	v_mov_b32_e32 v8, v9
	s_andn2_b64 exec, exec, s[20:21]
	s_cbranch_execz .LBB140_150
.LBB140_25:                             ;   Parent Loop BB140_20 Depth=1
                                        ; =>  This Inner Loop Header: Depth=2
	v_add_co_u32_sdwa v6, vcc, v6, v2 dst_sel:DWORD dst_unused:UNUSED_PAD src0_sel:DWORD src1_sel:WORD_0
	v_addc_co_u32_e32 v7, vcc, 0, v7, vcc
	v_cmp_gt_u64_e64 s[6:7], s[24:25], v[6:7]
	v_cmp_le_u64_e32 vcc, s[24:25], v[6:7]
	s_waitcnt lgkmcnt(0)
	v_mov_b32_e32 v10, 0
	v_mov_b32_e32 v9, 0
	s_and_saveexec_b64 s[0:1], s[6:7]
	s_cbranch_execz .LBB140_27
; %bb.26:                               ;   in Loop: Header=BB140_25 Depth=2
	global_load_ushort v9, v[4:5], off
.LBB140_27:                             ;   in Loop: Header=BB140_25 Depth=2
	s_or_b64 exec, exec, s[0:1]
	s_waitcnt vmcnt(0)
	v_cmp_lt_i16_e64 s[6:7], -1, v8
	v_cndmask_b32_e64 v11, v41, v42, s[6:7]
	v_lshlrev_b32_e32 v26, 16, v8
	v_xor_b32_sdwa v11, v11, v8 dst_sel:DWORD dst_unused:UNUSED_PAD src0_sel:DWORD src1_sel:WORD_0
	v_cmp_o_f32_e64 s[6:7], v26, v26
	v_cndmask_b32_e64 v11, v41, v11, s[6:7]
	v_and_b32_e32 v11, v11, v46
	v_cmp_eq_u32_e64 s[14:15], v11, v37
	s_cmp_lg_u64 s[14:15], 0
	s_cselect_b64 s[0:1], -1, 0
	s_and_b64 s[6:7], s[4:5], s[0:1]
	s_and_saveexec_b64 s[0:1], s[6:7]
	s_cbranch_execz .LBB140_31
; %bb.28:                               ;   in Loop: Header=BB140_25 Depth=2
	s_mov_b64 s[12:13], exec
	v_mbcnt_lo_u32_b32 v10, s12, 0
	v_mbcnt_hi_u32_b32 v10, s13, v10
	s_bcnt1_i32_b64 s26, s[14:15]
	v_cmp_eq_u32_e64 s[6:7], 0, v10
                                        ; implicit-def: $vgpr11
	s_and_saveexec_b64 s[10:11], s[6:7]
; %bb.29:                               ;   in Loop: Header=BB140_25 Depth=2
	s_bcnt1_i32_b64 s6, s[12:13]
	s_mul_i32 s6, s26, s6
	v_mov_b32_e32 v11, s6
	ds_add_rtn_u32 v11, v3, v11 offset:5144
; %bb.30:                               ;   in Loop: Header=BB140_25 Depth=2
	s_or_b64 exec, exec, s[10:11]
	s_waitcnt lgkmcnt(0)
	v_readfirstlane_b32 s6, v11
	v_mov_b32_e32 v11, s6
	v_mad_u32_u24 v10, s26, v10, v11
.LBB140_31:                             ;   in Loop: Header=BB140_25 Depth=2
	s_or_b64 exec, exec, s[0:1]
	ds_bpermute_b32 v10, v33, v10
	s_and_b64 s[0:1], exec, vcc
	s_or_b64 s[20:21], s[0:1], s[20:21]
	s_and_saveexec_b64 s[0:1], s[14:15]
	s_cbranch_execz .LBB140_24
; %bb.32:                               ;   in Loop: Header=BB140_25 Depth=2
	v_and_b32_e32 v26, s14, v30
	v_and_b32_e32 v11, s15, v29
	v_bcnt_u32_b32 v26, v26, 0
	v_bcnt_u32_b32 v11, v11, v26
	v_lshlrev_b32_e32 v11, 1, v11
	s_waitcnt lgkmcnt(0)
	v_lshl_add_u32 v10, v10, 1, v11
	ds_write_b16 v10, v8
	s_branch .LBB140_24
.LBB140_33:                             ;   in Loop: Header=BB140_20 Depth=1
	s_mov_b64 s[18:19], -1
	s_mov_b64 s[0:1], 0
.LBB140_34:                             ;   in Loop: Header=BB140_20 Depth=1
	s_and_b64 vcc, exec, s[18:19]
	s_cbranch_vccz .LBB140_50
.LBB140_35:                             ;   in Loop: Header=BB140_20 Depth=1
	s_mov_b64 s[14:15], exec
	v_readlane_b32 s0, v60, 10
	v_readlane_b32 s1, v60, 11
	s_and_b64 s[0:1], s[14:15], s[0:1]
	s_mov_b64 exec, s[0:1]
	s_cbranch_execz .LBB140_47
; %bb.36:                               ;   in Loop: Header=BB140_20 Depth=1
	global_load_ushort v2, v3, s[52:53]
	global_load_ushort v11, v[12:13], off
	v_mov_b32_e32 v6, v0
	s_waitcnt vmcnt(1)
	v_readfirstlane_b32 s0, v2
	v_add_u32_sdwa v2, v2, v0 dst_sel:DWORD dst_unused:UNUSED_PAD src0_sel:WORD_0 src1_sel:DWORD
	v_cmp_gt_u64_e32 vcc, s[24:25], v[2:3]
	s_and_saveexec_b64 s[18:19], vcc
	s_cbranch_execz .LBB140_46
; %bb.37:                               ;   in Loop: Header=BB140_20 Depth=1
	s_and_b32 s12, s0, 0xffff
	s_cmp_eq_u32 s12, 1
	v_readlane_b32 s6, v60, 16
                                        ; implicit-def: $vgpr6_vgpr7
	s_cselect_b64 s[0:1], -1, 0
	v_readlane_b32 s7, v60, 17
	v_mov_b32_e32 v8, v1
	v_mov_b32_e32 v5, v3
	s_and_b64 s[0:1], s[6:7], s[0:1]
	s_mov_b64 s[10:11], -1
	v_mov_b32_e32 v7, v0
	v_mov_b32_e32 v4, v2
	s_and_saveexec_b64 s[6:7], s[0:1]
	s_cbranch_execz .LBB140_41
; %bb.38:                               ;   in Loop: Header=BB140_20 Depth=1
	v_add_co_u32_e32 v4, vcc, 1, v2
	v_addc_co_u32_e64 v5, s[0:1], 0, 0, vcc
	v_mov_b32_e32 v8, v16
	v_mov_b32_e32 v7, v5
	s_waitcnt vmcnt(0)
	v_lshlrev_b32_e32 v26, 16, v11
	s_mov_b64 s[0:1], 0
	v_mov_b32_e32 v9, v17
	v_mov_b32_e32 v10, v38
	;; [unrolled: 1-line block ×5, first 2 shown]
.LBB140_39:                             ;   Parent Loop BB140_20 Depth=1
                                        ; =>  This Inner Loop Header: Depth=2
	v_mul_lo_u32 v52, v5, s38
	v_mul_lo_u32 v53, v4, s39
	v_mad_u64_u32 v[50:51], s[10:11], v4, s38, 0
	v_mul_lo_u32 v11, v7, s9
	v_mul_lo_u32 v27, v6, s2
	v_mad_u64_u32 v[48:49], s[10:11], v6, s9, 0
	v_add3_u32 v51, v51, v53, v52
	v_lshlrev_b64 v[50:51], 1, v[50:51]
	v_add3_u32 v49, v49, v27, v11
	v_mov_b32_e32 v54, s41
	v_lshlrev_b64 v[48:49], 1, v[48:49]
	v_add_co_u32_e32 v50, vcc, s40, v50
	v_addc_co_u32_e32 v51, vcc, v54, v51, vcc
	v_mov_b32_e32 v55, s41
	v_add_co_u32_e32 v48, vcc, s40, v48
	v_addc_co_u32_e32 v49, vcc, v55, v49, vcc
	global_load_ushort v27, v[50:51], off
	global_load_ushort v11, v[48:49], off
	v_add_co_u32_e32 v6, vcc, 2, v6
	v_addc_co_u32_e32 v7, vcc, 0, v7, vcc
	v_add_co_u32_e32 v4, vcc, 2, v4
	v_addc_co_u32_e32 v5, vcc, 0, v5, vcc
	v_add_co_u32_e32 v8, vcc, -2, v8
	v_addc_co_u32_e32 v9, vcc, -1, v9, vcc
	s_mov_b32 s10, 0x5040100
	v_cmp_eq_u64_e32 vcc, 0, v[8:9]
	s_or_b64 s[0:1], vcc, s[0:1]
	s_waitcnt vmcnt(1)
	v_alignbit_b32 v26, v27, v26, 16
	s_waitcnt vmcnt(0)
	v_perm_b32 v48, v11, v27, s10
	ds_write_b32 v10, v26
	v_add_u32_e32 v10, 4, v10
	v_mov_b32_e32 v26, v48
	s_andn2_b64 exec, exec, s[0:1]
	s_cbranch_execnz .LBB140_39
; %bb.40:                               ;   in Loop: Header=BB140_20 Depth=1
	s_or_b64 exec, exec, s[0:1]
	v_readlane_b32 s0, v60, 18
	v_add_co_u32_e32 v4, vcc, v2, v16
	v_readlane_b32 s1, v60, 19
	v_addc_co_u32_e32 v5, vcc, 0, v17, vcc
	v_add_co_u32_e32 v6, vcc, -1, v4
	s_orn2_b64 s[10:11], s[0:1], exec
	v_mov_b32_e32 v7, v19
	v_mov_b32_e32 v8, v20
.LBB140_41:                             ;   in Loop: Header=BB140_20 Depth=1
	s_or_b64 exec, exec, s[6:7]
	s_and_saveexec_b64 s[0:1], s[10:11]
	s_cbranch_execz .LBB140_45
; %bb.42:                               ;   in Loop: Header=BB140_20 Depth=1
	v_mov_b32_e32 v8, s40
	v_mov_b32_e32 v9, s41
	v_mad_u64_u32 v[9:10], s[6:7], s58, v4, v[8:9]
	v_mul_lo_u32 v2, s58, v5
	v_mul_lo_u32 v6, s59, v4
	s_mul_i32 s6, s59, s12
	s_mul_hi_u32 s7, s58, s12
	s_mov_b64 s[10:11], 0
	s_sub_u32 s13, 0, s12
	v_add3_u32 v10, v6, v10, v2
	s_add_i32 s20, s7, s6
	s_mul_i32 s21, s58, s12
.LBB140_43:                             ;   Parent Loop BB140_20 Depth=1
                                        ; =>  This Inner Loop Header: Depth=2
	s_waitcnt vmcnt(0)
	v_mov_b32_e32 v2, v11
	global_load_ushort v11, v[9:10], off
	v_mov_b32_e32 v27, v5
	v_mov_b32_e32 v26, v4
	v_lshlrev_b32_e32 v4, 1, v7
	ds_write_b16 v4, v2
	v_add_co_u32_e32 v4, vcc, s12, v26
	v_addc_co_u32_e32 v5, vcc, 0, v27, vcc
	v_mov_b32_e32 v2, s20
	v_add_co_u32_e32 v9, vcc, s21, v9
	v_addc_co_u32_e32 v10, vcc, v10, v2, vcc
	v_cmp_le_u64_e32 vcc, s[24:25], v[4:5]
	v_add_co_u32_e64 v6, s[6:7], s13, v4
	s_or_b64 s[10:11], vcc, s[10:11]
	v_mov_b32_e32 v7, v26
	v_mov_b32_e32 v8, v27
	s_andn2_b64 exec, exec, s[10:11]
	s_cbranch_execnz .LBB140_43
; %bb.44:                               ;   in Loop: Header=BB140_20 Depth=1
	s_or_b64 exec, exec, s[10:11]
.LBB140_45:                             ;   in Loop: Header=BB140_20 Depth=1
	s_or_b64 exec, exec, s[0:1]
.LBB140_46:                             ;   in Loop: Header=BB140_20 Depth=1
	s_or_b64 exec, exec, s[18:19]
	v_lshlrev_b32_e32 v2, 1, v6
	s_waitcnt vmcnt(0)
	ds_write_b16 v2, v11
.LBB140_47:                             ;   in Loop: Header=BB140_20 Depth=1
	s_or_b64 exec, exec, s[14:15]
	s_waitcnt lgkmcnt(0)
	s_barrier
	s_mov_b64 s[0:1], exec
	v_readlane_b32 s6, v60, 12
	v_readlane_b32 s7, v60, 13
	s_and_b64 s[6:7], s[0:1], s[6:7]
	s_mov_b64 exec, s[6:7]
; %bb.48:                               ;   in Loop: Header=BB140_20 Depth=1
	v_mov_b32_e32 v4, s24
	v_mov_b32_e32 v5, s25
	ds_write_b64 v3, v[4:5] offset:5120
; %bb.49:                               ;   in Loop: Header=BB140_20 Depth=1
	s_or_b64 exec, exec, s[0:1]
	s_mov_b64 s[0:1], -1
	s_waitcnt lgkmcnt(0)
	s_barrier
.LBB140_50:                             ;   in Loop: Header=BB140_20 Depth=1
	s_mov_b64 s[22:23], 0
	s_and_b64 vcc, exec, s[0:1]
	s_cbranch_vccz .LBB140_52
; %bb.51:                               ;   in Loop: Header=BB140_20 Depth=1
	ds_read_b64 v[4:5], v3 offset:5120
	s_waitcnt lgkmcnt(0)
	v_readfirstlane_b32 s22, v4
.LBB140_52:                             ;   in Loop: Header=BB140_20 Depth=1
	s_cmp_lt_i32 s22, 1
	s_mov_b64 s[0:1], -1
                                        ; implicit-def: $vgpr4_vgpr5
                                        ; implicit-def: $vgpr8_vgpr9
	s_cbranch_scc1 .LBB140_62
; %bb.53:                               ;   in Loop: Header=BB140_20 Depth=1
	s_and_b64 vcc, exec, s[0:1]
	s_cbranch_vccnz .LBB140_76
.LBB140_54:                             ;   in Loop: Header=BB140_20 Depth=1
	s_lshl_b32 s10, s49, 6
	s_and_saveexec_b64 s[0:1], s[4:5]
	s_cbranch_execz .LBB140_56
.LBB140_55:                             ;   in Loop: Header=BB140_20 Depth=1
	v_lshl_add_u32 v2, s10, 3, v35
	ds_write_b128 v2, v[4:7]
	ds_write_b128 v2, v[8:11] offset:16
.LBB140_56:                             ;   in Loop: Header=BB140_20 Depth=1
	s_or_b64 exec, exec, s[0:1]
	s_waitcnt lgkmcnt(0)
	s_barrier
	s_and_saveexec_b64 s[6:7], s[44:45]
	s_cbranch_execz .LBB140_91
; %bb.57:                               ;   in Loop: Header=BB140_20 Depth=1
	v_mov_b32_e32 v4, 0
	v_mov_b32_e32 v5, 0
	s_andn2_b64 vcc, exec, s[54:55]
	s_cbranch_vccnz .LBB140_90
; %bb.58:                               ;   in Loop: Header=BB140_20 Depth=1
	v_readlane_b32 s0, v60, 20
	v_readlane_b32 s1, v60, 21
	s_andn2_b64 vcc, exec, s[0:1]
	s_cbranch_vccnz .LBB140_86
; %bb.59:                               ;   in Loop: Header=BB140_20 Depth=1
	v_mov_b32_e32 v4, 0
	v_lshl_add_u32 v2, s49, 9, v36
	v_mov_b32_e32 v5, 0
	s_mov_b32 s0, 0
.LBB140_60:                             ;   Parent Loop BB140_20 Depth=1
                                        ; =>  This Inner Loop Header: Depth=2
	ds_read2_b64 v[6:9], v2 offset1:4
	ds_read2_b64 v[48:51], v2 offset0:8 offset1:12
	ds_read2_b64 v[52:55], v2 offset0:16 offset1:20
	;; [unrolled: 1-line block ×3, first 2 shown]
	s_add_i32 s0, s0, 8
	s_waitcnt lgkmcnt(3)
	v_add_co_u32_e32 v4, vcc, v6, v4
	v_addc_co_u32_e32 v5, vcc, v7, v5, vcc
	v_add_co_u32_e32 v4, vcc, v8, v4
	v_addc_co_u32_e32 v5, vcc, v9, v5, vcc
	s_waitcnt lgkmcnt(2)
	v_add_co_u32_e32 v4, vcc, v48, v4
	v_addc_co_u32_e32 v5, vcc, v49, v5, vcc
	v_add_co_u32_e32 v4, vcc, v50, v4
	v_addc_co_u32_e32 v5, vcc, v51, v5, vcc
	;; [unrolled: 5-line block ×3, first 2 shown]
	s_waitcnt lgkmcnt(0)
	v_add_co_u32_e32 v4, vcc, v56, v4
	v_addc_co_u32_e32 v5, vcc, v57, v5, vcc
	v_add_co_u32_e32 v4, vcc, v58, v4
	v_add_u32_e32 v2, 0x100, v2
	s_cmp_eq_u32 s3, s0
	v_addc_co_u32_e32 v5, vcc, v59, v5, vcc
	s_cbranch_scc0 .LBB140_60
; %bb.61:                               ;   in Loop: Header=BB140_20 Depth=1
	s_mov_b32 s0, s3
	s_branch .LBB140_87
.LBB140_62:                             ;   in Loop: Header=BB140_20 Depth=1
	global_load_ushort v2, v3, s[52:53]
	s_mov_b32 s0, s43
	s_waitcnt vmcnt(0)
	v_readfirstlane_b32 s1, v2
	s_and_b32 s10, s1, 0xffff
	s_lshl_b32 s11, s10, 2
	s_mov_b32 s1, s25
	s_cmp_lg_u64 s[0:1], 0
	s_cbranch_scc0 .LBB140_85
; %bb.63:                               ;   in Loop: Header=BB140_20 Depth=1
	v_cvt_f32_u32_e32 v2, s11
	s_sub_u32 s6, 0, s11
	s_subb_u32 s7, 0, 0
	v_mac_f32_e32 v2, 0, v43
	v_rcp_f32_e32 v2, v2
	v_mul_f32_e32 v2, 0x5f7ffffc, v2
	v_mul_f32_e32 v4, 0x2f800000, v2
	v_trunc_f32_e32 v4, v4
	v_mac_f32_e32 v2, 0xcf800000, v4
	v_cvt_u32_f32_e32 v4, v4
	v_cvt_u32_f32_e32 v2, v2
	v_readfirstlane_b32 s12, v4
	v_readfirstlane_b32 s0, v2
	s_mul_i32 s1, s6, s12
	s_mul_hi_u32 s14, s6, s0
	s_mul_i32 s13, s7, s0
	s_add_i32 s1, s14, s1
	s_mul_i32 s15, s6, s0
	s_add_i32 s1, s1, s13
	s_mul_hi_u32 s14, s0, s15
	s_mul_i32 s18, s0, s1
	s_mul_hi_u32 s13, s0, s1
	s_add_u32 s14, s14, s18
	s_addc_u32 s13, 0, s13
	s_mul_hi_u32 s19, s12, s15
	s_mul_i32 s15, s12, s15
	s_add_u32 s14, s14, s15
	s_mul_hi_u32 s18, s12, s1
	s_addc_u32 s13, s13, s19
	s_addc_u32 s14, s18, 0
	s_mul_i32 s1, s12, s1
	s_add_u32 s1, s13, s1
	s_addc_u32 s13, 0, s14
	s_add_u32 s14, s0, s1
	s_cselect_b64 s[0:1], -1, 0
	s_cmp_lg_u64 s[0:1], 0
	s_addc_u32 s12, s12, s13
	s_mul_i32 s0, s6, s12
	s_mul_hi_u32 s1, s6, s14
	s_add_i32 s0, s1, s0
	s_mul_i32 s7, s7, s14
	s_add_i32 s0, s0, s7
	s_mul_i32 s6, s6, s14
	s_mul_hi_u32 s7, s12, s6
	s_mul_i32 s13, s12, s6
	s_mul_i32 s18, s14, s0
	s_mul_hi_u32 s6, s14, s6
	s_mul_hi_u32 s15, s14, s0
	s_add_u32 s6, s6, s18
	s_addc_u32 s15, 0, s15
	s_add_u32 s6, s6, s13
	s_mul_hi_u32 s1, s12, s0
	s_addc_u32 s6, s15, s7
	s_addc_u32 s1, s1, 0
	s_mul_i32 s0, s12, s0
	s_add_u32 s0, s6, s0
	s_addc_u32 s6, 0, s1
	s_add_u32 s7, s14, s0
	s_cselect_b64 s[0:1], -1, 0
	s_cmp_lg_u64 s[0:1], 0
	s_addc_u32 s0, s12, s6
	s_mul_i32 s6, s24, s0
	s_mul_hi_u32 s12, s24, s7
	s_mul_hi_u32 s1, s24, s0
	s_add_u32 s6, s12, s6
	s_addc_u32 s1, 0, s1
	s_mul_hi_u32 s13, s25, s7
	s_mul_i32 s7, s25, s7
	s_add_u32 s6, s6, s7
	s_mul_hi_u32 s12, s25, s0
	s_addc_u32 s1, s1, s13
	s_addc_u32 s6, s12, 0
	s_mul_i32 s0, s25, s0
	s_add_u32 s0, s1, s0
	s_addc_u32 s1, 0, s6
	s_mul_i32 s1, s11, s1
	s_mul_hi_u32 s6, s11, s0
	s_add_i32 s6, s6, s1
	s_mul_i32 s0, s11, s0
	s_sub_u32 s7, s24, s0
	s_cselect_b64 s[0:1], -1, 0
	s_cmp_lg_u64 s[0:1], 0
	s_subb_u32 s6, s25, s6
	s_sub_u32 s12, s7, s11
	s_cselect_b64 s[0:1], -1, 0
	s_cmp_lg_u64 s[0:1], 0
	s_subb_u32 s13, s6, 0
	;; [unrolled: 4-line block ×3, first 2 shown]
	s_cmp_ge_u32 s12, s11
	s_cselect_b32 s1, -1, 0
	s_cmp_eq_u32 s13, 0
	s_cselect_b32 s1, s1, -1
	s_cmp_lg_u32 s1, 0
	s_cselect_b32 s0, s0, s13
	s_cselect_b32 s12, s14, s12
	s_cmp_ge_u32 s7, s11
	s_cselect_b32 s1, -1, 0
	s_cmp_eq_u32 s6, 0
	s_cselect_b32 s1, s1, -1
	s_cmp_lg_u32 s1, 0
	s_cselect_b32 s1, s0, s6
	s_cselect_b32 s0, s12, s7
	s_cbranch_execnz .LBB140_65
.LBB140_64:                             ;   in Loop: Header=BB140_20 Depth=1
	v_cvt_f32_u32_e32 v2, s11
	s_sub_i32 s0, 0, s11
	v_rcp_iflag_f32_e32 v2, v2
	v_mul_f32_e32 v2, 0x4f7ffffe, v2
	v_cvt_u32_f32_e32 v2, v2
	v_readfirstlane_b32 s1, v2
	s_mul_i32 s0, s0, s1
	s_mul_hi_u32 s0, s1, s0
	s_add_i32 s1, s1, s0
	s_mul_hi_u32 s0, s24, s1
	s_mul_i32 s0, s0, s11
	s_sub_i32 s0, s24, s0
	s_sub_i32 s1, s0, s11
	s_cmp_ge_u32 s0, s11
	s_cselect_b32 s0, s1, s0
	s_sub_i32 s1, s0, s11
	s_cmp_ge_u32 s0, s11
	s_cselect_b32 s42, s1, s0
	s_mov_b64 s[0:1], s[42:43]
.LBB140_65:                             ;   in Loop: Header=BB140_20 Depth=1
	s_sub_u32 s76, s24, s0
	s_subb_u32 s77, s25, s1
	v_cmp_gt_u64_e32 vcc, s[76:77], v[14:15]
	v_mov_b32_e32 v4, 0
	v_mov_b32_e32 v6, 0
	;; [unrolled: 1-line block ×8, first 2 shown]
	s_and_saveexec_b64 s[78:79], vcc
	s_cbranch_execz .LBB140_69
; %bb.66:                               ;   in Loop: Header=BB140_20 Depth=1
	s_mul_i32 s0, s61, s10
	s_mul_hi_u32 s1, s60, s10
	v_mov_b32_e32 v27, v15
	s_add_i32 s0, s1, s0
	s_mov_b64 s[80:81], 0
	s_mov_b64 s[82:83], s[40:41]
	;; [unrolled: 1-line block ×6, first 2 shown]
	v_mov_b32_e32 v26, v14
.LBB140_67:                             ;   Parent Loop BB140_20 Depth=1
                                        ; =>  This Inner Loop Header: Depth=2
	v_add_co_u32_e32 v4, vcc, s82, v22
	v_mov_b32_e32 v2, s83
	v_addc_co_u32_e32 v5, vcc, v2, v23, vcc
	global_load_ushort v6, v[4:5], off
	v_add_co_u32_e32 v4, vcc, s82, v21
	v_addc_co_u32_e32 v5, vcc, v2, v34, vcc
	global_load_ushort v7, v[4:5], off
	v_add_co_u32_e32 v4, vcc, s82, v20
	;; [unrolled: 3-line block ×3, first 2 shown]
	v_addc_co_u32_e32 v5, vcc, v2, v31, vcc
	global_load_ushort v2, v[4:5], off
	s_waitcnt vmcnt(3)
	v_cmp_lt_i16_e32 vcc, -1, v6
	v_cndmask_b32_e32 v4, v41, v42, vcc
	v_lshlrev_b32_e32 v5, 16, v6
	v_cmp_o_f32_e32 vcc, v5, v5
	v_xor_b32_sdwa v4, v4, v6 dst_sel:DWORD dst_unused:UNUSED_PAD src0_sel:DWORD src1_sel:WORD_0
	v_cndmask_b32_e32 v4, v41, v4, vcc
	s_waitcnt vmcnt(2)
	v_cmp_lt_i16_e32 vcc, -1, v7
	v_cndmask_b32_e32 v5, v41, v42, vcc
	v_lshlrev_b32_e32 v6, 16, v7
	v_cmp_o_f32_e32 vcc, v6, v6
	v_xor_b32_sdwa v5, v5, v7 dst_sel:DWORD dst_unused:UNUSED_PAD src0_sel:DWORD src1_sel:WORD_0
	v_cndmask_b32_e32 v5, v41, v5, vcc
	;; [unrolled: 7-line block ×3, first 2 shown]
	s_waitcnt vmcnt(0)
	v_cmp_lt_i16_e32 vcc, -1, v2
	v_cndmask_b32_e32 v7, v41, v42, vcc
	v_lshlrev_b32_e32 v8, 16, v2
	v_cmp_o_f32_e32 vcc, v8, v8
	v_xor_b32_sdwa v2, v7, v2 dst_sel:DWORD dst_unused:UNUSED_PAD src0_sel:DWORD src1_sel:WORD_0
	v_and_b32_e32 v7, v4, v46
	v_bfe_u32 v4, v4, s48, 2
	v_cndmask_b32_e32 v2, v41, v2, vcc
	v_cmp_eq_u32_e32 vcc, v7, v37
	v_and_b32_e32 v7, v5, v46
	v_bfe_u32 v5, v5, s48, 2
	v_cmp_eq_u32_e64 s[20:21], 0, v4
	v_cmp_eq_u32_e64 s[6:7], v7, v37
	v_and_b32_e32 v7, v6, v46
	v_bfe_u32 v6, v6, s48, 2
	s_and_b64 s[12:13], vcc, s[20:21]
	v_cmp_eq_u32_e64 s[20:21], 0, v5
	v_cmp_eq_u32_e64 s[14:15], v7, v37
	v_and_b32_e32 v7, v2, v46
	v_bfe_u32 v2, v2, s48, 2
	s_and_b64 s[26:27], s[6:7], s[20:21]
	v_cmp_eq_u32_e64 s[20:21], 0, v6
	v_cmp_eq_u32_e64 s[18:19], v7, v37
	s_and_b64 s[30:31], s[14:15], s[20:21]
	v_cmp_eq_u32_e64 s[20:21], 0, v2
	v_cndmask_b32_e64 v7, 0, 1, s[12:13]
	s_and_b64 s[34:35], s[18:19], s[20:21]
	v_cmp_ne_u32_e64 s[20:21], 0, v7
	v_cndmask_b32_e64 v7, 0, 1, s[26:27]
	s_bcnt1_i32_b64 s1, s[20:21]
	v_cmp_ne_u32_e64 s[20:21], 0, v7
	v_cndmask_b32_e64 v7, 0, 1, s[30:31]
	s_bcnt1_i32_b64 s12, s[20:21]
	;; [unrolled: 3-line block ×3, first 2 shown]
	v_cmp_ne_u32_e64 s[20:21], 0, v7
	s_bcnt1_i32_b64 s20, s[20:21]
	s_add_u32 s1, s1, s90
	s_addc_u32 s21, 0, s91
	s_add_u32 s1, s1, s12
	s_addc_u32 s12, s21, 0
	;; [unrolled: 2-line block ×3, first 2 shown]
	s_add_u32 s90, s1, s20
	v_cmp_eq_u32_e64 s[20:21], 1, v4
	s_addc_u32 s91, s12, 0
	s_and_b64 s[12:13], vcc, s[20:21]
	v_cmp_eq_u32_e64 s[20:21], 1, v5
	s_and_b64 s[26:27], s[6:7], s[20:21]
	v_cmp_eq_u32_e64 s[20:21], 1, v6
	s_and_b64 s[30:31], s[14:15], s[20:21]
	v_cmp_eq_u32_e64 s[20:21], 1, v2
	v_cndmask_b32_e64 v7, 0, 1, s[12:13]
	s_and_b64 s[34:35], s[18:19], s[20:21]
	v_cmp_ne_u32_e64 s[20:21], 0, v7
	v_cndmask_b32_e64 v7, 0, 1, s[26:27]
	s_bcnt1_i32_b64 s1, s[20:21]
	v_cmp_ne_u32_e64 s[20:21], 0, v7
	v_cndmask_b32_e64 v7, 0, 1, s[30:31]
	s_bcnt1_i32_b64 s12, s[20:21]
	;; [unrolled: 3-line block ×3, first 2 shown]
	v_cmp_ne_u32_e64 s[20:21], 0, v7
	s_bcnt1_i32_b64 s20, s[20:21]
	s_add_u32 s1, s1, s88
	s_addc_u32 s21, 0, s89
	s_add_u32 s1, s1, s12
	s_addc_u32 s12, s21, 0
	;; [unrolled: 2-line block ×3, first 2 shown]
	s_add_u32 s88, s1, s20
	v_cmp_eq_u32_e64 s[20:21], 2, v4
	s_addc_u32 s89, s12, 0
	s_and_b64 s[12:13], vcc, s[20:21]
	v_cmp_eq_u32_e64 s[20:21], 2, v5
	s_and_b64 s[26:27], s[6:7], s[20:21]
	v_cmp_eq_u32_e64 s[20:21], 2, v6
	s_and_b64 s[30:31], s[14:15], s[20:21]
	v_cmp_eq_u32_e64 s[20:21], 2, v2
	v_cndmask_b32_e64 v7, 0, 1, s[12:13]
	s_and_b64 s[34:35], s[18:19], s[20:21]
	v_cmp_ne_u32_e64 s[20:21], 0, v7
	v_cndmask_b32_e64 v7, 0, 1, s[26:27]
	s_bcnt1_i32_b64 s1, s[20:21]
	v_cmp_ne_u32_e64 s[20:21], 0, v7
	v_cndmask_b32_e64 v7, 0, 1, s[30:31]
	s_bcnt1_i32_b64 s12, s[20:21]
	;; [unrolled: 3-line block ×3, first 2 shown]
	v_cmp_ne_u32_e64 s[20:21], 0, v7
	s_bcnt1_i32_b64 s20, s[20:21]
	s_add_u32 s1, s1, s86
	s_addc_u32 s21, 0, s87
	s_add_u32 s1, s1, s12
	s_addc_u32 s12, s21, 0
	;; [unrolled: 2-line block ×3, first 2 shown]
	s_add_u32 s86, s1, s20
	v_cmp_eq_u32_e64 s[20:21], 3, v4
	s_addc_u32 s87, s12, 0
	s_and_b64 s[12:13], vcc, s[20:21]
	v_cmp_eq_u32_e32 vcc, 3, v5
	s_and_b64 s[6:7], s[6:7], vcc
	v_cmp_eq_u32_e32 vcc, 3, v6
	s_and_b64 s[14:15], s[14:15], vcc
	v_cmp_eq_u32_e32 vcc, 3, v2
	v_cndmask_b32_e64 v2, 0, 1, s[12:13]
	s_and_b64 s[18:19], s[18:19], vcc
	v_cmp_ne_u32_e32 vcc, 0, v2
	v_cndmask_b32_e64 v2, 0, 1, s[6:7]
	s_bcnt1_i32_b64 s1, vcc
	v_cmp_ne_u32_e32 vcc, 0, v2
	v_cndmask_b32_e64 v2, 0, 1, s[14:15]
	s_bcnt1_i32_b64 s6, vcc
	;; [unrolled: 3-line block ×3, first 2 shown]
	v_cmp_ne_u32_e32 vcc, 0, v2
	s_bcnt1_i32_b64 s12, vcc
	s_add_u32 s1, s1, s84
	s_addc_u32 s13, 0, s85
	s_add_u32 s1, s1, s6
	s_addc_u32 s6, s13, 0
	;; [unrolled: 2-line block ×3, first 2 shown]
	s_add_u32 s84, s1, s12
	v_add_co_u32_e32 v26, vcc, s11, v26
	s_addc_u32 s85, s6, 0
	v_addc_co_u32_e32 v27, vcc, 0, v27, vcc
	s_mul_i32 s1, s60, s10
	s_add_u32 s82, s82, s1
	v_cmp_le_u64_e32 vcc, s[76:77], v[26:27]
	s_addc_u32 s83, s83, s0
	v_mov_b32_e32 v4, s90
	v_mov_b32_e32 v6, s88
	v_mov_b32_e32 v8, s86
	v_mov_b32_e32 v10, s84
	s_or_b64 s[80:81], vcc, s[80:81]
	v_mov_b32_e32 v5, s91
	v_mov_b32_e32 v7, s89
	;; [unrolled: 1-line block ×4, first 2 shown]
	s_andn2_b64 exec, exec, s[80:81]
	s_cbranch_execnz .LBB140_67
; %bb.68:                               ;   in Loop: Header=BB140_20 Depth=1
	s_or_b64 exec, exec, s[80:81]
.LBB140_69:                             ;   in Loop: Header=BB140_20 Depth=1
	s_or_b64 exec, exec, s[78:79]
	v_mov_b32_e32 v2, s77
	v_add_co_u32_e32 v26, vcc, s76, v0
	v_addc_co_u32_e32 v27, vcc, 0, v2, vcc
	v_cmp_gt_u64_e32 vcc, s[24:25], v[26:27]
	s_and_saveexec_b64 s[14:15], vcc
	s_cbranch_execz .LBB140_75
; %bb.70:                               ;   in Loop: Header=BB140_20 Depth=1
	v_mul_lo_u32 v2, v27, s38
	v_mul_lo_u32 v50, v26, s39
	v_mad_u64_u32 v[48:49], s[0:1], v26, s38, 0
	s_mov_b64 s[12:13], 0
	v_add3_u32 v49, v49, v50, v2
	v_lshlrev_b64 v[48:49], 1, v[48:49]
	v_mov_b32_e32 v2, s41
	v_add_co_u32_e32 v48, vcc, s40, v48
	v_addc_co_u32_e32 v49, vcc, v2, v49, vcc
	global_load_ushort v48, v[48:49], off
	s_branch .LBB140_72
.LBB140_71:                             ;   in Loop: Header=BB140_72 Depth=2
	s_or_b64 exec, exec, s[0:1]
	s_and_b64 s[0:1], exec, vcc
	s_waitcnt vmcnt(0)
	v_cmp_lt_i16_e32 vcc, -1, v48
	v_cndmask_b32_e32 v49, v41, v42, vcc
	v_lshlrev_b32_e32 v50, 16, v48
	v_xor_b32_sdwa v48, v49, v48 dst_sel:DWORD dst_unused:UNUSED_PAD src0_sel:DWORD src1_sel:WORD_0
	v_cmp_o_f32_e32 vcc, v50, v50
	v_cndmask_b32_e32 v48, v41, v48, vcc
	v_and_b32_e32 v49, v48, v46
	v_bfe_u32 v48, v48, s48, 2
	s_or_b64 s[12:13], s[0:1], s[12:13]
	v_cmp_eq_u32_e32 vcc, v49, v37
	v_cmp_eq_u32_e64 s[6:7], 0, v48
	s_and_b64 s[0:1], vcc, s[6:7]
	v_cndmask_b32_e64 v49, 0, 1, s[0:1]
	v_cmp_ne_u32_e64 s[6:7], 0, v49
	s_bcnt1_i32_b64 s0, s[6:7]
	v_add_co_u32_e64 v4, s[6:7], s0, v4
	v_addc_co_u32_e64 v5, s[6:7], 0, v5, s[6:7]
	v_cmp_eq_u32_e64 s[6:7], 1, v48
	s_and_b64 s[0:1], vcc, s[6:7]
	v_cndmask_b32_e64 v49, 0, 1, s[0:1]
	v_cmp_ne_u32_e64 s[6:7], 0, v49
	s_bcnt1_i32_b64 s0, s[6:7]
	v_add_co_u32_e64 v6, s[6:7], s0, v6
	v_addc_co_u32_e64 v7, s[6:7], 0, v7, s[6:7]
	;; [unrolled: 7-line block ×3, first 2 shown]
	v_cmp_eq_u32_e64 s[6:7], 3, v48
	s_and_b64 s[0:1], vcc, s[6:7]
	v_cndmask_b32_e64 v48, 0, 1, s[0:1]
	v_cmp_ne_u32_e32 vcc, 0, v48
	s_bcnt1_i32_b64 s0, vcc
	v_add_co_u32_e32 v10, vcc, s0, v10
	v_addc_co_u32_e32 v11, vcc, 0, v11, vcc
	v_mov_b32_e32 v48, v2
	s_andn2_b64 exec, exec, s[12:13]
	s_cbranch_execz .LBB140_74
.LBB140_72:                             ;   Parent Loop BB140_20 Depth=1
                                        ; =>  This Inner Loop Header: Depth=2
	v_add_co_u32_e32 v26, vcc, s10, v26
	v_addc_co_u32_e32 v27, vcc, 0, v27, vcc
	v_cmp_gt_u64_e64 s[6:7], s[24:25], v[26:27]
	v_cmp_le_u64_e32 vcc, s[24:25], v[26:27]
	v_mov_b32_e32 v2, 0
	s_and_saveexec_b64 s[0:1], s[6:7]
	s_cbranch_execz .LBB140_71
; %bb.73:                               ;   in Loop: Header=BB140_72 Depth=2
	v_mul_lo_u32 v2, v27, s38
	v_mul_lo_u32 v51, v26, s39
	v_mad_u64_u32 v[49:50], s[6:7], v26, s38, 0
	v_add3_u32 v50, v50, v51, v2
	v_lshlrev_b64 v[49:50], 1, v[49:50]
	v_mov_b32_e32 v2, s41
	v_add_co_u32_e64 v49, s[6:7], s40, v49
	v_addc_co_u32_e64 v50, s[6:7], v2, v50, s[6:7]
	global_load_ushort v2, v[49:50], off
	s_branch .LBB140_71
.LBB140_74:                             ;   in Loop: Header=BB140_20 Depth=1
	s_or_b64 exec, exec, s[12:13]
.LBB140_75:                             ;   in Loop: Header=BB140_20 Depth=1
	s_or_b64 exec, exec, s[14:15]
	s_branch .LBB140_54
.LBB140_76:                             ;   in Loop: Header=BB140_20 Depth=1
	global_load_ushort v2, v3, s[52:53]
	v_mov_b32_e32 v8, 0
	v_mov_b32_e32 v9, 0
	s_waitcnt vmcnt(0)
	v_readfirstlane_b32 s0, v2
	s_and_b32 s0, 0xffff, s0
	s_lshl_b32 s1, s0, 2
	v_cvt_f32_u32_e32 v4, s1
	s_sub_i32 s6, 0, s1
	v_rcp_iflag_f32_e32 v6, v4
	v_mov_b32_e32 v4, 0
	v_mov_b32_e32 v5, 0
	v_mul_f32_e32 v6, 0x4f7ffffe, v6
	v_cvt_u32_f32_e32 v10, v6
	v_mov_b32_e32 v6, 0
	v_mov_b32_e32 v7, 0
	v_readfirstlane_b32 s7, v10
	s_mul_i32 s6, s6, s7
	s_mul_hi_u32 s6, s7, s6
	s_add_i32 s7, s7, s6
	s_mul_hi_u32 s6, s22, s7
	s_mul_i32 s7, s6, s1
	s_sub_i32 s7, s22, s7
	s_add_i32 s10, s6, 1
	s_sub_i32 s11, s7, s1
	s_cmp_ge_u32 s7, s1
	s_cselect_b32 s6, s10, s6
	s_cselect_b32 s7, s11, s7
	s_add_i32 s10, s6, 1
	s_cmp_ge_u32 s7, s1
	s_cselect_b32 s6, s10, s6
	s_mul_hi_u32 s77, s0, s6
	s_mul_i32 s76, s0, s6
	s_lshl_b64 s[78:79], s[76:77], 2
	v_cmp_gt_u64_e32 vcc, s[78:79], v[14:15]
	v_mov_b32_e32 v10, 0
	v_mov_b32_e32 v11, 0
	s_and_saveexec_b64 s[80:81], vcc
	s_cbranch_execz .LBB140_80
; %bb.77:                               ;   in Loop: Header=BB140_20 Depth=1
	v_mov_b32_e32 v27, v15
	s_lshl_b32 s10, s0, 3
	s_mov_b64 s[82:83], 0
	v_mov_b32_e32 v48, v40
	s_mov_b64 s[84:85], 0
	s_mov_b64 s[86:87], 0
	;; [unrolled: 1-line block ×4, first 2 shown]
	v_mov_b32_e32 v26, v14
.LBB140_78:                             ;   Parent Loop BB140_20 Depth=1
                                        ; =>  This Inner Loop Header: Depth=2
	ds_read_b64 v[4:5], v48
	v_add_u32_e32 v48, s10, v48
	s_waitcnt lgkmcnt(0)
	v_cmp_lt_i16_e32 vcc, -1, v4
	v_cndmask_b32_e32 v6, v41, v42, vcc
	v_lshlrev_b32_e32 v7, 16, v4
	v_cmp_o_f32_e32 vcc, v7, v7
	v_xor_b32_sdwa v6, v6, v4 dst_sel:DWORD dst_unused:UNUSED_PAD src0_sel:DWORD src1_sel:WORD_0
	v_cndmask_b32_e32 v6, v41, v6, vcc
	v_cmp_gt_i16_sdwa vcc, v4, v44 src0_sel:WORD_1 src1_sel:DWORD
	v_cndmask_b32_e32 v7, v41, v42, vcc
	v_and_b32_e32 v8, 0xffff0000, v4
	v_cmp_o_f32_e32 vcc, v8, v8
	v_xor_b32_sdwa v4, v7, v4 dst_sel:DWORD dst_unused:UNUSED_PAD src0_sel:DWORD src1_sel:WORD_1
	v_cndmask_b32_e32 v4, v41, v4, vcc
	v_cmp_lt_i16_e32 vcc, -1, v5
	v_cndmask_b32_e32 v7, v41, v42, vcc
	v_lshlrev_b32_e32 v8, 16, v5
	v_cmp_o_f32_e32 vcc, v8, v8
	v_xor_b32_sdwa v7, v7, v5 dst_sel:DWORD dst_unused:UNUSED_PAD src0_sel:DWORD src1_sel:WORD_0
	v_cndmask_b32_e32 v7, v41, v7, vcc
	v_cmp_gt_i16_sdwa vcc, v5, v44 src0_sel:WORD_1 src1_sel:DWORD
	v_cndmask_b32_e32 v8, v41, v42, vcc
	v_and_b32_e32 v9, 0xffff0000, v5
	v_cmp_o_f32_e32 vcc, v9, v9
	v_xor_b32_sdwa v5, v8, v5 dst_sel:DWORD dst_unused:UNUSED_PAD src0_sel:DWORD src1_sel:WORD_1
	v_and_b32_e32 v8, v6, v46
	v_bfe_u32 v6, v6, s48, 2
	v_cndmask_b32_e32 v5, v41, v5, vcc
	v_cmp_eq_u32_e32 vcc, v8, v37
	v_and_b32_e32 v8, v4, v46
	v_bfe_u32 v4, v4, s48, 2
	v_cmp_eq_u32_e64 s[20:21], 0, v6
	v_cmp_eq_u32_e64 s[6:7], v8, v37
	v_and_b32_e32 v8, v7, v46
	v_bfe_u32 v7, v7, s48, 2
	s_and_b64 s[12:13], vcc, s[20:21]
	v_cmp_eq_u32_e64 s[20:21], 0, v4
	v_cmp_eq_u32_e64 s[14:15], v8, v37
	v_and_b32_e32 v8, v5, v46
	v_bfe_u32 v5, v5, s48, 2
	s_and_b64 s[26:27], s[6:7], s[20:21]
	v_cmp_eq_u32_e64 s[20:21], 0, v7
	v_cmp_eq_u32_e64 s[18:19], v8, v37
	s_and_b64 s[30:31], s[14:15], s[20:21]
	v_cmp_eq_u32_e64 s[20:21], 0, v5
	v_cndmask_b32_e64 v8, 0, 1, s[12:13]
	s_and_b64 s[34:35], s[18:19], s[20:21]
	v_cmp_ne_u32_e64 s[20:21], 0, v8
	v_cndmask_b32_e64 v8, 0, 1, s[26:27]
	s_bcnt1_i32_b64 s11, s[20:21]
	v_cmp_ne_u32_e64 s[20:21], 0, v8
	v_cndmask_b32_e64 v8, 0, 1, s[30:31]
	s_bcnt1_i32_b64 s12, s[20:21]
	v_cmp_ne_u32_e64 s[20:21], 0, v8
	v_cndmask_b32_e64 v8, 0, 1, s[34:35]
	s_bcnt1_i32_b64 s13, s[20:21]
	v_cmp_ne_u32_e64 s[20:21], 0, v8
	s_bcnt1_i32_b64 s20, s[20:21]
	s_add_u32 s11, s11, s90
	s_addc_u32 s21, 0, s91
	s_add_u32 s11, s11, s12
	s_addc_u32 s12, s21, 0
	;; [unrolled: 2-line block ×3, first 2 shown]
	s_add_u32 s90, s11, s20
	v_cmp_eq_u32_e64 s[20:21], 1, v6
	s_addc_u32 s91, s12, 0
	s_and_b64 s[12:13], vcc, s[20:21]
	v_cmp_eq_u32_e64 s[20:21], 1, v4
	s_and_b64 s[26:27], s[6:7], s[20:21]
	v_cmp_eq_u32_e64 s[20:21], 1, v7
	s_and_b64 s[30:31], s[14:15], s[20:21]
	v_cmp_eq_u32_e64 s[20:21], 1, v5
	v_cndmask_b32_e64 v8, 0, 1, s[12:13]
	s_and_b64 s[34:35], s[18:19], s[20:21]
	v_cmp_ne_u32_e64 s[20:21], 0, v8
	v_cndmask_b32_e64 v8, 0, 1, s[26:27]
	s_bcnt1_i32_b64 s11, s[20:21]
	v_cmp_ne_u32_e64 s[20:21], 0, v8
	v_cndmask_b32_e64 v8, 0, 1, s[30:31]
	s_bcnt1_i32_b64 s12, s[20:21]
	;; [unrolled: 3-line block ×3, first 2 shown]
	v_cmp_ne_u32_e64 s[20:21], 0, v8
	s_bcnt1_i32_b64 s20, s[20:21]
	s_add_u32 s11, s11, s88
	s_addc_u32 s21, 0, s89
	s_add_u32 s11, s11, s12
	s_addc_u32 s12, s21, 0
	;; [unrolled: 2-line block ×3, first 2 shown]
	s_add_u32 s88, s11, s20
	v_cmp_eq_u32_e64 s[20:21], 2, v6
	s_addc_u32 s89, s12, 0
	s_and_b64 s[12:13], vcc, s[20:21]
	v_cmp_eq_u32_e64 s[20:21], 2, v4
	s_and_b64 s[26:27], s[6:7], s[20:21]
	v_cmp_eq_u32_e64 s[20:21], 2, v7
	s_and_b64 s[30:31], s[14:15], s[20:21]
	v_cmp_eq_u32_e64 s[20:21], 2, v5
	v_cndmask_b32_e64 v8, 0, 1, s[12:13]
	s_and_b64 s[34:35], s[18:19], s[20:21]
	v_cmp_ne_u32_e64 s[20:21], 0, v8
	v_cndmask_b32_e64 v8, 0, 1, s[26:27]
	s_bcnt1_i32_b64 s11, s[20:21]
	v_cmp_ne_u32_e64 s[20:21], 0, v8
	v_cndmask_b32_e64 v8, 0, 1, s[30:31]
	s_bcnt1_i32_b64 s12, s[20:21]
	;; [unrolled: 3-line block ×3, first 2 shown]
	v_cmp_ne_u32_e64 s[20:21], 0, v8
	s_bcnt1_i32_b64 s20, s[20:21]
	s_add_u32 s11, s11, s86
	s_addc_u32 s21, 0, s87
	s_add_u32 s11, s11, s12
	s_addc_u32 s12, s21, 0
	s_add_u32 s11, s11, s13
	s_addc_u32 s12, s12, 0
	s_add_u32 s86, s11, s20
	v_cmp_eq_u32_e64 s[20:21], 3, v6
	s_addc_u32 s87, s12, 0
	s_and_b64 s[12:13], vcc, s[20:21]
	v_cmp_eq_u32_e32 vcc, 3, v4
	s_and_b64 s[6:7], s[6:7], vcc
	v_cmp_eq_u32_e32 vcc, 3, v7
	s_and_b64 s[14:15], s[14:15], vcc
	v_cmp_eq_u32_e32 vcc, 3, v5
	v_cndmask_b32_e64 v4, 0, 1, s[12:13]
	s_and_b64 s[18:19], s[18:19], vcc
	v_cmp_ne_u32_e32 vcc, 0, v4
	v_cndmask_b32_e64 v4, 0, 1, s[6:7]
	s_bcnt1_i32_b64 s11, vcc
	v_cmp_ne_u32_e32 vcc, 0, v4
	v_cndmask_b32_e64 v4, 0, 1, s[14:15]
	s_bcnt1_i32_b64 s6, vcc
	;; [unrolled: 3-line block ×3, first 2 shown]
	v_cmp_ne_u32_e32 vcc, 0, v4
	s_bcnt1_i32_b64 s12, vcc
	s_add_u32 s11, s11, s84
	s_addc_u32 s13, 0, s85
	s_add_u32 s6, s11, s6
	s_addc_u32 s11, s13, 0
	s_add_u32 s6, s6, s7
	v_add_co_u32_e32 v26, vcc, s1, v26
	s_addc_u32 s7, s11, 0
	v_addc_co_u32_e32 v27, vcc, 0, v27, vcc
	s_add_u32 s84, s6, s12
	v_cmp_le_u64_e32 vcc, s[78:79], v[26:27]
	s_addc_u32 s85, s7, 0
	v_mov_b32_e32 v4, s90
	v_mov_b32_e32 v6, s88
	;; [unrolled: 1-line block ×4, first 2 shown]
	s_or_b64 s[82:83], vcc, s[82:83]
	v_mov_b32_e32 v5, s91
	v_mov_b32_e32 v7, s89
	;; [unrolled: 1-line block ×4, first 2 shown]
	s_andn2_b64 exec, exec, s[82:83]
	s_cbranch_execnz .LBB140_78
; %bb.79:                               ;   in Loop: Header=BB140_20 Depth=1
	s_or_b64 exec, exec, s[82:83]
.LBB140_80:                             ;   in Loop: Header=BB140_20 Depth=1
	s_or_b64 exec, exec, s[80:81]
	v_mov_b32_e32 v27, s79
	v_add_co_u32_e32 v26, vcc, s78, v0
	s_and_b32 s42, s22, 0x7fffffff
	v_addc_co_u32_e32 v27, vcc, 0, v27, vcc
	v_cmp_gt_u64_e32 vcc, s[42:43], v[26:27]
	s_and_saveexec_b64 s[26:27], vcc
	s_cbranch_execz .LBB140_84
; %bb.81:                               ;   in Loop: Header=BB140_20 Depth=1
	v_lshl_add_u32 v48, s76, 3, v38
	s_lshl_b32 s0, s0, 1
	s_mov_b64 s[30:31], 0
.LBB140_82:                             ;   Parent Loop BB140_20 Depth=1
                                        ; =>  This Inner Loop Header: Depth=2
	ds_read_u16 v49, v48
	v_add_co_u32_sdwa v26, vcc, v26, v2 dst_sel:DWORD dst_unused:UNUSED_PAD src0_sel:DWORD src1_sel:WORD_0
	v_addc_co_u32_e32 v27, vcc, 0, v27, vcc
	s_waitcnt lgkmcnt(0)
	v_cmp_lt_i16_e64 s[6:7], -1, v49
	v_cndmask_b32_e64 v50, v41, v42, s[6:7]
	v_lshlrev_b32_e32 v51, 16, v49
	v_xor_b32_sdwa v49, v50, v49 dst_sel:DWORD dst_unused:UNUSED_PAD src0_sel:DWORD src1_sel:WORD_0
	v_cmp_o_f32_e64 s[6:7], v51, v51
	v_cndmask_b32_e64 v49, v41, v49, s[6:7]
	v_and_b32_e32 v50, v49, v46
	v_bfe_u32 v49, v49, s48, 2
	v_cmp_eq_u32_e64 s[6:7], v50, v37
	v_cmp_eq_u32_e64 s[14:15], 0, v49
	;; [unrolled: 1-line block ×3, first 2 shown]
	s_and_b64 s[10:11], s[6:7], s[14:15]
	v_cmp_eq_u32_e64 s[20:21], 2, v49
	v_cmp_eq_u32_e64 s[22:23], 3, v49
	v_cndmask_b32_e64 v49, 0, 1, s[10:11]
	s_and_b64 s[10:11], s[6:7], s[18:19]
	v_cndmask_b32_e64 v50, 0, 1, s[10:11]
	s_and_b64 s[10:11], s[6:7], s[20:21]
	s_and_b64 s[6:7], s[6:7], s[22:23]
	v_cndmask_b32_e64 v52, 0, 1, s[6:7]
	v_cmp_ne_u32_e64 s[6:7], 0, v49
	s_bcnt1_i32_b64 s1, s[6:7]
	v_cmp_ne_u32_e64 s[14:15], 0, v50
	v_add_co_u32_e64 v4, s[6:7], s1, v4
	v_cndmask_b32_e64 v51, 0, 1, s[10:11]
	s_bcnt1_i32_b64 s10, s[14:15]
	v_addc_co_u32_e64 v5, s[6:7], 0, v5, s[6:7]
	v_cmp_le_u64_e32 vcc, s[42:43], v[26:27]
	v_cmp_ne_u32_e64 s[18:19], 0, v51
	v_cmp_ne_u32_e64 s[20:21], 0, v52
	v_add_co_u32_e64 v6, s[6:7], s10, v6
	s_bcnt1_i32_b64 s11, s[18:19]
	s_bcnt1_i32_b64 s12, s[20:21]
	v_addc_co_u32_e64 v7, s[6:7], 0, v7, s[6:7]
	v_add_co_u32_e64 v8, s[6:7], s11, v8
	s_or_b64 s[30:31], vcc, s[30:31]
	v_add_co_u32_e32 v10, vcc, s12, v10
	v_add_u32_e32 v48, s0, v48
	v_addc_co_u32_e64 v9, s[6:7], 0, v9, s[6:7]
	v_addc_co_u32_e32 v11, vcc, 0, v11, vcc
	s_andn2_b64 exec, exec, s[30:31]
	s_cbranch_execnz .LBB140_82
; %bb.83:                               ;   in Loop: Header=BB140_20 Depth=1
	s_or_b64 exec, exec, s[30:31]
.LBB140_84:                             ;   in Loop: Header=BB140_20 Depth=1
	s_or_b64 exec, exec, s[26:27]
	s_lshl_b32 s10, s49, 6
	s_and_saveexec_b64 s[0:1], s[4:5]
	s_cbranch_execnz .LBB140_55
	s_branch .LBB140_56
.LBB140_85:                             ;   in Loop: Header=BB140_20 Depth=1
                                        ; implicit-def: $sgpr0_sgpr1
	s_branch .LBB140_64
.LBB140_86:                             ;   in Loop: Header=BB140_20 Depth=1
	v_mov_b32_e32 v4, 0
	v_mov_b32_e32 v5, 0
	s_mov_b32 s0, 0
.LBB140_87:                             ;   in Loop: Header=BB140_20 Depth=1
	v_readlane_b32 s12, v60, 23
	v_readlane_b32 s13, v60, 24
	s_andn2_b64 vcc, exec, s[12:13]
	s_cbranch_vccnz .LBB140_90
; %bb.88:                               ;   in Loop: Header=BB140_20 Depth=1
	s_lshl_b32 s1, s49, 9
	s_lshl_b32 s0, s0, 5
	s_add_i32 s1, s1, s0
	v_add_u32_e32 v2, s1, v36
	v_readlane_b32 s0, v60, 22
.LBB140_89:                             ;   Parent Loop BB140_20 Depth=1
                                        ; =>  This Inner Loop Header: Depth=2
	ds_read_b64 v[6:7], v2
	s_add_i32 s0, s0, -1
	v_add_u32_e32 v2, 32, v2
	s_cmp_lg_u32 s0, 0
	s_waitcnt lgkmcnt(0)
	v_add_co_u32_e32 v4, vcc, v6, v4
	v_addc_co_u32_e32 v5, vcc, v7, v5, vcc
	s_cbranch_scc1 .LBB140_89
.LBB140_90:                             ;   in Loop: Header=BB140_20 Depth=1
	v_add_lshl_u32 v2, s10, v28, 3
	ds_write_b64 v2, v[4:5] offset:3072
.LBB140_91:                             ;   in Loop: Header=BB140_20 Depth=1
	s_or_b64 exec, exec, s[6:7]
	s_lshl_b32 s0, s10, 3
	v_mov_b32_e32 v2, s0
	s_waitcnt lgkmcnt(0)
	s_barrier
	ds_read_b128 v[8:11], v2 offset:3088
	ds_read_b128 v[4:7], v2 offset:3072
	v_cmp_eq_u64_e64 s[6:7], 1, v[24:25]
	s_lshl_b32 s92, 3, s48
	s_not_b32 s56, s92
	s_waitcnt lgkmcnt(1)
	v_readfirstlane_b32 s76, v8
	s_waitcnt lgkmcnt(0)
	v_cmp_eq_u64_e32 vcc, 1, v[4:5]
	v_readfirstlane_b32 s77, v9
	v_readfirstlane_b32 s14, v10
	;; [unrolled: 1-line block ×3, first 2 shown]
	s_and_b64 s[20:21], vcc, s[6:7]
	s_mov_b64 s[6:7], -1
	s_mov_b64 s[0:1], -1
                                        ; implicit-def: $sgpr26_sgpr27
                                        ; implicit-def: $sgpr22_sgpr23
	s_and_saveexec_b64 s[18:19], s[20:21]
	s_cbranch_execz .LBB140_123
; %bb.92:                               ;   in Loop: Header=BB140_20 Depth=1
	ds_read_b64 v[8:9], v3 offset:5120
	s_waitcnt lgkmcnt(0)
	s_barrier
	v_readfirstlane_b32 s34, v8
	v_readfirstlane_b32 s35, v9
	s_and_saveexec_b64 s[0:1], s[16:17]
; %bb.93:                               ;   in Loop: Header=BB140_20 Depth=1
	ds_write_b16 v39, v3
; %bb.94:                               ;   in Loop: Header=BB140_20 Depth=1
	s_or_b64 exec, exec, s[0:1]
	v_and_b32_e32 v37, s56, v37
	v_or_b32_e32 v46, s92, v46
	s_mov_b64 s[22:23], -1
	s_mov_b64 s[26:27], 0
	s_cmp_eq_u64 s[34:35], 0
	s_mov_b64 s[30:31], 0
	s_mov_b64 s[36:37], -1
	s_waitcnt lgkmcnt(0)
	s_barrier
                                        ; implicit-def: $vgpr47
	s_cbranch_scc1 .LBB140_108
; %bb.95:                               ;   in Loop: Header=BB140_20 Depth=1
	s_add_u32 s12, s34, s93
	s_addc_u32 s31, s35, s57
	s_mov_b32 s30, s43
	s_cmp_lg_u64 s[30:31], 0
	s_cbranch_scc0 .LBB140_149
; %bb.96:                               ;   in Loop: Header=BB140_20 Depth=1
	v_cvt_f32_u32_e32 v2, s29
	s_sub_u32 s10, 0, s29
	s_subb_u32 s11, 0, 0
	v_mac_f32_e32 v2, 0, v43
	v_rcp_f32_e32 v2, v2
	v_mul_f32_e32 v2, 0x5f7ffffc, v2
	v_mul_f32_e32 v8, 0x2f800000, v2
	v_trunc_f32_e32 v8, v8
	v_mac_f32_e32 v2, 0xcf800000, v8
	v_cvt_u32_f32_e32 v8, v8
	v_cvt_u32_f32_e32 v2, v2
	v_readfirstlane_b32 s13, v8
	v_readfirstlane_b32 s0, v2
	s_mul_i32 s1, s10, s13
	s_mul_hi_u32 s36, s10, s0
	s_mul_i32 s30, s11, s0
	s_add_i32 s1, s36, s1
	s_mul_i32 s37, s10, s0
	s_add_i32 s1, s1, s30
	s_mul_hi_u32 s36, s0, s37
	s_mul_i32 s42, s0, s1
	s_mul_hi_u32 s30, s0, s1
	s_add_u32 s36, s36, s42
	s_addc_u32 s30, 0, s30
	s_mul_hi_u32 s50, s13, s37
	s_mul_i32 s37, s13, s37
	s_add_u32 s36, s36, s37
	s_mul_hi_u32 s42, s13, s1
	s_addc_u32 s30, s30, s50
	s_addc_u32 s36, s42, 0
	s_mul_i32 s1, s13, s1
	s_add_u32 s1, s30, s1
	s_addc_u32 s30, 0, s36
	s_add_u32 s36, s0, s1
	s_cselect_b64 s[0:1], -1, 0
	s_cmp_lg_u64 s[0:1], 0
	s_addc_u32 s13, s13, s30
	s_mul_i32 s0, s10, s13
	s_mul_hi_u32 s1, s10, s36
	s_add_i32 s0, s1, s0
	s_mul_i32 s11, s11, s36
	s_add_i32 s0, s0, s11
	s_mul_i32 s10, s10, s36
	s_mul_hi_u32 s11, s13, s10
	s_mul_i32 s30, s13, s10
	s_mul_i32 s42, s36, s0
	s_mul_hi_u32 s10, s36, s10
	s_mul_hi_u32 s37, s36, s0
	s_add_u32 s10, s10, s42
	s_addc_u32 s37, 0, s37
	s_add_u32 s10, s10, s30
	s_mul_hi_u32 s1, s13, s0
	s_addc_u32 s10, s37, s11
	s_addc_u32 s1, s1, 0
	s_mul_i32 s0, s13, s0
	s_add_u32 s0, s10, s0
	s_addc_u32 s10, 0, s1
	s_add_u32 s11, s36, s0
	s_cselect_b64 s[0:1], -1, 0
	s_cmp_lg_u64 s[0:1], 0
	s_addc_u32 s0, s13, s10
	s_mul_i32 s10, s12, s0
	s_mul_hi_u32 s13, s12, s11
	s_mul_hi_u32 s1, s12, s0
	s_add_u32 s10, s13, s10
	s_addc_u32 s1, 0, s1
	s_mul_hi_u32 s30, s31, s11
	s_mul_i32 s11, s31, s11
	s_add_u32 s10, s10, s11
	s_mul_hi_u32 s13, s31, s0
	s_addc_u32 s1, s1, s30
	s_addc_u32 s10, s13, 0
	s_mul_i32 s0, s31, s0
	s_add_u32 s0, s1, s0
	s_addc_u32 s1, 0, s10
	s_mul_i32 s1, s29, s1
	s_mul_hi_u32 s10, s29, s0
	s_add_i32 s10, s10, s1
	s_mul_i32 s0, s29, s0
	s_sub_u32 s11, s12, s0
	s_cselect_b64 s[0:1], -1, 0
	s_cmp_lg_u64 s[0:1], 0
	s_subb_u32 s10, s31, s10
	s_sub_u32 s13, s11, s29
	s_cselect_b64 s[0:1], -1, 0
	s_cmp_lg_u64 s[0:1], 0
	s_subb_u32 s30, s10, 0
	;; [unrolled: 4-line block ×3, first 2 shown]
	s_cmp_ge_u32 s13, s29
	s_cselect_b32 s1, -1, 0
	s_cmp_eq_u32 s30, 0
	s_cselect_b32 s1, s1, -1
	s_cmp_lg_u32 s1, 0
	s_cselect_b32 s0, s0, s30
	s_cselect_b32 s13, s36, s13
	s_cmp_ge_u32 s11, s29
	s_cselect_b32 s1, -1, 0
	s_cmp_eq_u32 s10, 0
	s_cselect_b32 s1, s1, -1
	s_cmp_lg_u32 s1, 0
	s_cselect_b32 s1, s0, s10
	s_cselect_b32 s0, s13, s11
	s_cbranch_execnz .LBB140_98
.LBB140_97:                             ;   in Loop: Header=BB140_20 Depth=1
	v_cvt_f32_u32_e32 v2, s29
	s_sub_i32 s0, 0, s29
	v_rcp_iflag_f32_e32 v2, v2
	v_mul_f32_e32 v2, 0x4f7ffffe, v2
	v_cvt_u32_f32_e32 v2, v2
	v_readfirstlane_b32 s1, v2
	s_mul_i32 s0, s0, s1
	s_mul_hi_u32 s0, s1, s0
	s_add_i32 s1, s1, s0
	s_mul_hi_u32 s0, s12, s1
	s_mul_i32 s0, s0, s29
	s_sub_i32 s0, s12, s0
	s_sub_i32 s1, s0, s29
	s_cmp_ge_u32 s0, s29
	s_cselect_b32 s0, s1, s0
	s_sub_i32 s1, s0, s29
	s_cmp_ge_u32 s0, s29
	s_cselect_b32 s42, s1, s0
	s_mov_b64 s[0:1], s[42:43]
.LBB140_98:                             ;   in Loop: Header=BB140_20 Depth=1
	s_sub_u32 s10, s12, s0
	s_subb_u32 s11, s31, s1
	v_cmp_gt_u64_e32 vcc, s[10:11], v[0:1]
	s_mov_b64 s[36:37], 0
	s_mov_b64 s[30:31], 0
                                        ; implicit-def: $vgpr47
	s_and_saveexec_b64 s[12:13], vcc
	s_cbranch_execz .LBB140_107
; %bb.99:                               ;   in Loop: Header=BB140_20 Depth=1
	v_mov_b32_e32 v9, v1
	v_mov_b32_e32 v2, v38
	;; [unrolled: 1-line block ×3, first 2 shown]
                                        ; implicit-def: $sgpr0_sgpr1
	s_branch .LBB140_102
.LBB140_100:                            ;   in Loop: Header=BB140_102 Depth=2
	s_or_b64 exec, exec, s[54:55]
	s_waitcnt lgkmcnt(0)
	s_barrier
	ds_read_b32 v10, v3 offset:3072
	s_mov_b64 s[54:55], -1
	s_mov_b64 s[78:79], -1
	s_waitcnt lgkmcnt(0)
	s_barrier
	v_and_b32_e32 v11, 0x7fff, v10
	v_cmp_ne_u32_e32 vcc, 0, v11
	s_cbranch_vccz .LBB140_105
.LBB140_101:                            ;   in Loop: Header=BB140_102 Depth=2
	s_and_b64 s[54:55], exec, s[54:55]
	s_or_b64 s[30:31], s[54:55], s[30:31]
	s_andn2_b64 s[0:1], s[0:1], exec
	s_and_b64 s[54:55], s[78:79], exec
	s_or_b64 s[0:1], s[0:1], s[54:55]
	s_andn2_b64 exec, exec, s[30:31]
	s_cbranch_execz .LBB140_106
.LBB140_102:                            ;   Parent Loop BB140_20 Depth=1
                                        ; =>  This Inner Loop Header: Depth=2
	v_cmp_gt_u64_e32 vcc, s[34:35], v[8:9]
	s_and_saveexec_b64 s[54:55], vcc
	s_cbranch_execz .LBB140_100
; %bb.103:                              ;   in Loop: Header=BB140_102 Depth=2
	ds_read_u16 v10, v2
	s_waitcnt lgkmcnt(0)
	v_cmp_lt_i16_e32 vcc, -1, v10
	v_cndmask_b32_e32 v11, v41, v42, vcc
	v_lshlrev_b32_e32 v26, 16, v10
	v_cmp_o_f32_e32 vcc, v26, v26
	v_xor_b32_sdwa v11, v11, v10 dst_sel:DWORD dst_unused:UNUSED_PAD src0_sel:DWORD src1_sel:WORD_0
	v_cndmask_b32_e32 v11, v41, v11, vcc
	v_and_b32_e32 v11, v11, v46
	v_cmp_eq_u32_e32 vcc, v11, v37
	s_and_b64 exec, exec, vcc
	s_cbranch_execz .LBB140_100
; %bb.104:                              ;   in Loop: Header=BB140_102 Depth=2
	v_perm_b32 v10, v10, s28, v45
	ds_write_b32 v3, v10 offset:3072
	s_branch .LBB140_100
.LBB140_105:                            ;   in Loop: Header=BB140_102 Depth=2
	v_add_co_u32_e32 v8, vcc, s29, v8
	v_addc_co_u32_e32 v9, vcc, 0, v9, vcc
	v_cmp_le_u64_e32 vcc, s[10:11], v[8:9]
	v_add_u32_e32 v2, s33, v2
	s_mov_b64 s[78:79], 0
	s_orn2_b64 s[54:55], vcc, exec
	s_branch .LBB140_101
.LBB140_106:                            ;   in Loop: Header=BB140_20 Depth=1
	s_or_b64 exec, exec, s[30:31]
	v_readlane_b32 s54, v60, 25
	v_lshrrev_b32_e32 v47, 16, v10
	s_and_b64 s[30:31], s[0:1], exec
	v_readlane_b32 s55, v60, 26
.LBB140_107:                            ;   in Loop: Header=BB140_20 Depth=1
	s_or_b64 exec, exec, s[12:13]
.LBB140_108:                            ;   in Loop: Header=BB140_20 Depth=1
	s_and_b64 vcc, exec, s[36:37]
	s_cbranch_vccz .LBB140_122
; %bb.109:                              ;   in Loop: Header=BB140_20 Depth=1
	s_mov_b32 s50, s43
	s_cmp_lg_u64 s[50:51], 0
	s_cbranch_scc0 .LBB140_153
; %bb.110:                              ;   in Loop: Header=BB140_20 Depth=1
	v_cvt_f32_u32_e32 v2, s29
	s_sub_u32 s10, 0, s29
	s_subb_u32 s11, 0, 0
	v_mac_f32_e32 v2, 0, v43
	v_rcp_f32_e32 v2, v2
	v_mul_f32_e32 v2, 0x5f7ffffc, v2
	v_mul_f32_e32 v8, 0x2f800000, v2
	v_trunc_f32_e32 v8, v8
	v_mac_f32_e32 v2, 0xcf800000, v8
	v_cvt_u32_f32_e32 v8, v8
	v_cvt_u32_f32_e32 v2, v2
	v_readfirstlane_b32 s12, v8
	v_readfirstlane_b32 s0, v2
	s_mul_i32 s1, s10, s12
	s_mul_hi_u32 s22, s10, s0
	s_mul_i32 s13, s11, s0
	s_add_i32 s1, s22, s1
	s_mul_i32 s23, s10, s0
	s_add_i32 s1, s1, s13
	s_mul_hi_u32 s22, s0, s23
	s_mul_i32 s26, s0, s1
	s_mul_hi_u32 s13, s0, s1
	s_add_u32 s22, s22, s26
	s_addc_u32 s13, 0, s13
	s_mul_hi_u32 s27, s12, s23
	s_mul_i32 s23, s12, s23
	s_add_u32 s22, s22, s23
	s_mul_hi_u32 s26, s12, s1
	s_addc_u32 s13, s13, s27
	s_addc_u32 s22, s26, 0
	s_mul_i32 s1, s12, s1
	s_add_u32 s1, s13, s1
	s_addc_u32 s13, 0, s22
	s_add_u32 s22, s0, s1
	s_cselect_b64 s[0:1], -1, 0
	s_cmp_lg_u64 s[0:1], 0
	s_addc_u32 s12, s12, s13
	s_mul_i32 s0, s10, s12
	s_mul_hi_u32 s1, s10, s22
	s_add_i32 s0, s1, s0
	s_mul_i32 s11, s11, s22
	s_add_i32 s0, s0, s11
	s_mul_i32 s10, s10, s22
	s_mul_hi_u32 s11, s12, s10
	s_mul_i32 s13, s12, s10
	s_mul_i32 s26, s22, s0
	s_mul_hi_u32 s10, s22, s10
	s_mul_hi_u32 s23, s22, s0
	s_add_u32 s10, s10, s26
	s_addc_u32 s23, 0, s23
	s_add_u32 s10, s10, s13
	s_mul_hi_u32 s1, s12, s0
	s_addc_u32 s10, s23, s11
	s_addc_u32 s1, s1, 0
	s_mul_i32 s0, s12, s0
	s_add_u32 s0, s10, s0
	s_addc_u32 s10, 0, s1
	s_add_u32 s11, s22, s0
	s_cselect_b64 s[0:1], -1, 0
	s_cmp_lg_u64 s[0:1], 0
	s_addc_u32 s0, s12, s10
	s_mul_i32 s10, s8, s0
	s_mul_hi_u32 s12, s8, s11
	s_mul_hi_u32 s1, s8, s0
	s_add_u32 s10, s12, s10
	s_addc_u32 s1, 0, s1
	s_mul_hi_u32 s13, s51, s11
	s_mul_i32 s11, s51, s11
	s_add_u32 s10, s10, s11
	s_mul_hi_u32 s12, s51, s0
	s_addc_u32 s1, s1, s13
	s_addc_u32 s10, s12, 0
	s_mul_i32 s0, s51, s0
	s_add_u32 s0, s1, s0
	s_addc_u32 s1, 0, s10
	s_mul_i32 s1, s29, s1
	s_mul_hi_u32 s10, s29, s0
	s_add_i32 s10, s10, s1
	s_mul_i32 s0, s29, s0
	s_sub_u32 s11, s8, s0
	s_cselect_b64 s[0:1], -1, 0
	s_cmp_lg_u64 s[0:1], 0
	s_subb_u32 s10, s51, s10
	s_sub_u32 s12, s11, s29
	s_cselect_b64 s[0:1], -1, 0
	s_cmp_lg_u64 s[0:1], 0
	s_subb_u32 s13, s10, 0
	;; [unrolled: 4-line block ×3, first 2 shown]
	s_cmp_ge_u32 s12, s29
	s_cselect_b32 s1, -1, 0
	s_cmp_eq_u32 s13, 0
	s_cselect_b32 s1, s1, -1
	s_cmp_lg_u32 s1, 0
	s_cselect_b32 s0, s0, s13
	s_cselect_b32 s12, s22, s12
	s_cmp_ge_u32 s11, s29
	s_cselect_b32 s1, -1, 0
	s_cmp_eq_u32 s10, 0
	s_cselect_b32 s1, s1, -1
	s_cmp_lg_u32 s1, 0
	s_cselect_b32 s1, s0, s10
	s_cselect_b32 s0, s12, s11
	s_cbranch_execnz .LBB140_112
.LBB140_111:                            ;   in Loop: Header=BB140_20 Depth=1
	v_cvt_f32_u32_e32 v2, s29
	s_sub_i32 s0, 0, s29
	v_rcp_iflag_f32_e32 v2, v2
	v_mul_f32_e32 v2, 0x4f7ffffe, v2
	v_cvt_u32_f32_e32 v2, v2
	v_readfirstlane_b32 s1, v2
	s_mul_i32 s0, s0, s1
	s_mul_hi_u32 s0, s1, s0
	s_add_i32 s1, s1, s0
	s_mul_hi_u32 s0, s8, s1
	s_mul_i32 s0, s0, s29
	s_sub_i32 s0, s8, s0
	s_sub_i32 s1, s0, s29
	s_cmp_ge_u32 s0, s29
	s_cselect_b32 s0, s1, s0
	s_sub_i32 s1, s0, s29
	s_cmp_ge_u32 s0, s29
	s_cselect_b32 s42, s1, s0
	s_mov_b64 s[0:1], s[42:43]
.LBB140_112:                            ;   in Loop: Header=BB140_20 Depth=1
	s_sub_u32 s10, s8, s0
	s_subb_u32 s11, s51, s1
	v_cmp_gt_u64_e32 vcc, s[10:11], v[0:1]
                                        ; implicit-def: $vgpr47
	s_and_saveexec_b64 s[12:13], vcc
	s_cbranch_execz .LBB140_121
; %bb.113:                              ;   in Loop: Header=BB140_20 Depth=1
	v_mov_b32_e32 v8, v12
	v_mov_b32_e32 v11, v1
	s_mov_b64 s[0:1], 0
	v_mov_b32_e32 v9, v13
	v_mov_b32_e32 v10, v0
                                        ; implicit-def: $sgpr22_sgpr23
	s_branch .LBB140_116
.LBB140_114:                            ;   in Loop: Header=BB140_116 Depth=2
	s_or_b64 exec, exec, s[26:27]
	s_waitcnt lgkmcnt(0)
	s_barrier
	ds_read_b32 v2, v3 offset:3072
	s_mov_b64 s[26:27], -1
	s_mov_b64 s[34:35], -1
	s_waitcnt lgkmcnt(0)
	s_barrier
	v_and_b32_e32 v26, 0x7fff, v2
	v_cmp_ne_u32_e32 vcc, 0, v26
	s_cbranch_vccz .LBB140_119
.LBB140_115:                            ;   in Loop: Header=BB140_116 Depth=2
	s_and_b64 s[26:27], exec, s[26:27]
	s_or_b64 s[0:1], s[26:27], s[0:1]
	s_andn2_b64 s[22:23], s[22:23], exec
	s_and_b64 s[26:27], s[34:35], exec
	s_or_b64 s[22:23], s[22:23], s[26:27]
	s_andn2_b64 exec, exec, s[0:1]
	s_cbranch_execz .LBB140_120
.LBB140_116:                            ;   Parent Loop BB140_20 Depth=1
                                        ; =>  This Inner Loop Header: Depth=2
	v_cmp_gt_u64_e32 vcc, s[24:25], v[10:11]
	s_and_saveexec_b64 s[26:27], vcc
	s_cbranch_execz .LBB140_114
; %bb.117:                              ;   in Loop: Header=BB140_116 Depth=2
	global_load_ushort v2, v[8:9], off
	s_waitcnt vmcnt(0)
	v_cmp_lt_i16_e32 vcc, -1, v2
	v_cndmask_b32_e32 v26, v41, v42, vcc
	v_lshlrev_b32_e32 v27, 16, v2
	v_xor_b32_sdwa v26, v26, v2 dst_sel:DWORD dst_unused:UNUSED_PAD src0_sel:DWORD src1_sel:WORD_0
	v_cmp_o_f32_e32 vcc, v27, v27
	v_cndmask_b32_e32 v26, v41, v26, vcc
	v_and_b32_e32 v26, v26, v46
	v_cmp_eq_u32_e32 vcc, v26, v37
	s_and_b64 exec, exec, vcc
	s_cbranch_execz .LBB140_114
; %bb.118:                              ;   in Loop: Header=BB140_116 Depth=2
	v_perm_b32 v2, v2, s28, v45
	ds_write_b32 v3, v2 offset:3072
	s_branch .LBB140_114
.LBB140_119:                            ;   in Loop: Header=BB140_116 Depth=2
	v_add_co_u32_e32 v10, vcc, s29, v10
	v_addc_co_u32_e32 v11, vcc, 0, v11, vcc
	v_mov_b32_e32 v26, s47
	v_add_co_u32_e32 v8, vcc, s46, v8
	v_addc_co_u32_e32 v9, vcc, v9, v26, vcc
	v_cmp_le_u64_e32 vcc, s[10:11], v[10:11]
	s_mov_b64 s[34:35], 0
	s_orn2_b64 s[26:27], vcc, exec
	s_branch .LBB140_115
.LBB140_120:                            ;   in Loop: Header=BB140_20 Depth=1
	s_or_b64 exec, exec, s[0:1]
	s_andn2_b64 s[0:1], s[30:31], exec
	s_and_b64 s[10:11], s[22:23], exec
	v_lshrrev_b32_e32 v47, 16, v2
	s_or_b64 s[30:31], s[0:1], s[10:11]
.LBB140_121:                            ;   in Loop: Header=BB140_20 Depth=1
	s_or_b64 exec, exec, s[12:13]
	s_mov_b64 s[22:23], 0
	s_mov_b64 s[26:27], -1
.LBB140_122:                            ;   in Loop: Header=BB140_20 Depth=1
	s_orn2_b64 s[0:1], s[30:31], exec
.LBB140_123:                            ;   in Loop: Header=BB140_20 Depth=1
	s_or_b64 exec, exec, s[18:19]
	s_andn2_b64 s[10:11], s[74:75], exec
	s_and_b64 s[12:13], s[26:27], exec
	s_or_b64 s[74:75], s[10:11], s[12:13]
	s_andn2_b64 s[10:11], s[72:73], exec
	s_and_b64 s[12:13], s[22:23], exec
	s_andn2_b64 s[70:71], s[70:71], exec
	s_or_b64 s[72:73], s[10:11], s[12:13]
                                        ; implicit-def: $vgpr8_vgpr9
	s_and_saveexec_b64 s[18:19], s[0:1]
	s_cbranch_execz .LBB140_19
; %bb.124:                              ;   in Loop: Header=BB140_20 Depth=1
	v_mov_b32_e32 v8, 1
	s_xor_b64 s[0:1], s[20:21], -1
	v_mov_b32_e32 v2, 1
	v_mov_b32_e32 v9, 0
	s_mov_b64 s[10:11], 0
	s_and_saveexec_b64 s[6:7], s[0:1]
	s_cbranch_execz .LBB140_133
; %bb.125:                              ;   in Loop: Header=BB140_20 Depth=1
	v_cmp_le_u64_e32 vcc, v[24:25], v[4:5]
	s_and_saveexec_b64 s[0:1], vcc
	s_xor_b64 s[0:1], exec, s[0:1]
	s_cbranch_execz .LBB140_130
; %bb.126:                              ;   in Loop: Header=BB140_20 Depth=1
	ds_read_b64 v[8:9], v3 offset:5120
	v_and_b32_e32 v37, s56, v37
	v_or_b32_e32 v46, s92, v46
	s_waitcnt lgkmcnt(0)
	v_cmp_ne_u64_e32 vcc, 0, v[8:9]
	s_cbranch_vccnz .LBB140_130
; %bb.127:                              ;   in Loop: Header=BB140_20 Depth=1
	s_mov_b64 s[10:11], exec
	v_readlane_b32 s12, v60, 12
	v_readlane_b32 s13, v60, 13
	s_and_b64 s[12:13], s[10:11], s[12:13]
	s_mov_b64 exec, s[12:13]
; %bb.128:                              ;   in Loop: Header=BB140_20 Depth=1
	ds_write_b64 v3, v[4:5] offset:5128
; %bb.129:                              ;   in Loop: Header=BB140_20 Depth=1
	s_or_b64 exec, exec, s[10:11]
	s_waitcnt lgkmcnt(0)
	s_barrier
.LBB140_130:                            ;   in Loop: Header=BB140_20 Depth=1
	s_or_saveexec_b64 s[0:1], s[0:1]
	s_mov_b64 s[10:11], 0
	v_mov_b32_e32 v2, 8
	s_xor_b64 exec, exec, s[0:1]
; %bb.131:                              ;   in Loop: Header=BB140_20 Depth=1
	v_sub_co_u32_e32 v24, vcc, v24, v4
	s_mov_b64 s[10:11], exec
	v_subb_co_u32_e32 v25, vcc, v25, v5, vcc
	v_mov_b32_e32 v2, 0
; %bb.132:                              ;   in Loop: Header=BB140_20 Depth=1
	s_or_b64 exec, exec, s[0:1]
	v_mov_b32_e32 v8, v24
	s_and_b64 s[10:11], s[10:11], exec
	v_mov_b32_e32 v9, v25
.LBB140_133:                            ;   in Loop: Header=BB140_20 Depth=1
	s_or_b64 exec, exec, s[6:7]
	s_mov_b64 s[20:21], -1
	s_mov_b64 s[0:1], -1
                                        ; implicit-def: $sgpr6_sgpr7
                                        ; implicit-def: $sgpr78_sgpr79
	s_and_saveexec_b64 s[12:13], s[10:11]
	s_xor_b64 s[22:23], exec, s[12:13]
	s_cbranch_execz .LBB140_278
; %bb.134:                              ;   in Loop: Header=BB140_20 Depth=1
	v_cmp_eq_u64_e32 vcc, 1, v[6:7]
	v_cmp_eq_u64_e64 s[6:7], 1, v[8:9]
                                        ; implicit-def: $sgpr78_sgpr79
	s_and_b64 s[82:83], vcc, s[6:7]
                                        ; implicit-def: $sgpr6_sgpr7
	s_and_saveexec_b64 s[80:81], s[82:83]
	s_cbranch_execz .LBB140_171
; %bb.135:                              ;   in Loop: Header=BB140_20 Depth=1
	ds_read_b64 v[4:5], v3 offset:5120
	s_waitcnt lgkmcnt(0)
	s_barrier
	v_readfirstlane_b32 s30, v4
	v_readfirstlane_b32 s31, v5
	s_and_saveexec_b64 s[0:1], s[16:17]
; %bb.136:                              ;   in Loop: Header=BB140_20 Depth=1
	ds_write_b16 v39, v3
; %bb.137:                              ;   in Loop: Header=BB140_20 Depth=1
	s_or_b64 exec, exec, s[0:1]
	v_and_b32_e32 v4, s56, v37
	v_lshl_or_b32 v37, 1, s48, v4
	v_or_b32_e32 v46, s92, v46
	s_mov_b64 s[6:7], -1
	s_mov_b64 s[78:79], 0
	s_cmp_eq_u64 s[30:31], 0
	s_mov_b64 s[26:27], 0
	s_mov_b64 s[34:35], -1
	s_waitcnt lgkmcnt(0)
	s_barrier
                                        ; implicit-def: $vgpr47
	s_cbranch_scc1 .LBB140_156
; %bb.138:                              ;   in Loop: Header=BB140_20 Depth=1
	s_add_u32 s12, s30, s93
	s_addc_u32 s27, s31, s57
	s_mov_b32 s26, s43
	s_cmp_lg_u64 s[26:27], 0
	s_cbranch_scc0 .LBB140_198
; %bb.139:                              ;   in Loop: Header=BB140_20 Depth=1
	v_cvt_f32_u32_e32 v4, s29
	s_sub_u32 s10, 0, s29
	s_subb_u32 s11, 0, 0
	v_mac_f32_e32 v4, 0, v43
	v_rcp_f32_e32 v4, v4
	v_mul_f32_e32 v4, 0x5f7ffffc, v4
	v_mul_f32_e32 v5, 0x2f800000, v4
	v_trunc_f32_e32 v5, v5
	v_mac_f32_e32 v4, 0xcf800000, v5
	v_cvt_u32_f32_e32 v5, v5
	v_cvt_u32_f32_e32 v4, v4
	v_readfirstlane_b32 s13, v5
	v_readfirstlane_b32 s0, v4
	s_mul_i32 s1, s10, s13
	s_mul_hi_u32 s34, s10, s0
	s_mul_i32 s26, s11, s0
	s_add_i32 s1, s34, s1
	s_mul_i32 s35, s10, s0
	s_add_i32 s1, s1, s26
	s_mul_hi_u32 s34, s0, s35
	s_mul_i32 s36, s0, s1
	s_mul_hi_u32 s26, s0, s1
	s_add_u32 s34, s34, s36
	s_addc_u32 s26, 0, s26
	s_mul_hi_u32 s37, s13, s35
	s_mul_i32 s35, s13, s35
	s_add_u32 s34, s34, s35
	s_mul_hi_u32 s36, s13, s1
	s_addc_u32 s26, s26, s37
	s_addc_u32 s34, s36, 0
	s_mul_i32 s1, s13, s1
	s_add_u32 s1, s26, s1
	s_addc_u32 s26, 0, s34
	s_add_u32 s34, s0, s1
	s_cselect_b64 s[0:1], -1, 0
	s_cmp_lg_u64 s[0:1], 0
	s_addc_u32 s13, s13, s26
	s_mul_i32 s0, s10, s13
	s_mul_hi_u32 s1, s10, s34
	s_add_i32 s0, s1, s0
	s_mul_i32 s11, s11, s34
	s_add_i32 s0, s0, s11
	s_mul_i32 s10, s10, s34
	s_mul_hi_u32 s11, s13, s10
	s_mul_i32 s26, s13, s10
	s_mul_i32 s36, s34, s0
	s_mul_hi_u32 s10, s34, s10
	s_mul_hi_u32 s35, s34, s0
	s_add_u32 s10, s10, s36
	s_addc_u32 s35, 0, s35
	s_add_u32 s10, s10, s26
	s_mul_hi_u32 s1, s13, s0
	s_addc_u32 s10, s35, s11
	s_addc_u32 s1, s1, 0
	s_mul_i32 s0, s13, s0
	s_add_u32 s0, s10, s0
	s_addc_u32 s10, 0, s1
	s_add_u32 s11, s34, s0
	s_cselect_b64 s[0:1], -1, 0
	s_cmp_lg_u64 s[0:1], 0
	s_addc_u32 s0, s13, s10
	s_mul_i32 s10, s12, s0
	s_mul_hi_u32 s13, s12, s11
	s_mul_hi_u32 s1, s12, s0
	s_add_u32 s10, s13, s10
	s_addc_u32 s1, 0, s1
	s_mul_hi_u32 s26, s27, s11
	s_mul_i32 s11, s27, s11
	s_add_u32 s10, s10, s11
	s_mul_hi_u32 s13, s27, s0
	s_addc_u32 s1, s1, s26
	s_addc_u32 s10, s13, 0
	s_mul_i32 s0, s27, s0
	s_add_u32 s0, s1, s0
	s_addc_u32 s1, 0, s10
	s_mul_i32 s1, s29, s1
	s_mul_hi_u32 s10, s29, s0
	s_add_i32 s10, s10, s1
	s_mul_i32 s0, s29, s0
	s_sub_u32 s11, s12, s0
	s_cselect_b64 s[0:1], -1, 0
	s_cmp_lg_u64 s[0:1], 0
	s_subb_u32 s10, s27, s10
	s_sub_u32 s13, s11, s29
	s_cselect_b64 s[0:1], -1, 0
	s_cmp_lg_u64 s[0:1], 0
	s_subb_u32 s26, s10, 0
	;; [unrolled: 4-line block ×3, first 2 shown]
	s_cmp_ge_u32 s13, s29
	s_cselect_b32 s1, -1, 0
	s_cmp_eq_u32 s26, 0
	s_cselect_b32 s1, s1, -1
	s_cmp_lg_u32 s1, 0
	s_cselect_b32 s0, s0, s26
	s_cselect_b32 s13, s34, s13
	s_cmp_ge_u32 s11, s29
	s_cselect_b32 s1, -1, 0
	s_cmp_eq_u32 s10, 0
	s_cselect_b32 s1, s1, -1
	s_cmp_lg_u32 s1, 0
	s_cselect_b32 s1, s0, s10
	s_cselect_b32 s0, s13, s11
	s_cbranch_execnz .LBB140_141
.LBB140_140:                            ;   in Loop: Header=BB140_20 Depth=1
	v_cvt_f32_u32_e32 v4, s29
	s_sub_i32 s0, 0, s29
	v_rcp_iflag_f32_e32 v4, v4
	v_mul_f32_e32 v4, 0x4f7ffffe, v4
	v_cvt_u32_f32_e32 v4, v4
	v_readfirstlane_b32 s1, v4
	s_mul_i32 s0, s0, s1
	s_mul_hi_u32 s0, s1, s0
	s_add_i32 s1, s1, s0
	s_mul_hi_u32 s0, s12, s1
	s_mul_i32 s0, s0, s29
	s_sub_i32 s0, s12, s0
	s_sub_i32 s1, s0, s29
	s_cmp_ge_u32 s0, s29
	s_cselect_b32 s0, s1, s0
	s_sub_i32 s1, s0, s29
	s_cmp_ge_u32 s0, s29
	s_cselect_b32 s42, s1, s0
	s_mov_b64 s[0:1], s[42:43]
.LBB140_141:                            ;   in Loop: Header=BB140_20 Depth=1
	s_sub_u32 s12, s12, s0
	s_subb_u32 s13, s27, s1
	v_cmp_gt_u64_e32 vcc, s[12:13], v[0:1]
	s_mov_b64 s[34:35], 0
	s_mov_b64 s[26:27], 0
                                        ; implicit-def: $vgpr47
	s_and_saveexec_b64 s[36:37], vcc
	s_cbranch_execz .LBB140_155
; %bb.142:                              ;   in Loop: Header=BB140_20 Depth=1
	v_mov_b32_e32 v5, v1
	s_mov_b64 s[10:11], 0
	v_mov_b32_e32 v10, v38
	v_mov_b32_e32 v4, v0
                                        ; implicit-def: $sgpr26_sgpr27
	s_branch .LBB140_145
.LBB140_143:                            ;   in Loop: Header=BB140_145 Depth=2
	s_or_b64 exec, exec, s[0:1]
	s_waitcnt lgkmcnt(0)
	s_barrier
	ds_read_b32 v11, v3 offset:3072
	s_mov_b64 s[0:1], -1
	s_mov_b64 s[54:55], -1
	s_waitcnt lgkmcnt(0)
	s_barrier
	v_and_b32_e32 v24, 0x7fff, v11
	v_cmp_ne_u32_e32 vcc, 0, v24
	s_cbranch_vccz .LBB140_148
.LBB140_144:                            ;   in Loop: Header=BB140_145 Depth=2
	s_and_b64 s[0:1], exec, s[0:1]
	s_or_b64 s[10:11], s[0:1], s[10:11]
	s_andn2_b64 s[0:1], s[26:27], exec
	s_and_b64 s[26:27], s[54:55], exec
	s_or_b64 s[26:27], s[0:1], s[26:27]
	s_andn2_b64 exec, exec, s[10:11]
	s_cbranch_execz .LBB140_154
.LBB140_145:                            ;   Parent Loop BB140_20 Depth=1
                                        ; =>  This Inner Loop Header: Depth=2
	v_cmp_gt_u64_e32 vcc, s[30:31], v[4:5]
	s_and_saveexec_b64 s[0:1], vcc
	s_cbranch_execz .LBB140_143
; %bb.146:                              ;   in Loop: Header=BB140_145 Depth=2
	ds_read_u16 v11, v10
	s_waitcnt lgkmcnt(0)
	v_cmp_lt_i16_e32 vcc, -1, v11
	v_cndmask_b32_e32 v24, v41, v42, vcc
	v_lshlrev_b32_e32 v25, 16, v11
	v_cmp_o_f32_e32 vcc, v25, v25
	v_xor_b32_sdwa v24, v24, v11 dst_sel:DWORD dst_unused:UNUSED_PAD src0_sel:DWORD src1_sel:WORD_0
	v_cndmask_b32_e32 v24, v41, v24, vcc
	v_and_b32_e32 v24, v24, v46
	v_cmp_eq_u32_e32 vcc, v24, v37
	s_and_b64 exec, exec, vcc
	s_cbranch_execz .LBB140_143
; %bb.147:                              ;   in Loop: Header=BB140_145 Depth=2
	v_perm_b32 v11, v11, s28, v45
	ds_write_b32 v3, v11 offset:3072
	s_branch .LBB140_143
.LBB140_148:                            ;   in Loop: Header=BB140_145 Depth=2
	v_add_co_u32_e32 v4, vcc, s29, v4
	v_addc_co_u32_e32 v5, vcc, 0, v5, vcc
	v_cmp_le_u64_e32 vcc, s[12:13], v[4:5]
	v_add_u32_e32 v10, s33, v10
	s_mov_b64 s[54:55], 0
	s_orn2_b64 s[0:1], vcc, exec
	s_branch .LBB140_144
.LBB140_149:                            ;   in Loop: Header=BB140_20 Depth=1
                                        ; implicit-def: $sgpr0_sgpr1
	s_branch .LBB140_97
.LBB140_150:                            ;   in Loop: Header=BB140_20 Depth=1
	s_or_b64 exec, exec, s[20:21]
	s_waitcnt lgkmcnt(0)
	s_barrier
	s_mov_b64 s[0:1], exec
	v_readlane_b32 s6, v60, 12
	v_readlane_b32 s7, v60, 13
	s_and_b64 s[6:7], s[0:1], s[6:7]
	s_mov_b64 exec, s[6:7]
	s_cbranch_execz .LBB140_152
; %bb.151:                              ;   in Loop: Header=BB140_20 Depth=1
	ds_read_b32 v4, v3 offset:5144
	s_waitcnt lgkmcnt(0)
	v_ashrrev_i32_e32 v5, 31, v4
	ds_write_b64 v3, v[4:5] offset:5120
.LBB140_152:                            ;   in Loop: Header=BB140_20 Depth=1
	s_or_b64 exec, exec, s[0:1]
	s_waitcnt lgkmcnt(0)
	s_barrier
	s_mov_b64 s[0:1], -1
	s_and_b64 vcc, exec, s[18:19]
	s_cbranch_vccnz .LBB140_35
	s_branch .LBB140_50
.LBB140_153:                            ;   in Loop: Header=BB140_20 Depth=1
                                        ; implicit-def: $sgpr0_sgpr1
	s_branch .LBB140_111
.LBB140_154:                            ;   in Loop: Header=BB140_20 Depth=1
	s_or_b64 exec, exec, s[10:11]
	v_readlane_b32 s54, v60, 25
	v_lshrrev_b32_e32 v47, 16, v11
	s_and_b64 s[26:27], s[26:27], exec
	v_readlane_b32 s55, v60, 26
.LBB140_155:                            ;   in Loop: Header=BB140_20 Depth=1
	s_or_b64 exec, exec, s[36:37]
.LBB140_156:                            ;   in Loop: Header=BB140_20 Depth=1
	s_and_b64 vcc, exec, s[34:35]
	s_cbranch_vccz .LBB140_170
; %bb.157:                              ;   in Loop: Header=BB140_20 Depth=1
	s_mov_b32 s50, s43
	s_cmp_lg_u64 s[50:51], 0
	s_cbranch_scc0 .LBB140_199
; %bb.158:                              ;   in Loop: Header=BB140_20 Depth=1
	v_cvt_f32_u32_e32 v4, s29
	s_sub_u32 s6, 0, s29
	s_subb_u32 s7, 0, 0
	v_mac_f32_e32 v4, 0, v43
	v_rcp_f32_e32 v4, v4
	v_mul_f32_e32 v4, 0x5f7ffffc, v4
	v_mul_f32_e32 v5, 0x2f800000, v4
	v_trunc_f32_e32 v5, v5
	v_mac_f32_e32 v4, 0xcf800000, v5
	v_cvt_u32_f32_e32 v5, v5
	v_cvt_u32_f32_e32 v4, v4
	v_readfirstlane_b32 s10, v5
	v_readfirstlane_b32 s0, v4
	s_mul_i32 s1, s6, s10
	s_mul_hi_u32 s12, s6, s0
	s_mul_i32 s11, s7, s0
	s_add_i32 s1, s12, s1
	s_mul_i32 s13, s6, s0
	s_add_i32 s1, s1, s11
	s_mul_hi_u32 s12, s0, s13
	s_mul_i32 s30, s0, s1
	s_mul_hi_u32 s11, s0, s1
	s_add_u32 s12, s12, s30
	s_addc_u32 s11, 0, s11
	s_mul_hi_u32 s31, s10, s13
	s_mul_i32 s13, s10, s13
	s_add_u32 s12, s12, s13
	s_mul_hi_u32 s30, s10, s1
	s_addc_u32 s11, s11, s31
	s_addc_u32 s12, s30, 0
	s_mul_i32 s1, s10, s1
	s_add_u32 s1, s11, s1
	s_addc_u32 s11, 0, s12
	s_add_u32 s12, s0, s1
	s_cselect_b64 s[0:1], -1, 0
	s_cmp_lg_u64 s[0:1], 0
	s_addc_u32 s10, s10, s11
	s_mul_i32 s0, s6, s10
	s_mul_hi_u32 s1, s6, s12
	s_add_i32 s0, s1, s0
	s_mul_i32 s7, s7, s12
	s_add_i32 s0, s0, s7
	s_mul_i32 s6, s6, s12
	s_mul_hi_u32 s7, s10, s6
	s_mul_i32 s11, s10, s6
	s_mul_i32 s30, s12, s0
	s_mul_hi_u32 s6, s12, s6
	s_mul_hi_u32 s13, s12, s0
	s_add_u32 s6, s6, s30
	s_addc_u32 s13, 0, s13
	s_add_u32 s6, s6, s11
	s_mul_hi_u32 s1, s10, s0
	s_addc_u32 s6, s13, s7
	s_addc_u32 s1, s1, 0
	s_mul_i32 s0, s10, s0
	s_add_u32 s0, s6, s0
	s_addc_u32 s6, 0, s1
	s_add_u32 s7, s12, s0
	s_cselect_b64 s[0:1], -1, 0
	s_cmp_lg_u64 s[0:1], 0
	s_addc_u32 s0, s10, s6
	s_mul_i32 s6, s8, s0
	s_mul_hi_u32 s10, s8, s7
	s_mul_hi_u32 s1, s8, s0
	s_add_u32 s6, s10, s6
	s_addc_u32 s1, 0, s1
	s_mul_hi_u32 s11, s51, s7
	s_mul_i32 s7, s51, s7
	s_add_u32 s6, s6, s7
	s_mul_hi_u32 s10, s51, s0
	s_addc_u32 s1, s1, s11
	s_addc_u32 s6, s10, 0
	s_mul_i32 s0, s51, s0
	s_add_u32 s0, s1, s0
	s_addc_u32 s1, 0, s6
	s_mul_i32 s1, s29, s1
	s_mul_hi_u32 s6, s29, s0
	s_add_i32 s6, s6, s1
	s_mul_i32 s0, s29, s0
	s_sub_u32 s7, s8, s0
	s_cselect_b64 s[0:1], -1, 0
	s_cmp_lg_u64 s[0:1], 0
	s_subb_u32 s6, s51, s6
	s_sub_u32 s10, s7, s29
	s_cselect_b64 s[0:1], -1, 0
	s_cmp_lg_u64 s[0:1], 0
	s_subb_u32 s11, s6, 0
	s_sub_u32 s12, s10, s29
	s_cselect_b64 s[0:1], -1, 0
	s_cmp_lg_u64 s[0:1], 0
	s_subb_u32 s0, s11, 0
	s_cmp_ge_u32 s10, s29
	s_cselect_b32 s1, -1, 0
	s_cmp_eq_u32 s11, 0
	s_cselect_b32 s1, s1, -1
	s_cmp_lg_u32 s1, 0
	s_cselect_b32 s0, s0, s11
	s_cselect_b32 s10, s12, s10
	s_cmp_ge_u32 s7, s29
	s_cselect_b32 s1, -1, 0
	s_cmp_eq_u32 s6, 0
	s_cselect_b32 s1, s1, -1
	s_cmp_lg_u32 s1, 0
	s_cselect_b32 s1, s0, s6
	s_cselect_b32 s0, s10, s7
	s_cbranch_execnz .LBB140_160
.LBB140_159:                            ;   in Loop: Header=BB140_20 Depth=1
	v_cvt_f32_u32_e32 v4, s29
	s_sub_i32 s0, 0, s29
	v_rcp_iflag_f32_e32 v4, v4
	v_mul_f32_e32 v4, 0x4f7ffffe, v4
	v_cvt_u32_f32_e32 v4, v4
	v_readfirstlane_b32 s1, v4
	s_mul_i32 s0, s0, s1
	s_mul_hi_u32 s0, s1, s0
	s_add_i32 s1, s1, s0
	s_mul_hi_u32 s0, s8, s1
	s_mul_i32 s0, s0, s29
	s_sub_i32 s0, s8, s0
	s_sub_i32 s1, s0, s29
	s_cmp_ge_u32 s0, s29
	s_cselect_b32 s0, s1, s0
	s_sub_i32 s1, s0, s29
	s_cmp_ge_u32 s0, s29
	s_cselect_b32 s42, s1, s0
	s_mov_b64 s[0:1], s[42:43]
.LBB140_160:                            ;   in Loop: Header=BB140_20 Depth=1
	s_sub_u32 s30, s8, s0
	s_subb_u32 s31, s51, s1
	v_cmp_gt_u64_e32 vcc, s[30:31], v[0:1]
                                        ; implicit-def: $vgpr47
	s_and_saveexec_b64 s[6:7], vcc
	s_cbranch_execz .LBB140_169
; %bb.161:                              ;   in Loop: Header=BB140_20 Depth=1
	v_mov_b32_e32 v4, v12
	v_mov_b32_e32 v11, v1
	s_mov_b64 s[10:11], 0
	v_mov_b32_e32 v5, v13
	v_mov_b32_e32 v10, v0
                                        ; implicit-def: $sgpr12_sgpr13
	s_branch .LBB140_164
.LBB140_162:                            ;   in Loop: Header=BB140_164 Depth=2
	s_or_b64 exec, exec, s[0:1]
	s_waitcnt lgkmcnt(0)
	s_barrier
	ds_read_b32 v24, v3 offset:3072
	s_mov_b64 s[0:1], -1
	s_mov_b64 s[34:35], -1
	s_waitcnt lgkmcnt(0)
	s_barrier
	v_and_b32_e32 v25, 0x7fff, v24
	v_cmp_eq_u32_e32 vcc, 0, v25
	s_cbranch_vccnz .LBB140_167
.LBB140_163:                            ;   in Loop: Header=BB140_164 Depth=2
	s_and_b64 s[0:1], exec, s[0:1]
	s_or_b64 s[10:11], s[0:1], s[10:11]
	s_andn2_b64 s[0:1], s[12:13], exec
	s_and_b64 s[12:13], s[34:35], exec
	s_or_b64 s[12:13], s[0:1], s[12:13]
	s_andn2_b64 exec, exec, s[10:11]
	s_cbranch_execz .LBB140_168
.LBB140_164:                            ;   Parent Loop BB140_20 Depth=1
                                        ; =>  This Inner Loop Header: Depth=2
	v_cmp_gt_u64_e32 vcc, s[24:25], v[10:11]
	s_and_saveexec_b64 s[0:1], vcc
	s_cbranch_execz .LBB140_162
; %bb.165:                              ;   in Loop: Header=BB140_164 Depth=2
	global_load_ushort v24, v[4:5], off
	s_waitcnt vmcnt(0)
	v_cmp_lt_i16_e32 vcc, -1, v24
	v_cndmask_b32_e32 v25, v41, v42, vcc
	v_lshlrev_b32_e32 v26, 16, v24
	v_cmp_o_f32_e32 vcc, v26, v26
	v_xor_b32_sdwa v25, v25, v24 dst_sel:DWORD dst_unused:UNUSED_PAD src0_sel:DWORD src1_sel:WORD_0
	v_cndmask_b32_e32 v25, v41, v25, vcc
	v_and_b32_e32 v25, v25, v46
	v_cmp_eq_u32_e32 vcc, v25, v37
	s_and_b64 exec, exec, vcc
	s_cbranch_execz .LBB140_162
; %bb.166:                              ;   in Loop: Header=BB140_164 Depth=2
	v_perm_b32 v24, v24, s28, v45
	ds_write_b32 v3, v24 offset:3072
	s_branch .LBB140_162
.LBB140_167:                            ;   in Loop: Header=BB140_164 Depth=2
	v_add_co_u32_e32 v10, vcc, s29, v10
	v_addc_co_u32_e32 v11, vcc, 0, v11, vcc
	v_mov_b32_e32 v25, s47
	v_add_co_u32_e32 v4, vcc, s46, v4
	v_addc_co_u32_e32 v5, vcc, v5, v25, vcc
	v_cmp_le_u64_e32 vcc, s[30:31], v[10:11]
	s_mov_b64 s[34:35], 0
	s_orn2_b64 s[0:1], vcc, exec
	s_branch .LBB140_163
.LBB140_168:                            ;   in Loop: Header=BB140_20 Depth=1
	s_or_b64 exec, exec, s[10:11]
	s_andn2_b64 s[0:1], s[26:27], exec
	s_and_b64 s[10:11], s[12:13], exec
	v_lshrrev_b32_e32 v47, 16, v24
	s_or_b64 s[26:27], s[0:1], s[10:11]
.LBB140_169:                            ;   in Loop: Header=BB140_20 Depth=1
	s_or_b64 exec, exec, s[6:7]
	s_mov_b64 s[6:7], 0
	s_mov_b64 s[78:79], -1
.LBB140_170:                            ;   in Loop: Header=BB140_20 Depth=1
	s_orn2_b64 s[0:1], s[26:27], exec
.LBB140_171:                            ;   in Loop: Header=BB140_20 Depth=1
	s_or_b64 exec, exec, s[80:81]
	s_mov_b64 s[10:11], 0
	s_and_saveexec_b64 s[80:81], s[0:1]
	s_cbranch_execz .LBB140_277
; %bb.172:                              ;   in Loop: Header=BB140_20 Depth=1
	v_mov_b32_e32 v4, 1
	s_xor_b64 s[0:1], s[82:83], -1
	v_mov_b32_e32 v2, 1
	v_mov_b32_e32 v5, 0
	s_and_saveexec_b64 s[26:27], s[0:1]
	s_cbranch_execz .LBB140_182
; %bb.173:                              ;   in Loop: Header=BB140_20 Depth=1
	v_cmp_le_u64_e32 vcc, v[8:9], v[6:7]
	s_and_saveexec_b64 s[0:1], vcc
	s_xor_b64 s[0:1], exec, s[0:1]
	s_cbranch_execz .LBB140_179
; %bb.174:                              ;   in Loop: Header=BB140_20 Depth=1
	ds_read_b64 v[4:5], v3 offset:5120
	v_and_b32_e32 v2, s56, v37
	v_lshl_or_b32 v37, 1, s48, v2
	v_or_b32_e32 v46, s92, v46
	s_waitcnt lgkmcnt(0)
	v_cmp_ne_u64_e32 vcc, 0, v[4:5]
	s_cbranch_vccnz .LBB140_178
; %bb.175:                              ;   in Loop: Header=BB140_20 Depth=1
	s_mov_b64 s[10:11], exec
	v_readlane_b32 s12, v60, 12
	v_readlane_b32 s13, v60, 13
	s_and_b64 s[12:13], s[10:11], s[12:13]
	s_mov_b64 exec, s[12:13]
; %bb.176:                              ;   in Loop: Header=BB140_20 Depth=1
	ds_write_b64 v3, v[6:7] offset:5128
; %bb.177:                              ;   in Loop: Header=BB140_20 Depth=1
	s_or_b64 exec, exec, s[10:11]
	s_waitcnt lgkmcnt(0)
	s_barrier
.LBB140_178:                            ;   in Loop: Header=BB140_20 Depth=1
                                        ; implicit-def: $vgpr4_vgpr5_vgpr6_vgpr7
.LBB140_179:                            ;   in Loop: Header=BB140_20 Depth=1
	s_or_saveexec_b64 s[0:1], s[0:1]
	s_mov_b64 s[10:11], 0
	v_mov_b32_e32 v2, 8
	s_xor_b64 exec, exec, s[0:1]
; %bb.180:                              ;   in Loop: Header=BB140_20 Depth=1
	v_sub_co_u32_e32 v8, vcc, v8, v6
	v_subb_co_u32_e32 v9, vcc, v9, v7, vcc
	v_mov_b32_e32 v2, 0
	s_mov_b64 s[10:11], exec
; %bb.181:                              ;   in Loop: Header=BB140_20 Depth=1
	s_or_b64 exec, exec, s[0:1]
	v_mov_b32_e32 v4, v8
	s_and_b64 s[10:11], s[10:11], exec
	v_mov_b32_e32 v5, v9
.LBB140_182:                            ;   in Loop: Header=BB140_20 Depth=1
	s_or_b64 exec, exec, s[26:27]
	s_mov_b64 s[0:1], -1
                                        ; implicit-def: $sgpr84_sgpr85
                                        ; implicit-def: $sgpr86_sgpr87
	s_and_saveexec_b64 s[82:83], s[10:11]
	s_cbranch_execz .LBB140_276
; %bb.183:                              ;   in Loop: Header=BB140_20 Depth=1
	s_cmp_eq_u64 s[76:77], 1
	v_cmp_eq_u64_e32 vcc, 1, v[4:5]
	s_cselect_b64 s[0:1], -1, 0
	s_and_b64 s[90:91], s[0:1], vcc
	s_mov_b64 s[0:1], -1
                                        ; implicit-def: $sgpr86_sgpr87
                                        ; implicit-def: $sgpr84_sgpr85
	s_and_saveexec_b64 s[88:89], s[90:91]
	s_cbranch_execz .LBB140_217
; %bb.184:                              ;   in Loop: Header=BB140_20 Depth=1
	ds_read_b64 v[6:7], v3 offset:5120
	s_waitcnt lgkmcnt(0)
	s_barrier
	v_readfirstlane_b32 s30, v6
	v_readfirstlane_b32 s31, v7
	s_and_saveexec_b64 s[0:1], s[16:17]
; %bb.185:                              ;   in Loop: Header=BB140_20 Depth=1
	ds_write_b16 v39, v3
; %bb.186:                              ;   in Loop: Header=BB140_20 Depth=1
	s_or_b64 exec, exec, s[0:1]
	v_and_b32_e32 v6, s56, v37
	v_lshl_or_b32 v37, 2, s48, v6
	v_or_b32_e32 v46, s92, v46
	s_mov_b64 s[84:85], -1
	s_mov_b64 s[86:87], 0
	s_cmp_eq_u64 s[30:31], 0
	s_mov_b64 s[26:27], 0
	s_mov_b64 s[34:35], -1
	s_waitcnt lgkmcnt(0)
	s_barrier
                                        ; implicit-def: $vgpr47
	s_cbranch_scc1 .LBB140_202
; %bb.187:                              ;   in Loop: Header=BB140_20 Depth=1
	s_add_u32 s12, s30, s93
	s_addc_u32 s27, s31, s57
	s_mov_b32 s26, s43
	s_cmp_lg_u64 s[26:27], 0
	s_cbranch_scc0 .LBB140_243
; %bb.188:                              ;   in Loop: Header=BB140_20 Depth=1
	v_cvt_f32_u32_e32 v6, s29
	s_sub_u32 s10, 0, s29
	s_subb_u32 s11, 0, 0
	v_mac_f32_e32 v6, 0, v43
	v_rcp_f32_e32 v6, v6
	v_mul_f32_e32 v6, 0x5f7ffffc, v6
	v_mul_f32_e32 v7, 0x2f800000, v6
	v_trunc_f32_e32 v7, v7
	v_mac_f32_e32 v6, 0xcf800000, v7
	v_cvt_u32_f32_e32 v7, v7
	v_cvt_u32_f32_e32 v6, v6
	v_readfirstlane_b32 s13, v7
	v_readfirstlane_b32 s0, v6
	s_mul_i32 s1, s10, s13
	s_mul_hi_u32 s34, s10, s0
	s_mul_i32 s26, s11, s0
	s_add_i32 s1, s34, s1
	s_mul_i32 s35, s10, s0
	s_add_i32 s1, s1, s26
	s_mul_hi_u32 s34, s0, s35
	s_mul_i32 s36, s0, s1
	s_mul_hi_u32 s26, s0, s1
	s_add_u32 s34, s34, s36
	s_addc_u32 s26, 0, s26
	s_mul_hi_u32 s37, s13, s35
	s_mul_i32 s35, s13, s35
	s_add_u32 s34, s34, s35
	s_mul_hi_u32 s36, s13, s1
	s_addc_u32 s26, s26, s37
	s_addc_u32 s34, s36, 0
	s_mul_i32 s1, s13, s1
	s_add_u32 s1, s26, s1
	s_addc_u32 s26, 0, s34
	s_add_u32 s34, s0, s1
	s_cselect_b64 s[0:1], -1, 0
	s_cmp_lg_u64 s[0:1], 0
	s_addc_u32 s13, s13, s26
	s_mul_i32 s0, s10, s13
	s_mul_hi_u32 s1, s10, s34
	s_add_i32 s0, s1, s0
	s_mul_i32 s11, s11, s34
	s_add_i32 s0, s0, s11
	s_mul_i32 s10, s10, s34
	s_mul_hi_u32 s11, s13, s10
	s_mul_i32 s26, s13, s10
	s_mul_i32 s36, s34, s0
	s_mul_hi_u32 s10, s34, s10
	s_mul_hi_u32 s35, s34, s0
	s_add_u32 s10, s10, s36
	s_addc_u32 s35, 0, s35
	s_add_u32 s10, s10, s26
	s_mul_hi_u32 s1, s13, s0
	s_addc_u32 s10, s35, s11
	s_addc_u32 s1, s1, 0
	s_mul_i32 s0, s13, s0
	s_add_u32 s0, s10, s0
	s_addc_u32 s10, 0, s1
	s_add_u32 s11, s34, s0
	s_cselect_b64 s[0:1], -1, 0
	s_cmp_lg_u64 s[0:1], 0
	s_addc_u32 s0, s13, s10
	s_mul_i32 s10, s12, s0
	s_mul_hi_u32 s13, s12, s11
	s_mul_hi_u32 s1, s12, s0
	s_add_u32 s10, s13, s10
	s_addc_u32 s1, 0, s1
	s_mul_hi_u32 s26, s27, s11
	s_mul_i32 s11, s27, s11
	s_add_u32 s10, s10, s11
	s_mul_hi_u32 s13, s27, s0
	s_addc_u32 s1, s1, s26
	s_addc_u32 s10, s13, 0
	s_mul_i32 s0, s27, s0
	s_add_u32 s0, s1, s0
	s_addc_u32 s1, 0, s10
	s_mul_i32 s1, s29, s1
	s_mul_hi_u32 s10, s29, s0
	s_add_i32 s10, s10, s1
	s_mul_i32 s0, s29, s0
	s_sub_u32 s11, s12, s0
	s_cselect_b64 s[0:1], -1, 0
	s_cmp_lg_u64 s[0:1], 0
	s_subb_u32 s10, s27, s10
	s_sub_u32 s13, s11, s29
	s_cselect_b64 s[0:1], -1, 0
	s_cmp_lg_u64 s[0:1], 0
	s_subb_u32 s26, s10, 0
	;; [unrolled: 4-line block ×3, first 2 shown]
	s_cmp_ge_u32 s13, s29
	s_cselect_b32 s1, -1, 0
	s_cmp_eq_u32 s26, 0
	s_cselect_b32 s1, s1, -1
	s_cmp_lg_u32 s1, 0
	s_cselect_b32 s0, s0, s26
	s_cselect_b32 s13, s34, s13
	s_cmp_ge_u32 s11, s29
	s_cselect_b32 s1, -1, 0
	s_cmp_eq_u32 s10, 0
	s_cselect_b32 s1, s1, -1
	s_cmp_lg_u32 s1, 0
	s_cselect_b32 s1, s0, s10
	s_cselect_b32 s0, s13, s11
	s_cbranch_execnz .LBB140_190
.LBB140_189:                            ;   in Loop: Header=BB140_20 Depth=1
	v_cvt_f32_u32_e32 v6, s29
	s_sub_i32 s0, 0, s29
	v_rcp_iflag_f32_e32 v6, v6
	v_mul_f32_e32 v6, 0x4f7ffffe, v6
	v_cvt_u32_f32_e32 v6, v6
	v_readfirstlane_b32 s1, v6
	s_mul_i32 s0, s0, s1
	s_mul_hi_u32 s0, s1, s0
	s_add_i32 s1, s1, s0
	s_mul_hi_u32 s0, s12, s1
	s_mul_i32 s0, s0, s29
	s_sub_i32 s0, s12, s0
	s_sub_i32 s1, s0, s29
	s_cmp_ge_u32 s0, s29
	s_cselect_b32 s0, s1, s0
	s_sub_i32 s1, s0, s29
	s_cmp_ge_u32 s0, s29
	s_cselect_b32 s42, s1, s0
	s_mov_b64 s[0:1], s[42:43]
.LBB140_190:                            ;   in Loop: Header=BB140_20 Depth=1
	s_sub_u32 s12, s12, s0
	s_subb_u32 s13, s27, s1
	v_cmp_gt_u64_e32 vcc, s[12:13], v[0:1]
	s_mov_b64 s[34:35], 0
	s_mov_b64 s[26:27], 0
                                        ; implicit-def: $vgpr47
	s_and_saveexec_b64 s[36:37], vcc
	s_cbranch_execz .LBB140_201
; %bb.191:                              ;   in Loop: Header=BB140_20 Depth=1
	v_mov_b32_e32 v7, v1
	s_mov_b64 s[10:11], 0
	v_mov_b32_e32 v8, v38
	v_mov_b32_e32 v6, v0
                                        ; implicit-def: $sgpr26_sgpr27
	s_branch .LBB140_194
.LBB140_192:                            ;   in Loop: Header=BB140_194 Depth=2
	s_or_b64 exec, exec, s[0:1]
	s_waitcnt lgkmcnt(0)
	s_barrier
	ds_read_b32 v9, v3 offset:3072
	s_mov_b64 s[0:1], -1
	s_mov_b64 s[54:55], -1
	s_waitcnt lgkmcnt(0)
	s_barrier
	v_and_b32_e32 v10, 0x7fff, v9
	v_cmp_ne_u32_e32 vcc, 0, v10
	s_cbranch_vccz .LBB140_197
.LBB140_193:                            ;   in Loop: Header=BB140_194 Depth=2
	s_and_b64 s[0:1], exec, s[0:1]
	s_or_b64 s[10:11], s[0:1], s[10:11]
	s_andn2_b64 s[0:1], s[26:27], exec
	s_and_b64 s[26:27], s[54:55], exec
	s_or_b64 s[26:27], s[0:1], s[26:27]
	s_andn2_b64 exec, exec, s[10:11]
	s_cbranch_execz .LBB140_200
.LBB140_194:                            ;   Parent Loop BB140_20 Depth=1
                                        ; =>  This Inner Loop Header: Depth=2
	v_cmp_gt_u64_e32 vcc, s[30:31], v[6:7]
	s_and_saveexec_b64 s[0:1], vcc
	s_cbranch_execz .LBB140_192
; %bb.195:                              ;   in Loop: Header=BB140_194 Depth=2
	ds_read_u16 v9, v8
	s_waitcnt lgkmcnt(0)
	v_cmp_lt_i16_e32 vcc, -1, v9
	v_cndmask_b32_e32 v10, v41, v42, vcc
	v_lshlrev_b32_e32 v11, 16, v9
	v_cmp_o_f32_e32 vcc, v11, v11
	v_xor_b32_sdwa v10, v10, v9 dst_sel:DWORD dst_unused:UNUSED_PAD src0_sel:DWORD src1_sel:WORD_0
	v_cndmask_b32_e32 v10, v41, v10, vcc
	v_and_b32_e32 v10, v10, v46
	v_cmp_eq_u32_e32 vcc, v10, v37
	s_and_b64 exec, exec, vcc
	s_cbranch_execz .LBB140_192
; %bb.196:                              ;   in Loop: Header=BB140_194 Depth=2
	v_perm_b32 v9, v9, s28, v45
	ds_write_b32 v3, v9 offset:3072
	s_branch .LBB140_192
.LBB140_197:                            ;   in Loop: Header=BB140_194 Depth=2
	v_add_co_u32_e32 v6, vcc, s29, v6
	v_addc_co_u32_e32 v7, vcc, 0, v7, vcc
	v_cmp_le_u64_e32 vcc, s[12:13], v[6:7]
	v_add_u32_e32 v8, s33, v8
	s_mov_b64 s[54:55], 0
	s_orn2_b64 s[0:1], vcc, exec
	s_branch .LBB140_193
.LBB140_198:                            ;   in Loop: Header=BB140_20 Depth=1
                                        ; implicit-def: $sgpr0_sgpr1
	s_branch .LBB140_140
.LBB140_199:                            ;   in Loop: Header=BB140_20 Depth=1
                                        ; implicit-def: $sgpr0_sgpr1
	s_branch .LBB140_159
.LBB140_200:                            ;   in Loop: Header=BB140_20 Depth=1
	s_or_b64 exec, exec, s[10:11]
	v_readlane_b32 s54, v60, 25
	v_lshrrev_b32_e32 v47, 16, v9
	s_and_b64 s[26:27], s[26:27], exec
	v_readlane_b32 s55, v60, 26
.LBB140_201:                            ;   in Loop: Header=BB140_20 Depth=1
	s_or_b64 exec, exec, s[36:37]
.LBB140_202:                            ;   in Loop: Header=BB140_20 Depth=1
	s_and_b64 vcc, exec, s[34:35]
	s_cbranch_vccz .LBB140_216
; %bb.203:                              ;   in Loop: Header=BB140_20 Depth=1
	s_mov_b32 s50, s43
	s_cmp_lg_u64 s[50:51], 0
	s_cbranch_scc0 .LBB140_244
; %bb.204:                              ;   in Loop: Header=BB140_20 Depth=1
	v_cvt_f32_u32_e32 v6, s29
	s_sub_u32 s10, 0, s29
	s_subb_u32 s11, 0, 0
	v_mac_f32_e32 v6, 0, v43
	v_rcp_f32_e32 v6, v6
	v_mul_f32_e32 v6, 0x5f7ffffc, v6
	v_mul_f32_e32 v7, 0x2f800000, v6
	v_trunc_f32_e32 v7, v7
	v_mac_f32_e32 v6, 0xcf800000, v7
	v_cvt_u32_f32_e32 v7, v7
	v_cvt_u32_f32_e32 v6, v6
	v_readfirstlane_b32 s12, v7
	v_readfirstlane_b32 s0, v6
	s_mul_i32 s1, s10, s12
	s_mul_hi_u32 s30, s10, s0
	s_mul_i32 s13, s11, s0
	s_add_i32 s1, s30, s1
	s_mul_i32 s31, s10, s0
	s_add_i32 s1, s1, s13
	s_mul_hi_u32 s30, s0, s31
	s_mul_i32 s34, s0, s1
	s_mul_hi_u32 s13, s0, s1
	s_add_u32 s30, s30, s34
	s_addc_u32 s13, 0, s13
	s_mul_hi_u32 s35, s12, s31
	s_mul_i32 s31, s12, s31
	s_add_u32 s30, s30, s31
	s_mul_hi_u32 s34, s12, s1
	s_addc_u32 s13, s13, s35
	s_addc_u32 s30, s34, 0
	s_mul_i32 s1, s12, s1
	s_add_u32 s1, s13, s1
	s_addc_u32 s13, 0, s30
	s_add_u32 s30, s0, s1
	s_cselect_b64 s[0:1], -1, 0
	s_cmp_lg_u64 s[0:1], 0
	s_addc_u32 s12, s12, s13
	s_mul_i32 s0, s10, s12
	s_mul_hi_u32 s1, s10, s30
	s_add_i32 s0, s1, s0
	s_mul_i32 s11, s11, s30
	s_add_i32 s0, s0, s11
	s_mul_i32 s10, s10, s30
	s_mul_hi_u32 s11, s12, s10
	s_mul_i32 s13, s12, s10
	s_mul_i32 s34, s30, s0
	s_mul_hi_u32 s10, s30, s10
	s_mul_hi_u32 s31, s30, s0
	s_add_u32 s10, s10, s34
	s_addc_u32 s31, 0, s31
	s_add_u32 s10, s10, s13
	s_mul_hi_u32 s1, s12, s0
	s_addc_u32 s10, s31, s11
	s_addc_u32 s1, s1, 0
	s_mul_i32 s0, s12, s0
	s_add_u32 s0, s10, s0
	s_addc_u32 s10, 0, s1
	s_add_u32 s11, s30, s0
	s_cselect_b64 s[0:1], -1, 0
	s_cmp_lg_u64 s[0:1], 0
	s_addc_u32 s0, s12, s10
	s_mul_i32 s10, s8, s0
	s_mul_hi_u32 s12, s8, s11
	s_mul_hi_u32 s1, s8, s0
	s_add_u32 s10, s12, s10
	s_addc_u32 s1, 0, s1
	s_mul_hi_u32 s13, s51, s11
	s_mul_i32 s11, s51, s11
	s_add_u32 s10, s10, s11
	s_mul_hi_u32 s12, s51, s0
	s_addc_u32 s1, s1, s13
	s_addc_u32 s10, s12, 0
	s_mul_i32 s0, s51, s0
	s_add_u32 s0, s1, s0
	s_addc_u32 s1, 0, s10
	s_mul_i32 s1, s29, s1
	s_mul_hi_u32 s10, s29, s0
	s_add_i32 s10, s10, s1
	s_mul_i32 s0, s29, s0
	s_sub_u32 s11, s8, s0
	s_cselect_b64 s[0:1], -1, 0
	s_cmp_lg_u64 s[0:1], 0
	s_subb_u32 s10, s51, s10
	s_sub_u32 s12, s11, s29
	s_cselect_b64 s[0:1], -1, 0
	s_cmp_lg_u64 s[0:1], 0
	s_subb_u32 s13, s10, 0
	;; [unrolled: 4-line block ×3, first 2 shown]
	s_cmp_ge_u32 s12, s29
	s_cselect_b32 s1, -1, 0
	s_cmp_eq_u32 s13, 0
	s_cselect_b32 s1, s1, -1
	s_cmp_lg_u32 s1, 0
	s_cselect_b32 s0, s0, s13
	s_cselect_b32 s12, s30, s12
	s_cmp_ge_u32 s11, s29
	s_cselect_b32 s1, -1, 0
	s_cmp_eq_u32 s10, 0
	s_cselect_b32 s1, s1, -1
	s_cmp_lg_u32 s1, 0
	s_cselect_b32 s1, s0, s10
	s_cselect_b32 s0, s12, s11
	s_cbranch_execnz .LBB140_206
.LBB140_205:                            ;   in Loop: Header=BB140_20 Depth=1
	v_cvt_f32_u32_e32 v6, s29
	s_sub_i32 s0, 0, s29
	v_rcp_iflag_f32_e32 v6, v6
	v_mul_f32_e32 v6, 0x4f7ffffe, v6
	v_cvt_u32_f32_e32 v6, v6
	v_readfirstlane_b32 s1, v6
	s_mul_i32 s0, s0, s1
	s_mul_hi_u32 s0, s1, s0
	s_add_i32 s1, s1, s0
	s_mul_hi_u32 s0, s8, s1
	s_mul_i32 s0, s0, s29
	s_sub_i32 s0, s8, s0
	s_sub_i32 s1, s0, s29
	s_cmp_ge_u32 s0, s29
	s_cselect_b32 s0, s1, s0
	s_sub_i32 s1, s0, s29
	s_cmp_ge_u32 s0, s29
	s_cselect_b32 s42, s1, s0
	s_mov_b64 s[0:1], s[42:43]
.LBB140_206:                            ;   in Loop: Header=BB140_20 Depth=1
	s_sub_u32 s34, s8, s0
	s_subb_u32 s35, s51, s1
	v_cmp_gt_u64_e32 vcc, s[34:35], v[0:1]
                                        ; implicit-def: $vgpr47
	s_and_saveexec_b64 s[30:31], vcc
	s_cbranch_execz .LBB140_215
; %bb.207:                              ;   in Loop: Header=BB140_20 Depth=1
	v_mov_b32_e32 v6, v12
	v_mov_b32_e32 v9, v1
	s_mov_b64 s[10:11], 0
	v_mov_b32_e32 v7, v13
	v_mov_b32_e32 v8, v0
                                        ; implicit-def: $sgpr12_sgpr13
	s_branch .LBB140_210
.LBB140_208:                            ;   in Loop: Header=BB140_210 Depth=2
	s_or_b64 exec, exec, s[0:1]
	s_waitcnt lgkmcnt(0)
	s_barrier
	ds_read_b32 v10, v3 offset:3072
	s_mov_b64 s[0:1], -1
	s_mov_b64 s[36:37], -1
	s_waitcnt lgkmcnt(0)
	s_barrier
	v_and_b32_e32 v11, 0x7fff, v10
	v_cmp_eq_u32_e32 vcc, 0, v11
	s_cbranch_vccnz .LBB140_213
.LBB140_209:                            ;   in Loop: Header=BB140_210 Depth=2
	s_and_b64 s[0:1], exec, s[0:1]
	s_or_b64 s[10:11], s[0:1], s[10:11]
	s_andn2_b64 s[0:1], s[12:13], exec
	s_and_b64 s[12:13], s[36:37], exec
	s_or_b64 s[12:13], s[0:1], s[12:13]
	s_andn2_b64 exec, exec, s[10:11]
	s_cbranch_execz .LBB140_214
.LBB140_210:                            ;   Parent Loop BB140_20 Depth=1
                                        ; =>  This Inner Loop Header: Depth=2
	v_cmp_gt_u64_e32 vcc, s[24:25], v[8:9]
	s_and_saveexec_b64 s[0:1], vcc
	s_cbranch_execz .LBB140_208
; %bb.211:                              ;   in Loop: Header=BB140_210 Depth=2
	global_load_ushort v10, v[6:7], off
	s_waitcnt vmcnt(0)
	v_cmp_lt_i16_e32 vcc, -1, v10
	v_cndmask_b32_e32 v11, v41, v42, vcc
	v_lshlrev_b32_e32 v24, 16, v10
	v_cmp_o_f32_e32 vcc, v24, v24
	v_xor_b32_sdwa v11, v11, v10 dst_sel:DWORD dst_unused:UNUSED_PAD src0_sel:DWORD src1_sel:WORD_0
	v_cndmask_b32_e32 v11, v41, v11, vcc
	v_and_b32_e32 v11, v11, v46
	v_cmp_eq_u32_e32 vcc, v11, v37
	s_and_b64 exec, exec, vcc
	s_cbranch_execz .LBB140_208
; %bb.212:                              ;   in Loop: Header=BB140_210 Depth=2
	v_perm_b32 v10, v10, s28, v45
	ds_write_b32 v3, v10 offset:3072
	s_branch .LBB140_208
.LBB140_213:                            ;   in Loop: Header=BB140_210 Depth=2
	v_add_co_u32_e32 v8, vcc, s29, v8
	v_addc_co_u32_e32 v9, vcc, 0, v9, vcc
	v_mov_b32_e32 v11, s47
	v_add_co_u32_e32 v6, vcc, s46, v6
	v_addc_co_u32_e32 v7, vcc, v7, v11, vcc
	v_cmp_le_u64_e32 vcc, s[34:35], v[8:9]
	s_mov_b64 s[36:37], 0
	s_orn2_b64 s[0:1], vcc, exec
	s_branch .LBB140_209
.LBB140_214:                            ;   in Loop: Header=BB140_20 Depth=1
	s_or_b64 exec, exec, s[10:11]
	s_andn2_b64 s[0:1], s[26:27], exec
	s_and_b64 s[10:11], s[12:13], exec
	v_lshrrev_b32_e32 v47, 16, v10
	s_or_b64 s[26:27], s[0:1], s[10:11]
.LBB140_215:                            ;   in Loop: Header=BB140_20 Depth=1
	s_or_b64 exec, exec, s[30:31]
	s_mov_b64 s[84:85], 0
	s_mov_b64 s[86:87], -1
.LBB140_216:                            ;   in Loop: Header=BB140_20 Depth=1
	s_orn2_b64 s[0:1], s[26:27], exec
.LBB140_217:                            ;   in Loop: Header=BB140_20 Depth=1
	s_or_b64 exec, exec, s[88:89]
	s_mov_b64 s[10:11], 0
	s_and_saveexec_b64 s[88:89], s[0:1]
	s_cbranch_execz .LBB140_275
; %bb.218:                              ;   in Loop: Header=BB140_20 Depth=1
	v_mov_b32_e32 v6, 1
	s_xor_b64 s[0:1], s[90:91], -1
	v_mov_b32_e32 v2, 1
	v_mov_b32_e32 v7, 0
	s_and_saveexec_b64 s[26:27], s[0:1]
	s_cbranch_execz .LBB140_227
; %bb.219:                              ;   in Loop: Header=BB140_20 Depth=1
	v_cmp_ge_u64_e32 vcc, s[76:77], v[4:5]
	s_and_saveexec_b64 s[0:1], vcc
	s_xor_b64 s[0:1], exec, s[0:1]
	s_cbranch_execz .LBB140_224
; %bb.220:                              ;   in Loop: Header=BB140_20 Depth=1
	ds_read_b64 v[6:7], v3 offset:5120
	v_and_b32_e32 v2, s56, v37
	v_lshl_or_b32 v37, 2, s48, v2
	v_or_b32_e32 v46, s92, v46
	s_waitcnt lgkmcnt(0)
	v_cmp_ne_u64_e32 vcc, 0, v[6:7]
	s_cbranch_vccnz .LBB140_224
; %bb.221:                              ;   in Loop: Header=BB140_20 Depth=1
	s_mov_b64 s[10:11], exec
	v_readlane_b32 s12, v60, 12
	v_readlane_b32 s13, v60, 13
	s_and_b64 s[12:13], s[10:11], s[12:13]
	s_mov_b64 exec, s[12:13]
; %bb.222:                              ;   in Loop: Header=BB140_20 Depth=1
	v_mov_b32_e32 v6, s76
	v_mov_b32_e32 v7, s77
	ds_write_b64 v3, v[6:7] offset:5128
; %bb.223:                              ;   in Loop: Header=BB140_20 Depth=1
	s_or_b64 exec, exec, s[10:11]
	s_waitcnt lgkmcnt(0)
	s_barrier
.LBB140_224:                            ;   in Loop: Header=BB140_20 Depth=1
	s_or_saveexec_b64 s[0:1], s[0:1]
	s_mov_b64 s[10:11], 0
	v_mov_b32_e32 v2, 8
	s_xor_b64 exec, exec, s[0:1]
; %bb.225:                              ;   in Loop: Header=BB140_20 Depth=1
	v_subrev_co_u32_e32 v4, vcc, s76, v4
	v_mov_b32_e32 v2, s77
	v_subb_co_u32_e32 v5, vcc, v5, v2, vcc
	v_mov_b32_e32 v2, 0
	s_mov_b64 s[10:11], exec
; %bb.226:                              ;   in Loop: Header=BB140_20 Depth=1
	s_or_b64 exec, exec, s[0:1]
	v_mov_b32_e32 v7, v5
	s_and_b64 s[10:11], s[10:11], exec
	v_mov_b32_e32 v6, v4
.LBB140_227:                            ;   in Loop: Header=BB140_20 Depth=1
	s_or_b64 exec, exec, s[26:27]
	s_mov_b64 s[0:1], -1
                                        ; implicit-def: $sgpr26_sgpr27
                                        ; implicit-def: $sgpr94_sgpr95
	s_and_saveexec_b64 s[76:77], s[10:11]
	s_cbranch_execz .LBB140_274
; %bb.228:                              ;   in Loop: Header=BB140_20 Depth=1
	s_cmp_eq_u64 s[14:15], 1
	v_cmp_eq_u64_e32 vcc, 1, v[6:7]
	s_cselect_b64 s[0:1], -1, 0
	s_and_b64 s[10:11], s[0:1], vcc
	s_mov_b64 s[0:1], -1
                                        ; implicit-def: $sgpr26_sgpr27
                                        ; implicit-def: $sgpr94_sgpr95
	s_mov_b64 s[90:91], exec
	v_writelane_b32 v60, s10, 27
	v_writelane_b32 v60, s11, 28
	s_and_b64 s[10:11], s[90:91], s[10:11]
	s_mov_b64 exec, s[10:11]
	s_cbranch_execz .LBB140_262
; %bb.229:                              ;   in Loop: Header=BB140_20 Depth=1
	ds_read_b64 v[4:5], v3 offset:5120
	s_waitcnt lgkmcnt(0)
	s_barrier
	v_readfirstlane_b32 s34, v4
	v_readfirstlane_b32 s35, v5
	s_and_saveexec_b64 s[0:1], s[16:17]
; %bb.230:                              ;   in Loop: Header=BB140_20 Depth=1
	ds_write_b16 v39, v3
; %bb.231:                              ;   in Loop: Header=BB140_20 Depth=1
	s_or_b64 exec, exec, s[0:1]
	v_or_b32_e32 v37, s92, v37
	v_or_b32_e32 v46, s92, v46
	s_mov_b64 s[94:95], -1
	s_mov_b64 s[26:27], 0
	s_cmp_eq_u64 s[34:35], 0
	s_mov_b64 s[30:31], 0
	s_mov_b64 s[36:37], -1
	s_waitcnt lgkmcnt(0)
	s_barrier
                                        ; implicit-def: $vgpr47
	s_cbranch_scc1 .LBB140_247
; %bb.232:                              ;   in Loop: Header=BB140_20 Depth=1
	s_add_u32 s12, s34, s93
	s_addc_u32 s31, s35, s57
	s_mov_b32 s30, s43
	s_cmp_lg_u64 s[30:31], 0
	s_cbranch_scc0 .LBB140_281
; %bb.233:                              ;   in Loop: Header=BB140_20 Depth=1
	v_cvt_f32_u32_e32 v4, s29
	s_sub_u32 s10, 0, s29
	s_subb_u32 s11, 0, 0
	v_mac_f32_e32 v4, 0, v43
	v_rcp_f32_e32 v4, v4
	v_mul_f32_e32 v4, 0x5f7ffffc, v4
	v_mul_f32_e32 v5, 0x2f800000, v4
	v_trunc_f32_e32 v5, v5
	v_mac_f32_e32 v4, 0xcf800000, v5
	v_cvt_u32_f32_e32 v5, v5
	v_cvt_u32_f32_e32 v4, v4
	v_readfirstlane_b32 s13, v5
	v_readfirstlane_b32 s0, v4
	s_mul_i32 s1, s10, s13
	s_mul_hi_u32 s36, s10, s0
	s_mul_i32 s30, s11, s0
	s_add_i32 s1, s36, s1
	s_mul_i32 s37, s10, s0
	s_add_i32 s1, s1, s30
	s_mul_hi_u32 s36, s0, s37
	s_mul_i32 s42, s0, s1
	s_mul_hi_u32 s30, s0, s1
	s_add_u32 s36, s36, s42
	s_addc_u32 s30, 0, s30
	s_mul_hi_u32 s50, s13, s37
	s_mul_i32 s37, s13, s37
	s_add_u32 s36, s36, s37
	s_mul_hi_u32 s42, s13, s1
	s_addc_u32 s30, s30, s50
	s_addc_u32 s36, s42, 0
	s_mul_i32 s1, s13, s1
	s_add_u32 s1, s30, s1
	s_addc_u32 s30, 0, s36
	s_add_u32 s36, s0, s1
	s_cselect_b64 s[0:1], -1, 0
	s_cmp_lg_u64 s[0:1], 0
	s_addc_u32 s13, s13, s30
	s_mul_i32 s0, s10, s13
	s_mul_hi_u32 s1, s10, s36
	s_add_i32 s0, s1, s0
	s_mul_i32 s11, s11, s36
	s_add_i32 s0, s0, s11
	s_mul_i32 s10, s10, s36
	s_mul_hi_u32 s11, s13, s10
	s_mul_i32 s30, s13, s10
	s_mul_i32 s42, s36, s0
	s_mul_hi_u32 s10, s36, s10
	s_mul_hi_u32 s37, s36, s0
	s_add_u32 s10, s10, s42
	s_addc_u32 s37, 0, s37
	s_add_u32 s10, s10, s30
	s_mul_hi_u32 s1, s13, s0
	s_addc_u32 s10, s37, s11
	s_addc_u32 s1, s1, 0
	s_mul_i32 s0, s13, s0
	s_add_u32 s0, s10, s0
	s_addc_u32 s10, 0, s1
	s_add_u32 s11, s36, s0
	s_cselect_b64 s[0:1], -1, 0
	s_cmp_lg_u64 s[0:1], 0
	s_addc_u32 s0, s13, s10
	s_mul_i32 s10, s12, s0
	s_mul_hi_u32 s13, s12, s11
	s_mul_hi_u32 s1, s12, s0
	s_add_u32 s10, s13, s10
	s_addc_u32 s1, 0, s1
	s_mul_hi_u32 s30, s31, s11
	s_mul_i32 s11, s31, s11
	s_add_u32 s10, s10, s11
	s_mul_hi_u32 s13, s31, s0
	s_addc_u32 s1, s1, s30
	s_addc_u32 s10, s13, 0
	s_mul_i32 s0, s31, s0
	s_add_u32 s0, s1, s0
	s_addc_u32 s1, 0, s10
	s_mul_i32 s1, s29, s1
	s_mul_hi_u32 s10, s29, s0
	s_add_i32 s10, s10, s1
	s_mul_i32 s0, s29, s0
	s_sub_u32 s11, s12, s0
	s_cselect_b64 s[0:1], -1, 0
	s_cmp_lg_u64 s[0:1], 0
	s_subb_u32 s10, s31, s10
	s_sub_u32 s13, s11, s29
	s_cselect_b64 s[0:1], -1, 0
	s_cmp_lg_u64 s[0:1], 0
	s_subb_u32 s30, s10, 0
	;; [unrolled: 4-line block ×3, first 2 shown]
	s_cmp_ge_u32 s13, s29
	s_cselect_b32 s1, -1, 0
	s_cmp_eq_u32 s30, 0
	s_cselect_b32 s1, s1, -1
	s_cmp_lg_u32 s1, 0
	s_cselect_b32 s0, s0, s30
	s_cselect_b32 s13, s36, s13
	s_cmp_ge_u32 s11, s29
	s_cselect_b32 s1, -1, 0
	s_cmp_eq_u32 s10, 0
	s_cselect_b32 s1, s1, -1
	s_cmp_lg_u32 s1, 0
	s_cselect_b32 s1, s0, s10
	s_cselect_b32 s0, s13, s11
	s_cbranch_execnz .LBB140_235
.LBB140_234:                            ;   in Loop: Header=BB140_20 Depth=1
	v_cvt_f32_u32_e32 v4, s29
	s_sub_i32 s0, 0, s29
	v_rcp_iflag_f32_e32 v4, v4
	v_mul_f32_e32 v4, 0x4f7ffffe, v4
	v_cvt_u32_f32_e32 v4, v4
	v_readfirstlane_b32 s1, v4
	s_mul_i32 s0, s0, s1
	s_mul_hi_u32 s0, s1, s0
	s_add_i32 s1, s1, s0
	s_mul_hi_u32 s0, s12, s1
	s_mul_i32 s0, s0, s29
	s_sub_i32 s0, s12, s0
	s_sub_i32 s1, s0, s29
	s_cmp_ge_u32 s0, s29
	s_cselect_b32 s0, s1, s0
	s_sub_i32 s1, s0, s29
	s_cmp_ge_u32 s0, s29
	s_cselect_b32 s42, s1, s0
	s_mov_b64 s[0:1], s[42:43]
.LBB140_235:                            ;   in Loop: Header=BB140_20 Depth=1
	s_sub_u32 s10, s12, s0
	s_subb_u32 s11, s31, s1
	v_cmp_gt_u64_e32 vcc, s[10:11], v[0:1]
	s_mov_b64 s[36:37], 0
	s_mov_b64 s[30:31], 0
                                        ; implicit-def: $vgpr47
	s_and_saveexec_b64 s[12:13], vcc
	s_cbranch_execz .LBB140_246
; %bb.236:                              ;   in Loop: Header=BB140_20 Depth=1
	v_mov_b32_e32 v5, v1
	s_mov_b32 s42, s57
	v_mov_b32_e32 v8, v38
	v_mov_b32_e32 v4, v0
                                        ; implicit-def: $sgpr0_sgpr1
	s_branch .LBB140_239
.LBB140_237:                            ;   in Loop: Header=BB140_239 Depth=2
	s_or_b64 exec, exec, s[54:55]
	s_waitcnt lgkmcnt(0)
	s_barrier
	ds_read_b32 v9, v3 offset:3072
	s_mov_b64 s[54:55], -1
	s_mov_b64 s[56:57], -1
	s_waitcnt lgkmcnt(0)
	s_barrier
	v_and_b32_e32 v10, 0x7fff, v9
	v_cmp_ne_u32_e32 vcc, 0, v10
	s_cbranch_vccz .LBB140_242
.LBB140_238:                            ;   in Loop: Header=BB140_239 Depth=2
	s_and_b64 s[54:55], exec, s[54:55]
	s_or_b64 s[30:31], s[54:55], s[30:31]
	s_andn2_b64 s[0:1], s[0:1], exec
	s_and_b64 s[54:55], s[56:57], exec
	s_or_b64 s[0:1], s[0:1], s[54:55]
	s_andn2_b64 exec, exec, s[30:31]
	s_cbranch_execz .LBB140_245
.LBB140_239:                            ;   Parent Loop BB140_20 Depth=1
                                        ; =>  This Inner Loop Header: Depth=2
	v_cmp_gt_u64_e32 vcc, s[34:35], v[4:5]
	s_and_saveexec_b64 s[54:55], vcc
	s_cbranch_execz .LBB140_237
; %bb.240:                              ;   in Loop: Header=BB140_239 Depth=2
	ds_read_u16 v9, v8
	s_waitcnt lgkmcnt(0)
	v_cmp_lt_i16_e32 vcc, -1, v9
	v_cndmask_b32_e32 v10, v41, v42, vcc
	v_lshlrev_b32_e32 v11, 16, v9
	v_cmp_o_f32_e32 vcc, v11, v11
	v_xor_b32_sdwa v10, v10, v9 dst_sel:DWORD dst_unused:UNUSED_PAD src0_sel:DWORD src1_sel:WORD_0
	v_cndmask_b32_e32 v10, v41, v10, vcc
	v_and_b32_e32 v10, v10, v46
	v_cmp_eq_u32_e32 vcc, v10, v37
	s_and_b64 exec, exec, vcc
	s_cbranch_execz .LBB140_237
; %bb.241:                              ;   in Loop: Header=BB140_239 Depth=2
	v_perm_b32 v9, v9, s28, v45
	ds_write_b32 v3, v9 offset:3072
	s_branch .LBB140_237
.LBB140_242:                            ;   in Loop: Header=BB140_239 Depth=2
	v_add_co_u32_e32 v4, vcc, s29, v4
	v_addc_co_u32_e32 v5, vcc, 0, v5, vcc
	v_cmp_le_u64_e32 vcc, s[10:11], v[4:5]
	v_add_u32_e32 v8, s33, v8
	s_mov_b64 s[56:57], 0
	s_orn2_b64 s[54:55], vcc, exec
	s_branch .LBB140_238
.LBB140_243:                            ;   in Loop: Header=BB140_20 Depth=1
                                        ; implicit-def: $sgpr0_sgpr1
	s_branch .LBB140_189
.LBB140_244:                            ;   in Loop: Header=BB140_20 Depth=1
                                        ; implicit-def: $sgpr0_sgpr1
	s_branch .LBB140_205
.LBB140_245:                            ;   in Loop: Header=BB140_20 Depth=1
	s_or_b64 exec, exec, s[30:31]
	v_readlane_b32 s54, v60, 25
	v_lshrrev_b32_e32 v47, 16, v9
	s_and_b64 s[30:31], s[0:1], exec
	v_readlane_b32 s55, v60, 26
	s_mov_b32 s57, s42
.LBB140_246:                            ;   in Loop: Header=BB140_20 Depth=1
	s_or_b64 exec, exec, s[12:13]
.LBB140_247:                            ;   in Loop: Header=BB140_20 Depth=1
	s_and_b64 vcc, exec, s[36:37]
	s_cbranch_vccz .LBB140_261
; %bb.248:                              ;   in Loop: Header=BB140_20 Depth=1
	s_mov_b32 s50, s43
	s_cmp_lg_u64 s[50:51], 0
	s_cbranch_scc0 .LBB140_282
; %bb.249:                              ;   in Loop: Header=BB140_20 Depth=1
	v_cvt_f32_u32_e32 v4, s29
	s_sub_u32 s10, 0, s29
	s_subb_u32 s11, 0, 0
	v_mac_f32_e32 v4, 0, v43
	v_rcp_f32_e32 v4, v4
	v_mul_f32_e32 v4, 0x5f7ffffc, v4
	v_mul_f32_e32 v5, 0x2f800000, v4
	v_trunc_f32_e32 v5, v5
	v_mac_f32_e32 v4, 0xcf800000, v5
	v_cvt_u32_f32_e32 v5, v5
	v_cvt_u32_f32_e32 v4, v4
	v_readfirstlane_b32 s12, v5
	v_readfirstlane_b32 s0, v4
	s_mul_i32 s1, s10, s12
	s_mul_hi_u32 s26, s10, s0
	s_mul_i32 s13, s11, s0
	s_add_i32 s1, s26, s1
	s_mul_i32 s27, s10, s0
	s_add_i32 s1, s1, s13
	s_mul_hi_u32 s26, s0, s27
	s_mul_i32 s34, s0, s1
	s_mul_hi_u32 s13, s0, s1
	s_add_u32 s26, s26, s34
	s_addc_u32 s13, 0, s13
	s_mul_hi_u32 s35, s12, s27
	s_mul_i32 s27, s12, s27
	s_add_u32 s26, s26, s27
	s_mul_hi_u32 s34, s12, s1
	s_addc_u32 s13, s13, s35
	s_addc_u32 s26, s34, 0
	s_mul_i32 s1, s12, s1
	s_add_u32 s1, s13, s1
	s_addc_u32 s13, 0, s26
	s_add_u32 s26, s0, s1
	s_cselect_b64 s[0:1], -1, 0
	s_cmp_lg_u64 s[0:1], 0
	s_addc_u32 s12, s12, s13
	s_mul_i32 s0, s10, s12
	s_mul_hi_u32 s1, s10, s26
	s_add_i32 s0, s1, s0
	s_mul_i32 s11, s11, s26
	s_add_i32 s0, s0, s11
	s_mul_i32 s10, s10, s26
	s_mul_hi_u32 s11, s12, s10
	s_mul_i32 s13, s12, s10
	s_mul_i32 s34, s26, s0
	s_mul_hi_u32 s10, s26, s10
	s_mul_hi_u32 s27, s26, s0
	s_add_u32 s10, s10, s34
	s_addc_u32 s27, 0, s27
	s_add_u32 s10, s10, s13
	s_mul_hi_u32 s1, s12, s0
	s_addc_u32 s10, s27, s11
	s_addc_u32 s1, s1, 0
	s_mul_i32 s0, s12, s0
	s_add_u32 s0, s10, s0
	s_addc_u32 s10, 0, s1
	s_add_u32 s11, s26, s0
	s_cselect_b64 s[0:1], -1, 0
	s_cmp_lg_u64 s[0:1], 0
	s_addc_u32 s0, s12, s10
	s_mul_i32 s10, s8, s0
	s_mul_hi_u32 s12, s8, s11
	s_mul_hi_u32 s1, s8, s0
	s_add_u32 s10, s12, s10
	s_addc_u32 s1, 0, s1
	s_mul_hi_u32 s13, s51, s11
	s_mul_i32 s11, s51, s11
	s_add_u32 s10, s10, s11
	s_mul_hi_u32 s12, s51, s0
	s_addc_u32 s1, s1, s13
	s_addc_u32 s10, s12, 0
	s_mul_i32 s0, s51, s0
	s_add_u32 s0, s1, s0
	s_addc_u32 s1, 0, s10
	s_mul_i32 s1, s29, s1
	s_mul_hi_u32 s10, s29, s0
	s_add_i32 s10, s10, s1
	s_mul_i32 s0, s29, s0
	s_sub_u32 s11, s8, s0
	s_cselect_b64 s[0:1], -1, 0
	s_cmp_lg_u64 s[0:1], 0
	s_subb_u32 s10, s51, s10
	s_sub_u32 s12, s11, s29
	s_cselect_b64 s[0:1], -1, 0
	s_cmp_lg_u64 s[0:1], 0
	s_subb_u32 s13, s10, 0
	;; [unrolled: 4-line block ×3, first 2 shown]
	s_cmp_ge_u32 s12, s29
	s_cselect_b32 s1, -1, 0
	s_cmp_eq_u32 s13, 0
	s_cselect_b32 s1, s1, -1
	s_cmp_lg_u32 s1, 0
	s_cselect_b32 s0, s0, s13
	s_cselect_b32 s12, s26, s12
	s_cmp_ge_u32 s11, s29
	s_cselect_b32 s1, -1, 0
	s_cmp_eq_u32 s10, 0
	s_cselect_b32 s1, s1, -1
	s_cmp_lg_u32 s1, 0
	s_cselect_b32 s1, s0, s10
	s_cselect_b32 s0, s12, s11
	s_cbranch_execnz .LBB140_251
.LBB140_250:                            ;   in Loop: Header=BB140_20 Depth=1
	v_cvt_f32_u32_e32 v4, s29
	s_sub_i32 s0, 0, s29
	v_rcp_iflag_f32_e32 v4, v4
	v_mul_f32_e32 v4, 0x4f7ffffe, v4
	v_cvt_u32_f32_e32 v4, v4
	v_readfirstlane_b32 s1, v4
	s_mul_i32 s0, s0, s1
	s_mul_hi_u32 s0, s1, s0
	s_add_i32 s1, s1, s0
	s_mul_hi_u32 s0, s8, s1
	s_mul_i32 s0, s0, s29
	s_sub_i32 s0, s8, s0
	s_sub_i32 s1, s0, s29
	s_cmp_ge_u32 s0, s29
	s_cselect_b32 s0, s1, s0
	s_sub_i32 s1, s0, s29
	s_cmp_ge_u32 s0, s29
	s_cselect_b32 s42, s1, s0
	s_mov_b64 s[0:1], s[42:43]
.LBB140_251:                            ;   in Loop: Header=BB140_20 Depth=1
	s_sub_u32 s34, s8, s0
	s_subb_u32 s35, s51, s1
	v_cmp_gt_u64_e32 vcc, s[34:35], v[0:1]
                                        ; implicit-def: $vgpr47
	s_and_saveexec_b64 s[26:27], vcc
	s_cbranch_execz .LBB140_260
; %bb.252:                              ;   in Loop: Header=BB140_20 Depth=1
	v_mov_b32_e32 v4, v12
	v_mov_b32_e32 v9, v1
	s_mov_b64 s[10:11], 0
	v_mov_b32_e32 v5, v13
	v_mov_b32_e32 v8, v0
                                        ; implicit-def: $sgpr12_sgpr13
	s_branch .LBB140_255
.LBB140_253:                            ;   in Loop: Header=BB140_255 Depth=2
	s_or_b64 exec, exec, s[0:1]
	s_waitcnt lgkmcnt(0)
	s_barrier
	ds_read_b32 v10, v3 offset:3072
	s_mov_b64 s[0:1], -1
	s_mov_b64 s[36:37], -1
	s_waitcnt lgkmcnt(0)
	s_barrier
	v_and_b32_e32 v11, 0x7fff, v10
	v_cmp_eq_u32_e32 vcc, 0, v11
	s_cbranch_vccnz .LBB140_258
.LBB140_254:                            ;   in Loop: Header=BB140_255 Depth=2
	s_and_b64 s[0:1], exec, s[0:1]
	s_or_b64 s[10:11], s[0:1], s[10:11]
	s_andn2_b64 s[0:1], s[12:13], exec
	s_and_b64 s[12:13], s[36:37], exec
	s_or_b64 s[12:13], s[0:1], s[12:13]
	s_andn2_b64 exec, exec, s[10:11]
	s_cbranch_execz .LBB140_259
.LBB140_255:                            ;   Parent Loop BB140_20 Depth=1
                                        ; =>  This Inner Loop Header: Depth=2
	v_cmp_gt_u64_e32 vcc, s[24:25], v[8:9]
	s_and_saveexec_b64 s[0:1], vcc
	s_cbranch_execz .LBB140_253
; %bb.256:                              ;   in Loop: Header=BB140_255 Depth=2
	global_load_ushort v10, v[4:5], off
	s_waitcnt vmcnt(0)
	v_cmp_lt_i16_e32 vcc, -1, v10
	v_cndmask_b32_e32 v11, v41, v42, vcc
	v_lshlrev_b32_e32 v24, 16, v10
	v_cmp_o_f32_e32 vcc, v24, v24
	v_xor_b32_sdwa v11, v11, v10 dst_sel:DWORD dst_unused:UNUSED_PAD src0_sel:DWORD src1_sel:WORD_0
	v_cndmask_b32_e32 v11, v41, v11, vcc
	v_and_b32_e32 v11, v11, v46
	v_cmp_eq_u32_e32 vcc, v11, v37
	s_and_b64 exec, exec, vcc
	s_cbranch_execz .LBB140_253
; %bb.257:                              ;   in Loop: Header=BB140_255 Depth=2
	v_perm_b32 v10, v10, s28, v45
	ds_write_b32 v3, v10 offset:3072
	s_branch .LBB140_253
.LBB140_258:                            ;   in Loop: Header=BB140_255 Depth=2
	v_add_co_u32_e32 v8, vcc, s29, v8
	v_addc_co_u32_e32 v9, vcc, 0, v9, vcc
	v_mov_b32_e32 v11, s47
	v_add_co_u32_e32 v4, vcc, s46, v4
	v_addc_co_u32_e32 v5, vcc, v5, v11, vcc
	v_cmp_le_u64_e32 vcc, s[34:35], v[8:9]
	s_mov_b64 s[36:37], 0
	s_orn2_b64 s[0:1], vcc, exec
	s_branch .LBB140_254
.LBB140_259:                            ;   in Loop: Header=BB140_20 Depth=1
	s_or_b64 exec, exec, s[10:11]
	s_andn2_b64 s[0:1], s[30:31], exec
	s_and_b64 s[10:11], s[12:13], exec
	v_lshrrev_b32_e32 v47, 16, v10
	s_or_b64 s[30:31], s[0:1], s[10:11]
.LBB140_260:                            ;   in Loop: Header=BB140_20 Depth=1
	s_or_b64 exec, exec, s[26:27]
	s_mov_b64 s[94:95], 0
	s_mov_b64 s[26:27], -1
.LBB140_261:                            ;   in Loop: Header=BB140_20 Depth=1
	s_orn2_b64 s[0:1], s[30:31], exec
.LBB140_262:                            ;   in Loop: Header=BB140_20 Depth=1
	s_or_b64 exec, exec, s[90:91]
	s_mov_b64 s[10:11], 0
	s_and_saveexec_b64 s[30:31], s[0:1]
	s_cbranch_execz .LBB140_273
; %bb.263:                              ;   in Loop: Header=BB140_20 Depth=1
	v_readlane_b32 s0, v60, 27
	v_readlane_b32 s1, v60, 28
	v_mov_b32_e32 v4, 1
	s_xor_b64 s[0:1], s[0:1], -1
	v_mov_b32_e32 v5, 0
	v_mov_b32_e32 v2, 1
	s_and_saveexec_b64 s[10:11], s[0:1]
	s_cbranch_execz .LBB140_272
; %bb.264:                              ;   in Loop: Header=BB140_20 Depth=1
	v_cmp_ge_u64_e32 vcc, s[14:15], v[6:7]
	s_and_saveexec_b64 s[0:1], vcc
	s_xor_b64 s[0:1], exec, s[0:1]
	s_cbranch_execz .LBB140_269
; %bb.265:                              ;   in Loop: Header=BB140_20 Depth=1
	ds_read_b64 v[4:5], v3 offset:5120
	v_or_b32_e32 v37, s92, v37
	v_or_b32_e32 v46, s92, v46
	s_waitcnt lgkmcnt(0)
	v_cmp_ne_u64_e32 vcc, 0, v[4:5]
	s_cbranch_vccnz .LBB140_269
; %bb.266:                              ;   in Loop: Header=BB140_20 Depth=1
	s_mov_b64 s[12:13], exec
	v_readlane_b32 s34, v60, 12
	v_readlane_b32 s35, v60, 13
	s_and_b64 s[34:35], s[12:13], s[34:35]
	s_mov_b64 exec, s[34:35]
; %bb.267:                              ;   in Loop: Header=BB140_20 Depth=1
	v_mov_b32_e32 v4, s14
	v_mov_b32_e32 v5, s15
	ds_write_b64 v3, v[4:5] offset:5128
; %bb.268:                              ;   in Loop: Header=BB140_20 Depth=1
	s_or_b64 exec, exec, s[12:13]
	s_waitcnt lgkmcnt(0)
	s_barrier
.LBB140_269:                            ;   in Loop: Header=BB140_20 Depth=1
	s_andn2_saveexec_b64 s[0:1], s[0:1]
; %bb.270:                              ;   in Loop: Header=BB140_20 Depth=1
	v_mov_b32_e32 v2, s15
	v_subrev_co_u32_e32 v6, vcc, s14, v6
	v_subb_co_u32_e32 v7, vcc, v7, v2, vcc
; %bb.271:                              ;   in Loop: Header=BB140_20 Depth=1
	s_or_b64 exec, exec, s[0:1]
	v_mov_b32_e32 v4, v6
	v_mov_b32_e32 v2, 8
	;; [unrolled: 1-line block ×3, first 2 shown]
.LBB140_272:                            ;   in Loop: Header=BB140_20 Depth=1
	s_or_b64 exec, exec, s[10:11]
	v_mov_b32_e32 v7, v5
	s_mov_b64 s[10:11], exec
	v_mov_b32_e32 v6, v4
.LBB140_273:                            ;   in Loop: Header=BB140_20 Depth=1
	s_or_b64 exec, exec, s[30:31]
	s_orn2_b64 s[0:1], s[10:11], exec
.LBB140_274:                            ;   in Loop: Header=BB140_20 Depth=1
	s_or_b64 exec, exec, s[76:77]
	s_andn2_b64 s[10:11], s[86:87], exec
	s_and_b64 s[12:13], s[26:27], exec
	s_or_b64 s[86:87], s[10:11], s[12:13]
	s_andn2_b64 s[10:11], s[84:85], exec
	s_and_b64 s[12:13], s[94:95], exec
	v_mov_b32_e32 v4, v6
	s_or_b64 s[84:85], s[10:11], s[12:13]
	s_and_b64 s[10:11], s[0:1], exec
	v_mov_b32_e32 v5, v7
.LBB140_275:                            ;   in Loop: Header=BB140_20 Depth=1
	s_or_b64 exec, exec, s[88:89]
	s_orn2_b64 s[0:1], s[10:11], exec
.LBB140_276:                            ;   in Loop: Header=BB140_20 Depth=1
	s_or_b64 exec, exec, s[82:83]
	s_andn2_b64 s[10:11], s[78:79], exec
	s_and_b64 s[12:13], s[86:87], exec
	s_or_b64 s[78:79], s[10:11], s[12:13]
	s_andn2_b64 s[6:7], s[6:7], exec
	s_and_b64 s[10:11], s[84:85], exec
	v_mov_b32_e32 v9, v5
	s_or_b64 s[6:7], s[6:7], s[10:11]
	s_and_b64 s[10:11], s[0:1], exec
	v_mov_b32_e32 v8, v4
.LBB140_277:                            ;   in Loop: Header=BB140_20 Depth=1
	s_or_b64 exec, exec, s[80:81]
	s_orn2_b64 s[0:1], s[10:11], exec
.LBB140_278:                            ;   in Loop: Header=BB140_20 Depth=1
	s_or_b64 exec, exec, s[22:23]
	s_mov_b64 s[10:11], 0
	s_and_saveexec_b64 s[12:13], s[0:1]
	s_xor_b64 s[0:1], exec, s[12:13]
	s_cbranch_execz .LBB140_18
; %bb.279:                              ;   in Loop: Header=BB140_20 Depth=1
	v_and_b32_e32 v2, 7, v2
	v_cmp_eq_u32_e32 vcc, 0, v2
	s_mov_b64 s[12:13], -1
	s_mov_b64 s[10:11], -1
	s_and_saveexec_b64 s[14:15], vcc
	s_cbranch_execz .LBB140_17
; %bb.280:                              ;   in Loop: Header=BB140_20 Depth=1
	s_xor_b32 s49, s49, 1
	s_add_i32 s20, s48, -2
	s_cmp_eq_u32 s48, 0
	s_cselect_b64 s[12:13], -1, 0
	s_xor_b64 s[10:11], exec, -1
	s_orn2_b64 s[12:13], s[12:13], exec
	s_mov_b32 s48, s20
	s_branch .LBB140_17
.LBB140_281:                            ;   in Loop: Header=BB140_20 Depth=1
                                        ; implicit-def: $sgpr0_sgpr1
	s_branch .LBB140_234
.LBB140_282:                            ;   in Loop: Header=BB140_20 Depth=1
                                        ; implicit-def: $sgpr0_sgpr1
	s_branch .LBB140_250
.LBB140_283:
	s_or_b64 exec, exec, s[62:63]
	s_xor_b64 s[4:5], s[68:69], -1
	s_xor_b64 s[2:3], s[64:65], -1
	;; [unrolled: 1-line block ×3, first 2 shown]
	s_mov_b64 s[0:1], 0
	s_and_saveexec_b64 s[8:9], s[2:3]
	s_xor_b64 s[2:3], exec, s[8:9]
	s_cbranch_execnz .LBB140_288
; %bb.284:
	s_andn2_saveexec_b64 s[2:3], s[2:3]
	s_cbranch_execnz .LBB140_301
.LBB140_285:
	s_or_b64 exec, exec, s[2:3]
	s_and_saveexec_b64 s[2:3], s[0:1]
.LBB140_286:
	; divergent unreachable
.LBB140_287:
	s_endpgm
.LBB140_288:
	s_and_saveexec_b64 s[0:1], s[4:5]
	s_xor_b64 s[4:5], exec, s[0:1]
	s_cbranch_execz .LBB140_299
; %bb.289:
	s_and_saveexec_b64 s[0:1], s[6:7]
	s_xor_b64 s[0:1], exec, s[0:1]
; %bb.290:
	v_and_b32_e32 v2, 0x8000, v37
	v_mov_b32_e32 v3, 0x8000
	v_mov_b32_e32 v4, 0xffff
	v_cmp_eq_u32_e32 vcc, 0, v2
	v_cndmask_b32_e32 v2, v3, v4, vcc
	v_xor_b32_e32 v47, v2, v37
; %bb.291:
	s_or_b64 exec, exec, s[0:1]
	v_readlane_b32 s0, v60, 8
	v_readlane_b32 s8, v60, 4
	;; [unrolled: 1-line block ×3, first 2 shown]
	s_mov_b32 s6, s0
	v_readlane_b32 s9, v60, 5
	s_mul_i32 s0, s9, s0
	s_mul_hi_u32 s1, s8, s6
	s_add_i32 s1, s1, s0
	s_mul_i32 s0, s8, s6
	s_lshl_b64 s[0:1], s[0:1], 1
	v_readlane_b32 s6, v60, 6
	v_readlane_b32 s7, v60, 7
	s_add_u32 s0, s6, s0
	s_addc_u32 s1, s7, s1
	v_mov_b32_e32 v2, 0
	global_store_short v2, v47, s[0:1]
	s_mov_b64 s[6:7], exec
	v_readlane_b32 s0, v60, 10
	v_readlane_b32 s1, v60, 11
	s_and_b64 s[0:1], s[6:7], s[0:1]
	s_mov_b64 exec, s[0:1]
	s_cbranch_execz .LBB140_298
; %bb.292:
	v_lshlrev_b32_e32 v4, 16, v47
	v_cmp_u_f32_e32 vcc, v4, v4
	s_mov_b64 s[8:9], 0
	s_xor_b64 s[12:13], vcc, -1
                                        ; implicit-def: $sgpr10_sgpr11
                                        ; implicit-def: $sgpr16_sgpr17
                                        ; implicit-def: $sgpr14_sgpr15
	s_branch .LBB140_294
.LBB140_293:                            ;   in Loop: Header=BB140_294 Depth=1
	s_or_b64 exec, exec, s[0:1]
	s_and_b64 s[0:1], exec, s[16:17]
	s_or_b64 s[8:9], s[0:1], s[8:9]
	s_andn2_b64 s[0:1], s[10:11], exec
	s_and_b64 s[10:11], s[14:15], exec
	s_or_b64 s[10:11], s[0:1], s[10:11]
	s_andn2_b64 exec, exec, s[8:9]
	s_cbranch_execz .LBB140_296
.LBB140_294:                            ; =>This Inner Loop Header: Depth=1
	global_load_ushort v5, v[12:13], off
	v_mov_b32_e32 v3, v1
	v_mov_b32_e32 v2, v0
	s_or_b64 s[14:15], s[14:15], exec
	s_or_b64 s[16:17], s[16:17], exec
	s_waitcnt vmcnt(0)
	v_lshlrev_b32_e32 v0, 16, v5
	v_cmp_o_f32_e64 s[0:1], v0, v0
	v_cmp_neq_f32_e32 vcc, v0, v4
	s_or_b64 s[0:1], s[12:13], s[0:1]
	s_and_b64 s[18:19], vcc, s[0:1]
                                        ; implicit-def: $vgpr0_vgpr1
	s_and_saveexec_b64 s[0:1], s[18:19]
	s_cbranch_execz .LBB140_293
; %bb.295:                              ;   in Loop: Header=BB140_294 Depth=1
	v_add_co_u32_e32 v0, vcc, s29, v2
	v_addc_co_u32_e32 v1, vcc, 0, v3, vcc
	v_mov_b32_e32 v5, s47
	v_add_co_u32_e32 v12, vcc, s46, v12
	v_addc_co_u32_e32 v13, vcc, v13, v5, vcc
	v_cmp_le_u64_e32 vcc, s[24:25], v[0:1]
	s_andn2_b64 s[16:17], s[16:17], exec
	s_and_b64 s[18:19], vcc, exec
	s_andn2_b64 s[14:15], s[14:15], exec
	s_or_b64 s[16:17], s[16:17], s[18:19]
	s_branch .LBB140_293
.LBB140_296:
	s_or_b64 exec, exec, s[8:9]
	s_and_saveexec_b64 s[0:1], s[10:11]
	s_xor_b64 s[0:1], exec, s[0:1]
	s_cbranch_execz .LBB140_298
; %bb.297:
	v_readlane_b32 s0, v60, 8
	v_readlane_b32 s10, v60, 0
	;; [unrolled: 1-line block ×3, first 2 shown]
	s_mov_b32 s8, s0
	v_readlane_b32 s11, v60, 1
	s_mul_i32 s0, s11, s0
	s_mul_hi_u32 s1, s10, s8
	s_add_i32 s1, s1, s0
	s_mul_i32 s0, s10, s8
	s_lshl_b64 s[0:1], s[0:1], 3
	v_readlane_b32 s8, v60, 2
	v_readlane_b32 s9, v60, 3
	s_add_u32 s0, s8, s0
	s_addc_u32 s1, s9, s1
	v_mov_b32_e32 v0, 0
	global_store_dwordx2 v0, v[2:3], s[0:1]
.LBB140_298:
	s_or_b64 exec, exec, s[6:7]
.LBB140_299:
	s_or_saveexec_b64 s[0:1], s[4:5]
	s_mov_b64 s[4:5], 0
	s_xor_b64 exec, exec, s[0:1]
	s_cbranch_execnz .LBB140_302
.LBB140_300:
	s_or_b64 exec, exec, s[0:1]
	s_and_b64 s[0:1], s[4:5], exec
	s_andn2_saveexec_b64 s[2:3], s[2:3]
	s_cbranch_execz .LBB140_285
.LBB140_301:
	s_or_b64 s[0:1], s[0:1], exec
	s_trap 2
	s_or_b64 exec, exec, s[2:3]
	s_and_saveexec_b64 s[2:3], s[0:1]
	s_cbranch_execnz .LBB140_286
	s_branch .LBB140_287
.LBB140_302:
	s_mov_b64 s[4:5], exec
	s_trap 2
	s_branch .LBB140_300
	.section	.rodata,"a",@progbits
	.p2align	6, 0x0
	.amdhsa_kernel _ZN2at6native12_GLOBAL__N_112gatherMedianIN3c108BFloat16EmLi1EEEvNS_4cuda6detail10TensorInfoIT_T0_EENS7_IlS9_EENS7_IKS8_S9_EES9_S9_S9_b
		.amdhsa_group_segment_fixed_size 5152
		.amdhsa_private_segment_fixed_size 0
		.amdhsa_kernarg_size 1536
		.amdhsa_user_sgpr_count 6
		.amdhsa_user_sgpr_private_segment_buffer 1
		.amdhsa_user_sgpr_dispatch_ptr 0
		.amdhsa_user_sgpr_queue_ptr 0
		.amdhsa_user_sgpr_kernarg_segment_ptr 1
		.amdhsa_user_sgpr_dispatch_id 0
		.amdhsa_user_sgpr_flat_scratch_init 0
		.amdhsa_user_sgpr_private_segment_size 0
		.amdhsa_uses_dynamic_stack 0
		.amdhsa_system_sgpr_private_segment_wavefront_offset 0
		.amdhsa_system_sgpr_workgroup_id_x 1
		.amdhsa_system_sgpr_workgroup_id_y 1
		.amdhsa_system_sgpr_workgroup_id_z 1
		.amdhsa_system_sgpr_workgroup_info 0
		.amdhsa_system_vgpr_workitem_id 0
		.amdhsa_next_free_vgpr 61
		.amdhsa_next_free_sgpr 96
		.amdhsa_reserve_vcc 1
		.amdhsa_reserve_flat_scratch 0
		.amdhsa_float_round_mode_32 0
		.amdhsa_float_round_mode_16_64 0
		.amdhsa_float_denorm_mode_32 3
		.amdhsa_float_denorm_mode_16_64 3
		.amdhsa_dx10_clamp 1
		.amdhsa_ieee_mode 1
		.amdhsa_fp16_overflow 0
		.amdhsa_exception_fp_ieee_invalid_op 0
		.amdhsa_exception_fp_denorm_src 0
		.amdhsa_exception_fp_ieee_div_zero 0
		.amdhsa_exception_fp_ieee_overflow 0
		.amdhsa_exception_fp_ieee_underflow 0
		.amdhsa_exception_fp_ieee_inexact 0
		.amdhsa_exception_int_div_zero 0
	.end_amdhsa_kernel
	.section	.text._ZN2at6native12_GLOBAL__N_112gatherMedianIN3c108BFloat16EmLi1EEEvNS_4cuda6detail10TensorInfoIT_T0_EENS7_IlS9_EENS7_IKS8_S9_EES9_S9_S9_b,"axG",@progbits,_ZN2at6native12_GLOBAL__N_112gatherMedianIN3c108BFloat16EmLi1EEEvNS_4cuda6detail10TensorInfoIT_T0_EENS7_IlS9_EENS7_IKS8_S9_EES9_S9_S9_b,comdat
.Lfunc_end140:
	.size	_ZN2at6native12_GLOBAL__N_112gatherMedianIN3c108BFloat16EmLi1EEEvNS_4cuda6detail10TensorInfoIT_T0_EENS7_IlS9_EENS7_IKS8_S9_EES9_S9_S9_b, .Lfunc_end140-_ZN2at6native12_GLOBAL__N_112gatherMedianIN3c108BFloat16EmLi1EEEvNS_4cuda6detail10TensorInfoIT_T0_EENS7_IlS9_EENS7_IKS8_S9_EES9_S9_S9_b
                                        ; -- End function
	.set _ZN2at6native12_GLOBAL__N_112gatherMedianIN3c108BFloat16EmLi1EEEvNS_4cuda6detail10TensorInfoIT_T0_EENS7_IlS9_EENS7_IKS8_S9_EES9_S9_S9_b.num_vgpr, 61
	.set _ZN2at6native12_GLOBAL__N_112gatherMedianIN3c108BFloat16EmLi1EEEvNS_4cuda6detail10TensorInfoIT_T0_EENS7_IlS9_EENS7_IKS8_S9_EES9_S9_S9_b.num_agpr, 0
	.set _ZN2at6native12_GLOBAL__N_112gatherMedianIN3c108BFloat16EmLi1EEEvNS_4cuda6detail10TensorInfoIT_T0_EENS7_IlS9_EENS7_IKS8_S9_EES9_S9_S9_b.numbered_sgpr, 96
	.set _ZN2at6native12_GLOBAL__N_112gatherMedianIN3c108BFloat16EmLi1EEEvNS_4cuda6detail10TensorInfoIT_T0_EENS7_IlS9_EENS7_IKS8_S9_EES9_S9_S9_b.num_named_barrier, 0
	.set _ZN2at6native12_GLOBAL__N_112gatherMedianIN3c108BFloat16EmLi1EEEvNS_4cuda6detail10TensorInfoIT_T0_EENS7_IlS9_EENS7_IKS8_S9_EES9_S9_S9_b.private_seg_size, 0
	.set _ZN2at6native12_GLOBAL__N_112gatherMedianIN3c108BFloat16EmLi1EEEvNS_4cuda6detail10TensorInfoIT_T0_EENS7_IlS9_EENS7_IKS8_S9_EES9_S9_S9_b.uses_vcc, 1
	.set _ZN2at6native12_GLOBAL__N_112gatherMedianIN3c108BFloat16EmLi1EEEvNS_4cuda6detail10TensorInfoIT_T0_EENS7_IlS9_EENS7_IKS8_S9_EES9_S9_S9_b.uses_flat_scratch, 0
	.set _ZN2at6native12_GLOBAL__N_112gatherMedianIN3c108BFloat16EmLi1EEEvNS_4cuda6detail10TensorInfoIT_T0_EENS7_IlS9_EENS7_IKS8_S9_EES9_S9_S9_b.has_dyn_sized_stack, 0
	.set _ZN2at6native12_GLOBAL__N_112gatherMedianIN3c108BFloat16EmLi1EEEvNS_4cuda6detail10TensorInfoIT_T0_EENS7_IlS9_EENS7_IKS8_S9_EES9_S9_S9_b.has_recursion, 0
	.set _ZN2at6native12_GLOBAL__N_112gatherMedianIN3c108BFloat16EmLi1EEEvNS_4cuda6detail10TensorInfoIT_T0_EENS7_IlS9_EENS7_IKS8_S9_EES9_S9_S9_b.has_indirect_call, 0
	.section	.AMDGPU.csdata,"",@progbits
; Kernel info:
; codeLenInByte = 15648
; TotalNumSgprs: 100
; NumVgprs: 61
; ScratchSize: 0
; MemoryBound: 0
; FloatMode: 240
; IeeeMode: 1
; LDSByteSize: 5152 bytes/workgroup (compile time only)
; SGPRBlocks: 12
; VGPRBlocks: 15
; NumSGPRsForWavesPerEU: 100
; NumVGPRsForWavesPerEU: 61
; Occupancy: 4
; WaveLimiterHint : 1
; COMPUTE_PGM_RSRC2:SCRATCH_EN: 0
; COMPUTE_PGM_RSRC2:USER_SGPR: 6
; COMPUTE_PGM_RSRC2:TRAP_HANDLER: 0
; COMPUTE_PGM_RSRC2:TGID_X_EN: 1
; COMPUTE_PGM_RSRC2:TGID_Y_EN: 1
; COMPUTE_PGM_RSRC2:TGID_Z_EN: 1
; COMPUTE_PGM_RSRC2:TIDIG_COMP_CNT: 0
	.section	.text._ZN2at6native12_GLOBAL__N_112gatherMedianIN3c108BFloat16EmLi2EEEvNS_4cuda6detail10TensorInfoIT_T0_EENS7_IlS9_EENS7_IKS8_S9_EES9_S9_S9_b,"axG",@progbits,_ZN2at6native12_GLOBAL__N_112gatherMedianIN3c108BFloat16EmLi2EEEvNS_4cuda6detail10TensorInfoIT_T0_EENS7_IlS9_EENS7_IKS8_S9_EES9_S9_S9_b,comdat
	.globl	_ZN2at6native12_GLOBAL__N_112gatherMedianIN3c108BFloat16EmLi2EEEvNS_4cuda6detail10TensorInfoIT_T0_EENS7_IlS9_EENS7_IKS8_S9_EES9_S9_S9_b ; -- Begin function _ZN2at6native12_GLOBAL__N_112gatherMedianIN3c108BFloat16EmLi2EEEvNS_4cuda6detail10TensorInfoIT_T0_EENS7_IlS9_EENS7_IKS8_S9_EES9_S9_S9_b
	.p2align	8
	.type	_ZN2at6native12_GLOBAL__N_112gatherMedianIN3c108BFloat16EmLi2EEEvNS_4cuda6detail10TensorInfoIT_T0_EENS7_IlS9_EENS7_IKS8_S9_EES9_S9_S9_b,@function
_ZN2at6native12_GLOBAL__N_112gatherMedianIN3c108BFloat16EmLi2EEEvNS_4cuda6detail10TensorInfoIT_T0_EENS7_IlS9_EENS7_IKS8_S9_EES9_S9_S9_b: ; @_ZN2at6native12_GLOBAL__N_112gatherMedianIN3c108BFloat16EmLi2EEEvNS_4cuda6detail10TensorInfoIT_T0_EENS7_IlS9_EENS7_IKS8_S9_EES9_S9_S9_b
; %bb.0:
	s_load_dwordx2 s[10:11], s[4:5], 0x500
	s_load_dwordx4 s[56:59], s[4:5], 0x4e0
	s_add_u32 s12, s4, 0x500
	s_addc_u32 s13, s5, 0
	s_mov_b32 s19, 0
	s_waitcnt lgkmcnt(0)
	s_mul_i32 s0, s11, s8
	s_add_i32 s0, s0, s7
	s_mul_i32 s0, s0, s10
	s_add_i32 s18, s0, s6
	v_mov_b32_e32 v1, s18
	v_mov_b32_e32 v2, s19
	v_cmp_le_u64_e32 vcc, s[58:59], v[1:2]
	s_cbranch_vccnz .LBB141_297
; %bb.1:
	s_load_dwordx2 s[20:21], s[4:5], 0x10
	s_load_dwordx2 s[72:73], s[4:5], 0x4f0
	;; [unrolled: 1-line block ×4, first 2 shown]
                                        ; implicit-def: $vgpr52 : SGPR spill to VGPR lane
	s_waitcnt lgkmcnt(0)
	v_mov_b32_e32 v1, s20
	v_mov_b32_e32 v2, s21
	v_cmp_lt_u64_e32 vcc, s[18:19], v[1:2]
	v_writelane_b32 v52, s0, 0
	v_writelane_b32 v52, s1, 1
	s_mov_b64 s[0:1], 0
	v_writelane_b32 v52, s0, 2
	v_writelane_b32 v52, s1, 3
	s_mov_b64 s[0:1], 0
	s_cbranch_vccnz .LBB141_3
; %bb.2:
	v_cvt_f32_u32_e32 v1, s20
	s_sub_i32 s0, 0, s20
	v_rcp_iflag_f32_e32 v1, v1
	v_mul_f32_e32 v1, 0x4f7ffffe, v1
	v_cvt_u32_f32_e32 v1, v1
	v_readfirstlane_b32 s1, v1
	s_mul_i32 s0, s0, s1
	s_mul_hi_u32 s0, s1, s0
	s_add_i32 s1, s1, s0
	s_mul_hi_u32 s0, s18, s1
	s_mul_i32 s2, s0, s20
	s_sub_i32 s2, s18, s2
	s_add_i32 s1, s0, 1
	s_sub_i32 s3, s2, s20
	s_cmp_ge_u32 s2, s20
	s_cselect_b32 s0, s1, s0
	s_cselect_b32 s2, s3, s2
	s_add_i32 s1, s0, 1
	s_cmp_ge_u32 s2, s20
	s_cselect_b32 s0, s1, s0
.LBB141_3:
	v_writelane_b32 v52, s0, 4
	v_writelane_b32 v52, s1, 5
	s_load_dwordx2 s[14:15], s[4:5], 0x340
	s_load_dwordx2 s[0:1], s[4:5], 0x1b0
	s_waitcnt lgkmcnt(0)
	v_mov_b32_e32 v2, s1
	v_mov_b32_e32 v1, s0
	v_cmp_lt_u64_e32 vcc, s[18:19], v[1:2]
	s_cbranch_vccnz .LBB141_5
; %bb.4:
	s_load_dwordx2 s[16:17], s[4:5], 0x1b0
	s_waitcnt lgkmcnt(0)
	v_cvt_f32_u32_e32 v1, s16
	s_sub_i32 s0, 0, s16
	v_rcp_iflag_f32_e32 v1, v1
	v_mul_f32_e32 v1, 0x4f7ffffe, v1
	v_cvt_u32_f32_e32 v1, v1
	v_readfirstlane_b32 s1, v1
	s_mul_i32 s0, s0, s1
	s_mul_hi_u32 s0, s1, s0
	s_add_i32 s1, s1, s0
	s_mul_hi_u32 s0, s18, s1
	s_mul_i32 s2, s0, s16
	s_sub_i32 s2, s18, s2
	s_add_i32 s1, s0, 1
	s_sub_i32 s3, s2, s16
	s_cmp_ge_u32 s2, s16
	s_cselect_b32 s0, s1, s0
	s_cselect_b32 s2, s3, s2
	s_add_i32 s1, s0, 1
	s_cmp_ge_u32 s2, s16
	s_cselect_b32 s0, s1, s0
	v_writelane_b32 v52, s0, 2
	v_writelane_b32 v52, s1, 3
.LBB141_5:
	s_load_dwordx4 s[0:3], s[4:5], 0x410
	v_mov_b32_e32 v1, s8
	v_mov_b32_e32 v2, s9
	v_cmp_lt_u64_e32 vcc, s[18:19], v[1:2]
	v_writelane_b32 v52, s20, 6
	s_mov_b64 s[16:17], 0
	v_writelane_b32 v52, s21, 7
	s_cbranch_vccnz .LBB141_7
; %bb.6:
	v_cvt_f32_u32_e32 v1, s8
	s_sub_i32 s7, 0, s8
	v_rcp_iflag_f32_e32 v1, v1
	v_mul_f32_e32 v1, 0x4f7ffffe, v1
	v_cvt_u32_f32_e32 v1, v1
	v_readfirstlane_b32 s11, v1
	s_mul_i32 s7, s7, s11
	s_mul_hi_u32 s7, s11, s7
	s_add_i32 s11, s11, s7
	s_mul_hi_u32 s7, s18, s11
	s_mul_i32 s16, s7, s8
	s_sub_i32 s16, s18, s16
	s_add_i32 s11, s7, 1
	s_sub_i32 s17, s16, s8
	s_cmp_ge_u32 s16, s8
	s_cselect_b32 s7, s11, s7
	s_cselect_b32 s16, s17, s16
	s_add_i32 s11, s7, 1
	s_cmp_ge_u32 s16, s8
	s_cselect_b32 s16, s11, s7
.LBB141_7:
	s_load_dwordx2 s[20:21], s[4:5], 0x1a0
	s_mul_i32 s7, s16, s9
	s_mul_hi_u32 s9, s16, s8
	s_add_i32 s9, s9, s7
	s_mul_i32 s7, s16, s8
	s_waitcnt lgkmcnt(0)
	v_writelane_b32 v52, s20, 8
	v_writelane_b32 v52, s21, 9
	s_load_dwordx2 s[20:21], s[4:5], 0x0
	s_mov_b32 s8, s18
	s_sub_u32 s7, s18, s7
	s_mul_i32 s3, s7, s3
	s_mul_i32 s1, s16, s1
	s_waitcnt lgkmcnt(0)
	v_writelane_b32 v52, s20, 10
	v_writelane_b32 v52, s21, 11
	;; [unrolled: 1-line block ×4, first 2 shown]
	s_subb_u32 s8, 0, s9
	s_mul_hi_u32 s9, s7, s2
	s_mul_i32 s8, s8, s2
	s_mul_i32 s2, s7, s2
	s_mul_hi_u32 s7, s16, s0
	s_add_i32 s3, s9, s3
	s_add_i32 s1, s7, s1
	s_mul_i32 s0, s16, s0
	s_add_i32 s3, s3, s8
	s_lshl_b64 s[0:1], s[0:1], 1
	s_add_u32 s7, s14, s0
	s_addc_u32 s8, s15, s1
	s_lshl_b64 s[0:1], s[2:3], 1
	s_add_u32 s33, s7, s0
	v_mov_b32_e32 v2, 0
	v_mov_b32_e32 v1, 0
	;; [unrolled: 1-line block ×3, first 2 shown]
	s_addc_u32 s69, s8, s1
	v_cmp_gt_u64_e64 s[2:3], s[56:57], v[0:1]
	s_mov_b64 s[0:1], exec
	v_writelane_b32 v52, s2, 14
	v_writelane_b32 v52, s3, 15
	s_and_b64 s[2:3], s[0:1], s[2:3]
	s_mov_b64 exec, s[2:3]
	s_cbranch_execz .LBB141_11
; %bb.8:
	s_load_dword s7, s[12:13], 0xc
	v_mov_b32_e32 v2, 0
	v_mov_b32_e32 v5, v1
	s_mov_b64 s[2:3], 0
	v_mov_b32_e32 v3, 0
	v_mov_b32_e32 v6, s69
	s_waitcnt lgkmcnt(0)
	s_and_b32 s7, s7, 0xffff
	v_mov_b32_e32 v4, v0
.LBB141_9:                              ; =>This Inner Loop Header: Depth=1
	v_mul_lo_u32 v9, v5, s72
	v_mul_lo_u32 v10, v4, s73
	v_mad_u64_u32 v[7:8], s[8:9], v4, s72, 0
	v_add3_u32 v8, v8, v10, v9
	v_lshlrev_b64 v[7:8], 1, v[7:8]
	v_add_co_u32_e32 v7, vcc, s33, v7
	v_addc_co_u32_e32 v8, vcc, v6, v8, vcc
	global_load_ushort v7, v[7:8], off
	v_add_co_u32_e32 v4, vcc, s7, v4
	v_addc_co_u32_e32 v5, vcc, 0, v5, vcc
	v_cmp_le_u64_e32 vcc, s[56:57], v[4:5]
	s_or_b64 s[2:3], vcc, s[2:3]
	s_waitcnt vmcnt(0)
	v_lshlrev_b32_e32 v7, 16, v7
	v_cmp_u_f32_e32 vcc, v7, v7
	v_cndmask_b32_e64 v7, 0, 1, vcc
	v_add_co_u32_e32 v2, vcc, v2, v7
	v_addc_co_u32_e32 v3, vcc, 0, v3, vcc
	s_andn2_b64 exec, exec, s[2:3]
	s_cbranch_execnz .LBB141_9
; %bb.10:
	s_or_b64 exec, exec, s[2:3]
.LBB141_11:
	s_or_b64 exec, exec, s[0:1]
	s_load_dwordx4 s[0:3], s[4:5], 0x270
	s_waitcnt lgkmcnt(0)
	v_writelane_b32 v52, s0, 18
	v_writelane_b32 v52, s1, 19
	;; [unrolled: 1-line block ×4, first 2 shown]
	s_load_dwordx4 s[0:3], s[4:5], 0xd0
	s_waitcnt lgkmcnt(0)
	v_writelane_b32 v52, s0, 22
	v_writelane_b32 v52, s1, 23
	;; [unrolled: 1-line block ×4, first 2 shown]
	v_cmp_eq_u32_e64 s[2:3], 0, v0
	s_mov_b64 s[0:1], exec
	v_writelane_b32 v52, s2, 16
	v_writelane_b32 v52, s3, 17
	s_and_b64 s[2:3], s[0:1], s[2:3]
	s_mov_b64 exec, s[2:3]
; %bb.12:
	v_mov_b32_e32 v4, 0
	v_mov_b32_e32 v5, v4
	ds_write_b64 v4, v[4:5] offset:5136
; %bb.13:
	s_or_b64 exec, exec, s[0:1]
	v_cmp_ne_u64_e32 vcc, 0, v[2:3]
	s_mov_b64 s[8:9], 0
	s_waitcnt lgkmcnt(0)
	s_barrier
	s_and_saveexec_b64 s[0:1], vcc
	s_cbranch_execz .LBB141_18
; %bb.14:
	s_mov_b64 s[14:15], exec
.LBB141_15:                             ; =>This Inner Loop Header: Depth=1
	s_ff1_i32_b64 s2, s[14:15]
	v_readlane_b32 s7, v2, s2
	v_readlane_b32 s3, v3, s2
	s_add_u32 s8, s8, s7
	s_addc_u32 s9, s9, s3
	s_lshl_b64 s[2:3], 1, s2
	s_andn2_b64 s[14:15], s[14:15], s[2:3]
	s_cmp_lg_u64 s[14:15], 0
	s_cbranch_scc1 .LBB141_15
; %bb.16:
	v_mbcnt_lo_u32_b32 v2, exec_lo, 0
	v_mbcnt_hi_u32_b32 v2, exec_hi, v2
	v_cmp_eq_u32_e32 vcc, 0, v2
	s_and_saveexec_b64 s[2:3], vcc
	s_xor_b64 s[2:3], exec, s[2:3]
; %bb.17:
	v_mov_b32_e32 v2, s8
	v_mov_b32_e32 v4, 0
	v_mov_b32_e32 v3, s9
	ds_add_u64 v4, v[2:3] offset:5136
.LBB141_18:
	s_or_b64 exec, exec, s[0:1]
	v_mov_b32_e32 v2, 0
	s_load_dword s0, s[4:5], 0x4f8
	s_waitcnt lgkmcnt(0)
	s_barrier
	ds_read_b64 v[2:3], v2 offset:5136
	s_bitcmp1_b32 s0, 0
	s_cselect_b64 s[0:1], -1, 0
	v_mov_b32_e32 v19, s56
	v_mov_b32_e32 v20, s57
	s_waitcnt lgkmcnt(0)
	v_cmp_gt_i64_e32 vcc, 1, v[2:3]
	s_or_b64 s[0:1], s[0:1], vcc
	s_andn2_b64 vcc, exec, s[0:1]
	s_cbranch_vccnz .LBB141_20
; %bb.19:
	v_not_b32_e32 v2, v2
	v_not_b32_e32 v3, v3
	v_mov_b32_e32 v4, s57
	v_add_co_u32_e32 v2, vcc, s56, v2
	v_addc_co_u32_e32 v3, vcc, v4, v3, vcc
	v_lshrrev_b64 v[2:3], 1, v[2:3]
	v_add_co_u32_e32 v19, vcc, 1, v2
	v_addc_co_u32_e32 v20, vcc, 0, v3, vcc
.LBB141_20:
	s_mov_b64 s[0:1], exec
	v_readlane_b32 s2, v52, 16
	v_readlane_b32 s3, v52, 17
	s_and_b64 s[2:3], s[0:1], s[2:3]
	s_mov_b64 exec, s[2:3]
	s_cbranch_execz .LBB141_22
; %bb.21:
	v_mov_b32_e32 v2, 0
	v_mov_b32_e32 v4, s56
	;; [unrolled: 1-line block ×4, first 2 shown]
	ds_write_b32 v2, v2 offset:5144
	ds_write_b128 v2, v[2:5] offset:5120
.LBB141_22:
	s_or_b64 exec, exec, s[0:1]
	v_mbcnt_lo_u32_b32 v2, -1, 0
	v_mbcnt_hi_u32_b32 v23, -1, v2
	v_mad_u64_u32 v[2:3], s[0:1], s72, v0, 0
	v_cmp_gt_u32_e64 s[0:1], 2, v0
	v_writelane_b32 v52, s0, 26
	v_writelane_b32 v52, s1, 27
	v_mad_u64_u32 v[3:4], s[0:1], s73, v0, v[3:4]
	v_mov_b32_e32 v4, 0x600
	v_mov_b32_e32 v5, 0
	v_cmp_gt_u64_e64 s[0:1], s[56:57], v[4:5]
	v_lshlrev_b64 v[2:3], 1, v[2:3]
	v_writelane_b32 v52, s0, 28
	s_waitcnt lgkmcnt(0)
	s_barrier
	v_cmp_gt_u32_e32 vcc, 64, v0
	v_cmp_gt_i32_e64 s[8:9], 4, v23
	v_writelane_b32 v52, s1, 29
	s_load_dword s0, s[12:13], 0xc
	s_and_b64 s[90:91], vcc, s[8:9]
	v_add_co_u32_e32 v12, vcc, s33, v2
	v_lshlrev_b32_e32 v2, 2, v23
	v_and_b32_e32 v26, 0x100, v2
	v_lshrrev_b32_e32 v2, 1, v0
	v_mov_b32_e32 v4, s69
	v_and_b32_e32 v2, 0x1e0, v2
	v_addc_co_u32_e32 v13, vcc, v4, v3, vcc
	v_mov_b32_e32 v3, 0
	v_lshlrev_b64 v[4:5], v23, -1
	v_or_b32_e32 v29, 0xc00, v2
	v_add_u32_e32 v2, 2, v0
	s_waitcnt lgkmcnt(0)
	s_and_b32 s68, s0, 0xffff
	s_bfe_u32 s0, s0, 0xa0006
	v_cmp_gt_u64_e32 vcc, s[56:57], v[2:3]
	v_not_b32_e32 v28, v4
	s_cmp_gt_u32 s68, 63
	v_mov_b32_e32 v4, s57
	v_not_b32_e32 v27, v5
	s_cselect_b64 s[2:3], -1, 0
	s_add_u32 s85, s68, -1
	v_cndmask_b32_e32 v5, 0, v4, vcc
	v_mov_b32_e32 v4, s56
	v_writelane_b32 v52, s2, 30
	s_addc_u32 s1, 0, -1
	v_cndmask_b32_e32 v2, v2, v4, vcc
	v_not_b32_e32 v4, v0
	v_writelane_b32 v52, s3, 31
	s_add_u32 s2, s85, s56
	v_add_co_u32_e32 v4, vcc, v2, v4
	s_addc_u32 s89, s1, s57
	v_addc_co_u32_e32 v5, vcc, -1, v5, vcc
	s_cmp_lt_u32 s6, s10
	v_cmp_lt_u64_e64 s[6:7], 1, v[4:5]
	v_writelane_b32 v52, s1, 32
	v_writelane_b32 v52, s6, 33
	v_and_b32_e32 v16, -2, v4
	v_mov_b32_e32 v17, v5
	s_cselect_b32 s1, 12, 18
	v_writelane_b32 v52, s7, 34
	v_cmp_ne_u64_e64 s[6:7], v[4:5], v[16:17]
	s_add_u32 s76, s12, s1
	s_addc_u32 s77, s13, 0
	v_writelane_b32 v52, s6, 35
	s_add_i32 s1, s0, -1
	v_writelane_b32 v52, s7, 36
	s_bfe_u32 s6, s68, 0x30006
	s_and_b32 s1, s1, 0xffff
	s_cmp_gt_u32 s1, 6
	s_cselect_b64 s[8:9], -1, 0
	v_writelane_b32 v52, s8, 37
	s_and_b32 s87, s0, 0x3f8
	v_writelane_b32 v52, s9, 38
	s_cmp_lg_u32 s6, 0
	v_writelane_b32 v52, s6, 39
	s_cselect_b64 s[0:1], -1, 0
	v_writelane_b32 v52, s0, 40
	v_writelane_b32 v52, s1, 41
	v_lshlrev_b32_e32 v24, 1, v0
	v_mov_b32_e32 v2, 0xc00
	v_writelane_b32 v52, s76, 42
	s_mov_b32 s83, 0
	v_cmp_eq_u32_e64 s[4:5], 0, v23
	v_add_u32_e32 v25, 0xc00, v24
	v_lshlrev_b32_e32 v14, 2, v0
	v_mov_b32_e32 v15, v3
	s_mov_b32 s3, s72
	s_mov_b32 s88, s73
	v_lshlrev_b32_e32 v31, 3, v0
	v_lshl_or_b32 v32, v23, 3, v2
	s_lshl_b32 s38, s68, 1
	s_mov_b32 s86, 14
	s_mov_b64 s[74:75], 0
	s_movk_i32 s39, 0x3f80
	v_mov_b32_e32 v33, 0xffff
	v_mov_b32_e32 v34, 0x8000
	;; [unrolled: 1-line block ×3, first 2 shown]
	v_mov_b32_e32 v36, -1
	v_mov_b32_e32 v37, 0x5040100
	v_mov_b32_e32 v39, 0
	s_mov_b32 s84, 0
	v_mov_b32_e32 v30, 0
	v_mov_b32_e32 v38, 0
	v_add_co_u32_e32 v18, vcc, v16, v0
	v_writelane_b32 v52, s77, 43
                                        ; implicit-def: $sgpr60_sgpr61
                                        ; implicit-def: $sgpr80_sgpr81
                                        ; implicit-def: $sgpr62_sgpr63
                                        ; implicit-def: $sgpr12_sgpr13
                                        ; implicit-def: $sgpr10_sgpr11
                                        ; implicit-def: $sgpr70_sgpr71
	v_writelane_b32 v52, s88, 44
	s_branch .LBB141_26
.LBB141_23:                             ;   in Loop: Header=BB141_26 Depth=1
	s_or_b64 exec, exec, s[18:19]
	s_and_b64 s[8:9], s[8:9], exec
	s_andn2_b64 s[24:25], s[24:25], exec
	s_andn2_b64 s[6:7], s[6:7], exec
	s_orn2_b64 s[18:19], s[14:15], exec
.LBB141_24:                             ;   in Loop: Header=BB141_26 Depth=1
	s_or_b64 exec, exec, s[0:1]
	s_andn2_b64 s[0:1], s[70:71], exec
	s_and_b64 s[8:9], s[8:9], exec
	s_or_b64 s[70:71], s[0:1], s[8:9]
	s_andn2_b64 s[0:1], s[10:11], exec
	s_and_b64 s[8:9], s[24:25], exec
	s_or_b64 s[10:11], s[0:1], s[8:9]
	;; [unrolled: 3-line block ×3, first 2 shown]
	s_orn2_b64 s[6:7], s[18:19], exec
.LBB141_25:                             ;   in Loop: Header=BB141_26 Depth=1
	s_or_b64 exec, exec, s[16:17]
	s_and_b64 s[0:1], exec, s[6:7]
	s_or_b64 s[74:75], s[0:1], s[74:75]
	s_andn2_b64 s[0:1], s[62:63], exec
	s_and_b64 s[6:7], s[70:71], exec
	s_or_b64 s[62:63], s[0:1], s[6:7]
	s_andn2_b64 s[0:1], s[80:81], exec
	s_and_b64 s[6:7], s[10:11], exec
	;; [unrolled: 3-line block ×3, first 2 shown]
	v_mov_b32_e32 v20, v9
	s_or_b64 s[60:61], s[0:1], s[6:7]
	v_mov_b32_e32 v19, v8
	s_andn2_b64 exec, exec, s[74:75]
	s_cbranch_execz .LBB141_293
.LBB141_26:                             ; =>This Loop Header: Depth=1
                                        ;     Child Loop BB141_31 Depth 2
                                        ;     Child Loop BB141_45 Depth 2
	;; [unrolled: 1-line block ×17, first 2 shown]
	ds_read_b128 v[4:7], v3 offset:5120
	s_waitcnt lgkmcnt(0)
	v_readfirstlane_b32 s65, v5
	v_readfirstlane_b32 s64, v4
	s_cmp_lg_u64 s[64:65], 0
	s_cbranch_scc1 .LBB141_58
; %bb.27:                               ;   in Loop: Header=BB141_26 Depth=1
	v_readlane_b32 s0, v52, 28
	v_readlane_b32 s1, v52, 29
	s_and_b64 vcc, exec, s[0:1]
	s_cbranch_vccz .LBB141_39
; %bb.28:                               ;   in Loop: Header=BB141_26 Depth=1
	s_mov_b64 s[0:1], 0x601
	v_cmp_gt_u64_e32 vcc, s[0:1], v[6:7]
	s_mov_b64 s[0:1], 0
	s_mov_b64 s[6:7], 0
	s_cbranch_vccz .LBB141_40
; %bb.29:                               ;   in Loop: Header=BB141_26 Depth=1
	global_load_ushort v6, v[12:13], off
	global_load_ushort v2, v3, s[76:77]
	v_mov_b32_e32 v5, v1
	s_mov_b64 s[8:9], 0
	v_mov_b32_e32 v4, v0
	s_branch .LBB141_31
.LBB141_30:                             ;   in Loop: Header=BB141_31 Depth=2
	s_or_b64 exec, exec, s[6:7]
	s_waitcnt vmcnt(0)
	v_mov_b32_e32 v6, v7
	s_andn2_b64 exec, exec, s[8:9]
	s_cbranch_execz .LBB141_118
.LBB141_31:                             ;   Parent Loop BB141_26 Depth=1
                                        ; =>  This Inner Loop Header: Depth=2
	s_waitcnt vmcnt(0)
	v_add_co_u32_sdwa v4, vcc, v4, v2 dst_sel:DWORD dst_unused:UNUSED_PAD src0_sel:DWORD src1_sel:WORD_0
	v_addc_co_u32_e32 v5, vcc, 0, v5, vcc
	v_cmp_gt_u64_e64 s[6:7], s[56:57], v[4:5]
	v_cmp_le_u64_e32 vcc, s[56:57], v[4:5]
	s_waitcnt lgkmcnt(0)
	v_mov_b32_e32 v8, 0
	v_mov_b32_e32 v7, 0
	s_and_saveexec_b64 s[14:15], s[6:7]
	s_cbranch_execz .LBB141_33
; %bb.32:                               ;   in Loop: Header=BB141_31 Depth=2
	v_mul_lo_u32 v7, v5, s72
	v_mul_lo_u32 v11, v4, s73
	v_mad_u64_u32 v[9:10], s[6:7], v4, s72, 0
	v_add3_u32 v10, v10, v11, v7
	v_lshlrev_b64 v[9:10], 1, v[9:10]
	v_mov_b32_e32 v7, s69
	v_add_co_u32_e64 v9, s[6:7], s33, v9
	v_addc_co_u32_e64 v10, s[6:7], v7, v10, s[6:7]
	global_load_ushort v7, v[9:10], off
.LBB141_33:                             ;   in Loop: Header=BB141_31 Depth=2
	s_or_b64 exec, exec, s[14:15]
	v_cmp_lt_i16_e64 s[6:7], -1, v6
	v_cndmask_b32_e64 v9, v33, v34, s[6:7]
	v_lshlrev_b32_e32 v10, 16, v6
	v_xor_b32_sdwa v9, v9, v6 dst_sel:DWORD dst_unused:UNUSED_PAD src0_sel:DWORD src1_sel:WORD_0
	v_cmp_o_f32_e64 s[6:7], v10, v10
	v_cndmask_b32_e64 v9, v33, v9, s[6:7]
	v_and_b32_e32 v9, v9, v38
	v_cmp_eq_u32_e64 s[14:15], v9, v30
	s_cmp_lg_u64 s[14:15], 0
	s_cselect_b64 s[6:7], -1, 0
	s_and_b64 s[6:7], s[4:5], s[6:7]
	s_and_saveexec_b64 s[16:17], s[6:7]
	s_cbranch_execz .LBB141_37
; %bb.34:                               ;   in Loop: Header=BB141_31 Depth=2
	s_mov_b64 s[20:21], exec
	v_mbcnt_lo_u32_b32 v8, s20, 0
	v_mbcnt_hi_u32_b32 v8, s21, v8
	s_bcnt1_i32_b64 s22, s[14:15]
	v_cmp_eq_u32_e64 s[6:7], 0, v8
                                        ; implicit-def: $vgpr9
	s_and_saveexec_b64 s[18:19], s[6:7]
; %bb.35:                               ;   in Loop: Header=BB141_31 Depth=2
	s_bcnt1_i32_b64 s6, s[20:21]
	s_mul_i32 s6, s22, s6
	v_mov_b32_e32 v9, s6
	ds_add_rtn_u32 v9, v3, v9 offset:5144
; %bb.36:                               ;   in Loop: Header=BB141_31 Depth=2
	s_or_b64 exec, exec, s[18:19]
	s_waitcnt lgkmcnt(0)
	v_readfirstlane_b32 s6, v9
	v_mov_b32_e32 v9, s6
	v_mad_u32_u24 v8, s22, v8, v9
.LBB141_37:                             ;   in Loop: Header=BB141_31 Depth=2
	s_or_b64 exec, exec, s[16:17]
	ds_bpermute_b32 v8, v26, v8
	s_and_b64 s[6:7], exec, vcc
	s_or_b64 s[8:9], s[6:7], s[8:9]
	s_and_saveexec_b64 s[6:7], s[14:15]
	s_cbranch_execz .LBB141_30
; %bb.38:                               ;   in Loop: Header=BB141_31 Depth=2
	v_and_b32_e32 v10, s14, v28
	v_and_b32_e32 v9, s15, v27
	v_bcnt_u32_b32 v10, v10, 0
	v_bcnt_u32_b32 v9, v9, v10
	v_lshlrev_b32_e32 v9, 1, v9
	s_waitcnt lgkmcnt(0)
	v_lshl_add_u32 v8, v8, 1, v9
	ds_write_b16 v8, v6
	s_branch .LBB141_30
.LBB141_39:                             ;   in Loop: Header=BB141_26 Depth=1
	s_mov_b64 s[0:1], -1
	s_mov_b64 s[6:7], 0
.LBB141_40:                             ;   in Loop: Header=BB141_26 Depth=1
	s_and_b64 vcc, exec, s[0:1]
	s_cbranch_vccz .LBB141_56
.LBB141_41:                             ;   in Loop: Header=BB141_26 Depth=1
	s_mov_b64 s[0:1], exec
	v_readlane_b32 s6, v52, 14
	v_readlane_b32 s7, v52, 15
	s_and_b64 s[6:7], s[0:1], s[6:7]
	s_mov_b64 exec, s[6:7]
	s_cbranch_execz .LBB141_53
; %bb.42:                               ;   in Loop: Header=BB141_26 Depth=1
	global_load_ushort v2, v3, s[76:77]
	global_load_ushort v10, v[12:13], off
	v_mov_b32_e32 v4, v0
	s_waitcnt vmcnt(1)
	v_readfirstlane_b32 s8, v2
	v_add_u32_sdwa v2, v2, v0 dst_sel:DWORD dst_unused:UNUSED_PAD src0_sel:WORD_0 src1_sel:DWORD
	v_cmp_gt_u64_e32 vcc, s[56:57], v[2:3]
	s_and_saveexec_b64 s[6:7], vcc
	s_cbranch_execz .LBB141_52
; %bb.43:                               ;   in Loop: Header=BB141_26 Depth=1
	s_and_b32 s16, s8, 0xffff
	s_cmp_eq_u32 s16, 1
	v_readlane_b32 s14, v52, 33
                                        ; implicit-def: $vgpr4_vgpr5
	s_cselect_b64 s[8:9], -1, 0
	v_readlane_b32 s15, v52, 34
	v_mov_b32_e32 v8, v1
	v_mov_b32_e32 v6, v3
	s_and_b64 s[18:19], s[14:15], s[8:9]
	s_mov_b64 s[14:15], -1
	v_mov_b32_e32 v7, v0
	v_mov_b32_e32 v5, v2
	s_and_saveexec_b64 s[8:9], s[18:19]
	s_cbranch_execz .LBB141_47
; %bb.44:                               ;   in Loop: Header=BB141_26 Depth=1
	v_add_co_u32_e32 v4, vcc, 1, v2
	v_addc_co_u32_e64 v5, s[14:15], 0, 0, vcc
	v_mov_b32_e32 v8, v16
	v_mov_b32_e32 v7, v5
	s_waitcnt vmcnt(0)
	v_lshlrev_b32_e32 v21, 16, v10
	s_mov_b64 s[14:15], 0
	v_mov_b32_e32 v9, v17
	v_mov_b32_e32 v11, v24
	;; [unrolled: 1-line block ×5, first 2 shown]
.LBB141_45:                             ;   Parent Loop BB141_26 Depth=1
                                        ; =>  This Inner Loop Header: Depth=2
	v_mul_lo_u32 v44, v5, s72
	v_mul_lo_u32 v45, v4, s73
	v_mad_u64_u32 v[42:43], s[18:19], v4, s72, 0
	v_mul_lo_u32 v10, v7, s3
	v_mul_lo_u32 v22, v6, s88
	v_mad_u64_u32 v[40:41], s[18:19], v6, s3, 0
	v_add3_u32 v43, v43, v45, v44
	v_lshlrev_b64 v[42:43], 1, v[42:43]
	v_add3_u32 v41, v41, v22, v10
	v_mov_b32_e32 v46, s69
	v_lshlrev_b64 v[40:41], 1, v[40:41]
	v_add_co_u32_e32 v42, vcc, s33, v42
	v_addc_co_u32_e32 v43, vcc, v46, v43, vcc
	v_add_co_u32_e32 v40, vcc, s33, v40
	v_addc_co_u32_e32 v41, vcc, v46, v41, vcc
	global_load_ushort v22, v[42:43], off
	global_load_ushort v10, v[40:41], off
	v_add_co_u32_e32 v6, vcc, 2, v6
	v_addc_co_u32_e32 v7, vcc, 0, v7, vcc
	v_add_co_u32_e32 v4, vcc, 2, v4
	v_addc_co_u32_e32 v5, vcc, 0, v5, vcc
	v_add_co_u32_e32 v8, vcc, -2, v8
	v_addc_co_u32_e32 v9, vcc, -1, v9, vcc
	s_mov_b32 s17, 0x5040100
	v_cmp_eq_u64_e32 vcc, 0, v[8:9]
	s_or_b64 s[14:15], vcc, s[14:15]
	s_waitcnt vmcnt(1)
	v_alignbit_b32 v21, v22, v21, 16
	s_waitcnt vmcnt(0)
	v_perm_b32 v40, v10, v22, s17
	ds_write_b32 v11, v21
	v_add_u32_e32 v11, 4, v11
	v_mov_b32_e32 v21, v40
	s_andn2_b64 exec, exec, s[14:15]
	s_cbranch_execnz .LBB141_45
; %bb.46:                               ;   in Loop: Header=BB141_26 Depth=1
	s_or_b64 exec, exec, s[14:15]
	v_readlane_b32 s14, v52, 35
	v_add_co_u32_e32 v5, vcc, v2, v16
	v_readlane_b32 s15, v52, 36
	v_addc_co_u32_e32 v6, vcc, 0, v17, vcc
	v_add_co_u32_e32 v4, vcc, -1, v5
	s_orn2_b64 s[14:15], s[14:15], exec
	v_mov_b32_e32 v7, v18
	v_mov_b32_e32 v8, v19
.LBB141_47:                             ;   in Loop: Header=BB141_26 Depth=1
	s_or_b64 exec, exec, s[8:9]
	s_and_saveexec_b64 s[8:9], s[14:15]
	s_cbranch_execz .LBB141_51
; %bb.48:                               ;   in Loop: Header=BB141_26 Depth=1
	s_mov_b64 s[14:15], 0
	s_sub_u32 s17, 0, s16
.LBB141_49:                             ;   Parent Loop BB141_26 Depth=1
                                        ; =>  This Inner Loop Header: Depth=2
	v_mov_b32_e32 v9, v6
	v_mov_b32_e32 v8, v5
	s_waitcnt vmcnt(0)
	v_mov_b32_e32 v2, v10
	v_mul_lo_u32 v6, v9, s72
	v_mul_lo_u32 v10, v8, s73
	v_mad_u64_u32 v[4:5], s[18:19], v8, s72, 0
	v_mov_b32_e32 v11, s69
	v_add3_u32 v5, v5, v10, v6
	v_lshlrev_b64 v[4:5], 1, v[4:5]
	v_add_co_u32_e32 v4, vcc, s33, v4
	v_addc_co_u32_e32 v5, vcc, v11, v5, vcc
	global_load_ushort v10, v[4:5], off
	v_add_co_u32_e32 v5, vcc, s16, v8
	v_addc_co_u32_e32 v6, vcc, 0, v9, vcc
	v_cmp_le_u64_e32 vcc, s[56:57], v[5:6]
	v_lshlrev_b32_e32 v4, 1, v7
	ds_write_b16 v4, v2
	v_mov_b32_e32 v7, v8
	s_or_b64 s[14:15], vcc, s[14:15]
	v_add_co_u32_e32 v4, vcc, s17, v5
	v_mov_b32_e32 v8, v9
	s_andn2_b64 exec, exec, s[14:15]
	s_cbranch_execnz .LBB141_49
; %bb.50:                               ;   in Loop: Header=BB141_26 Depth=1
	s_or_b64 exec, exec, s[14:15]
.LBB141_51:                             ;   in Loop: Header=BB141_26 Depth=1
	s_or_b64 exec, exec, s[8:9]
.LBB141_52:                             ;   in Loop: Header=BB141_26 Depth=1
	s_or_b64 exec, exec, s[6:7]
	v_lshlrev_b32_e32 v2, 1, v4
	s_waitcnt vmcnt(0)
	ds_write_b16 v2, v10
.LBB141_53:                             ;   in Loop: Header=BB141_26 Depth=1
	s_or_b64 exec, exec, s[0:1]
	s_waitcnt lgkmcnt(0)
	s_barrier
	s_mov_b64 s[0:1], exec
	v_readlane_b32 s6, v52, 16
	v_readlane_b32 s7, v52, 17
	s_and_b64 s[6:7], s[0:1], s[6:7]
	s_mov_b64 exec, s[6:7]
; %bb.54:                               ;   in Loop: Header=BB141_26 Depth=1
	v_mov_b32_e32 v4, s56
	v_mov_b32_e32 v5, s57
	ds_write_b64 v3, v[4:5] offset:5120
; %bb.55:                               ;   in Loop: Header=BB141_26 Depth=1
	s_or_b64 exec, exec, s[0:1]
	s_mov_b64 s[6:7], -1
	s_waitcnt lgkmcnt(0)
	s_barrier
.LBB141_56:                             ;   in Loop: Header=BB141_26 Depth=1
	s_mov_b64 s[64:65], 0
	s_and_b64 vcc, exec, s[6:7]
	s_cbranch_vccz .LBB141_58
; %bb.57:                               ;   in Loop: Header=BB141_26 Depth=1
	ds_read_b64 v[4:5], v3 offset:5120
	s_waitcnt lgkmcnt(0)
	v_readfirstlane_b32 s64, v4
.LBB141_58:                             ;   in Loop: Header=BB141_26 Depth=1
	s_cmp_lt_i32 s64, 1
	s_mov_b64 s[0:1], -1
                                        ; implicit-def: $vgpr4_vgpr5
                                        ; implicit-def: $vgpr8_vgpr9
	s_cbranch_scc1 .LBB141_68
; %bb.59:                               ;   in Loop: Header=BB141_26 Depth=1
	s_and_b64 vcc, exec, s[0:1]
	s_cbranch_vccnz .LBB141_82
.LBB141_60:                             ;   in Loop: Header=BB141_26 Depth=1
	s_lshl_b32 s6, s84, 6
	s_and_saveexec_b64 s[0:1], s[4:5]
	s_cbranch_execz .LBB141_62
.LBB141_61:                             ;   in Loop: Header=BB141_26 Depth=1
	v_lshl_add_u32 v2, s6, 3, v29
	ds_write_b128 v2, v[4:7]
	ds_write_b128 v2, v[8:11] offset:16
.LBB141_62:                             ;   in Loop: Header=BB141_26 Depth=1
	s_or_b64 exec, exec, s[0:1]
	s_waitcnt lgkmcnt(0)
	s_barrier
	s_and_saveexec_b64 s[0:1], s[90:91]
	s_cbranch_execz .LBB141_97
; %bb.63:                               ;   in Loop: Header=BB141_26 Depth=1
	v_readlane_b32 s8, v52, 30
	v_mov_b32_e32 v4, 0
	v_readlane_b32 s9, v52, 31
	v_mov_b32_e32 v5, 0
	s_andn2_b64 vcc, exec, s[8:9]
	s_cbranch_vccnz .LBB141_96
; %bb.64:                               ;   in Loop: Header=BB141_26 Depth=1
	v_readlane_b32 s8, v52, 37
	v_readlane_b32 s9, v52, 38
	s_andn2_b64 vcc, exec, s[8:9]
	s_cbranch_vccnz .LBB141_92
; %bb.65:                               ;   in Loop: Header=BB141_26 Depth=1
	v_mov_b32_e32 v4, 0
	v_lshl_add_u32 v2, s84, 9, v32
	v_mov_b32_e32 v5, 0
	s_mov_b32 s7, 0
.LBB141_66:                             ;   Parent Loop BB141_26 Depth=1
                                        ; =>  This Inner Loop Header: Depth=2
	ds_read2_b64 v[6:9], v2 offset1:4
	ds_read2_b64 v[40:43], v2 offset0:8 offset1:12
	ds_read2_b64 v[44:47], v2 offset0:16 offset1:20
	;; [unrolled: 1-line block ×3, first 2 shown]
	s_add_i32 s7, s7, 8
	s_waitcnt lgkmcnt(3)
	v_add_co_u32_e32 v4, vcc, v6, v4
	v_addc_co_u32_e32 v5, vcc, v7, v5, vcc
	v_add_co_u32_e32 v4, vcc, v8, v4
	v_addc_co_u32_e32 v5, vcc, v9, v5, vcc
	s_waitcnt lgkmcnt(2)
	v_add_co_u32_e32 v4, vcc, v40, v4
	v_addc_co_u32_e32 v5, vcc, v41, v5, vcc
	v_add_co_u32_e32 v4, vcc, v42, v4
	v_addc_co_u32_e32 v5, vcc, v43, v5, vcc
	;; [unrolled: 5-line block ×3, first 2 shown]
	s_waitcnt lgkmcnt(0)
	v_add_co_u32_e32 v4, vcc, v48, v4
	v_addc_co_u32_e32 v5, vcc, v49, v5, vcc
	v_add_co_u32_e32 v4, vcc, v50, v4
	v_add_u32_e32 v2, 0x100, v2
	s_cmp_eq_u32 s87, s7
	v_addc_co_u32_e32 v5, vcc, v51, v5, vcc
	s_cbranch_scc0 .LBB141_66
; %bb.67:                               ;   in Loop: Header=BB141_26 Depth=1
	s_mov_b32 s7, s87
	s_branch .LBB141_93
.LBB141_68:                             ;   in Loop: Header=BB141_26 Depth=1
	global_load_ushort v2, v3, s[76:77]
	s_mov_b32 s0, s83
	s_waitcnt vmcnt(0)
	v_readfirstlane_b32 s1, v2
	s_and_b32 s1, 0xffff, s1
	s_lshl_b32 s65, s1, 2
	s_mov_b32 s1, s57
	s_cmp_lg_u64 s[0:1], 0
	s_cbranch_scc0 .LBB141_91
; %bb.69:                               ;   in Loop: Header=BB141_26 Depth=1
	v_cvt_f32_u32_e32 v4, s65
	s_sub_u32 s6, 0, s65
	s_subb_u32 s7, 0, 0
	v_mac_f32_e32 v4, 0, v35
	v_rcp_f32_e32 v4, v4
	v_mul_f32_e32 v4, 0x5f7ffffc, v4
	v_mul_f32_e32 v5, 0x2f800000, v4
	v_trunc_f32_e32 v5, v5
	v_mac_f32_e32 v4, 0xcf800000, v5
	v_cvt_u32_f32_e32 v5, v5
	v_cvt_u32_f32_e32 v4, v4
	v_readfirstlane_b32 s8, v5
	v_readfirstlane_b32 s0, v4
	s_mul_i32 s1, s6, s8
	s_mul_hi_u32 s14, s6, s0
	s_mul_i32 s9, s7, s0
	s_add_i32 s1, s14, s1
	s_mul_i32 s15, s6, s0
	s_add_i32 s1, s1, s9
	s_mul_hi_u32 s14, s0, s15
	s_mul_i32 s16, s0, s1
	s_mul_hi_u32 s9, s0, s1
	s_add_u32 s14, s14, s16
	s_addc_u32 s9, 0, s9
	s_mul_hi_u32 s17, s8, s15
	s_mul_i32 s15, s8, s15
	s_add_u32 s14, s14, s15
	s_mul_hi_u32 s16, s8, s1
	s_addc_u32 s9, s9, s17
	s_addc_u32 s14, s16, 0
	s_mul_i32 s1, s8, s1
	s_add_u32 s1, s9, s1
	s_addc_u32 s9, 0, s14
	s_add_u32 s14, s0, s1
	s_cselect_b64 s[0:1], -1, 0
	s_cmp_lg_u64 s[0:1], 0
	s_addc_u32 s8, s8, s9
	s_mul_i32 s0, s6, s8
	s_mul_hi_u32 s1, s6, s14
	s_add_i32 s0, s1, s0
	s_mul_i32 s7, s7, s14
	s_add_i32 s0, s0, s7
	s_mul_i32 s6, s6, s14
	s_mul_hi_u32 s7, s8, s6
	s_mul_i32 s9, s8, s6
	s_mul_i32 s16, s14, s0
	s_mul_hi_u32 s6, s14, s6
	s_mul_hi_u32 s15, s14, s0
	s_add_u32 s6, s6, s16
	s_addc_u32 s15, 0, s15
	s_add_u32 s6, s6, s9
	s_mul_hi_u32 s1, s8, s0
	s_addc_u32 s6, s15, s7
	s_addc_u32 s1, s1, 0
	s_mul_i32 s0, s8, s0
	s_add_u32 s0, s6, s0
	s_addc_u32 s6, 0, s1
	s_add_u32 s7, s14, s0
	s_cselect_b64 s[0:1], -1, 0
	s_cmp_lg_u64 s[0:1], 0
	s_addc_u32 s0, s8, s6
	s_mul_i32 s6, s56, s0
	s_mul_hi_u32 s8, s56, s7
	s_mul_hi_u32 s1, s56, s0
	s_add_u32 s6, s8, s6
	s_addc_u32 s1, 0, s1
	s_mul_hi_u32 s9, s57, s7
	s_mul_i32 s7, s57, s7
	s_add_u32 s6, s6, s7
	s_mul_hi_u32 s8, s57, s0
	s_addc_u32 s1, s1, s9
	s_addc_u32 s6, s8, 0
	s_mul_i32 s0, s57, s0
	s_add_u32 s0, s1, s0
	s_addc_u32 s1, 0, s6
	s_mul_i32 s1, s65, s1
	s_mul_hi_u32 s6, s65, s0
	s_add_i32 s6, s6, s1
	s_mul_i32 s0, s65, s0
	s_sub_u32 s7, s56, s0
	s_cselect_b64 s[0:1], -1, 0
	s_cmp_lg_u64 s[0:1], 0
	s_subb_u32 s6, s57, s6
	s_sub_u32 s8, s7, s65
	s_cselect_b64 s[0:1], -1, 0
	s_cmp_lg_u64 s[0:1], 0
	s_subb_u32 s9, s6, 0
	;; [unrolled: 4-line block ×3, first 2 shown]
	s_cmp_ge_u32 s8, s65
	s_cselect_b32 s1, -1, 0
	s_cmp_eq_u32 s9, 0
	s_cselect_b32 s1, s1, -1
	s_cmp_lg_u32 s1, 0
	s_cselect_b32 s0, s0, s9
	s_cselect_b32 s8, s14, s8
	s_cmp_ge_u32 s7, s65
	s_cselect_b32 s1, -1, 0
	s_cmp_eq_u32 s6, 0
	s_cselect_b32 s1, s1, -1
	s_cmp_lg_u32 s1, 0
	s_cselect_b32 s1, s0, s6
	s_cselect_b32 s0, s8, s7
	s_cbranch_execnz .LBB141_71
.LBB141_70:                             ;   in Loop: Header=BB141_26 Depth=1
	v_cvt_f32_u32_e32 v4, s65
	s_sub_i32 s0, 0, s65
	v_rcp_iflag_f32_e32 v4, v4
	v_mul_f32_e32 v4, 0x4f7ffffe, v4
	v_cvt_u32_f32_e32 v4, v4
	v_readfirstlane_b32 s1, v4
	s_mul_i32 s0, s0, s1
	s_mul_hi_u32 s0, s1, s0
	s_add_i32 s1, s1, s0
	s_mul_hi_u32 s0, s56, s1
	s_mul_i32 s0, s0, s65
	s_sub_i32 s0, s56, s0
	s_sub_i32 s1, s0, s65
	s_cmp_ge_u32 s0, s65
	s_cselect_b32 s0, s1, s0
	s_sub_i32 s1, s0, s65
	s_cmp_ge_u32 s0, s65
	s_cselect_b32 s82, s1, s0
	s_mov_b64 s[0:1], s[82:83]
.LBB141_71:                             ;   in Loop: Header=BB141_26 Depth=1
	s_sub_u32 s54, s56, s0
	s_subb_u32 s55, s57, s1
	v_cmp_gt_u64_e32 vcc, s[54:55], v[14:15]
	v_mov_b32_e32 v4, 0
	v_mov_b32_e32 v6, 0
	;; [unrolled: 1-line block ×8, first 2 shown]
	s_and_saveexec_b64 s[66:67], vcc
	s_cbranch_execz .LBB141_75
; %bb.72:                               ;   in Loop: Header=BB141_26 Depth=1
	v_mov_b32_e32 v22, v15
	s_mov_b64 s[78:79], 0
	s_mov_b64 s[58:59], 0
	;; [unrolled: 1-line block ×5, first 2 shown]
	v_mov_b32_e32 v21, v14
.LBB141_73:                             ;   Parent Loop BB141_26 Depth=1
                                        ; =>  This Inner Loop Header: Depth=2
	v_mul_lo_u32 v6, v22, s72
	v_mul_lo_u32 v7, v21, s73
	v_mad_u64_u32 v[4:5], s[6:7], v21, s72, 0
	v_mov_b32_e32 v8, s69
	s_lshl_b64 s[8:9], s[72:73], 1
	v_add3_u32 v5, v5, v7, v6
	v_lshlrev_b64 v[4:5], 1, v[4:5]
	v_mov_b32_e32 v9, s9
	v_add_co_u32_e64 v4, s[6:7], s33, v4
	v_addc_co_u32_e64 v5, s[6:7], v8, v5, s[6:7]
	global_load_ushort v6, v[4:5], off
	v_add_co_u32_e64 v4, s[6:7], s8, v4
	v_addc_co_u32_e64 v5, s[6:7], v5, v9, s[6:7]
	global_load_ushort v7, v[4:5], off
	;; [unrolled: 3-line block ×4, first 2 shown]
	v_add_co_u32_e32 v21, vcc, s65, v21
	v_addc_co_u32_e32 v22, vcc, 0, v22, vcc
	v_cmp_le_u64_e32 vcc, s[54:55], v[21:22]
	s_waitcnt vmcnt(3)
	v_cmp_lt_i16_e64 s[6:7], -1, v6
	v_lshlrev_b32_e32 v5, 16, v6
	v_cndmask_b32_e64 v9, v33, v34, s[6:7]
	v_xor_b32_sdwa v6, v9, v6 dst_sel:DWORD dst_unused:UNUSED_PAD src0_sel:DWORD src1_sel:WORD_0
	v_cmp_o_f32_e64 s[6:7], v5, v5
	s_waitcnt vmcnt(2)
	v_cmp_lt_i16_e64 s[14:15], -1, v7
	v_cndmask_b32_e64 v5, v33, v34, s[14:15]
	v_cndmask_b32_e64 v6, v33, v6, s[6:7]
	v_lshlrev_b32_e32 v10, 16, v7
	v_xor_b32_sdwa v5, v5, v7 dst_sel:DWORD dst_unused:UNUSED_PAD src0_sel:DWORD src1_sel:WORD_0
	s_waitcnt vmcnt(1)
	v_cmp_lt_i16_e64 s[6:7], -1, v8
	v_lshlrev_b32_e32 v9, 16, v8
	v_cndmask_b32_e64 v7, v33, v34, s[6:7]
	v_cmp_o_f32_e64 s[14:15], v10, v10
	v_xor_b32_sdwa v7, v7, v8 dst_sel:DWORD dst_unused:UNUSED_PAD src0_sel:DWORD src1_sel:WORD_0
	s_waitcnt vmcnt(0)
	v_cmp_lt_i16_e64 s[6:7], -1, v4
	v_lshlrev_b32_e32 v10, 16, v4
	v_cndmask_b32_e64 v8, v33, v34, s[6:7]
	v_and_b32_e32 v11, v6, v38
	v_bfe_u32 v6, v6, s86, 2
	v_cmp_o_f32_e64 s[6:7], v9, v9
	v_cndmask_b32_e64 v5, v33, v5, s[14:15]
	v_cndmask_b32_e64 v7, v33, v7, s[6:7]
	v_xor_b32_sdwa v4, v8, v4 dst_sel:DWORD dst_unused:UNUSED_PAD src0_sel:DWORD src1_sel:WORD_0
	v_cmp_eq_u32_e64 s[16:17], v11, v30
	v_cmp_eq_u32_e64 s[6:7], 0, v6
	v_cmp_o_f32_e64 s[14:15], v10, v10
	v_and_b32_e32 v8, v5, v38
	v_bfe_u32 v5, v5, s86, 2
	v_cmp_eq_u32_e64 s[40:41], 1, v6
	v_cmp_eq_u32_e64 s[30:31], 2, v6
	;; [unrolled: 1-line block ×3, first 2 shown]
	v_cndmask_b32_e64 v4, v33, v4, s[14:15]
	v_and_b32_e32 v6, v7, v38
	v_bfe_u32 v7, v7, s86, 2
	s_and_b64 s[6:7], s[16:17], s[6:7]
	v_cmp_eq_u32_e64 s[14:15], v8, v30
	v_cmp_eq_u32_e64 s[26:27], 0, v5
	;; [unrolled: 1-line block ×5, first 2 shown]
	v_cndmask_b32_e64 v5, 0, 1, s[6:7]
	v_cmp_eq_u32_e64 s[22:23], v6, v30
	v_and_b32_e32 v6, v4, v38
	v_bfe_u32 v4, v4, s86, 2
	v_cmp_eq_u32_e64 s[6:7], 0, v7
	s_and_b64 s[8:9], s[14:15], s[26:27]
	v_cmp_eq_u32_e64 s[26:27], v6, v30
	v_cmp_eq_u32_e64 s[48:49], 0, v4
	s_and_b64 s[6:7], s[22:23], s[6:7]
	v_cmp_ne_u32_e64 s[46:47], 0, v5
	v_cndmask_b32_e64 v5, 0, 1, s[8:9]
	v_cmp_eq_u32_e64 s[50:51], 1, v4
	v_cmp_eq_u32_e64 s[52:53], 2, v4
	;; [unrolled: 1-line block ×3, first 2 shown]
	v_cndmask_b32_e64 v4, 0, 1, s[6:7]
	s_and_b64 s[8:9], s[26:27], s[48:49]
	v_cmp_ne_u32_e64 s[6:7], 0, v4
	v_cndmask_b32_e64 v4, 0, 1, s[8:9]
	s_bcnt1_i32_b64 s82, s[46:47]
	v_cmp_ne_u32_e64 s[46:47], 0, v5
	s_bcnt1_i32_b64 s8, s[6:7]
	v_cmp_ne_u32_e64 s[6:7], 0, v4
	s_bcnt1_i32_b64 s46, s[46:47]
	s_bcnt1_i32_b64 s6, s[6:7]
	s_add_u32 s7, s82, s92
	s_addc_u32 s9, 0, s93
	s_add_u32 s7, s7, s46
	s_addc_u32 s9, s9, 0
	;; [unrolled: 2-line block ×4, first 2 shown]
	s_and_b64 s[6:7], s[16:17], s[40:41]
	v_cmp_eq_u32_e64 s[44:45], 1, v7
	v_cndmask_b32_e64 v6, 0, 1, s[6:7]
	s_and_b64 s[6:7], s[14:15], s[42:43]
	v_cmp_eq_u32_e64 s[36:37], 2, v7
	v_cmp_eq_u32_e64 s[24:25], 3, v7
	v_cndmask_b32_e64 v7, 0, 1, s[6:7]
	s_and_b64 s[6:7], s[22:23], s[44:45]
	v_cndmask_b32_e64 v8, 0, 1, s[6:7]
	s_and_b64 s[6:7], s[26:27], s[50:51]
	v_cndmask_b32_e64 v9, 0, 1, s[6:7]
	v_cmp_ne_u32_e64 s[6:7], 0, v6
	v_cmp_ne_u32_e64 s[40:41], 0, v7
	;; [unrolled: 1-line block ×4, first 2 shown]
	s_bcnt1_i32_b64 s6, s[6:7]
	s_bcnt1_i32_b64 s7, s[40:41]
	;; [unrolled: 1-line block ×4, first 2 shown]
	s_add_u32 s0, s6, s0
	s_addc_u32 s1, 0, s1
	s_add_u32 s0, s0, s7
	s_addc_u32 s1, s1, 0
	;; [unrolled: 2-line block ×4, first 2 shown]
	s_and_b64 s[6:7], s[16:17], s[30:31]
	v_cndmask_b32_e64 v8, 0, 1, s[6:7]
	s_and_b64 s[6:7], s[14:15], s[34:35]
	v_cndmask_b32_e64 v9, 0, 1, s[6:7]
	;; [unrolled: 2-line block ×4, first 2 shown]
	v_cmp_ne_u32_e64 s[6:7], 0, v8
	v_cmp_ne_u32_e64 s[30:31], 0, v9
	v_cmp_ne_u32_e64 s[34:35], 0, v10
	v_cmp_ne_u32_e64 s[36:37], 0, v11
	s_bcnt1_i32_b64 s6, s[6:7]
	s_bcnt1_i32_b64 s7, s[30:31]
	;; [unrolled: 1-line block ×4, first 2 shown]
	s_add_u32 s6, s6, s76
	s_addc_u32 s30, 0, s77
	s_add_u32 s6, s6, s7
	s_addc_u32 s7, s30, 0
	;; [unrolled: 2-line block ×4, first 2 shown]
	s_and_b64 s[6:7], s[16:17], s[18:19]
	v_cndmask_b32_e64 v10, 0, 1, s[6:7]
	s_and_b64 s[6:7], s[14:15], s[20:21]
	v_cndmask_b32_e64 v11, 0, 1, s[6:7]
	;; [unrolled: 2-line block ×4, first 2 shown]
	v_cmp_ne_u32_e64 s[6:7], 0, v10
	v_cmp_ne_u32_e64 s[14:15], 0, v11
	;; [unrolled: 1-line block ×4, first 2 shown]
	s_bcnt1_i32_b64 s6, s[6:7]
	s_bcnt1_i32_b64 s7, s[14:15]
	;; [unrolled: 1-line block ×4, first 2 shown]
	s_add_u32 s6, s6, s58
	s_addc_u32 s14, 0, s59
	s_add_u32 s6, s6, s7
	s_addc_u32 s7, s14, 0
	;; [unrolled: 2-line block ×3, first 2 shown]
	s_add_u32 s58, s6, s9
	v_mov_b32_e32 v4, s92
	v_mov_b32_e32 v7, s1
	;; [unrolled: 1-line block ×3, first 2 shown]
	s_addc_u32 s59, s7, 0
	v_mov_b32_e32 v10, s58
	v_mov_b32_e32 v5, s93
	;; [unrolled: 1-line block ×4, first 2 shown]
	s_or_b64 s[78:79], vcc, s[78:79]
	v_mov_b32_e32 v11, s59
	s_andn2_b64 exec, exec, s[78:79]
	s_cbranch_execnz .LBB141_73
; %bb.74:                               ;   in Loop: Header=BB141_26 Depth=1
	s_or_b64 exec, exec, s[78:79]
	v_readlane_b32 s76, v52, 42
	v_readlane_b32 s77, v52, 43
.LBB141_75:                             ;   in Loop: Header=BB141_26 Depth=1
	s_or_b64 exec, exec, s[66:67]
	v_mov_b32_e32 v22, s55
	v_add_co_u32_e32 v21, vcc, s54, v0
	v_addc_co_u32_e32 v22, vcc, 0, v22, vcc
	v_cmp_gt_u64_e32 vcc, s[56:57], v[21:22]
	s_and_saveexec_b64 s[0:1], vcc
	s_cbranch_execz .LBB141_81
; %bb.76:                               ;   in Loop: Header=BB141_26 Depth=1
	v_mul_lo_u32 v42, v22, s72
	v_mul_lo_u32 v43, v21, s73
	v_mad_u64_u32 v[40:41], s[6:7], v21, s72, 0
	s_mov_b64 s[8:9], 0
	v_add3_u32 v41, v41, v43, v42
	v_lshlrev_b64 v[40:41], 1, v[40:41]
	v_mov_b32_e32 v42, s69
	v_add_co_u32_e32 v40, vcc, s33, v40
	v_addc_co_u32_e32 v41, vcc, v42, v41, vcc
	global_load_ushort v41, v[40:41], off
	s_branch .LBB141_78
.LBB141_77:                             ;   in Loop: Header=BB141_78 Depth=2
	s_or_b64 exec, exec, s[14:15]
	s_and_b64 s[6:7], exec, vcc
	s_waitcnt vmcnt(0)
	v_cmp_lt_i16_e32 vcc, -1, v41
	v_cndmask_b32_e32 v42, v33, v34, vcc
	v_lshlrev_b32_e32 v43, 16, v41
	v_xor_b32_sdwa v41, v42, v41 dst_sel:DWORD dst_unused:UNUSED_PAD src0_sel:DWORD src1_sel:WORD_0
	v_cmp_o_f32_e32 vcc, v43, v43
	v_cndmask_b32_e32 v41, v33, v41, vcc
	v_and_b32_e32 v42, v41, v38
	v_bfe_u32 v41, v41, s86, 2
	s_or_b64 s[8:9], s[6:7], s[8:9]
	v_cmp_eq_u32_e32 vcc, v42, v30
	v_cmp_eq_u32_e64 s[6:7], 0, v41
	s_and_b64 s[6:7], vcc, s[6:7]
	v_cndmask_b32_e64 v42, 0, 1, s[6:7]
	v_cmp_ne_u32_e64 s[6:7], 0, v42
	s_bcnt1_i32_b64 s6, s[6:7]
	v_add_co_u32_e64 v4, s[6:7], s6, v4
	v_addc_co_u32_e64 v5, s[6:7], 0, v5, s[6:7]
	v_cmp_eq_u32_e64 s[6:7], 1, v41
	s_and_b64 s[6:7], vcc, s[6:7]
	v_cndmask_b32_e64 v42, 0, 1, s[6:7]
	v_cmp_ne_u32_e64 s[6:7], 0, v42
	s_bcnt1_i32_b64 s6, s[6:7]
	v_add_co_u32_e64 v6, s[6:7], s6, v6
	v_addc_co_u32_e64 v7, s[6:7], 0, v7, s[6:7]
	;; [unrolled: 7-line block ×3, first 2 shown]
	v_cmp_eq_u32_e64 s[6:7], 3, v41
	s_and_b64 s[6:7], vcc, s[6:7]
	v_cndmask_b32_e64 v41, 0, 1, s[6:7]
	v_cmp_ne_u32_e32 vcc, 0, v41
	s_bcnt1_i32_b64 s6, vcc
	v_add_co_u32_e32 v10, vcc, s6, v10
	v_addc_co_u32_e32 v11, vcc, 0, v11, vcc
	v_mov_b32_e32 v41, v40
	s_andn2_b64 exec, exec, s[8:9]
	s_cbranch_execz .LBB141_80
.LBB141_78:                             ;   Parent Loop BB141_26 Depth=1
                                        ; =>  This Inner Loop Header: Depth=2
	v_add_co_u32_sdwa v21, vcc, v21, v2 dst_sel:DWORD dst_unused:UNUSED_PAD src0_sel:DWORD src1_sel:WORD_0
	v_addc_co_u32_e32 v22, vcc, 0, v22, vcc
	v_cmp_gt_u64_e64 s[6:7], s[56:57], v[21:22]
	v_cmp_le_u64_e32 vcc, s[56:57], v[21:22]
	v_mov_b32_e32 v40, 0
	s_and_saveexec_b64 s[14:15], s[6:7]
	s_cbranch_execz .LBB141_77
; %bb.79:                               ;   in Loop: Header=BB141_78 Depth=2
	v_mul_lo_u32 v40, v22, s72
	v_mul_lo_u32 v44, v21, s73
	v_mad_u64_u32 v[42:43], s[6:7], v21, s72, 0
	v_add3_u32 v43, v43, v44, v40
	v_lshlrev_b64 v[42:43], 1, v[42:43]
	v_mov_b32_e32 v40, s69
	v_add_co_u32_e64 v42, s[6:7], s33, v42
	v_addc_co_u32_e64 v43, s[6:7], v40, v43, s[6:7]
	global_load_ushort v40, v[42:43], off
	s_branch .LBB141_77
.LBB141_80:                             ;   in Loop: Header=BB141_26 Depth=1
	s_or_b64 exec, exec, s[8:9]
.LBB141_81:                             ;   in Loop: Header=BB141_26 Depth=1
	s_or_b64 exec, exec, s[0:1]
	s_branch .LBB141_60
.LBB141_82:                             ;   in Loop: Header=BB141_26 Depth=1
	global_load_ushort v2, v3, s[76:77]
	v_mov_b32_e32 v8, 0
	v_mov_b32_e32 v9, 0
	s_waitcnt vmcnt(0)
	v_readfirstlane_b32 s0, v2
	s_and_b32 s65, 0xffff, s0
	s_lshl_b32 s82, s65, 2
	v_cvt_f32_u32_e32 v4, s82
	s_sub_i32 s0, 0, s82
	v_rcp_iflag_f32_e32 v6, v4
	v_mov_b32_e32 v4, 0
	v_mov_b32_e32 v5, 0
	v_mul_f32_e32 v6, 0x4f7ffffe, v6
	v_cvt_u32_f32_e32 v10, v6
	v_mov_b32_e32 v6, 0
	v_mov_b32_e32 v7, 0
	v_readfirstlane_b32 s1, v10
	s_mul_i32 s0, s0, s1
	s_mul_hi_u32 s0, s1, s0
	s_add_i32 s1, s1, s0
	s_mul_hi_u32 s0, s64, s1
	s_mul_i32 s1, s0, s82
	s_sub_i32 s1, s64, s1
	s_add_i32 s6, s0, 1
	s_sub_i32 s7, s1, s82
	s_cmp_ge_u32 s1, s82
	s_cselect_b32 s0, s6, s0
	s_cselect_b32 s1, s7, s1
	s_add_i32 s6, s0, 1
	s_cmp_ge_u32 s1, s82
	s_cselect_b32 s0, s6, s0
	s_mul_hi_u32 s1, s65, s0
	s_mul_i32 s0, s65, s0
	s_lshl_b64 s[58:59], s[0:1], 2
	v_cmp_gt_u64_e32 vcc, s[58:59], v[14:15]
	v_mov_b32_e32 v10, 0
	v_mov_b32_e32 v11, 0
	s_and_saveexec_b64 s[66:67], vcc
	s_cbranch_execz .LBB141_86
; %bb.83:                               ;   in Loop: Header=BB141_26 Depth=1
	v_mov_b32_e32 v22, v15
	s_lshl_b32 s1, s65, 3
	s_mov_b64 s[76:77], 0
	v_mov_b32_e32 v40, v31
	s_mov_b64 s[78:79], 0
	s_mov_b64 s[92:93], 0
	;; [unrolled: 1-line block ×4, first 2 shown]
	v_mov_b32_e32 v21, v14
.LBB141_84:                             ;   Parent Loop BB141_26 Depth=1
                                        ; =>  This Inner Loop Header: Depth=2
	ds_read_b64 v[4:5], v40
	v_add_co_u32_e32 v21, vcc, s82, v21
	v_addc_co_u32_e32 v22, vcc, 0, v22, vcc
	s_waitcnt lgkmcnt(0)
	v_cmp_lt_i16_e64 s[6:7], -1, v4
	v_cndmask_b32_e64 v10, v33, v34, s[6:7]
	v_cmp_gt_i16_sdwa s[6:7], v4, v36 src0_sel:WORD_1 src1_sel:DWORD
	v_lshlrev_b32_e32 v6, 16, v4
	v_cndmask_b32_e64 v11, v33, v34, s[6:7]
	v_cmp_lt_i16_e64 s[6:7], -1, v5
	v_and_b32_e32 v7, 0xffff0000, v4
	v_cndmask_b32_e64 v41, v33, v34, s[6:7]
	v_cmp_gt_i16_sdwa s[6:7], v5, v36 src0_sel:WORD_1 src1_sel:DWORD
	v_xor_b32_sdwa v11, v11, v4 dst_sel:DWORD dst_unused:UNUSED_PAD src0_sel:DWORD src1_sel:WORD_1
	v_xor_b32_sdwa v4, v10, v4 dst_sel:DWORD dst_unused:UNUSED_PAD src0_sel:DWORD src1_sel:WORD_0
	v_cmp_o_f32_e64 s[18:19], v6, v6
	v_lshlrev_b32_e32 v8, 16, v5
	v_cndmask_b32_e64 v42, v33, v34, s[6:7]
	v_cmp_o_f32_e64 s[6:7], v7, v7
	v_cndmask_b32_e64 v4, v33, v4, s[18:19]
	v_and_b32_e32 v9, 0xffff0000, v5
	v_xor_b32_sdwa v7, v41, v5 dst_sel:DWORD dst_unused:UNUSED_PAD src0_sel:DWORD src1_sel:WORD_0
	v_cmp_o_f32_e64 s[14:15], v8, v8
	v_cndmask_b32_e64 v6, v33, v11, s[6:7]
	v_and_b32_e32 v8, v4, v38
	v_bfe_u32 v4, v4, s86, 2
	v_xor_b32_sdwa v5, v42, v5 dst_sel:DWORD dst_unused:UNUSED_PAD src0_sel:DWORD src1_sel:WORD_1
	v_cmp_o_f32_e64 s[16:17], v9, v9
	v_cndmask_b32_e64 v7, v33, v7, s[14:15]
	v_and_b32_e32 v9, v6, v38
	v_bfe_u32 v6, v6, s86, 2
	v_cmp_eq_u32_e64 s[20:21], v8, v30
	v_cmp_eq_u32_e64 s[6:7], 0, v4
	v_cndmask_b32_e64 v5, v33, v5, s[16:17]
	v_and_b32_e32 v10, v7, v38
	v_bfe_u32 v7, v7, s86, 2
	v_cmp_eq_u32_e64 s[18:19], v9, v30
	v_cmp_eq_u32_e64 s[36:37], 0, v6
	s_and_b64 s[6:7], s[20:21], s[6:7]
	v_and_b32_e32 v11, v5, v38
	v_bfe_u32 v5, v5, s86, 2
	v_cmp_eq_u32_e64 s[16:17], v10, v30
	v_cmp_eq_u32_e64 s[40:41], 0, v7
	;; [unrolled: 1-line block ×5, first 2 shown]
	v_cndmask_b32_e64 v4, 0, 1, s[6:7]
	s_and_b64 s[6:7], s[18:19], s[36:37]
	v_cmp_eq_u32_e64 s[14:15], v11, v30
	v_cmp_eq_u32_e64 s[42:43], 0, v5
	;; [unrolled: 1-line block ×5, first 2 shown]
	v_cndmask_b32_e64 v5, 0, 1, s[6:7]
	s_and_b64 s[6:7], s[16:17], s[40:41]
	v_cmp_eq_u32_e64 s[46:47], 1, v6
	v_cmp_eq_u32_e64 s[54:55], 2, v6
	;; [unrolled: 1-line block ×3, first 2 shown]
	v_cndmask_b32_e64 v6, 0, 1, s[6:7]
	s_and_b64 s[6:7], s[14:15], s[42:43]
	v_cmp_eq_u32_e64 s[48:49], 1, v7
	v_cmp_eq_u32_e64 s[34:35], 2, v7
	;; [unrolled: 1-line block ×3, first 2 shown]
	v_cndmask_b32_e64 v7, 0, 1, s[6:7]
	v_cmp_ne_u32_e64 s[6:7], 0, v4
	v_cmp_ne_u32_e64 s[36:37], 0, v5
	v_cmp_ne_u32_e64 s[40:41], 0, v6
	v_cmp_ne_u32_e64 s[42:43], 0, v7
	s_bcnt1_i32_b64 s6, s[6:7]
	s_bcnt1_i32_b64 s7, s[36:37]
	s_bcnt1_i32_b64 s36, s[40:41]
	s_bcnt1_i32_b64 s37, s[42:43]
	s_add_u32 s6, s6, s8
	s_addc_u32 s8, 0, s9
	s_add_u32 s6, s6, s7
	s_addc_u32 s7, s8, 0
	s_add_u32 s6, s6, s36
	s_addc_u32 s7, s7, 0
	s_add_u32 s8, s6, s37
	s_addc_u32 s9, s7, 0
	s_and_b64 s[6:7], s[20:21], s[44:45]
	v_cndmask_b32_e64 v6, 0, 1, s[6:7]
	s_and_b64 s[6:7], s[18:19], s[46:47]
	v_cndmask_b32_e64 v7, 0, 1, s[6:7]
	s_and_b64 s[6:7], s[16:17], s[48:49]
	v_cndmask_b32_e64 v8, 0, 1, s[6:7]
	s_and_b64 s[6:7], s[14:15], s[50:51]
	v_cndmask_b32_e64 v9, 0, 1, s[6:7]
	v_cmp_ne_u32_e64 s[6:7], 0, v6
	v_cmp_ne_u32_e64 s[36:37], 0, v7
	v_cmp_ne_u32_e64 s[40:41], 0, v8
	v_cmp_ne_u32_e64 s[42:43], 0, v9
	s_bcnt1_i32_b64 s6, s[6:7]
	s_bcnt1_i32_b64 s7, s[36:37]
	s_bcnt1_i32_b64 s36, s[40:41]
	s_bcnt1_i32_b64 s37, s[42:43]
	s_add_u32 s6, s6, s94
	s_addc_u32 s40, 0, s95
	s_add_u32 s6, s6, s7
	s_addc_u32 s7, s40, 0
	s_add_u32 s6, s6, s36
	s_addc_u32 s7, s7, 0
	s_add_u32 s94, s6, s37
	s_addc_u32 s95, s7, 0
	s_and_b64 s[6:7], s[20:21], s[52:53]
	v_cndmask_b32_e64 v8, 0, 1, s[6:7]
	s_and_b64 s[6:7], s[18:19], s[54:55]
	v_cndmask_b32_e64 v9, 0, 1, s[6:7]
	s_and_b64 s[6:7], s[16:17], s[34:35]
	v_cndmask_b32_e64 v10, 0, 1, s[6:7]
	s_and_b64 s[6:7], s[14:15], s[30:31]
	;; [unrolled: 24-line block ×3, first 2 shown]
	v_cndmask_b32_e64 v42, 0, 1, s[6:7]
	v_cmp_ne_u32_e64 s[6:7], 0, v10
	v_cmp_ne_u32_e64 s[14:15], 0, v11
	;; [unrolled: 1-line block ×4, first 2 shown]
	s_bcnt1_i32_b64 s6, s[6:7]
	s_bcnt1_i32_b64 s7, s[14:15]
	;; [unrolled: 1-line block ×4, first 2 shown]
	s_add_u32 s6, s6, s78
	s_addc_u32 s16, 0, s79
	s_add_u32 s6, s6, s7
	s_addc_u32 s7, s16, 0
	;; [unrolled: 2-line block ×3, first 2 shown]
	v_cmp_le_u64_e32 vcc, s[58:59], v[21:22]
	s_add_u32 s78, s6, s15
	v_mov_b32_e32 v4, s8
	v_mov_b32_e32 v6, s94
	;; [unrolled: 1-line block ×3, first 2 shown]
	s_addc_u32 s79, s7, 0
	v_mov_b32_e32 v10, s78
	v_add_u32_e32 v40, s1, v40
	v_mov_b32_e32 v5, s9
	v_mov_b32_e32 v7, s95
	;; [unrolled: 1-line block ×3, first 2 shown]
	s_or_b64 s[76:77], vcc, s[76:77]
	v_mov_b32_e32 v11, s79
	s_andn2_b64 exec, exec, s[76:77]
	s_cbranch_execnz .LBB141_84
; %bb.85:                               ;   in Loop: Header=BB141_26 Depth=1
	s_or_b64 exec, exec, s[76:77]
	v_readlane_b32 s76, v52, 42
	v_readlane_b32 s77, v52, 43
.LBB141_86:                             ;   in Loop: Header=BB141_26 Depth=1
	s_or_b64 exec, exec, s[66:67]
	v_mov_b32_e32 v22, s59
	v_add_co_u32_e32 v21, vcc, s58, v0
	s_and_b32 s82, s64, 0x7fffffff
	v_addc_co_u32_e32 v22, vcc, 0, v22, vcc
	v_cmp_gt_u64_e32 vcc, s[82:83], v[21:22]
	s_and_saveexec_b64 s[8:9], vcc
	s_cbranch_execz .LBB141_90
; %bb.87:                               ;   in Loop: Header=BB141_26 Depth=1
	v_lshl_add_u32 v40, s0, 3, v24
	s_lshl_b32 s22, s65, 1
	s_mov_b64 s[0:1], 0
.LBB141_88:                             ;   Parent Loop BB141_26 Depth=1
                                        ; =>  This Inner Loop Header: Depth=2
	ds_read_u16 v41, v40
	v_add_co_u32_sdwa v21, vcc, v21, v2 dst_sel:DWORD dst_unused:UNUSED_PAD src0_sel:DWORD src1_sel:WORD_0
	v_addc_co_u32_e32 v22, vcc, 0, v22, vcc
	s_waitcnt lgkmcnt(0)
	v_cmp_lt_i16_e64 s[6:7], -1, v41
	v_cndmask_b32_e64 v42, v33, v34, s[6:7]
	v_lshlrev_b32_e32 v43, 16, v41
	v_xor_b32_sdwa v41, v42, v41 dst_sel:DWORD dst_unused:UNUSED_PAD src0_sel:DWORD src1_sel:WORD_0
	v_cmp_o_f32_e64 s[6:7], v43, v43
	v_cndmask_b32_e64 v41, v33, v41, s[6:7]
	v_and_b32_e32 v42, v41, v38
	v_bfe_u32 v41, v41, s86, 2
	v_cmp_eq_u32_e64 s[6:7], v42, v30
	v_cmp_eq_u32_e64 s[14:15], 0, v41
	;; [unrolled: 1-line block ×3, first 2 shown]
	s_and_b64 s[14:15], s[6:7], s[14:15]
	v_cmp_eq_u32_e64 s[18:19], 2, v41
	v_cmp_eq_u32_e64 s[20:21], 3, v41
	v_cndmask_b32_e64 v41, 0, 1, s[14:15]
	s_and_b64 s[14:15], s[6:7], s[16:17]
	v_cndmask_b32_e64 v42, 0, 1, s[14:15]
	s_and_b64 s[14:15], s[6:7], s[18:19]
	s_and_b64 s[6:7], s[6:7], s[20:21]
	v_cndmask_b32_e64 v44, 0, 1, s[6:7]
	v_cmp_ne_u32_e64 s[6:7], 0, v41
	s_bcnt1_i32_b64 s6, s[6:7]
	v_cndmask_b32_e64 v43, 0, 1, s[14:15]
	v_cmp_ne_u32_e64 s[14:15], 0, v42
	v_add_co_u32_e64 v4, s[6:7], s6, v4
	s_bcnt1_i32_b64 s14, s[14:15]
	v_addc_co_u32_e64 v5, s[6:7], 0, v5, s[6:7]
	v_cmp_le_u64_e32 vcc, s[82:83], v[21:22]
	v_cmp_ne_u32_e64 s[16:17], 0, v43
	v_cmp_ne_u32_e64 s[18:19], 0, v44
	v_add_co_u32_e64 v6, s[6:7], s14, v6
	s_bcnt1_i32_b64 s15, s[16:17]
	s_bcnt1_i32_b64 s16, s[18:19]
	v_addc_co_u32_e64 v7, s[6:7], 0, v7, s[6:7]
	v_add_co_u32_e64 v8, s[6:7], s15, v8
	s_or_b64 s[0:1], vcc, s[0:1]
	v_add_co_u32_e32 v10, vcc, s16, v10
	v_add_u32_e32 v40, s22, v40
	v_addc_co_u32_e64 v9, s[6:7], 0, v9, s[6:7]
	v_addc_co_u32_e32 v11, vcc, 0, v11, vcc
	s_andn2_b64 exec, exec, s[0:1]
	s_cbranch_execnz .LBB141_88
; %bb.89:                               ;   in Loop: Header=BB141_26 Depth=1
	s_or_b64 exec, exec, s[0:1]
.LBB141_90:                             ;   in Loop: Header=BB141_26 Depth=1
	s_or_b64 exec, exec, s[8:9]
	s_lshl_b32 s6, s84, 6
	s_and_saveexec_b64 s[0:1], s[4:5]
	s_cbranch_execnz .LBB141_61
	s_branch .LBB141_62
.LBB141_91:                             ;   in Loop: Header=BB141_26 Depth=1
                                        ; implicit-def: $sgpr0_sgpr1
	s_branch .LBB141_70
.LBB141_92:                             ;   in Loop: Header=BB141_26 Depth=1
	v_mov_b32_e32 v4, 0
	v_mov_b32_e32 v5, 0
	s_mov_b32 s7, 0
.LBB141_93:                             ;   in Loop: Header=BB141_26 Depth=1
	v_readlane_b32 s8, v52, 40
	v_readlane_b32 s9, v52, 41
	s_andn2_b64 vcc, exec, s[8:9]
	s_cbranch_vccnz .LBB141_96
; %bb.94:                               ;   in Loop: Header=BB141_26 Depth=1
	s_lshl_b32 s8, s84, 9
	s_lshl_b32 s7, s7, 5
	s_add_i32 s8, s8, s7
	v_add_u32_e32 v2, s8, v32
	v_readlane_b32 s7, v52, 39
.LBB141_95:                             ;   Parent Loop BB141_26 Depth=1
                                        ; =>  This Inner Loop Header: Depth=2
	ds_read_b64 v[6:7], v2
	s_add_i32 s7, s7, -1
	v_add_u32_e32 v2, 32, v2
	s_cmp_lg_u32 s7, 0
	s_waitcnt lgkmcnt(0)
	v_add_co_u32_e32 v4, vcc, v6, v4
	v_addc_co_u32_e32 v5, vcc, v7, v5, vcc
	s_cbranch_scc1 .LBB141_95
.LBB141_96:                             ;   in Loop: Header=BB141_26 Depth=1
	v_add_lshl_u32 v2, s6, v23, 3
	ds_write_b64 v2, v[4:5] offset:3072
.LBB141_97:                             ;   in Loop: Header=BB141_26 Depth=1
	s_or_b64 exec, exec, s[0:1]
	s_lshl_b32 s0, s6, 3
	v_mov_b32_e32 v2, s0
	s_waitcnt lgkmcnt(0)
	s_barrier
	ds_read_b128 v[8:11], v2 offset:3088
	ds_read_b128 v[4:7], v2 offset:3072
	v_cmp_eq_u64_e64 s[6:7], 1, v[19:20]
	s_lshl_b32 s66, 3, s86
	s_not_b32 s54, s66
	s_waitcnt lgkmcnt(1)
	v_readfirstlane_b32 s22, v8
	s_waitcnt lgkmcnt(0)
	v_cmp_eq_u64_e32 vcc, 1, v[4:5]
	v_readfirstlane_b32 s23, v9
	v_readfirstlane_b32 s14, v10
	;; [unrolled: 1-line block ×3, first 2 shown]
	s_and_b64 s[18:19], vcc, s[6:7]
	s_mov_b64 s[6:7], -1
	s_mov_b64 s[20:21], -1
                                        ; implicit-def: $sgpr8_sgpr9
                                        ; implicit-def: $sgpr0_sgpr1
	s_and_saveexec_b64 s[16:17], s[18:19]
	s_cbranch_execz .LBB141_135
; %bb.98:                               ;   in Loop: Header=BB141_26 Depth=1
	ds_read_b64 v[8:9], v3 offset:5120
	s_waitcnt lgkmcnt(0)
	s_barrier
	v_readfirstlane_b32 s24, v8
	v_readfirstlane_b32 s25, v9
	s_mov_b64 s[0:1], exec
	v_readlane_b32 s8, v52, 26
	v_readlane_b32 s9, v52, 27
	s_and_b64 s[8:9], s[0:1], s[8:9]
	s_mov_b64 exec, s[8:9]
; %bb.99:                               ;   in Loop: Header=BB141_26 Depth=1
	ds_write_b16 v25, v3
; %bb.100:                              ;   in Loop: Header=BB141_26 Depth=1
	s_or_b64 exec, exec, s[0:1]
	v_and_b32_e32 v30, s54, v30
	v_or_b32_e32 v38, s66, v38
	s_mov_b64 s[0:1], -1
	s_mov_b64 s[8:9], 0
	s_cmp_eq_u64 s[24:25], 0
	s_mov_b64 s[20:21], 0
	s_mov_b64 s[26:27], -1
	s_waitcnt lgkmcnt(0)
	s_barrier
                                        ; implicit-def: $vgpr39
	s_cbranch_scc1 .LBB141_114
; %bb.101:                              ;   in Loop: Header=BB141_26 Depth=1
	s_add_u32 s30, s24, s85
	v_readlane_b32 s20, v52, 32
	s_addc_u32 s21, s25, s20
	s_mov_b32 s20, s83
	s_cmp_lg_u64 s[20:21], 0
	s_cbranch_scc0 .LBB141_117
; %bb.102:                              ;   in Loop: Header=BB141_26 Depth=1
	v_cvt_f32_u32_e32 v2, s68
	s_sub_u32 s20, 0, s68
	s_subb_u32 s28, 0, 0
	v_mac_f32_e32 v2, 0, v35
	v_rcp_f32_e32 v2, v2
	v_mul_f32_e32 v2, 0x5f7ffffc, v2
	v_mul_f32_e32 v8, 0x2f800000, v2
	v_trunc_f32_e32 v8, v8
	v_mac_f32_e32 v2, 0xcf800000, v8
	v_cvt_u32_f32_e32 v8, v8
	v_cvt_u32_f32_e32 v2, v2
	v_readfirstlane_b32 s29, v8
	v_readfirstlane_b32 s26, v2
	s_mul_i32 s27, s20, s29
	s_mul_hi_u32 s34, s20, s26
	s_mul_i32 s31, s28, s26
	s_add_i32 s27, s34, s27
	s_mul_i32 s35, s20, s26
	s_add_i32 s27, s27, s31
	s_mul_hi_u32 s34, s26, s35
	s_mul_i32 s36, s26, s27
	s_mul_hi_u32 s31, s26, s27
	s_add_u32 s34, s34, s36
	s_addc_u32 s31, 0, s31
	s_mul_hi_u32 s37, s29, s35
	s_mul_i32 s35, s29, s35
	s_add_u32 s34, s34, s35
	s_mul_hi_u32 s36, s29, s27
	s_addc_u32 s31, s31, s37
	s_addc_u32 s34, s36, 0
	s_mul_i32 s27, s29, s27
	s_add_u32 s27, s31, s27
	s_addc_u32 s31, 0, s34
	s_add_u32 s34, s26, s27
	s_cselect_b64 s[26:27], -1, 0
	s_cmp_lg_u64 s[26:27], 0
	s_addc_u32 s29, s29, s31
	s_mul_i32 s26, s20, s29
	s_mul_hi_u32 s27, s20, s34
	s_add_i32 s26, s27, s26
	s_mul_i32 s28, s28, s34
	s_add_i32 s26, s26, s28
	s_mul_i32 s20, s20, s34
	s_mul_hi_u32 s28, s29, s20
	s_mul_i32 s31, s29, s20
	s_mul_i32 s36, s34, s26
	s_mul_hi_u32 s20, s34, s20
	s_mul_hi_u32 s35, s34, s26
	s_add_u32 s20, s20, s36
	s_addc_u32 s35, 0, s35
	s_add_u32 s20, s20, s31
	s_mul_hi_u32 s27, s29, s26
	s_addc_u32 s20, s35, s28
	s_addc_u32 s27, s27, 0
	s_mul_i32 s26, s29, s26
	s_add_u32 s20, s20, s26
	s_addc_u32 s28, 0, s27
	s_add_u32 s20, s34, s20
	s_cselect_b64 s[26:27], -1, 0
	s_cmp_lg_u64 s[26:27], 0
	s_addc_u32 s26, s29, s28
	s_mul_i32 s28, s30, s26
	s_mul_hi_u32 s29, s30, s20
	s_mul_hi_u32 s27, s30, s26
	s_add_u32 s28, s29, s28
	s_addc_u32 s27, 0, s27
	s_mul_hi_u32 s31, s21, s20
	s_mul_i32 s20, s21, s20
	s_add_u32 s20, s28, s20
	s_mul_hi_u32 s29, s21, s26
	s_addc_u32 s20, s27, s31
	s_addc_u32 s27, s29, 0
	s_mul_i32 s26, s21, s26
	s_add_u32 s20, s20, s26
	s_addc_u32 s26, 0, s27
	s_mul_i32 s26, s68, s26
	s_mul_hi_u32 s27, s68, s20
	s_add_i32 s28, s27, s26
	s_mul_i32 s20, s68, s20
	s_sub_u32 s20, s30, s20
	s_cselect_b64 s[26:27], -1, 0
	s_cmp_lg_u64 s[26:27], 0
	s_subb_u32 s28, s21, s28
	s_sub_u32 s29, s20, s68
	s_cselect_b64 s[26:27], -1, 0
	s_cmp_lg_u64 s[26:27], 0
	s_subb_u32 s31, s28, 0
	;; [unrolled: 4-line block ×3, first 2 shown]
	s_cmp_ge_u32 s29, s68
	s_cselect_b32 s27, -1, 0
	s_cmp_eq_u32 s31, 0
	s_cselect_b32 s27, s27, -1
	s_cmp_lg_u32 s27, 0
	s_cselect_b32 s26, s26, s31
	s_cselect_b32 s29, s34, s29
	s_cmp_ge_u32 s20, s68
	s_cselect_b32 s27, -1, 0
	s_cmp_eq_u32 s28, 0
	s_cselect_b32 s27, s27, -1
	s_cmp_lg_u32 s27, 0
	s_cselect_b32 s27, s26, s28
	s_cselect_b32 s26, s29, s20
	s_cbranch_execnz .LBB141_104
.LBB141_103:                            ;   in Loop: Header=BB141_26 Depth=1
	v_cvt_f32_u32_e32 v2, s68
	s_sub_i32 s20, 0, s68
	v_rcp_iflag_f32_e32 v2, v2
	v_mul_f32_e32 v2, 0x4f7ffffe, v2
	v_cvt_u32_f32_e32 v2, v2
	v_readfirstlane_b32 s26, v2
	s_mul_i32 s20, s20, s26
	s_mul_hi_u32 s20, s26, s20
	s_add_i32 s26, s26, s20
	s_mul_hi_u32 s20, s30, s26
	s_mul_i32 s20, s20, s68
	s_sub_i32 s20, s30, s20
	s_sub_i32 s26, s20, s68
	s_cmp_ge_u32 s20, s68
	s_cselect_b32 s20, s26, s20
	s_sub_i32 s26, s20, s68
	s_cmp_ge_u32 s20, s68
	s_cselect_b32 s82, s26, s20
	s_mov_b64 s[26:27], s[82:83]
.LBB141_104:                            ;   in Loop: Header=BB141_26 Depth=1
	s_sub_u32 s30, s30, s26
	s_subb_u32 s31, s21, s27
	v_cmp_gt_u64_e32 vcc, s[30:31], v[0:1]
	s_mov_b64 s[26:27], 0
	s_mov_b64 s[20:21], 0
                                        ; implicit-def: $vgpr39
	s_and_saveexec_b64 s[28:29], vcc
	s_cbranch_execz .LBB141_113
; %bb.105:                              ;   in Loop: Header=BB141_26 Depth=1
	v_mov_b32_e32 v9, v1
	v_mov_b32_e32 v2, v24
	;; [unrolled: 1-line block ×3, first 2 shown]
                                        ; implicit-def: $sgpr34_sgpr35
	s_branch .LBB141_108
.LBB141_106:                            ;   in Loop: Header=BB141_108 Depth=2
	s_or_b64 exec, exec, s[36:37]
	s_waitcnt lgkmcnt(0)
	s_barrier
	ds_read_b32 v10, v3 offset:3072
	s_mov_b64 s[36:37], -1
	s_mov_b64 s[40:41], -1
	s_waitcnt lgkmcnt(0)
	s_barrier
	v_and_b32_e32 v11, 0x7fff, v10
	v_cmp_ne_u32_e32 vcc, 0, v11
	s_cbranch_vccz .LBB141_111
.LBB141_107:                            ;   in Loop: Header=BB141_108 Depth=2
	s_and_b64 s[36:37], exec, s[36:37]
	s_or_b64 s[20:21], s[36:37], s[20:21]
	s_andn2_b64 s[34:35], s[34:35], exec
	s_and_b64 s[36:37], s[40:41], exec
	s_or_b64 s[34:35], s[34:35], s[36:37]
	s_andn2_b64 exec, exec, s[20:21]
	s_cbranch_execz .LBB141_112
.LBB141_108:                            ;   Parent Loop BB141_26 Depth=1
                                        ; =>  This Inner Loop Header: Depth=2
	v_cmp_gt_u64_e32 vcc, s[24:25], v[8:9]
	s_and_saveexec_b64 s[36:37], vcc
	s_cbranch_execz .LBB141_106
; %bb.109:                              ;   in Loop: Header=BB141_108 Depth=2
	ds_read_u16 v10, v2
	s_waitcnt lgkmcnt(0)
	v_cmp_lt_i16_e32 vcc, -1, v10
	v_cndmask_b32_e32 v11, v33, v34, vcc
	v_lshlrev_b32_e32 v21, 16, v10
	v_cmp_o_f32_e32 vcc, v21, v21
	v_xor_b32_sdwa v11, v11, v10 dst_sel:DWORD dst_unused:UNUSED_PAD src0_sel:DWORD src1_sel:WORD_0
	v_cndmask_b32_e32 v11, v33, v11, vcc
	v_and_b32_e32 v11, v11, v38
	v_cmp_eq_u32_e32 vcc, v11, v30
	s_and_b64 exec, exec, vcc
	s_cbranch_execz .LBB141_106
; %bb.110:                              ;   in Loop: Header=BB141_108 Depth=2
	v_perm_b32 v10, v10, s39, v37
	ds_write_b32 v3, v10 offset:3072
	s_branch .LBB141_106
.LBB141_111:                            ;   in Loop: Header=BB141_108 Depth=2
	v_add_co_u32_e32 v8, vcc, s68, v8
	v_addc_co_u32_e32 v9, vcc, 0, v9, vcc
	v_cmp_le_u64_e32 vcc, s[30:31], v[8:9]
	v_add_u32_e32 v2, s38, v2
	s_mov_b64 s[40:41], 0
	s_orn2_b64 s[36:37], vcc, exec
	s_branch .LBB141_107
.LBB141_112:                            ;   in Loop: Header=BB141_26 Depth=1
	s_or_b64 exec, exec, s[20:21]
	v_lshrrev_b32_e32 v39, 16, v10
	s_and_b64 s[20:21], s[34:35], exec
.LBB141_113:                            ;   in Loop: Header=BB141_26 Depth=1
	s_or_b64 exec, exec, s[28:29]
.LBB141_114:                            ;   in Loop: Header=BB141_26 Depth=1
	s_and_b64 vcc, exec, s[26:27]
	s_cbranch_vccz .LBB141_134
; %bb.115:                              ;   in Loop: Header=BB141_26 Depth=1
	s_mov_b32 s88, s83
	s_cmp_lg_u64 s[88:89], 0
	s_cbranch_scc0 .LBB141_121
; %bb.116:                              ;   in Loop: Header=BB141_26 Depth=1
	v_cvt_f32_u32_e32 v2, s68
	s_sub_u32 s8, 0, s68
	s_subb_u32 s9, 0, 0
	v_mac_f32_e32 v2, 0, v35
	v_rcp_f32_e32 v2, v2
	v_mul_f32_e32 v2, 0x5f7ffffc, v2
	v_mul_f32_e32 v8, 0x2f800000, v2
	v_trunc_f32_e32 v8, v8
	v_mac_f32_e32 v2, 0xcf800000, v8
	v_cvt_u32_f32_e32 v8, v8
	v_cvt_u32_f32_e32 v2, v2
	v_readfirstlane_b32 s24, v8
	v_readfirstlane_b32 s0, v2
	s_mul_i32 s1, s8, s24
	s_mul_hi_u32 s26, s8, s0
	s_mul_i32 s25, s9, s0
	s_add_i32 s1, s26, s1
	s_mul_i32 s27, s8, s0
	s_add_i32 s1, s1, s25
	s_mul_hi_u32 s26, s0, s27
	s_mul_i32 s28, s0, s1
	s_mul_hi_u32 s25, s0, s1
	s_add_u32 s26, s26, s28
	s_addc_u32 s25, 0, s25
	s_mul_hi_u32 s29, s24, s27
	s_mul_i32 s27, s24, s27
	s_add_u32 s26, s26, s27
	s_mul_hi_u32 s28, s24, s1
	s_addc_u32 s25, s25, s29
	s_addc_u32 s26, s28, 0
	s_mul_i32 s1, s24, s1
	s_add_u32 s1, s25, s1
	s_addc_u32 s25, 0, s26
	s_add_u32 s26, s0, s1
	s_cselect_b64 s[0:1], -1, 0
	s_cmp_lg_u64 s[0:1], 0
	s_addc_u32 s24, s24, s25
	s_mul_i32 s0, s8, s24
	s_mul_hi_u32 s1, s8, s26
	s_add_i32 s0, s1, s0
	s_mul_i32 s9, s9, s26
	s_add_i32 s0, s0, s9
	s_mul_i32 s8, s8, s26
	s_mul_hi_u32 s9, s24, s8
	s_mul_i32 s25, s24, s8
	s_mul_i32 s28, s26, s0
	s_mul_hi_u32 s8, s26, s8
	s_mul_hi_u32 s27, s26, s0
	s_add_u32 s8, s8, s28
	s_addc_u32 s27, 0, s27
	s_add_u32 s8, s8, s25
	s_mul_hi_u32 s1, s24, s0
	s_addc_u32 s8, s27, s9
	s_addc_u32 s1, s1, 0
	s_mul_i32 s0, s24, s0
	s_add_u32 s0, s8, s0
	s_addc_u32 s8, 0, s1
	s_add_u32 s9, s26, s0
	s_cselect_b64 s[0:1], -1, 0
	s_cmp_lg_u64 s[0:1], 0
	s_addc_u32 s0, s24, s8
	s_mul_i32 s8, s2, s0
	s_mul_hi_u32 s24, s2, s9
	s_mul_hi_u32 s1, s2, s0
	s_add_u32 s8, s24, s8
	s_addc_u32 s1, 0, s1
	s_mul_hi_u32 s25, s89, s9
	s_mul_i32 s9, s89, s9
	s_add_u32 s8, s8, s9
	s_mul_hi_u32 s24, s89, s0
	s_addc_u32 s1, s1, s25
	s_addc_u32 s8, s24, 0
	s_mul_i32 s0, s89, s0
	s_add_u32 s0, s1, s0
	s_addc_u32 s1, 0, s8
	s_mul_i32 s1, s68, s1
	s_mul_hi_u32 s8, s68, s0
	s_add_i32 s8, s8, s1
	s_mul_i32 s0, s68, s0
	s_sub_u32 s9, s2, s0
	s_cselect_b64 s[0:1], -1, 0
	s_cmp_lg_u64 s[0:1], 0
	s_subb_u32 s8, s89, s8
	s_sub_u32 s24, s9, s68
	s_cselect_b64 s[0:1], -1, 0
	s_cmp_lg_u64 s[0:1], 0
	s_subb_u32 s25, s8, 0
	;; [unrolled: 4-line block ×3, first 2 shown]
	s_cmp_ge_u32 s24, s68
	s_cselect_b32 s1, -1, 0
	s_cmp_eq_u32 s25, 0
	s_cselect_b32 s1, s1, -1
	s_cmp_lg_u32 s1, 0
	s_cselect_b32 s0, s0, s25
	s_cselect_b32 s24, s26, s24
	s_cmp_ge_u32 s9, s68
	s_cselect_b32 s1, -1, 0
	s_cmp_eq_u32 s8, 0
	s_cselect_b32 s1, s1, -1
	s_cmp_lg_u32 s1, 0
	s_cselect_b32 s1, s0, s8
	s_cselect_b32 s0, s24, s9
	s_mov_b64 s[8:9], 0
	s_branch .LBB141_122
.LBB141_117:                            ;   in Loop: Header=BB141_26 Depth=1
                                        ; implicit-def: $sgpr26_sgpr27
	s_branch .LBB141_103
.LBB141_118:                            ;   in Loop: Header=BB141_26 Depth=1
	s_or_b64 exec, exec, s[8:9]
	s_waitcnt lgkmcnt(0)
	s_barrier
	s_mov_b64 s[6:7], exec
	v_readlane_b32 s8, v52, 16
	v_readlane_b32 s9, v52, 17
	s_and_b64 s[8:9], s[6:7], s[8:9]
	s_mov_b64 exec, s[8:9]
	s_cbranch_execz .LBB141_120
; %bb.119:                              ;   in Loop: Header=BB141_26 Depth=1
	ds_read_b32 v4, v3 offset:5144
	s_waitcnt lgkmcnt(0)
	v_ashrrev_i32_e32 v5, 31, v4
	ds_write_b64 v3, v[4:5] offset:5120
.LBB141_120:                            ;   in Loop: Header=BB141_26 Depth=1
	s_or_b64 exec, exec, s[6:7]
	s_waitcnt lgkmcnt(0)
	s_barrier
	s_mov_b64 s[6:7], -1
	s_and_b64 vcc, exec, s[0:1]
	s_cbranch_vccnz .LBB141_41
	s_branch .LBB141_56
.LBB141_121:                            ;   in Loop: Header=BB141_26 Depth=1
	s_mov_b64 s[8:9], -1
                                        ; implicit-def: $sgpr0_sgpr1
.LBB141_122:                            ;   in Loop: Header=BB141_26 Depth=1
	s_andn2_b64 vcc, exec, s[8:9]
	v_readlane_b32 s88, v52, 44
	s_cbranch_vccnz .LBB141_124
; %bb.123:                              ;   in Loop: Header=BB141_26 Depth=1
	v_cvt_f32_u32_e32 v2, s68
	s_sub_i32 s0, 0, s68
	v_rcp_iflag_f32_e32 v2, v2
	v_mul_f32_e32 v2, 0x4f7ffffe, v2
	v_cvt_u32_f32_e32 v2, v2
	v_readfirstlane_b32 s1, v2
	s_mul_i32 s0, s0, s1
	s_mul_hi_u32 s0, s1, s0
	s_add_i32 s1, s1, s0
	s_mul_hi_u32 s0, s2, s1
	s_mul_i32 s0, s0, s68
	s_sub_i32 s0, s2, s0
	s_sub_i32 s1, s0, s68
	s_cmp_ge_u32 s0, s68
	s_cselect_b32 s0, s1, s0
	s_sub_i32 s1, s0, s68
	s_cmp_ge_u32 s0, s68
	s_cselect_b32 s82, s1, s0
	s_mov_b64 s[0:1], s[82:83]
.LBB141_124:                            ;   in Loop: Header=BB141_26 Depth=1
	s_sub_u32 s8, s2, s0
	s_subb_u32 s9, s89, s1
	v_cmp_gt_u64_e32 vcc, s[8:9], v[0:1]
                                        ; implicit-def: $vgpr39
	s_and_saveexec_b64 s[0:1], vcc
	s_cbranch_execz .LBB141_133
; %bb.125:                              ;   in Loop: Header=BB141_26 Depth=1
	v_mov_b32_e32 v9, v1
	s_mov_b64 s[24:25], 0
	v_mov_b32_e32 v8, v0
                                        ; implicit-def: $sgpr26_sgpr27
	s_branch .LBB141_128
.LBB141_126:                            ;   in Loop: Header=BB141_128 Depth=2
	s_or_b64 exec, exec, s[28:29]
	s_waitcnt lgkmcnt(0)
	s_barrier
	ds_read_b32 v2, v3 offset:3072
	s_mov_b64 s[28:29], -1
	s_mov_b64 s[30:31], -1
	s_waitcnt lgkmcnt(0)
	s_barrier
	v_and_b32_e32 v10, 0x7fff, v2
	v_cmp_ne_u32_e32 vcc, 0, v10
	s_cbranch_vccz .LBB141_131
.LBB141_127:                            ;   in Loop: Header=BB141_128 Depth=2
	s_and_b64 s[28:29], exec, s[28:29]
	s_or_b64 s[24:25], s[28:29], s[24:25]
	s_andn2_b64 s[26:27], s[26:27], exec
	s_and_b64 s[28:29], s[30:31], exec
	s_or_b64 s[26:27], s[26:27], s[28:29]
	s_andn2_b64 exec, exec, s[24:25]
	s_cbranch_execz .LBB141_132
.LBB141_128:                            ;   Parent Loop BB141_26 Depth=1
                                        ; =>  This Inner Loop Header: Depth=2
	v_cmp_gt_u64_e32 vcc, s[56:57], v[8:9]
	s_and_saveexec_b64 s[28:29], vcc
	s_cbranch_execz .LBB141_126
; %bb.129:                              ;   in Loop: Header=BB141_128 Depth=2
	v_mul_lo_u32 v2, v9, s72
	v_mul_lo_u32 v21, v8, s73
	v_mad_u64_u32 v[10:11], s[30:31], v8, s72, 0
	v_add3_u32 v11, v11, v21, v2
	v_lshlrev_b64 v[10:11], 1, v[10:11]
	v_mov_b32_e32 v2, s69
	v_add_co_u32_e32 v10, vcc, s33, v10
	v_addc_co_u32_e32 v11, vcc, v2, v11, vcc
	global_load_ushort v2, v[10:11], off
	s_waitcnt vmcnt(0)
	v_cmp_lt_i16_e32 vcc, -1, v2
	v_cndmask_b32_e32 v10, v33, v34, vcc
	v_lshlrev_b32_e32 v11, 16, v2
	v_xor_b32_sdwa v10, v10, v2 dst_sel:DWORD dst_unused:UNUSED_PAD src0_sel:DWORD src1_sel:WORD_0
	v_cmp_o_f32_e32 vcc, v11, v11
	v_cndmask_b32_e32 v10, v33, v10, vcc
	v_and_b32_e32 v10, v10, v38
	v_cmp_eq_u32_e32 vcc, v10, v30
	s_and_b64 exec, exec, vcc
	s_cbranch_execz .LBB141_126
; %bb.130:                              ;   in Loop: Header=BB141_128 Depth=2
	v_perm_b32 v2, v2, s39, v37
	ds_write_b32 v3, v2 offset:3072
	s_branch .LBB141_126
.LBB141_131:                            ;   in Loop: Header=BB141_128 Depth=2
	v_add_co_u32_e32 v8, vcc, s68, v8
	v_addc_co_u32_e32 v9, vcc, 0, v9, vcc
	v_cmp_le_u64_e32 vcc, s[8:9], v[8:9]
	s_mov_b64 s[30:31], 0
	s_orn2_b64 s[28:29], vcc, exec
	s_branch .LBB141_127
.LBB141_132:                            ;   in Loop: Header=BB141_26 Depth=1
	s_or_b64 exec, exec, s[24:25]
	s_andn2_b64 s[8:9], s[20:21], exec
	s_and_b64 s[20:21], s[26:27], exec
	v_lshrrev_b32_e32 v39, 16, v2
	s_or_b64 s[20:21], s[8:9], s[20:21]
.LBB141_133:                            ;   in Loop: Header=BB141_26 Depth=1
	s_or_b64 exec, exec, s[0:1]
	s_mov_b64 s[0:1], 0
	s_mov_b64 s[8:9], -1
.LBB141_134:                            ;   in Loop: Header=BB141_26 Depth=1
	s_orn2_b64 s[20:21], s[20:21], exec
.LBB141_135:                            ;   in Loop: Header=BB141_26 Depth=1
	s_or_b64 exec, exec, s[16:17]
	s_andn2_b64 s[10:11], s[10:11], exec
	s_and_b64 s[8:9], s[8:9], exec
	s_or_b64 s[10:11], s[10:11], s[8:9]
	s_andn2_b64 s[8:9], s[12:13], exec
	s_and_b64 s[0:1], s[0:1], exec
	s_andn2_b64 s[70:71], s[70:71], exec
	s_or_b64 s[12:13], s[8:9], s[0:1]
                                        ; implicit-def: $vgpr8_vgpr9
	s_and_saveexec_b64 s[16:17], s[20:21]
	s_cbranch_execz .LBB141_25
; %bb.136:                              ;   in Loop: Header=BB141_26 Depth=1
	v_mov_b32_e32 v8, 1
	s_xor_b64 s[6:7], s[18:19], -1
	v_mov_b32_e32 v2, 1
	v_mov_b32_e32 v9, 0
	s_mov_b64 s[8:9], 0
	s_and_saveexec_b64 s[0:1], s[6:7]
	s_cbranch_execz .LBB141_145
; %bb.137:                              ;   in Loop: Header=BB141_26 Depth=1
	v_cmp_le_u64_e32 vcc, v[19:20], v[4:5]
	s_and_saveexec_b64 s[6:7], vcc
	s_xor_b64 s[6:7], exec, s[6:7]
	s_cbranch_execz .LBB141_142
; %bb.138:                              ;   in Loop: Header=BB141_26 Depth=1
	ds_read_b64 v[8:9], v3 offset:5120
	v_and_b32_e32 v30, s54, v30
	v_or_b32_e32 v38, s66, v38
	s_waitcnt lgkmcnt(0)
	v_cmp_ne_u64_e32 vcc, 0, v[8:9]
	s_cbranch_vccnz .LBB141_142
; %bb.139:                              ;   in Loop: Header=BB141_26 Depth=1
	s_mov_b64 s[8:9], exec
	v_readlane_b32 s18, v52, 16
	v_readlane_b32 s19, v52, 17
	s_and_b64 s[18:19], s[8:9], s[18:19]
	s_mov_b64 exec, s[18:19]
; %bb.140:                              ;   in Loop: Header=BB141_26 Depth=1
	ds_write_b64 v3, v[4:5] offset:5128
; %bb.141:                              ;   in Loop: Header=BB141_26 Depth=1
	s_or_b64 exec, exec, s[8:9]
	s_waitcnt lgkmcnt(0)
	s_barrier
.LBB141_142:                            ;   in Loop: Header=BB141_26 Depth=1
	s_or_saveexec_b64 s[6:7], s[6:7]
	s_mov_b64 s[8:9], 0
	v_mov_b32_e32 v2, 8
	s_xor_b64 exec, exec, s[6:7]
; %bb.143:                              ;   in Loop: Header=BB141_26 Depth=1
	v_sub_co_u32_e32 v19, vcc, v19, v4
	s_mov_b64 s[8:9], exec
	v_subb_co_u32_e32 v20, vcc, v20, v5, vcc
	v_mov_b32_e32 v2, 0
; %bb.144:                              ;   in Loop: Header=BB141_26 Depth=1
	s_or_b64 exec, exec, s[6:7]
	v_mov_b32_e32 v8, v19
	s_and_b64 s[8:9], s[8:9], exec
	v_mov_b32_e32 v9, v20
.LBB141_145:                            ;   in Loop: Header=BB141_26 Depth=1
	s_or_b64 exec, exec, s[0:1]
	s_mov_b64 s[18:19], -1
	s_mov_b64 s[0:1], -1
                                        ; implicit-def: $sgpr6_sgpr7
                                        ; implicit-def: $sgpr24_sgpr25
	s_and_saveexec_b64 s[20:21], s[8:9]
	s_xor_b64 s[20:21], exec, s[20:21]
	s_cbranch_execz .LBB141_290
; %bb.146:                              ;   in Loop: Header=BB141_26 Depth=1
	v_cmp_eq_u64_e32 vcc, 1, v[6:7]
	v_cmp_eq_u64_e64 s[6:7], 1, v[8:9]
                                        ; implicit-def: $sgpr24_sgpr25
	s_and_b64 s[28:29], vcc, s[6:7]
                                        ; implicit-def: $sgpr6_sgpr7
	s_and_saveexec_b64 s[26:27], s[28:29]
	s_cbranch_execz .LBB141_181
; %bb.147:                              ;   in Loop: Header=BB141_26 Depth=1
	ds_read_b64 v[4:5], v3 offset:5120
	s_waitcnt lgkmcnt(0)
	s_barrier
	v_readfirstlane_b32 s8, v4
	v_readfirstlane_b32 s9, v5
	s_mov_b64 s[0:1], exec
	v_readlane_b32 s6, v52, 26
	v_readlane_b32 s7, v52, 27
	s_and_b64 s[6:7], s[0:1], s[6:7]
	s_mov_b64 exec, s[6:7]
; %bb.148:                              ;   in Loop: Header=BB141_26 Depth=1
	ds_write_b16 v25, v3
; %bb.149:                              ;   in Loop: Header=BB141_26 Depth=1
	s_or_b64 exec, exec, s[0:1]
	v_and_b32_e32 v4, s54, v30
	v_lshl_or_b32 v30, 1, s86, v4
	v_or_b32_e32 v38, s66, v38
	s_mov_b64 s[6:7], -1
	s_mov_b64 s[24:25], 0
	s_cmp_eq_u64 s[8:9], 0
	s_mov_b64 s[0:1], 0
	s_mov_b64 s[30:31], -1
	s_waitcnt lgkmcnt(0)
	s_barrier
                                        ; implicit-def: $vgpr39
	s_cbranch_scc1 .LBB141_163
; %bb.150:                              ;   in Loop: Header=BB141_26 Depth=1
	s_add_u32 s36, s8, s85
	v_readlane_b32 s0, v52, 32
	s_addc_u32 s1, s9, s0
	s_mov_b32 s0, s83
	s_cmp_lg_u64 s[0:1], 0
	s_cbranch_scc0 .LBB141_166
; %bb.151:                              ;   in Loop: Header=BB141_26 Depth=1
	v_cvt_f32_u32_e32 v4, s68
	s_sub_u32 s0, 0, s68
	s_subb_u32 s34, 0, 0
	v_mac_f32_e32 v4, 0, v35
	v_rcp_f32_e32 v4, v4
	v_mul_f32_e32 v4, 0x5f7ffffc, v4
	v_mul_f32_e32 v5, 0x2f800000, v4
	v_trunc_f32_e32 v5, v5
	v_mac_f32_e32 v4, 0xcf800000, v5
	v_cvt_u32_f32_e32 v5, v5
	v_cvt_u32_f32_e32 v4, v4
	v_readfirstlane_b32 s35, v5
	v_readfirstlane_b32 s30, v4
	s_mul_i32 s31, s0, s35
	s_mul_hi_u32 s40, s0, s30
	s_mul_i32 s37, s34, s30
	s_add_i32 s31, s40, s31
	s_mul_i32 s41, s0, s30
	s_add_i32 s31, s31, s37
	s_mul_hi_u32 s40, s30, s41
	s_mul_i32 s42, s30, s31
	s_mul_hi_u32 s37, s30, s31
	s_add_u32 s40, s40, s42
	s_addc_u32 s37, 0, s37
	s_mul_hi_u32 s43, s35, s41
	s_mul_i32 s41, s35, s41
	s_add_u32 s40, s40, s41
	s_mul_hi_u32 s42, s35, s31
	s_addc_u32 s37, s37, s43
	s_addc_u32 s40, s42, 0
	s_mul_i32 s31, s35, s31
	s_add_u32 s31, s37, s31
	s_addc_u32 s37, 0, s40
	s_add_u32 s40, s30, s31
	s_cselect_b64 s[30:31], -1, 0
	s_cmp_lg_u64 s[30:31], 0
	s_addc_u32 s35, s35, s37
	s_mul_i32 s30, s0, s35
	s_mul_hi_u32 s31, s0, s40
	s_add_i32 s30, s31, s30
	s_mul_i32 s34, s34, s40
	s_add_i32 s30, s30, s34
	s_mul_i32 s0, s0, s40
	s_mul_hi_u32 s34, s35, s0
	s_mul_i32 s37, s35, s0
	s_mul_i32 s42, s40, s30
	s_mul_hi_u32 s0, s40, s0
	s_mul_hi_u32 s41, s40, s30
	s_add_u32 s0, s0, s42
	s_addc_u32 s41, 0, s41
	s_add_u32 s0, s0, s37
	s_mul_hi_u32 s31, s35, s30
	s_addc_u32 s0, s41, s34
	s_addc_u32 s31, s31, 0
	s_mul_i32 s30, s35, s30
	s_add_u32 s0, s0, s30
	s_addc_u32 s34, 0, s31
	s_add_u32 s0, s40, s0
	s_cselect_b64 s[30:31], -1, 0
	s_cmp_lg_u64 s[30:31], 0
	s_addc_u32 s30, s35, s34
	s_mul_i32 s34, s36, s30
	s_mul_hi_u32 s35, s36, s0
	s_mul_hi_u32 s31, s36, s30
	s_add_u32 s34, s35, s34
	s_addc_u32 s31, 0, s31
	s_mul_hi_u32 s37, s1, s0
	s_mul_i32 s0, s1, s0
	s_add_u32 s0, s34, s0
	s_mul_hi_u32 s35, s1, s30
	s_addc_u32 s0, s31, s37
	s_addc_u32 s31, s35, 0
	s_mul_i32 s30, s1, s30
	s_add_u32 s0, s0, s30
	s_addc_u32 s30, 0, s31
	s_mul_i32 s30, s68, s30
	s_mul_hi_u32 s31, s68, s0
	s_add_i32 s34, s31, s30
	s_mul_i32 s0, s68, s0
	s_sub_u32 s0, s36, s0
	s_cselect_b64 s[30:31], -1, 0
	s_cmp_lg_u64 s[30:31], 0
	s_subb_u32 s34, s1, s34
	s_sub_u32 s35, s0, s68
	s_cselect_b64 s[30:31], -1, 0
	s_cmp_lg_u64 s[30:31], 0
	s_subb_u32 s37, s34, 0
	;; [unrolled: 4-line block ×3, first 2 shown]
	s_cmp_ge_u32 s35, s68
	s_cselect_b32 s31, -1, 0
	s_cmp_eq_u32 s37, 0
	s_cselect_b32 s31, s31, -1
	s_cmp_lg_u32 s31, 0
	s_cselect_b32 s30, s30, s37
	s_cselect_b32 s35, s40, s35
	s_cmp_ge_u32 s0, s68
	s_cselect_b32 s31, -1, 0
	s_cmp_eq_u32 s34, 0
	s_cselect_b32 s31, s31, -1
	s_cmp_lg_u32 s31, 0
	s_cselect_b32 s31, s30, s34
	s_cselect_b32 s30, s35, s0
	s_cbranch_execnz .LBB141_153
.LBB141_152:                            ;   in Loop: Header=BB141_26 Depth=1
	v_cvt_f32_u32_e32 v4, s68
	s_sub_i32 s0, 0, s68
	v_rcp_iflag_f32_e32 v4, v4
	v_mul_f32_e32 v4, 0x4f7ffffe, v4
	v_cvt_u32_f32_e32 v4, v4
	v_readfirstlane_b32 s30, v4
	s_mul_i32 s0, s0, s30
	s_mul_hi_u32 s0, s30, s0
	s_add_i32 s30, s30, s0
	s_mul_hi_u32 s0, s36, s30
	s_mul_i32 s0, s0, s68
	s_sub_i32 s0, s36, s0
	s_sub_i32 s30, s0, s68
	s_cmp_ge_u32 s0, s68
	s_cselect_b32 s0, s30, s0
	s_sub_i32 s30, s0, s68
	s_cmp_ge_u32 s0, s68
	s_cselect_b32 s82, s30, s0
	s_mov_b64 s[30:31], s[82:83]
.LBB141_153:                            ;   in Loop: Header=BB141_26 Depth=1
	s_sub_u32 s36, s36, s30
	s_subb_u32 s37, s1, s31
	v_cmp_gt_u64_e32 vcc, s[36:37], v[0:1]
	s_mov_b64 s[30:31], 0
	s_mov_b64 s[0:1], 0
                                        ; implicit-def: $vgpr39
	s_and_saveexec_b64 s[34:35], vcc
	s_cbranch_execz .LBB141_162
; %bb.154:                              ;   in Loop: Header=BB141_26 Depth=1
	v_mov_b32_e32 v5, v1
	v_mov_b32_e32 v10, v24
	;; [unrolled: 1-line block ×3, first 2 shown]
                                        ; implicit-def: $sgpr40_sgpr41
	s_branch .LBB141_157
.LBB141_155:                            ;   in Loop: Header=BB141_157 Depth=2
	s_or_b64 exec, exec, s[42:43]
	s_waitcnt lgkmcnt(0)
	s_barrier
	ds_read_b32 v11, v3 offset:3072
	s_mov_b64 s[42:43], -1
	s_mov_b64 s[44:45], -1
	s_waitcnt lgkmcnt(0)
	s_barrier
	v_and_b32_e32 v19, 0x7fff, v11
	v_cmp_ne_u32_e32 vcc, 0, v19
	s_cbranch_vccz .LBB141_160
.LBB141_156:                            ;   in Loop: Header=BB141_157 Depth=2
	s_and_b64 s[42:43], exec, s[42:43]
	s_or_b64 s[0:1], s[42:43], s[0:1]
	s_andn2_b64 s[40:41], s[40:41], exec
	s_and_b64 s[42:43], s[44:45], exec
	s_or_b64 s[40:41], s[40:41], s[42:43]
	s_andn2_b64 exec, exec, s[0:1]
	s_cbranch_execz .LBB141_161
.LBB141_157:                            ;   Parent Loop BB141_26 Depth=1
                                        ; =>  This Inner Loop Header: Depth=2
	v_cmp_gt_u64_e32 vcc, s[8:9], v[4:5]
	s_and_saveexec_b64 s[42:43], vcc
	s_cbranch_execz .LBB141_155
; %bb.158:                              ;   in Loop: Header=BB141_157 Depth=2
	ds_read_u16 v11, v10
	s_waitcnt lgkmcnt(0)
	v_cmp_lt_i16_e32 vcc, -1, v11
	v_cndmask_b32_e32 v19, v33, v34, vcc
	v_lshlrev_b32_e32 v20, 16, v11
	v_cmp_o_f32_e32 vcc, v20, v20
	v_xor_b32_sdwa v19, v19, v11 dst_sel:DWORD dst_unused:UNUSED_PAD src0_sel:DWORD src1_sel:WORD_0
	v_cndmask_b32_e32 v19, v33, v19, vcc
	v_and_b32_e32 v19, v19, v38
	v_cmp_eq_u32_e32 vcc, v19, v30
	s_and_b64 exec, exec, vcc
	s_cbranch_execz .LBB141_155
; %bb.159:                              ;   in Loop: Header=BB141_157 Depth=2
	v_perm_b32 v11, v11, s39, v37
	ds_write_b32 v3, v11 offset:3072
	s_branch .LBB141_155
.LBB141_160:                            ;   in Loop: Header=BB141_157 Depth=2
	v_add_co_u32_e32 v4, vcc, s68, v4
	v_addc_co_u32_e32 v5, vcc, 0, v5, vcc
	v_cmp_le_u64_e32 vcc, s[36:37], v[4:5]
	v_add_u32_e32 v10, s38, v10
	s_mov_b64 s[44:45], 0
	s_orn2_b64 s[42:43], vcc, exec
	s_branch .LBB141_156
.LBB141_161:                            ;   in Loop: Header=BB141_26 Depth=1
	s_or_b64 exec, exec, s[0:1]
	v_lshrrev_b32_e32 v39, 16, v11
	s_and_b64 s[0:1], s[40:41], exec
.LBB141_162:                            ;   in Loop: Header=BB141_26 Depth=1
	s_or_b64 exec, exec, s[34:35]
.LBB141_163:                            ;   in Loop: Header=BB141_26 Depth=1
	s_and_b64 vcc, exec, s[30:31]
	s_cbranch_vccz .LBB141_180
; %bb.164:                              ;   in Loop: Header=BB141_26 Depth=1
	s_mov_b32 s88, s83
	s_cmp_lg_u64 s[88:89], 0
	s_cbranch_scc0 .LBB141_167
; %bb.165:                              ;   in Loop: Header=BB141_26 Depth=1
	v_cvt_f32_u32_e32 v4, s68
	s_sub_u32 s8, 0, s68
	s_subb_u32 s9, 0, 0
	v_mac_f32_e32 v4, 0, v35
	v_rcp_f32_e32 v4, v4
	v_mul_f32_e32 v4, 0x5f7ffffc, v4
	v_mul_f32_e32 v5, 0x2f800000, v4
	v_trunc_f32_e32 v5, v5
	v_mac_f32_e32 v4, 0xcf800000, v5
	v_cvt_u32_f32_e32 v5, v5
	v_cvt_u32_f32_e32 v4, v4
	v_readfirstlane_b32 s24, v5
	v_readfirstlane_b32 s6, v4
	s_mul_i32 s7, s8, s24
	s_mul_hi_u32 s30, s8, s6
	s_mul_i32 s25, s9, s6
	s_add_i32 s7, s30, s7
	s_mul_i32 s31, s8, s6
	s_add_i32 s7, s7, s25
	s_mul_hi_u32 s30, s6, s31
	s_mul_i32 s34, s6, s7
	s_mul_hi_u32 s25, s6, s7
	s_add_u32 s30, s30, s34
	s_addc_u32 s25, 0, s25
	s_mul_hi_u32 s35, s24, s31
	s_mul_i32 s31, s24, s31
	s_add_u32 s30, s30, s31
	s_mul_hi_u32 s34, s24, s7
	s_addc_u32 s25, s25, s35
	s_addc_u32 s30, s34, 0
	s_mul_i32 s7, s24, s7
	s_add_u32 s7, s25, s7
	s_addc_u32 s25, 0, s30
	s_add_u32 s30, s6, s7
	s_cselect_b64 s[6:7], -1, 0
	s_cmp_lg_u64 s[6:7], 0
	s_addc_u32 s24, s24, s25
	s_mul_i32 s6, s8, s24
	s_mul_hi_u32 s7, s8, s30
	s_add_i32 s6, s7, s6
	s_mul_i32 s9, s9, s30
	s_add_i32 s6, s6, s9
	s_mul_i32 s8, s8, s30
	s_mul_hi_u32 s9, s24, s8
	s_mul_i32 s25, s24, s8
	s_mul_i32 s34, s30, s6
	s_mul_hi_u32 s8, s30, s8
	s_mul_hi_u32 s31, s30, s6
	s_add_u32 s8, s8, s34
	s_addc_u32 s31, 0, s31
	s_add_u32 s8, s8, s25
	s_mul_hi_u32 s7, s24, s6
	s_addc_u32 s8, s31, s9
	s_addc_u32 s7, s7, 0
	s_mul_i32 s6, s24, s6
	s_add_u32 s6, s8, s6
	s_addc_u32 s8, 0, s7
	s_add_u32 s9, s30, s6
	s_cselect_b64 s[6:7], -1, 0
	s_cmp_lg_u64 s[6:7], 0
	s_addc_u32 s6, s24, s8
	s_mul_i32 s8, s2, s6
	s_mul_hi_u32 s24, s2, s9
	s_mul_hi_u32 s7, s2, s6
	s_add_u32 s8, s24, s8
	s_addc_u32 s7, 0, s7
	s_mul_hi_u32 s25, s89, s9
	s_mul_i32 s9, s89, s9
	s_add_u32 s8, s8, s9
	s_mul_hi_u32 s24, s89, s6
	s_addc_u32 s7, s7, s25
	s_addc_u32 s8, s24, 0
	s_mul_i32 s6, s89, s6
	s_add_u32 s6, s7, s6
	s_addc_u32 s7, 0, s8
	s_mul_i32 s7, s68, s7
	s_mul_hi_u32 s8, s68, s6
	s_add_i32 s8, s8, s7
	s_mul_i32 s6, s68, s6
	s_sub_u32 s9, s2, s6
	s_cselect_b64 s[6:7], -1, 0
	s_cmp_lg_u64 s[6:7], 0
	s_subb_u32 s8, s89, s8
	s_sub_u32 s24, s9, s68
	s_cselect_b64 s[6:7], -1, 0
	s_cmp_lg_u64 s[6:7], 0
	s_subb_u32 s25, s8, 0
	;; [unrolled: 4-line block ×3, first 2 shown]
	s_cmp_ge_u32 s24, s68
	s_cselect_b32 s7, -1, 0
	s_cmp_eq_u32 s25, 0
	s_cselect_b32 s7, s7, -1
	s_cmp_lg_u32 s7, 0
	s_cselect_b32 s6, s6, s25
	s_cselect_b32 s24, s30, s24
	s_cmp_ge_u32 s9, s68
	s_cselect_b32 s7, -1, 0
	s_cmp_eq_u32 s8, 0
	s_cselect_b32 s7, s7, -1
	s_cmp_lg_u32 s7, 0
	s_cselect_b32 s7, s6, s8
	s_cselect_b32 s6, s24, s9
	s_mov_b64 s[8:9], 0
	s_branch .LBB141_168
.LBB141_166:                            ;   in Loop: Header=BB141_26 Depth=1
                                        ; implicit-def: $sgpr30_sgpr31
	s_branch .LBB141_152
.LBB141_167:                            ;   in Loop: Header=BB141_26 Depth=1
	s_mov_b64 s[8:9], -1
                                        ; implicit-def: $sgpr6_sgpr7
.LBB141_168:                            ;   in Loop: Header=BB141_26 Depth=1
	s_andn2_b64 vcc, exec, s[8:9]
	v_readlane_b32 s88, v52, 44
	s_cbranch_vccnz .LBB141_170
; %bb.169:                              ;   in Loop: Header=BB141_26 Depth=1
	v_cvt_f32_u32_e32 v4, s68
	s_sub_i32 s6, 0, s68
	v_rcp_iflag_f32_e32 v4, v4
	v_mul_f32_e32 v4, 0x4f7ffffe, v4
	v_cvt_u32_f32_e32 v4, v4
	v_readfirstlane_b32 s7, v4
	s_mul_i32 s6, s6, s7
	s_mul_hi_u32 s6, s7, s6
	s_add_i32 s7, s7, s6
	s_mul_hi_u32 s6, s2, s7
	s_mul_i32 s6, s6, s68
	s_sub_i32 s6, s2, s6
	s_sub_i32 s7, s6, s68
	s_cmp_ge_u32 s6, s68
	s_cselect_b32 s6, s7, s6
	s_sub_i32 s7, s6, s68
	s_cmp_ge_u32 s6, s68
	s_cselect_b32 s82, s7, s6
	s_mov_b64 s[6:7], s[82:83]
.LBB141_170:                            ;   in Loop: Header=BB141_26 Depth=1
	s_sub_u32 s8, s2, s6
	s_subb_u32 s9, s89, s7
	v_cmp_gt_u64_e32 vcc, s[8:9], v[0:1]
                                        ; implicit-def: $vgpr39
	s_and_saveexec_b64 s[6:7], vcc
	s_cbranch_execz .LBB141_179
; %bb.171:                              ;   in Loop: Header=BB141_26 Depth=1
	v_mov_b32_e32 v5, v1
	s_mov_b64 s[24:25], 0
	v_mov_b32_e32 v4, v0
                                        ; implicit-def: $sgpr30_sgpr31
	s_branch .LBB141_174
.LBB141_172:                            ;   in Loop: Header=BB141_174 Depth=2
	s_or_b64 exec, exec, s[34:35]
	s_waitcnt lgkmcnt(0)
	s_barrier
	ds_read_b32 v10, v3 offset:3072
	s_mov_b64 s[34:35], -1
	s_mov_b64 s[36:37], -1
	s_waitcnt lgkmcnt(0)
	s_barrier
	v_and_b32_e32 v11, 0x7fff, v10
	v_cmp_eq_u32_e32 vcc, 0, v11
	s_cbranch_vccnz .LBB141_177
.LBB141_173:                            ;   in Loop: Header=BB141_174 Depth=2
	s_and_b64 s[34:35], exec, s[34:35]
	s_or_b64 s[24:25], s[34:35], s[24:25]
	s_andn2_b64 s[30:31], s[30:31], exec
	s_and_b64 s[34:35], s[36:37], exec
	s_or_b64 s[30:31], s[30:31], s[34:35]
	s_andn2_b64 exec, exec, s[24:25]
	s_cbranch_execz .LBB141_178
.LBB141_174:                            ;   Parent Loop BB141_26 Depth=1
                                        ; =>  This Inner Loop Header: Depth=2
	v_cmp_gt_u64_e32 vcc, s[56:57], v[4:5]
	s_and_saveexec_b64 s[34:35], vcc
	s_cbranch_execz .LBB141_172
; %bb.175:                              ;   in Loop: Header=BB141_174 Depth=2
	v_mul_lo_u32 v19, v5, s72
	v_mul_lo_u32 v20, v4, s73
	v_mad_u64_u32 v[10:11], s[36:37], v4, s72, 0
	v_add3_u32 v11, v11, v20, v19
	v_lshlrev_b64 v[10:11], 1, v[10:11]
	v_mov_b32_e32 v19, s69
	v_add_co_u32_e32 v10, vcc, s33, v10
	v_addc_co_u32_e32 v11, vcc, v19, v11, vcc
	global_load_ushort v10, v[10:11], off
	s_waitcnt vmcnt(0)
	v_cmp_lt_i16_e32 vcc, -1, v10
	v_cndmask_b32_e32 v11, v33, v34, vcc
	v_lshlrev_b32_e32 v19, 16, v10
	v_xor_b32_sdwa v11, v11, v10 dst_sel:DWORD dst_unused:UNUSED_PAD src0_sel:DWORD src1_sel:WORD_0
	v_cmp_o_f32_e32 vcc, v19, v19
	v_cndmask_b32_e32 v11, v33, v11, vcc
	v_and_b32_e32 v11, v11, v38
	v_cmp_eq_u32_e32 vcc, v11, v30
	s_and_b64 exec, exec, vcc
	s_cbranch_execz .LBB141_172
; %bb.176:                              ;   in Loop: Header=BB141_174 Depth=2
	v_perm_b32 v10, v10, s39, v37
	ds_write_b32 v3, v10 offset:3072
	s_branch .LBB141_172
.LBB141_177:                            ;   in Loop: Header=BB141_174 Depth=2
	v_add_co_u32_e32 v4, vcc, s68, v4
	v_addc_co_u32_e32 v5, vcc, 0, v5, vcc
	v_cmp_le_u64_e32 vcc, s[8:9], v[4:5]
	s_mov_b64 s[36:37], 0
	s_orn2_b64 s[34:35], vcc, exec
	s_branch .LBB141_173
.LBB141_178:                            ;   in Loop: Header=BB141_26 Depth=1
	s_or_b64 exec, exec, s[24:25]
	s_andn2_b64 s[0:1], s[0:1], exec
	s_and_b64 s[8:9], s[30:31], exec
	v_lshrrev_b32_e32 v39, 16, v10
	s_or_b64 s[0:1], s[0:1], s[8:9]
.LBB141_179:                            ;   in Loop: Header=BB141_26 Depth=1
	s_or_b64 exec, exec, s[6:7]
	s_mov_b64 s[6:7], 0
	s_mov_b64 s[24:25], -1
.LBB141_180:                            ;   in Loop: Header=BB141_26 Depth=1
	s_orn2_b64 s[0:1], s[0:1], exec
.LBB141_181:                            ;   in Loop: Header=BB141_26 Depth=1
	s_or_b64 exec, exec, s[26:27]
	s_mov_b64 s[8:9], 0
	s_and_saveexec_b64 s[26:27], s[0:1]
	s_cbranch_execz .LBB141_289
; %bb.182:                              ;   in Loop: Header=BB141_26 Depth=1
	v_mov_b32_e32 v4, 1
	s_xor_b64 s[28:29], s[28:29], -1
	v_mov_b32_e32 v2, 1
	v_mov_b32_e32 v5, 0
	s_and_saveexec_b64 s[0:1], s[28:29]
	s_cbranch_execz .LBB141_192
; %bb.183:                              ;   in Loop: Header=BB141_26 Depth=1
	v_cmp_le_u64_e32 vcc, v[8:9], v[6:7]
	s_and_saveexec_b64 s[8:9], vcc
	s_xor_b64 s[8:9], exec, s[8:9]
	s_cbranch_execz .LBB141_189
; %bb.184:                              ;   in Loop: Header=BB141_26 Depth=1
	ds_read_b64 v[4:5], v3 offset:5120
	v_and_b32_e32 v2, s54, v30
	v_lshl_or_b32 v30, 1, s86, v2
	v_or_b32_e32 v38, s66, v38
	s_waitcnt lgkmcnt(0)
	v_cmp_ne_u64_e32 vcc, 0, v[4:5]
	s_cbranch_vccnz .LBB141_188
; %bb.185:                              ;   in Loop: Header=BB141_26 Depth=1
	s_mov_b64 s[28:29], exec
	v_readlane_b32 s30, v52, 16
	v_readlane_b32 s31, v52, 17
	s_and_b64 s[30:31], s[28:29], s[30:31]
	s_mov_b64 exec, s[30:31]
; %bb.186:                              ;   in Loop: Header=BB141_26 Depth=1
	ds_write_b64 v3, v[6:7] offset:5128
; %bb.187:                              ;   in Loop: Header=BB141_26 Depth=1
	s_or_b64 exec, exec, s[28:29]
	s_waitcnt lgkmcnt(0)
	s_barrier
.LBB141_188:                            ;   in Loop: Header=BB141_26 Depth=1
                                        ; implicit-def: $vgpr4_vgpr5_vgpr6_vgpr7
.LBB141_189:                            ;   in Loop: Header=BB141_26 Depth=1
	s_or_saveexec_b64 s[8:9], s[8:9]
	s_mov_b64 s[28:29], 0
	v_mov_b32_e32 v2, 8
	s_xor_b64 exec, exec, s[8:9]
; %bb.190:                              ;   in Loop: Header=BB141_26 Depth=1
	v_sub_co_u32_e32 v8, vcc, v8, v6
	v_subb_co_u32_e32 v9, vcc, v9, v7, vcc
	v_mov_b32_e32 v2, 0
	s_mov_b64 s[28:29], exec
; %bb.191:                              ;   in Loop: Header=BB141_26 Depth=1
	s_or_b64 exec, exec, s[8:9]
	v_mov_b32_e32 v4, v8
	s_and_b64 s[8:9], s[28:29], exec
	v_mov_b32_e32 v5, v9
.LBB141_192:                            ;   in Loop: Header=BB141_26 Depth=1
	s_or_b64 exec, exec, s[0:1]
	s_mov_b64 s[0:1], -1
                                        ; implicit-def: $sgpr30_sgpr31
                                        ; implicit-def: $sgpr34_sgpr35
	s_and_saveexec_b64 s[28:29], s[8:9]
	s_cbranch_execz .LBB141_288
; %bb.193:                              ;   in Loop: Header=BB141_26 Depth=1
	s_cmp_eq_u64 s[22:23], 1
	v_cmp_eq_u64_e32 vcc, 1, v[4:5]
	s_cselect_b64 s[0:1], -1, 0
	s_and_b64 s[40:41], s[0:1], vcc
	s_mov_b64 s[0:1], -1
                                        ; implicit-def: $sgpr34_sgpr35
                                        ; implicit-def: $sgpr30_sgpr31
	s_and_saveexec_b64 s[36:37], s[40:41]
	s_cbranch_execz .LBB141_228
; %bb.194:                              ;   in Loop: Header=BB141_26 Depth=1
	ds_read_b64 v[6:7], v3 offset:5120
	s_waitcnt lgkmcnt(0)
	s_barrier
	v_readfirstlane_b32 s8, v6
	v_readfirstlane_b32 s9, v7
	s_mov_b64 s[0:1], exec
	v_readlane_b32 s30, v52, 26
	v_readlane_b32 s31, v52, 27
	s_and_b64 s[30:31], s[0:1], s[30:31]
	s_mov_b64 exec, s[30:31]
; %bb.195:                              ;   in Loop: Header=BB141_26 Depth=1
	ds_write_b16 v25, v3
; %bb.196:                              ;   in Loop: Header=BB141_26 Depth=1
	s_or_b64 exec, exec, s[0:1]
	v_and_b32_e32 v6, s54, v30
	v_lshl_or_b32 v30, 2, s86, v6
	v_or_b32_e32 v38, s66, v38
	s_mov_b64 s[30:31], -1
	s_mov_b64 s[34:35], 0
	s_cmp_eq_u64 s[8:9], 0
	s_mov_b64 s[0:1], 0
	s_mov_b64 s[42:43], -1
	s_waitcnt lgkmcnt(0)
	s_barrier
                                        ; implicit-def: $vgpr39
	s_cbranch_scc1 .LBB141_210
; %bb.197:                              ;   in Loop: Header=BB141_26 Depth=1
	s_add_u32 s46, s8, s85
	v_readlane_b32 s0, v52, 32
	s_addc_u32 s1, s9, s0
	s_mov_b32 s0, s83
	s_cmp_lg_u64 s[0:1], 0
	s_cbranch_scc0 .LBB141_213
; %bb.198:                              ;   in Loop: Header=BB141_26 Depth=1
	v_cvt_f32_u32_e32 v6, s68
	s_sub_u32 s0, 0, s68
	s_subb_u32 s44, 0, 0
	v_mac_f32_e32 v6, 0, v35
	v_rcp_f32_e32 v6, v6
	v_mul_f32_e32 v6, 0x5f7ffffc, v6
	v_mul_f32_e32 v7, 0x2f800000, v6
	v_trunc_f32_e32 v7, v7
	v_mac_f32_e32 v6, 0xcf800000, v7
	v_cvt_u32_f32_e32 v7, v7
	v_cvt_u32_f32_e32 v6, v6
	v_readfirstlane_b32 s45, v7
	v_readfirstlane_b32 s42, v6
	s_mul_i32 s43, s0, s45
	s_mul_hi_u32 s48, s0, s42
	s_mul_i32 s47, s44, s42
	s_add_i32 s43, s48, s43
	s_mul_i32 s49, s0, s42
	s_add_i32 s43, s43, s47
	s_mul_hi_u32 s48, s42, s49
	s_mul_i32 s50, s42, s43
	s_mul_hi_u32 s47, s42, s43
	s_add_u32 s48, s48, s50
	s_addc_u32 s47, 0, s47
	s_mul_hi_u32 s51, s45, s49
	s_mul_i32 s49, s45, s49
	s_add_u32 s48, s48, s49
	s_mul_hi_u32 s50, s45, s43
	s_addc_u32 s47, s47, s51
	s_addc_u32 s48, s50, 0
	s_mul_i32 s43, s45, s43
	s_add_u32 s43, s47, s43
	s_addc_u32 s47, 0, s48
	s_add_u32 s48, s42, s43
	s_cselect_b64 s[42:43], -1, 0
	s_cmp_lg_u64 s[42:43], 0
	s_addc_u32 s45, s45, s47
	s_mul_i32 s42, s0, s45
	s_mul_hi_u32 s43, s0, s48
	s_add_i32 s42, s43, s42
	s_mul_i32 s44, s44, s48
	s_add_i32 s42, s42, s44
	s_mul_i32 s0, s0, s48
	s_mul_hi_u32 s44, s45, s0
	s_mul_i32 s47, s45, s0
	s_mul_i32 s50, s48, s42
	s_mul_hi_u32 s0, s48, s0
	s_mul_hi_u32 s49, s48, s42
	s_add_u32 s0, s0, s50
	s_addc_u32 s49, 0, s49
	s_add_u32 s0, s0, s47
	s_mul_hi_u32 s43, s45, s42
	s_addc_u32 s0, s49, s44
	s_addc_u32 s43, s43, 0
	s_mul_i32 s42, s45, s42
	s_add_u32 s0, s0, s42
	s_addc_u32 s44, 0, s43
	s_add_u32 s0, s48, s0
	s_cselect_b64 s[42:43], -1, 0
	s_cmp_lg_u64 s[42:43], 0
	s_addc_u32 s42, s45, s44
	s_mul_i32 s44, s46, s42
	s_mul_hi_u32 s45, s46, s0
	s_mul_hi_u32 s43, s46, s42
	s_add_u32 s44, s45, s44
	s_addc_u32 s43, 0, s43
	s_mul_hi_u32 s47, s1, s0
	s_mul_i32 s0, s1, s0
	s_add_u32 s0, s44, s0
	s_mul_hi_u32 s45, s1, s42
	s_addc_u32 s0, s43, s47
	s_addc_u32 s43, s45, 0
	s_mul_i32 s42, s1, s42
	s_add_u32 s0, s0, s42
	s_addc_u32 s42, 0, s43
	s_mul_i32 s42, s68, s42
	s_mul_hi_u32 s43, s68, s0
	s_add_i32 s44, s43, s42
	s_mul_i32 s0, s68, s0
	s_sub_u32 s0, s46, s0
	s_cselect_b64 s[42:43], -1, 0
	s_cmp_lg_u64 s[42:43], 0
	s_subb_u32 s44, s1, s44
	s_sub_u32 s45, s0, s68
	s_cselect_b64 s[42:43], -1, 0
	s_cmp_lg_u64 s[42:43], 0
	s_subb_u32 s47, s44, 0
	;; [unrolled: 4-line block ×3, first 2 shown]
	s_cmp_ge_u32 s45, s68
	s_cselect_b32 s43, -1, 0
	s_cmp_eq_u32 s47, 0
	s_cselect_b32 s43, s43, -1
	s_cmp_lg_u32 s43, 0
	s_cselect_b32 s42, s42, s47
	s_cselect_b32 s45, s48, s45
	s_cmp_ge_u32 s0, s68
	s_cselect_b32 s43, -1, 0
	s_cmp_eq_u32 s44, 0
	s_cselect_b32 s43, s43, -1
	s_cmp_lg_u32 s43, 0
	s_cselect_b32 s43, s42, s44
	s_cselect_b32 s42, s45, s0
	s_cbranch_execnz .LBB141_200
.LBB141_199:                            ;   in Loop: Header=BB141_26 Depth=1
	v_cvt_f32_u32_e32 v6, s68
	s_sub_i32 s0, 0, s68
	v_rcp_iflag_f32_e32 v6, v6
	v_mul_f32_e32 v6, 0x4f7ffffe, v6
	v_cvt_u32_f32_e32 v6, v6
	v_readfirstlane_b32 s42, v6
	s_mul_i32 s0, s0, s42
	s_mul_hi_u32 s0, s42, s0
	s_add_i32 s42, s42, s0
	s_mul_hi_u32 s0, s46, s42
	s_mul_i32 s0, s0, s68
	s_sub_i32 s0, s46, s0
	s_sub_i32 s42, s0, s68
	s_cmp_ge_u32 s0, s68
	s_cselect_b32 s0, s42, s0
	s_sub_i32 s42, s0, s68
	s_cmp_ge_u32 s0, s68
	s_cselect_b32 s82, s42, s0
	s_mov_b64 s[42:43], s[82:83]
.LBB141_200:                            ;   in Loop: Header=BB141_26 Depth=1
	s_sub_u32 s46, s46, s42
	s_subb_u32 s47, s1, s43
	v_cmp_gt_u64_e32 vcc, s[46:47], v[0:1]
	s_mov_b64 s[42:43], 0
	s_mov_b64 s[0:1], 0
                                        ; implicit-def: $vgpr39
	s_and_saveexec_b64 s[44:45], vcc
	s_cbranch_execz .LBB141_209
; %bb.201:                              ;   in Loop: Header=BB141_26 Depth=1
	v_mov_b32_e32 v7, v1
	v_mov_b32_e32 v8, v24
	;; [unrolled: 1-line block ×3, first 2 shown]
                                        ; implicit-def: $sgpr48_sgpr49
	s_branch .LBB141_204
.LBB141_202:                            ;   in Loop: Header=BB141_204 Depth=2
	s_or_b64 exec, exec, s[50:51]
	s_waitcnt lgkmcnt(0)
	s_barrier
	ds_read_b32 v9, v3 offset:3072
	s_mov_b64 s[50:51], -1
	s_mov_b64 s[52:53], -1
	s_waitcnt lgkmcnt(0)
	s_barrier
	v_and_b32_e32 v10, 0x7fff, v9
	v_cmp_ne_u32_e32 vcc, 0, v10
	s_cbranch_vccz .LBB141_207
.LBB141_203:                            ;   in Loop: Header=BB141_204 Depth=2
	s_and_b64 s[50:51], exec, s[50:51]
	s_or_b64 s[0:1], s[50:51], s[0:1]
	s_andn2_b64 s[48:49], s[48:49], exec
	s_and_b64 s[50:51], s[52:53], exec
	s_or_b64 s[48:49], s[48:49], s[50:51]
	s_andn2_b64 exec, exec, s[0:1]
	s_cbranch_execz .LBB141_208
.LBB141_204:                            ;   Parent Loop BB141_26 Depth=1
                                        ; =>  This Inner Loop Header: Depth=2
	v_cmp_gt_u64_e32 vcc, s[8:9], v[6:7]
	s_and_saveexec_b64 s[50:51], vcc
	s_cbranch_execz .LBB141_202
; %bb.205:                              ;   in Loop: Header=BB141_204 Depth=2
	ds_read_u16 v9, v8
	s_waitcnt lgkmcnt(0)
	v_cmp_lt_i16_e32 vcc, -1, v9
	v_cndmask_b32_e32 v10, v33, v34, vcc
	v_lshlrev_b32_e32 v11, 16, v9
	v_cmp_o_f32_e32 vcc, v11, v11
	v_xor_b32_sdwa v10, v10, v9 dst_sel:DWORD dst_unused:UNUSED_PAD src0_sel:DWORD src1_sel:WORD_0
	v_cndmask_b32_e32 v10, v33, v10, vcc
	v_and_b32_e32 v10, v10, v38
	v_cmp_eq_u32_e32 vcc, v10, v30
	s_and_b64 exec, exec, vcc
	s_cbranch_execz .LBB141_202
; %bb.206:                              ;   in Loop: Header=BB141_204 Depth=2
	v_perm_b32 v9, v9, s39, v37
	ds_write_b32 v3, v9 offset:3072
	s_branch .LBB141_202
.LBB141_207:                            ;   in Loop: Header=BB141_204 Depth=2
	v_add_co_u32_e32 v6, vcc, s68, v6
	v_addc_co_u32_e32 v7, vcc, 0, v7, vcc
	v_cmp_le_u64_e32 vcc, s[46:47], v[6:7]
	v_add_u32_e32 v8, s38, v8
	s_mov_b64 s[52:53], 0
	s_orn2_b64 s[50:51], vcc, exec
	s_branch .LBB141_203
.LBB141_208:                            ;   in Loop: Header=BB141_26 Depth=1
	s_or_b64 exec, exec, s[0:1]
	v_lshrrev_b32_e32 v39, 16, v9
	s_and_b64 s[0:1], s[48:49], exec
.LBB141_209:                            ;   in Loop: Header=BB141_26 Depth=1
	s_or_b64 exec, exec, s[44:45]
.LBB141_210:                            ;   in Loop: Header=BB141_26 Depth=1
	s_and_b64 vcc, exec, s[42:43]
	s_cbranch_vccz .LBB141_227
; %bb.211:                              ;   in Loop: Header=BB141_26 Depth=1
	s_mov_b32 s88, s83
	s_cmp_lg_u64 s[88:89], 0
	s_cbranch_scc0 .LBB141_214
; %bb.212:                              ;   in Loop: Header=BB141_26 Depth=1
	v_cvt_f32_u32_e32 v6, s68
	s_sub_u32 s30, 0, s68
	s_subb_u32 s31, 0, 0
	v_mac_f32_e32 v6, 0, v35
	v_rcp_f32_e32 v6, v6
	v_mul_f32_e32 v6, 0x5f7ffffc, v6
	v_mul_f32_e32 v7, 0x2f800000, v6
	v_trunc_f32_e32 v7, v7
	v_mac_f32_e32 v6, 0xcf800000, v7
	v_cvt_u32_f32_e32 v7, v7
	v_cvt_u32_f32_e32 v6, v6
	v_readfirstlane_b32 s34, v7
	v_readfirstlane_b32 s8, v6
	s_mul_i32 s9, s30, s34
	s_mul_hi_u32 s42, s30, s8
	s_mul_i32 s35, s31, s8
	s_add_i32 s9, s42, s9
	s_mul_i32 s43, s30, s8
	s_add_i32 s9, s9, s35
	s_mul_hi_u32 s42, s8, s43
	s_mul_i32 s44, s8, s9
	s_mul_hi_u32 s35, s8, s9
	s_add_u32 s42, s42, s44
	s_addc_u32 s35, 0, s35
	s_mul_hi_u32 s45, s34, s43
	s_mul_i32 s43, s34, s43
	s_add_u32 s42, s42, s43
	s_mul_hi_u32 s44, s34, s9
	s_addc_u32 s35, s35, s45
	s_addc_u32 s42, s44, 0
	s_mul_i32 s9, s34, s9
	s_add_u32 s9, s35, s9
	s_addc_u32 s35, 0, s42
	s_add_u32 s42, s8, s9
	s_cselect_b64 s[8:9], -1, 0
	s_cmp_lg_u64 s[8:9], 0
	s_addc_u32 s34, s34, s35
	s_mul_i32 s8, s30, s34
	s_mul_hi_u32 s9, s30, s42
	s_add_i32 s8, s9, s8
	s_mul_i32 s31, s31, s42
	s_add_i32 s8, s8, s31
	s_mul_i32 s30, s30, s42
	s_mul_hi_u32 s31, s34, s30
	s_mul_i32 s35, s34, s30
	s_mul_i32 s44, s42, s8
	s_mul_hi_u32 s30, s42, s30
	s_mul_hi_u32 s43, s42, s8
	s_add_u32 s30, s30, s44
	s_addc_u32 s43, 0, s43
	s_add_u32 s30, s30, s35
	s_mul_hi_u32 s9, s34, s8
	s_addc_u32 s30, s43, s31
	s_addc_u32 s9, s9, 0
	s_mul_i32 s8, s34, s8
	s_add_u32 s8, s30, s8
	s_addc_u32 s30, 0, s9
	s_add_u32 s31, s42, s8
	s_cselect_b64 s[8:9], -1, 0
	s_cmp_lg_u64 s[8:9], 0
	s_addc_u32 s8, s34, s30
	s_mul_i32 s30, s2, s8
	s_mul_hi_u32 s34, s2, s31
	s_mul_hi_u32 s9, s2, s8
	s_add_u32 s30, s34, s30
	s_addc_u32 s9, 0, s9
	s_mul_hi_u32 s35, s89, s31
	s_mul_i32 s31, s89, s31
	s_add_u32 s30, s30, s31
	s_mul_hi_u32 s34, s89, s8
	s_addc_u32 s9, s9, s35
	s_addc_u32 s30, s34, 0
	s_mul_i32 s8, s89, s8
	s_add_u32 s8, s9, s8
	s_addc_u32 s9, 0, s30
	s_mul_i32 s9, s68, s9
	s_mul_hi_u32 s30, s68, s8
	s_add_i32 s30, s30, s9
	s_mul_i32 s8, s68, s8
	s_sub_u32 s31, s2, s8
	s_cselect_b64 s[8:9], -1, 0
	s_cmp_lg_u64 s[8:9], 0
	s_subb_u32 s30, s89, s30
	s_sub_u32 s34, s31, s68
	s_cselect_b64 s[8:9], -1, 0
	s_cmp_lg_u64 s[8:9], 0
	s_subb_u32 s35, s30, 0
	;; [unrolled: 4-line block ×3, first 2 shown]
	s_cmp_ge_u32 s34, s68
	s_cselect_b32 s9, -1, 0
	s_cmp_eq_u32 s35, 0
	s_cselect_b32 s9, s9, -1
	s_cmp_lg_u32 s9, 0
	s_cselect_b32 s8, s8, s35
	s_cselect_b32 s34, s42, s34
	s_cmp_ge_u32 s31, s68
	s_cselect_b32 s9, -1, 0
	s_cmp_eq_u32 s30, 0
	s_cselect_b32 s9, s9, -1
	s_cmp_lg_u32 s9, 0
	s_cselect_b32 s9, s8, s30
	s_cselect_b32 s8, s34, s31
	s_mov_b64 s[30:31], 0
	s_branch .LBB141_215
.LBB141_213:                            ;   in Loop: Header=BB141_26 Depth=1
                                        ; implicit-def: $sgpr42_sgpr43
	s_branch .LBB141_199
.LBB141_214:                            ;   in Loop: Header=BB141_26 Depth=1
	s_mov_b64 s[30:31], -1
                                        ; implicit-def: $sgpr8_sgpr9
.LBB141_215:                            ;   in Loop: Header=BB141_26 Depth=1
	s_andn2_b64 vcc, exec, s[30:31]
	v_readlane_b32 s88, v52, 44
	s_cbranch_vccnz .LBB141_217
; %bb.216:                              ;   in Loop: Header=BB141_26 Depth=1
	v_cvt_f32_u32_e32 v6, s68
	s_sub_i32 s8, 0, s68
	v_rcp_iflag_f32_e32 v6, v6
	v_mul_f32_e32 v6, 0x4f7ffffe, v6
	v_cvt_u32_f32_e32 v6, v6
	v_readfirstlane_b32 s9, v6
	s_mul_i32 s8, s8, s9
	s_mul_hi_u32 s8, s9, s8
	s_add_i32 s9, s9, s8
	s_mul_hi_u32 s8, s2, s9
	s_mul_i32 s8, s8, s68
	s_sub_i32 s8, s2, s8
	s_sub_i32 s9, s8, s68
	s_cmp_ge_u32 s8, s68
	s_cselect_b32 s8, s9, s8
	s_sub_i32 s9, s8, s68
	s_cmp_ge_u32 s8, s68
	s_cselect_b32 s82, s9, s8
	s_mov_b64 s[8:9], s[82:83]
.LBB141_217:                            ;   in Loop: Header=BB141_26 Depth=1
	s_sub_u32 s30, s2, s8
	s_subb_u32 s31, s89, s9
	v_cmp_gt_u64_e32 vcc, s[30:31], v[0:1]
                                        ; implicit-def: $vgpr39
	s_and_saveexec_b64 s[8:9], vcc
	s_cbranch_execz .LBB141_226
; %bb.218:                              ;   in Loop: Header=BB141_26 Depth=1
	v_mov_b32_e32 v7, v1
	s_mov_b64 s[34:35], 0
	v_mov_b32_e32 v6, v0
                                        ; implicit-def: $sgpr42_sgpr43
	s_branch .LBB141_221
.LBB141_219:                            ;   in Loop: Header=BB141_221 Depth=2
	s_or_b64 exec, exec, s[44:45]
	s_waitcnt lgkmcnt(0)
	s_barrier
	ds_read_b32 v8, v3 offset:3072
	s_mov_b64 s[44:45], -1
	s_mov_b64 s[46:47], -1
	s_waitcnt lgkmcnt(0)
	s_barrier
	v_and_b32_e32 v9, 0x7fff, v8
	v_cmp_eq_u32_e32 vcc, 0, v9
	s_cbranch_vccnz .LBB141_224
.LBB141_220:                            ;   in Loop: Header=BB141_221 Depth=2
	s_and_b64 s[44:45], exec, s[44:45]
	s_or_b64 s[34:35], s[44:45], s[34:35]
	s_andn2_b64 s[42:43], s[42:43], exec
	s_and_b64 s[44:45], s[46:47], exec
	s_or_b64 s[42:43], s[42:43], s[44:45]
	s_andn2_b64 exec, exec, s[34:35]
	s_cbranch_execz .LBB141_225
.LBB141_221:                            ;   Parent Loop BB141_26 Depth=1
                                        ; =>  This Inner Loop Header: Depth=2
	v_cmp_gt_u64_e32 vcc, s[56:57], v[6:7]
	s_and_saveexec_b64 s[44:45], vcc
	s_cbranch_execz .LBB141_219
; %bb.222:                              ;   in Loop: Header=BB141_221 Depth=2
	v_mul_lo_u32 v10, v7, s72
	v_mul_lo_u32 v11, v6, s73
	v_mad_u64_u32 v[8:9], s[46:47], v6, s72, 0
	v_add3_u32 v9, v9, v11, v10
	v_lshlrev_b64 v[8:9], 1, v[8:9]
	v_mov_b32_e32 v10, s69
	v_add_co_u32_e32 v8, vcc, s33, v8
	v_addc_co_u32_e32 v9, vcc, v10, v9, vcc
	global_load_ushort v8, v[8:9], off
	s_waitcnt vmcnt(0)
	v_cmp_lt_i16_e32 vcc, -1, v8
	v_cndmask_b32_e32 v9, v33, v34, vcc
	v_lshlrev_b32_e32 v10, 16, v8
	v_xor_b32_sdwa v9, v9, v8 dst_sel:DWORD dst_unused:UNUSED_PAD src0_sel:DWORD src1_sel:WORD_0
	v_cmp_o_f32_e32 vcc, v10, v10
	v_cndmask_b32_e32 v9, v33, v9, vcc
	v_and_b32_e32 v9, v9, v38
	v_cmp_eq_u32_e32 vcc, v9, v30
	s_and_b64 exec, exec, vcc
	s_cbranch_execz .LBB141_219
; %bb.223:                              ;   in Loop: Header=BB141_221 Depth=2
	v_perm_b32 v8, v8, s39, v37
	ds_write_b32 v3, v8 offset:3072
	s_branch .LBB141_219
.LBB141_224:                            ;   in Loop: Header=BB141_221 Depth=2
	v_add_co_u32_e32 v6, vcc, s68, v6
	v_addc_co_u32_e32 v7, vcc, 0, v7, vcc
	v_cmp_le_u64_e32 vcc, s[30:31], v[6:7]
	s_mov_b64 s[46:47], 0
	s_orn2_b64 s[44:45], vcc, exec
	s_branch .LBB141_220
.LBB141_225:                            ;   in Loop: Header=BB141_26 Depth=1
	s_or_b64 exec, exec, s[34:35]
	s_andn2_b64 s[0:1], s[0:1], exec
	s_and_b64 s[30:31], s[42:43], exec
	v_lshrrev_b32_e32 v39, 16, v8
	s_or_b64 s[0:1], s[0:1], s[30:31]
.LBB141_226:                            ;   in Loop: Header=BB141_26 Depth=1
	s_or_b64 exec, exec, s[8:9]
	s_mov_b64 s[30:31], 0
	s_mov_b64 s[34:35], -1
.LBB141_227:                            ;   in Loop: Header=BB141_26 Depth=1
	s_orn2_b64 s[0:1], s[0:1], exec
.LBB141_228:                            ;   in Loop: Header=BB141_26 Depth=1
	s_or_b64 exec, exec, s[36:37]
	s_mov_b64 s[8:9], 0
	s_and_saveexec_b64 s[36:37], s[0:1]
	s_cbranch_execz .LBB141_287
; %bb.229:                              ;   in Loop: Header=BB141_26 Depth=1
	v_mov_b32_e32 v6, 1
	s_xor_b64 s[40:41], s[40:41], -1
	v_mov_b32_e32 v2, 1
	v_mov_b32_e32 v7, 0
	s_and_saveexec_b64 s[0:1], s[40:41]
	s_cbranch_execz .LBB141_238
; %bb.230:                              ;   in Loop: Header=BB141_26 Depth=1
	v_cmp_ge_u64_e32 vcc, s[22:23], v[4:5]
	s_and_saveexec_b64 s[8:9], vcc
	s_xor_b64 s[8:9], exec, s[8:9]
	s_cbranch_execz .LBB141_235
; %bb.231:                              ;   in Loop: Header=BB141_26 Depth=1
	ds_read_b64 v[6:7], v3 offset:5120
	v_and_b32_e32 v2, s54, v30
	v_lshl_or_b32 v30, 2, s86, v2
	v_or_b32_e32 v38, s66, v38
	s_waitcnt lgkmcnt(0)
	v_cmp_ne_u64_e32 vcc, 0, v[6:7]
	s_cbranch_vccnz .LBB141_235
; %bb.232:                              ;   in Loop: Header=BB141_26 Depth=1
	s_mov_b64 s[40:41], exec
	v_readlane_b32 s42, v52, 16
	v_readlane_b32 s43, v52, 17
	s_and_b64 s[42:43], s[40:41], s[42:43]
	s_mov_b64 exec, s[42:43]
; %bb.233:                              ;   in Loop: Header=BB141_26 Depth=1
	v_mov_b32_e32 v6, s22
	v_mov_b32_e32 v7, s23
	ds_write_b64 v3, v[6:7] offset:5128
; %bb.234:                              ;   in Loop: Header=BB141_26 Depth=1
	s_or_b64 exec, exec, s[40:41]
	s_waitcnt lgkmcnt(0)
	s_barrier
.LBB141_235:                            ;   in Loop: Header=BB141_26 Depth=1
	s_or_saveexec_b64 s[8:9], s[8:9]
	s_mov_b64 s[40:41], 0
	v_mov_b32_e32 v2, 8
	s_xor_b64 exec, exec, s[8:9]
; %bb.236:                              ;   in Loop: Header=BB141_26 Depth=1
	v_subrev_co_u32_e32 v4, vcc, s22, v4
	v_mov_b32_e32 v2, s23
	v_subb_co_u32_e32 v5, vcc, v5, v2, vcc
	v_mov_b32_e32 v2, 0
	s_mov_b64 s[40:41], exec
; %bb.237:                              ;   in Loop: Header=BB141_26 Depth=1
	s_or_b64 exec, exec, s[8:9]
	v_mov_b32_e32 v7, v5
	s_and_b64 s[8:9], s[40:41], exec
	v_mov_b32_e32 v6, v4
.LBB141_238:                            ;   in Loop: Header=BB141_26 Depth=1
	s_or_b64 exec, exec, s[0:1]
	s_mov_b64 s[0:1], -1
                                        ; implicit-def: $sgpr46_sgpr47
                                        ; implicit-def: $sgpr44_sgpr45
	s_and_saveexec_b64 s[22:23], s[8:9]
	s_cbranch_execz .LBB141_286
; %bb.239:                              ;   in Loop: Header=BB141_26 Depth=1
	s_cmp_eq_u64 s[14:15], 1
	v_cmp_eq_u64_e32 vcc, 1, v[6:7]
	s_cselect_b64 s[0:1], -1, 0
	s_and_b64 s[40:41], s[0:1], vcc
	s_mov_b64 s[8:9], -1
                                        ; implicit-def: $sgpr46_sgpr47
                                        ; implicit-def: $sgpr44_sgpr45
	s_and_saveexec_b64 s[42:43], s[40:41]
	s_cbranch_execz .LBB141_274
; %bb.240:                              ;   in Loop: Header=BB141_26 Depth=1
	ds_read_b64 v[4:5], v3 offset:5120
	s_waitcnt lgkmcnt(0)
	s_barrier
	v_readfirstlane_b32 s8, v4
	v_readfirstlane_b32 s9, v5
	s_mov_b64 s[0:1], exec
	v_readlane_b32 s44, v52, 26
	v_readlane_b32 s45, v52, 27
	s_and_b64 s[44:45], s[0:1], s[44:45]
	s_mov_b64 exec, s[44:45]
; %bb.241:                              ;   in Loop: Header=BB141_26 Depth=1
	ds_write_b16 v25, v3
; %bb.242:                              ;   in Loop: Header=BB141_26 Depth=1
	s_or_b64 exec, exec, s[0:1]
	v_or_b32_e32 v30, s66, v30
	v_or_b32_e32 v38, s66, v38
	s_mov_b64 s[44:45], -1
	s_mov_b64 s[46:47], 0
	s_cmp_eq_u64 s[8:9], 0
	s_mov_b64 s[0:1], 0
	s_mov_b64 s[48:49], -1
	s_waitcnt lgkmcnt(0)
	s_barrier
                                        ; implicit-def: $vgpr39
	s_cbranch_scc1 .LBB141_256
; %bb.243:                              ;   in Loop: Header=BB141_26 Depth=1
	s_add_u32 s52, s8, s85
	v_readlane_b32 s0, v52, 32
	s_addc_u32 s1, s9, s0
	s_mov_b32 s0, s83
	s_cmp_lg_u64 s[0:1], 0
	s_cbranch_scc0 .LBB141_259
; %bb.244:                              ;   in Loop: Header=BB141_26 Depth=1
	v_cvt_f32_u32_e32 v4, s68
	s_sub_u32 s0, 0, s68
	s_subb_u32 s50, 0, 0
	v_mac_f32_e32 v4, 0, v35
	v_rcp_f32_e32 v4, v4
	v_mul_f32_e32 v4, 0x5f7ffffc, v4
	v_mul_f32_e32 v5, 0x2f800000, v4
	v_trunc_f32_e32 v5, v5
	v_mac_f32_e32 v4, 0xcf800000, v5
	v_cvt_u32_f32_e32 v5, v5
	v_cvt_u32_f32_e32 v4, v4
	v_readfirstlane_b32 s51, v5
	v_readfirstlane_b32 s48, v4
	s_mul_i32 s49, s0, s51
	s_mul_hi_u32 s54, s0, s48
	s_mul_i32 s53, s50, s48
	s_add_i32 s49, s54, s49
	s_mul_i32 s55, s0, s48
	s_add_i32 s49, s49, s53
	s_mul_hi_u32 s54, s48, s55
	s_mul_i32 s58, s48, s49
	s_mul_hi_u32 s53, s48, s49
	s_add_u32 s54, s54, s58
	s_addc_u32 s53, 0, s53
	s_mul_hi_u32 s59, s51, s55
	s_mul_i32 s55, s51, s55
	s_add_u32 s54, s54, s55
	s_mul_hi_u32 s58, s51, s49
	s_addc_u32 s53, s53, s59
	s_addc_u32 s54, s58, 0
	s_mul_i32 s49, s51, s49
	s_add_u32 s49, s53, s49
	s_addc_u32 s53, 0, s54
	s_add_u32 s54, s48, s49
	s_cselect_b64 s[48:49], -1, 0
	s_cmp_lg_u64 s[48:49], 0
	s_addc_u32 s51, s51, s53
	s_mul_i32 s48, s0, s51
	s_mul_hi_u32 s49, s0, s54
	s_add_i32 s48, s49, s48
	s_mul_i32 s50, s50, s54
	s_add_i32 s48, s48, s50
	s_mul_i32 s0, s0, s54
	s_mul_hi_u32 s50, s51, s0
	s_mul_i32 s53, s51, s0
	s_mul_i32 s58, s54, s48
	s_mul_hi_u32 s0, s54, s0
	s_mul_hi_u32 s55, s54, s48
	s_add_u32 s0, s0, s58
	s_addc_u32 s55, 0, s55
	s_add_u32 s0, s0, s53
	s_mul_hi_u32 s49, s51, s48
	s_addc_u32 s0, s55, s50
	s_addc_u32 s49, s49, 0
	s_mul_i32 s48, s51, s48
	s_add_u32 s0, s0, s48
	s_addc_u32 s50, 0, s49
	s_add_u32 s0, s54, s0
	s_cselect_b64 s[48:49], -1, 0
	s_cmp_lg_u64 s[48:49], 0
	s_addc_u32 s48, s51, s50
	s_mul_i32 s50, s52, s48
	s_mul_hi_u32 s51, s52, s0
	s_mul_hi_u32 s49, s52, s48
	s_add_u32 s50, s51, s50
	s_addc_u32 s49, 0, s49
	s_mul_hi_u32 s53, s1, s0
	s_mul_i32 s0, s1, s0
	s_add_u32 s0, s50, s0
	s_mul_hi_u32 s51, s1, s48
	s_addc_u32 s0, s49, s53
	s_addc_u32 s49, s51, 0
	s_mul_i32 s48, s1, s48
	s_add_u32 s0, s0, s48
	s_addc_u32 s48, 0, s49
	s_mul_i32 s48, s68, s48
	s_mul_hi_u32 s49, s68, s0
	s_add_i32 s50, s49, s48
	s_mul_i32 s0, s68, s0
	s_sub_u32 s0, s52, s0
	s_cselect_b64 s[48:49], -1, 0
	s_cmp_lg_u64 s[48:49], 0
	s_subb_u32 s50, s1, s50
	s_sub_u32 s51, s0, s68
	s_cselect_b64 s[48:49], -1, 0
	s_cmp_lg_u64 s[48:49], 0
	s_subb_u32 s53, s50, 0
	;; [unrolled: 4-line block ×3, first 2 shown]
	s_cmp_ge_u32 s51, s68
	s_cselect_b32 s49, -1, 0
	s_cmp_eq_u32 s53, 0
	s_cselect_b32 s49, s49, -1
	s_cmp_lg_u32 s49, 0
	s_cselect_b32 s48, s48, s53
	s_cselect_b32 s51, s54, s51
	s_cmp_ge_u32 s0, s68
	s_cselect_b32 s49, -1, 0
	s_cmp_eq_u32 s50, 0
	s_cselect_b32 s49, s49, -1
	s_cmp_lg_u32 s49, 0
	s_cselect_b32 s49, s48, s50
	s_cselect_b32 s48, s51, s0
	s_cbranch_execnz .LBB141_246
.LBB141_245:                            ;   in Loop: Header=BB141_26 Depth=1
	v_cvt_f32_u32_e32 v4, s68
	s_sub_i32 s0, 0, s68
	v_rcp_iflag_f32_e32 v4, v4
	v_mul_f32_e32 v4, 0x4f7ffffe, v4
	v_cvt_u32_f32_e32 v4, v4
	v_readfirstlane_b32 s48, v4
	s_mul_i32 s0, s0, s48
	s_mul_hi_u32 s0, s48, s0
	s_add_i32 s48, s48, s0
	s_mul_hi_u32 s0, s52, s48
	s_mul_i32 s0, s0, s68
	s_sub_i32 s0, s52, s0
	s_sub_i32 s48, s0, s68
	s_cmp_ge_u32 s0, s68
	s_cselect_b32 s0, s48, s0
	s_sub_i32 s48, s0, s68
	s_cmp_ge_u32 s0, s68
	s_cselect_b32 s82, s48, s0
	s_mov_b64 s[48:49], s[82:83]
.LBB141_246:                            ;   in Loop: Header=BB141_26 Depth=1
	s_sub_u32 s52, s52, s48
	s_subb_u32 s53, s1, s49
	v_cmp_gt_u64_e32 vcc, s[52:53], v[0:1]
	s_mov_b64 s[48:49], 0
	s_mov_b64 s[0:1], 0
                                        ; implicit-def: $vgpr39
	s_and_saveexec_b64 s[50:51], vcc
	s_cbranch_execz .LBB141_255
; %bb.247:                              ;   in Loop: Header=BB141_26 Depth=1
	v_mov_b32_e32 v5, v1
	v_mov_b32_e32 v8, v24
	;; [unrolled: 1-line block ×3, first 2 shown]
                                        ; implicit-def: $sgpr54_sgpr55
	s_branch .LBB141_250
.LBB141_248:                            ;   in Loop: Header=BB141_250 Depth=2
	s_or_b64 exec, exec, s[58:59]
	s_waitcnt lgkmcnt(0)
	s_barrier
	ds_read_b32 v9, v3 offset:3072
	s_mov_b64 s[58:59], -1
	s_mov_b64 s[64:65], -1
	s_waitcnt lgkmcnt(0)
	s_barrier
	v_and_b32_e32 v10, 0x7fff, v9
	v_cmp_ne_u32_e32 vcc, 0, v10
	s_cbranch_vccz .LBB141_253
.LBB141_249:                            ;   in Loop: Header=BB141_250 Depth=2
	s_and_b64 s[58:59], exec, s[58:59]
	s_or_b64 s[0:1], s[58:59], s[0:1]
	s_andn2_b64 s[54:55], s[54:55], exec
	s_and_b64 s[58:59], s[64:65], exec
	s_or_b64 s[54:55], s[54:55], s[58:59]
	s_andn2_b64 exec, exec, s[0:1]
	s_cbranch_execz .LBB141_254
.LBB141_250:                            ;   Parent Loop BB141_26 Depth=1
                                        ; =>  This Inner Loop Header: Depth=2
	v_cmp_gt_u64_e32 vcc, s[8:9], v[4:5]
	s_and_saveexec_b64 s[58:59], vcc
	s_cbranch_execz .LBB141_248
; %bb.251:                              ;   in Loop: Header=BB141_250 Depth=2
	ds_read_u16 v9, v8
	s_waitcnt lgkmcnt(0)
	v_cmp_lt_i16_e32 vcc, -1, v9
	v_cndmask_b32_e32 v10, v33, v34, vcc
	v_lshlrev_b32_e32 v11, 16, v9
	v_cmp_o_f32_e32 vcc, v11, v11
	v_xor_b32_sdwa v10, v10, v9 dst_sel:DWORD dst_unused:UNUSED_PAD src0_sel:DWORD src1_sel:WORD_0
	v_cndmask_b32_e32 v10, v33, v10, vcc
	v_and_b32_e32 v10, v10, v38
	v_cmp_eq_u32_e32 vcc, v10, v30
	s_and_b64 exec, exec, vcc
	s_cbranch_execz .LBB141_248
; %bb.252:                              ;   in Loop: Header=BB141_250 Depth=2
	v_perm_b32 v9, v9, s39, v37
	ds_write_b32 v3, v9 offset:3072
	s_branch .LBB141_248
.LBB141_253:                            ;   in Loop: Header=BB141_250 Depth=2
	v_add_co_u32_e32 v4, vcc, s68, v4
	v_addc_co_u32_e32 v5, vcc, 0, v5, vcc
	v_cmp_le_u64_e32 vcc, s[52:53], v[4:5]
	v_add_u32_e32 v8, s38, v8
	s_mov_b64 s[64:65], 0
	s_orn2_b64 s[58:59], vcc, exec
	s_branch .LBB141_249
.LBB141_254:                            ;   in Loop: Header=BB141_26 Depth=1
	s_or_b64 exec, exec, s[0:1]
	v_lshrrev_b32_e32 v39, 16, v9
	s_and_b64 s[0:1], s[54:55], exec
.LBB141_255:                            ;   in Loop: Header=BB141_26 Depth=1
	s_or_b64 exec, exec, s[50:51]
.LBB141_256:                            ;   in Loop: Header=BB141_26 Depth=1
	s_and_b64 vcc, exec, s[48:49]
	s_cbranch_vccz .LBB141_273
; %bb.257:                              ;   in Loop: Header=BB141_26 Depth=1
	s_mov_b32 s88, s83
	s_cmp_lg_u64 s[88:89], 0
	s_cbranch_scc0 .LBB141_260
; %bb.258:                              ;   in Loop: Header=BB141_26 Depth=1
	v_cvt_f32_u32_e32 v4, s68
	s_sub_u32 s44, 0, s68
	s_subb_u32 s45, 0, 0
	v_mac_f32_e32 v4, 0, v35
	v_rcp_f32_e32 v4, v4
	v_mul_f32_e32 v4, 0x5f7ffffc, v4
	v_mul_f32_e32 v5, 0x2f800000, v4
	v_trunc_f32_e32 v5, v5
	v_mac_f32_e32 v4, 0xcf800000, v5
	v_cvt_u32_f32_e32 v5, v5
	v_cvt_u32_f32_e32 v4, v4
	v_readfirstlane_b32 s46, v5
	v_readfirstlane_b32 s8, v4
	s_mul_i32 s9, s44, s46
	s_mul_hi_u32 s48, s44, s8
	s_mul_i32 s47, s45, s8
	s_add_i32 s9, s48, s9
	s_mul_i32 s49, s44, s8
	s_add_i32 s9, s9, s47
	s_mul_hi_u32 s48, s8, s49
	s_mul_i32 s50, s8, s9
	s_mul_hi_u32 s47, s8, s9
	s_add_u32 s48, s48, s50
	s_addc_u32 s47, 0, s47
	s_mul_hi_u32 s51, s46, s49
	s_mul_i32 s49, s46, s49
	s_add_u32 s48, s48, s49
	s_mul_hi_u32 s50, s46, s9
	s_addc_u32 s47, s47, s51
	s_addc_u32 s48, s50, 0
	s_mul_i32 s9, s46, s9
	s_add_u32 s9, s47, s9
	s_addc_u32 s47, 0, s48
	s_add_u32 s48, s8, s9
	s_cselect_b64 s[8:9], -1, 0
	s_cmp_lg_u64 s[8:9], 0
	s_addc_u32 s46, s46, s47
	s_mul_i32 s8, s44, s46
	s_mul_hi_u32 s9, s44, s48
	s_add_i32 s8, s9, s8
	s_mul_i32 s45, s45, s48
	s_add_i32 s8, s8, s45
	s_mul_i32 s44, s44, s48
	s_mul_hi_u32 s45, s46, s44
	s_mul_i32 s47, s46, s44
	s_mul_i32 s50, s48, s8
	s_mul_hi_u32 s44, s48, s44
	s_mul_hi_u32 s49, s48, s8
	s_add_u32 s44, s44, s50
	s_addc_u32 s49, 0, s49
	s_add_u32 s44, s44, s47
	s_mul_hi_u32 s9, s46, s8
	s_addc_u32 s44, s49, s45
	s_addc_u32 s9, s9, 0
	s_mul_i32 s8, s46, s8
	s_add_u32 s8, s44, s8
	s_addc_u32 s44, 0, s9
	s_add_u32 s45, s48, s8
	s_cselect_b64 s[8:9], -1, 0
	s_cmp_lg_u64 s[8:9], 0
	s_addc_u32 s8, s46, s44
	s_mul_i32 s44, s2, s8
	s_mul_hi_u32 s46, s2, s45
	s_mul_hi_u32 s9, s2, s8
	s_add_u32 s44, s46, s44
	s_addc_u32 s9, 0, s9
	s_mul_hi_u32 s47, s89, s45
	s_mul_i32 s45, s89, s45
	s_add_u32 s44, s44, s45
	s_mul_hi_u32 s46, s89, s8
	s_addc_u32 s9, s9, s47
	s_addc_u32 s44, s46, 0
	s_mul_i32 s8, s89, s8
	s_add_u32 s8, s9, s8
	s_addc_u32 s9, 0, s44
	s_mul_i32 s9, s68, s9
	s_mul_hi_u32 s44, s68, s8
	s_add_i32 s44, s44, s9
	s_mul_i32 s8, s68, s8
	s_sub_u32 s45, s2, s8
	s_cselect_b64 s[8:9], -1, 0
	s_cmp_lg_u64 s[8:9], 0
	s_subb_u32 s44, s89, s44
	s_sub_u32 s46, s45, s68
	s_cselect_b64 s[8:9], -1, 0
	s_cmp_lg_u64 s[8:9], 0
	s_subb_u32 s47, s44, 0
	s_sub_u32 s48, s46, s68
	s_cselect_b64 s[8:9], -1, 0
	s_cmp_lg_u64 s[8:9], 0
	s_subb_u32 s8, s47, 0
	s_cmp_ge_u32 s46, s68
	s_cselect_b32 s9, -1, 0
	s_cmp_eq_u32 s47, 0
	s_cselect_b32 s9, s9, -1
	s_cmp_lg_u32 s9, 0
	s_cselect_b32 s8, s8, s47
	s_cselect_b32 s46, s48, s46
	s_cmp_ge_u32 s45, s68
	s_cselect_b32 s9, -1, 0
	s_cmp_eq_u32 s44, 0
	s_cselect_b32 s9, s9, -1
	s_cmp_lg_u32 s9, 0
	s_cselect_b32 s9, s8, s44
	s_cselect_b32 s8, s46, s45
	s_mov_b64 s[44:45], 0
	s_branch .LBB141_261
.LBB141_259:                            ;   in Loop: Header=BB141_26 Depth=1
                                        ; implicit-def: $sgpr48_sgpr49
	s_branch .LBB141_245
.LBB141_260:                            ;   in Loop: Header=BB141_26 Depth=1
	s_mov_b64 s[44:45], -1
                                        ; implicit-def: $sgpr8_sgpr9
.LBB141_261:                            ;   in Loop: Header=BB141_26 Depth=1
	s_andn2_b64 vcc, exec, s[44:45]
	v_readlane_b32 s88, v52, 44
	s_cbranch_vccnz .LBB141_263
; %bb.262:                              ;   in Loop: Header=BB141_26 Depth=1
	v_cvt_f32_u32_e32 v4, s68
	s_sub_i32 s8, 0, s68
	v_rcp_iflag_f32_e32 v4, v4
	v_mul_f32_e32 v4, 0x4f7ffffe, v4
	v_cvt_u32_f32_e32 v4, v4
	v_readfirstlane_b32 s9, v4
	s_mul_i32 s8, s8, s9
	s_mul_hi_u32 s8, s9, s8
	s_add_i32 s9, s9, s8
	s_mul_hi_u32 s8, s2, s9
	s_mul_i32 s8, s8, s68
	s_sub_i32 s8, s2, s8
	s_sub_i32 s9, s8, s68
	s_cmp_ge_u32 s8, s68
	s_cselect_b32 s8, s9, s8
	s_sub_i32 s9, s8, s68
	s_cmp_ge_u32 s8, s68
	s_cselect_b32 s82, s9, s8
	s_mov_b64 s[8:9], s[82:83]
.LBB141_263:                            ;   in Loop: Header=BB141_26 Depth=1
	s_sub_u32 s44, s2, s8
	s_subb_u32 s45, s89, s9
	v_cmp_gt_u64_e32 vcc, s[44:45], v[0:1]
                                        ; implicit-def: $vgpr39
	s_and_saveexec_b64 s[8:9], vcc
	s_cbranch_execz .LBB141_272
; %bb.264:                              ;   in Loop: Header=BB141_26 Depth=1
	v_mov_b32_e32 v5, v1
	s_mov_b64 s[46:47], 0
	v_mov_b32_e32 v4, v0
                                        ; implicit-def: $sgpr48_sgpr49
	s_branch .LBB141_267
.LBB141_265:                            ;   in Loop: Header=BB141_267 Depth=2
	s_or_b64 exec, exec, s[50:51]
	s_waitcnt lgkmcnt(0)
	s_barrier
	ds_read_b32 v8, v3 offset:3072
	s_mov_b64 s[50:51], -1
	s_mov_b64 s[52:53], -1
	s_waitcnt lgkmcnt(0)
	s_barrier
	v_and_b32_e32 v9, 0x7fff, v8
	v_cmp_eq_u32_e32 vcc, 0, v9
	s_cbranch_vccnz .LBB141_270
.LBB141_266:                            ;   in Loop: Header=BB141_267 Depth=2
	s_and_b64 s[50:51], exec, s[50:51]
	s_or_b64 s[46:47], s[50:51], s[46:47]
	s_andn2_b64 s[48:49], s[48:49], exec
	s_and_b64 s[50:51], s[52:53], exec
	s_or_b64 s[48:49], s[48:49], s[50:51]
	s_andn2_b64 exec, exec, s[46:47]
	s_cbranch_execz .LBB141_271
.LBB141_267:                            ;   Parent Loop BB141_26 Depth=1
                                        ; =>  This Inner Loop Header: Depth=2
	v_cmp_gt_u64_e32 vcc, s[56:57], v[4:5]
	s_and_saveexec_b64 s[50:51], vcc
	s_cbranch_execz .LBB141_265
; %bb.268:                              ;   in Loop: Header=BB141_267 Depth=2
	v_mul_lo_u32 v10, v5, s72
	v_mul_lo_u32 v11, v4, s73
	v_mad_u64_u32 v[8:9], s[52:53], v4, s72, 0
	v_add3_u32 v9, v9, v11, v10
	v_lshlrev_b64 v[8:9], 1, v[8:9]
	v_mov_b32_e32 v10, s69
	v_add_co_u32_e32 v8, vcc, s33, v8
	v_addc_co_u32_e32 v9, vcc, v10, v9, vcc
	global_load_ushort v8, v[8:9], off
	s_waitcnt vmcnt(0)
	v_cmp_lt_i16_e32 vcc, -1, v8
	v_cndmask_b32_e32 v9, v33, v34, vcc
	v_lshlrev_b32_e32 v10, 16, v8
	v_xor_b32_sdwa v9, v9, v8 dst_sel:DWORD dst_unused:UNUSED_PAD src0_sel:DWORD src1_sel:WORD_0
	v_cmp_o_f32_e32 vcc, v10, v10
	v_cndmask_b32_e32 v9, v33, v9, vcc
	v_and_b32_e32 v9, v9, v38
	v_cmp_eq_u32_e32 vcc, v9, v30
	s_and_b64 exec, exec, vcc
	s_cbranch_execz .LBB141_265
; %bb.269:                              ;   in Loop: Header=BB141_267 Depth=2
	v_perm_b32 v8, v8, s39, v37
	ds_write_b32 v3, v8 offset:3072
	s_branch .LBB141_265
.LBB141_270:                            ;   in Loop: Header=BB141_267 Depth=2
	v_add_co_u32_e32 v4, vcc, s68, v4
	v_addc_co_u32_e32 v5, vcc, 0, v5, vcc
	v_cmp_le_u64_e32 vcc, s[44:45], v[4:5]
	s_mov_b64 s[52:53], 0
	s_orn2_b64 s[50:51], vcc, exec
	s_branch .LBB141_266
.LBB141_271:                            ;   in Loop: Header=BB141_26 Depth=1
	s_or_b64 exec, exec, s[46:47]
	s_andn2_b64 s[0:1], s[0:1], exec
	s_and_b64 s[44:45], s[48:49], exec
	v_lshrrev_b32_e32 v39, 16, v8
	s_or_b64 s[0:1], s[0:1], s[44:45]
.LBB141_272:                            ;   in Loop: Header=BB141_26 Depth=1
	s_or_b64 exec, exec, s[8:9]
	s_mov_b64 s[44:45], 0
	s_mov_b64 s[46:47], -1
.LBB141_273:                            ;   in Loop: Header=BB141_26 Depth=1
	s_orn2_b64 s[8:9], s[0:1], exec
.LBB141_274:                            ;   in Loop: Header=BB141_26 Depth=1
	s_or_b64 exec, exec, s[42:43]
	s_mov_b64 s[42:43], 0
	s_and_saveexec_b64 s[0:1], s[8:9]
	s_cbranch_execz .LBB141_285
; %bb.275:                              ;   in Loop: Header=BB141_26 Depth=1
	v_mov_b32_e32 v4, 1
	s_xor_b64 s[40:41], s[40:41], -1
	v_mov_b32_e32 v5, 0
	v_mov_b32_e32 v2, 1
	s_and_saveexec_b64 s[8:9], s[40:41]
	s_cbranch_execz .LBB141_284
; %bb.276:                              ;   in Loop: Header=BB141_26 Depth=1
	v_cmp_ge_u64_e32 vcc, s[14:15], v[6:7]
	s_and_saveexec_b64 s[40:41], vcc
	s_xor_b64 s[40:41], exec, s[40:41]
	s_cbranch_execz .LBB141_281
; %bb.277:                              ;   in Loop: Header=BB141_26 Depth=1
	ds_read_b64 v[4:5], v3 offset:5120
	v_or_b32_e32 v30, s66, v30
	v_or_b32_e32 v38, s66, v38
	s_waitcnt lgkmcnt(0)
	v_cmp_ne_u64_e32 vcc, 0, v[4:5]
	s_cbranch_vccnz .LBB141_281
; %bb.278:                              ;   in Loop: Header=BB141_26 Depth=1
	s_mov_b64 s[42:43], exec
	v_readlane_b32 s48, v52, 16
	v_readlane_b32 s49, v52, 17
	s_and_b64 s[48:49], s[42:43], s[48:49]
	s_mov_b64 exec, s[48:49]
; %bb.279:                              ;   in Loop: Header=BB141_26 Depth=1
	v_mov_b32_e32 v4, s14
	v_mov_b32_e32 v5, s15
	ds_write_b64 v3, v[4:5] offset:5128
; %bb.280:                              ;   in Loop: Header=BB141_26 Depth=1
	s_or_b64 exec, exec, s[42:43]
	s_waitcnt lgkmcnt(0)
	s_barrier
.LBB141_281:                            ;   in Loop: Header=BB141_26 Depth=1
	s_andn2_saveexec_b64 s[40:41], s[40:41]
; %bb.282:                              ;   in Loop: Header=BB141_26 Depth=1
	v_mov_b32_e32 v2, s15
	v_subrev_co_u32_e32 v6, vcc, s14, v6
	v_subb_co_u32_e32 v7, vcc, v7, v2, vcc
; %bb.283:                              ;   in Loop: Header=BB141_26 Depth=1
	s_or_b64 exec, exec, s[40:41]
	v_mov_b32_e32 v4, v6
	v_mov_b32_e32 v2, 8
	;; [unrolled: 1-line block ×3, first 2 shown]
.LBB141_284:                            ;   in Loop: Header=BB141_26 Depth=1
	s_or_b64 exec, exec, s[8:9]
	v_mov_b32_e32 v7, v5
	s_mov_b64 s[42:43], exec
	v_mov_b32_e32 v6, v4
.LBB141_285:                            ;   in Loop: Header=BB141_26 Depth=1
	s_or_b64 exec, exec, s[0:1]
	s_orn2_b64 s[0:1], s[42:43], exec
.LBB141_286:                            ;   in Loop: Header=BB141_26 Depth=1
	s_or_b64 exec, exec, s[22:23]
	s_andn2_b64 s[8:9], s[34:35], exec
	s_and_b64 s[14:15], s[46:47], exec
	s_or_b64 s[34:35], s[8:9], s[14:15]
	s_andn2_b64 s[8:9], s[30:31], exec
	s_and_b64 s[14:15], s[44:45], exec
	v_mov_b32_e32 v4, v6
	s_or_b64 s[30:31], s[8:9], s[14:15]
	s_and_b64 s[8:9], s[0:1], exec
	v_mov_b32_e32 v5, v7
.LBB141_287:                            ;   in Loop: Header=BB141_26 Depth=1
	s_or_b64 exec, exec, s[36:37]
	s_orn2_b64 s[0:1], s[8:9], exec
.LBB141_288:                            ;   in Loop: Header=BB141_26 Depth=1
	s_or_b64 exec, exec, s[28:29]
	s_andn2_b64 s[8:9], s[24:25], exec
	s_and_b64 s[14:15], s[34:35], exec
	s_or_b64 s[24:25], s[8:9], s[14:15]
	s_andn2_b64 s[6:7], s[6:7], exec
	s_and_b64 s[8:9], s[30:31], exec
	v_mov_b32_e32 v9, v5
	s_or_b64 s[6:7], s[6:7], s[8:9]
	s_and_b64 s[8:9], s[0:1], exec
	v_mov_b32_e32 v8, v4
.LBB141_289:                            ;   in Loop: Header=BB141_26 Depth=1
	s_or_b64 exec, exec, s[26:27]
	s_orn2_b64 s[0:1], s[8:9], exec
.LBB141_290:                            ;   in Loop: Header=BB141_26 Depth=1
	s_or_b64 exec, exec, s[20:21]
	s_mov_b64 s[8:9], 0
	s_and_saveexec_b64 s[14:15], s[0:1]
	s_xor_b64 s[0:1], exec, s[14:15]
	s_cbranch_execz .LBB141_24
; %bb.291:                              ;   in Loop: Header=BB141_26 Depth=1
	v_and_b32_e32 v2, 7, v2
	v_cmp_eq_u32_e32 vcc, 0, v2
	s_mov_b64 s[14:15], -1
	s_mov_b64 s[8:9], -1
	s_and_saveexec_b64 s[18:19], vcc
	s_cbranch_execz .LBB141_23
; %bb.292:                              ;   in Loop: Header=BB141_26 Depth=1
	s_xor_b32 s84, s84, 1
	s_add_i32 s20, s86, -2
	s_cmp_eq_u32 s86, 0
	s_cselect_b64 s[14:15], -1, 0
	s_xor_b64 s[8:9], exec, -1
	s_orn2_b64 s[14:15], s[14:15], exec
	s_mov_b32 s86, s20
	s_branch .LBB141_23
.LBB141_293:
	s_or_b64 exec, exec, s[74:75]
	s_xor_b64 s[4:5], s[80:81], -1
	s_xor_b64 s[2:3], s[60:61], -1
	s_xor_b64 s[6:7], s[62:63], -1
	s_mov_b64 s[0:1], 0
	s_and_saveexec_b64 s[8:9], s[2:3]
	s_xor_b64 s[2:3], exec, s[8:9]
	s_cbranch_execnz .LBB141_298
; %bb.294:
	s_andn2_saveexec_b64 s[2:3], s[2:3]
	s_cbranch_execnz .LBB141_311
.LBB141_295:
	s_or_b64 exec, exec, s[2:3]
	s_and_saveexec_b64 s[2:3], s[0:1]
.LBB141_296:
	; divergent unreachable
.LBB141_297:
	s_endpgm
.LBB141_298:
	s_and_saveexec_b64 s[0:1], s[4:5]
	s_xor_b64 s[4:5], exec, s[0:1]
	s_cbranch_execz .LBB141_309
; %bb.299:
	s_and_saveexec_b64 s[0:1], s[6:7]
	s_xor_b64 s[0:1], exec, s[0:1]
; %bb.300:
	v_and_b32_e32 v2, 0x8000, v30
	v_mov_b32_e32 v3, 0x8000
	v_mov_b32_e32 v4, 0xffff
	v_cmp_eq_u32_e32 vcc, 0, v2
	v_cndmask_b32_e32 v2, v3, v4, vcc
	v_xor_b32_e32 v39, v2, v30
; %bb.301:
	s_or_b64 exec, exec, s[0:1]
	v_readlane_b32 s6, v52, 6
	v_readlane_b32 s0, v52, 4
	;; [unrolled: 1-line block ×4, first 2 shown]
	s_mov_b32 s8, s0
	s_mul_i32 s0, s0, s7
	s_mul_hi_u32 s1, s8, s6
	s_add_i32 s1, s1, s0
	s_mul_i32 s0, s8, s6
	v_readlane_b32 s6, v52, 12
	v_readlane_b32 s12, v52, 22
	;; [unrolled: 1-line block ×3, first 2 shown]
	s_sub_u32 s0, s6, s0
	v_readlane_b32 s14, v52, 24
	v_readlane_b32 s15, v52, 25
	s_subb_u32 s1, 0, s1
	s_mul_i32 s6, s0, s15
	s_mul_hi_u32 s7, s0, s14
	v_readlane_b32 s13, v52, 23
	s_add_i32 s6, s7, s6
	s_mul_i32 s1, s1, s14
	s_add_i32 s1, s6, s1
	s_mul_i32 s6, s8, s13
	s_mul_hi_u32 s7, s8, s12
	s_add_i32 s7, s7, s6
	s_mul_i32 s6, s8, s12
	s_lshl_b64 s[6:7], s[6:7], 1
	v_readlane_b32 s8, v52, 10
	s_mul_i32 s0, s0, s14
	v_readlane_b32 s9, v52, 11
	s_add_u32 s6, s8, s6
	s_addc_u32 s7, s9, s7
	s_lshl_b64 s[0:1], s[0:1], 1
	s_add_u32 s0, s6, s0
	s_addc_u32 s1, s7, s1
	v_mov_b32_e32 v2, 0
	global_store_short v2, v39, s[0:1]
	s_mov_b64 s[6:7], exec
	v_readlane_b32 s0, v52, 14
	v_readlane_b32 s1, v52, 15
	s_and_b64 s[0:1], s[6:7], s[0:1]
	s_mov_b64 exec, s[0:1]
	s_cbranch_execz .LBB141_308
; %bb.302:
	v_lshlrev_b32_e32 v4, 16, v39
	v_cmp_u_f32_e32 vcc, v4, v4
	s_mov_b64 s[8:9], 0
	v_mov_b32_e32 v5, s69
	s_xor_b64 s[12:13], vcc, -1
                                        ; implicit-def: $sgpr10_sgpr11
                                        ; implicit-def: $sgpr16_sgpr17
                                        ; implicit-def: $sgpr14_sgpr15
	s_branch .LBB141_304
.LBB141_303:                            ;   in Loop: Header=BB141_304 Depth=1
	s_or_b64 exec, exec, s[0:1]
	s_and_b64 s[0:1], exec, s[16:17]
	s_or_b64 s[8:9], s[0:1], s[8:9]
	s_andn2_b64 s[0:1], s[10:11], exec
	s_and_b64 s[10:11], s[14:15], exec
	s_or_b64 s[10:11], s[0:1], s[10:11]
	s_andn2_b64 exec, exec, s[8:9]
	s_cbranch_execz .LBB141_306
.LBB141_304:                            ; =>This Inner Loop Header: Depth=1
	v_mov_b32_e32 v3, v1
	v_mov_b32_e32 v2, v0
	v_mul_lo_u32 v6, v3, s72
	v_mul_lo_u32 v7, v2, s73
	v_mad_u64_u32 v[0:1], s[0:1], v2, s72, 0
	s_or_b64 s[14:15], s[14:15], exec
	s_or_b64 s[16:17], s[16:17], exec
	v_add3_u32 v1, v1, v7, v6
	v_lshlrev_b64 v[0:1], 1, v[0:1]
	v_add_co_u32_e32 v0, vcc, s33, v0
	v_addc_co_u32_e32 v1, vcc, v5, v1, vcc
	global_load_ushort v0, v[0:1], off
	s_waitcnt vmcnt(0)
	v_lshlrev_b32_e32 v0, 16, v0
	v_cmp_o_f32_e64 s[0:1], v0, v0
	v_cmp_neq_f32_e32 vcc, v0, v4
	s_or_b64 s[0:1], s[12:13], s[0:1]
	s_and_b64 s[18:19], vcc, s[0:1]
                                        ; implicit-def: $vgpr0_vgpr1
	s_and_saveexec_b64 s[0:1], s[18:19]
	s_cbranch_execz .LBB141_303
; %bb.305:                              ;   in Loop: Header=BB141_304 Depth=1
	v_add_co_u32_e32 v0, vcc, s68, v2
	v_addc_co_u32_e32 v1, vcc, 0, v3, vcc
	v_cmp_le_u64_e32 vcc, s[56:57], v[0:1]
	s_andn2_b64 s[16:17], s[16:17], exec
	s_and_b64 s[18:19], vcc, exec
	s_andn2_b64 s[14:15], s[14:15], exec
	s_or_b64 s[16:17], s[16:17], s[18:19]
	s_branch .LBB141_303
.LBB141_306:
	s_or_b64 exec, exec, s[8:9]
	s_and_saveexec_b64 s[0:1], s[10:11]
	s_xor_b64 s[0:1], exec, s[0:1]
	s_cbranch_execz .LBB141_308
; %bb.307:
	v_readlane_b32 s8, v52, 0
	v_readlane_b32 s0, v52, 2
	;; [unrolled: 1-line block ×4, first 2 shown]
	s_mov_b32 s10, s0
	s_mul_i32 s0, s0, s9
	s_mul_hi_u32 s1, s10, s8
	s_add_i32 s1, s1, s0
	s_mul_i32 s0, s10, s8
	v_readlane_b32 s8, v52, 12
	v_readlane_b32 s12, v52, 18
	;; [unrolled: 1-line block ×3, first 2 shown]
	s_sub_u32 s0, s8, s0
	v_readlane_b32 s14, v52, 20
	v_readlane_b32 s15, v52, 21
	s_subb_u32 s1, 0, s1
	s_mul_i32 s8, s0, s15
	s_mul_hi_u32 s9, s0, s14
	v_readlane_b32 s13, v52, 19
	s_add_i32 s8, s9, s8
	s_mul_i32 s1, s1, s14
	s_add_i32 s1, s8, s1
	s_mul_i32 s8, s10, s13
	s_mul_hi_u32 s9, s10, s12
	s_add_i32 s9, s9, s8
	s_mul_i32 s8, s10, s12
	s_lshl_b64 s[8:9], s[8:9], 3
	v_readlane_b32 s10, v52, 8
	s_mul_i32 s0, s0, s14
	v_readlane_b32 s11, v52, 9
	s_add_u32 s8, s10, s8
	s_addc_u32 s9, s11, s9
	s_lshl_b64 s[0:1], s[0:1], 3
	s_add_u32 s0, s8, s0
	s_addc_u32 s1, s9, s1
	v_mov_b32_e32 v0, 0
	global_store_dwordx2 v0, v[2:3], s[0:1]
.LBB141_308:
	s_or_b64 exec, exec, s[6:7]
.LBB141_309:
	s_or_saveexec_b64 s[0:1], s[4:5]
	s_mov_b64 s[4:5], 0
	s_xor_b64 exec, exec, s[0:1]
	s_cbranch_execnz .LBB141_312
.LBB141_310:
	s_or_b64 exec, exec, s[0:1]
	s_and_b64 s[0:1], s[4:5], exec
	s_andn2_saveexec_b64 s[2:3], s[2:3]
	s_cbranch_execz .LBB141_295
.LBB141_311:
	s_or_b64 s[0:1], s[0:1], exec
	s_trap 2
	s_or_b64 exec, exec, s[2:3]
	s_and_saveexec_b64 s[2:3], s[0:1]
	s_cbranch_execnz .LBB141_296
	s_branch .LBB141_297
.LBB141_312:
	s_mov_b64 s[4:5], exec
	s_trap 2
	s_branch .LBB141_310
	.section	.rodata,"a",@progbits
	.p2align	6, 0x0
	.amdhsa_kernel _ZN2at6native12_GLOBAL__N_112gatherMedianIN3c108BFloat16EmLi2EEEvNS_4cuda6detail10TensorInfoIT_T0_EENS7_IlS9_EENS7_IKS8_S9_EES9_S9_S9_b
		.amdhsa_group_segment_fixed_size 5152
		.amdhsa_private_segment_fixed_size 0
		.amdhsa_kernarg_size 1536
		.amdhsa_user_sgpr_count 6
		.amdhsa_user_sgpr_private_segment_buffer 1
		.amdhsa_user_sgpr_dispatch_ptr 0
		.amdhsa_user_sgpr_queue_ptr 0
		.amdhsa_user_sgpr_kernarg_segment_ptr 1
		.amdhsa_user_sgpr_dispatch_id 0
		.amdhsa_user_sgpr_flat_scratch_init 0
		.amdhsa_user_sgpr_private_segment_size 0
		.amdhsa_uses_dynamic_stack 0
		.amdhsa_system_sgpr_private_segment_wavefront_offset 0
		.amdhsa_system_sgpr_workgroup_id_x 1
		.amdhsa_system_sgpr_workgroup_id_y 1
		.amdhsa_system_sgpr_workgroup_id_z 1
		.amdhsa_system_sgpr_workgroup_info 0
		.amdhsa_system_vgpr_workitem_id 0
		.amdhsa_next_free_vgpr 53
		.amdhsa_next_free_sgpr 96
		.amdhsa_reserve_vcc 1
		.amdhsa_reserve_flat_scratch 0
		.amdhsa_float_round_mode_32 0
		.amdhsa_float_round_mode_16_64 0
		.amdhsa_float_denorm_mode_32 3
		.amdhsa_float_denorm_mode_16_64 3
		.amdhsa_dx10_clamp 1
		.amdhsa_ieee_mode 1
		.amdhsa_fp16_overflow 0
		.amdhsa_exception_fp_ieee_invalid_op 0
		.amdhsa_exception_fp_denorm_src 0
		.amdhsa_exception_fp_ieee_div_zero 0
		.amdhsa_exception_fp_ieee_overflow 0
		.amdhsa_exception_fp_ieee_underflow 0
		.amdhsa_exception_fp_ieee_inexact 0
		.amdhsa_exception_int_div_zero 0
	.end_amdhsa_kernel
	.section	.text._ZN2at6native12_GLOBAL__N_112gatherMedianIN3c108BFloat16EmLi2EEEvNS_4cuda6detail10TensorInfoIT_T0_EENS7_IlS9_EENS7_IKS8_S9_EES9_S9_S9_b,"axG",@progbits,_ZN2at6native12_GLOBAL__N_112gatherMedianIN3c108BFloat16EmLi2EEEvNS_4cuda6detail10TensorInfoIT_T0_EENS7_IlS9_EENS7_IKS8_S9_EES9_S9_S9_b,comdat
.Lfunc_end141:
	.size	_ZN2at6native12_GLOBAL__N_112gatherMedianIN3c108BFloat16EmLi2EEEvNS_4cuda6detail10TensorInfoIT_T0_EENS7_IlS9_EENS7_IKS8_S9_EES9_S9_S9_b, .Lfunc_end141-_ZN2at6native12_GLOBAL__N_112gatherMedianIN3c108BFloat16EmLi2EEEvNS_4cuda6detail10TensorInfoIT_T0_EENS7_IlS9_EENS7_IKS8_S9_EES9_S9_S9_b
                                        ; -- End function
	.set _ZN2at6native12_GLOBAL__N_112gatherMedianIN3c108BFloat16EmLi2EEEvNS_4cuda6detail10TensorInfoIT_T0_EENS7_IlS9_EENS7_IKS8_S9_EES9_S9_S9_b.num_vgpr, 53
	.set _ZN2at6native12_GLOBAL__N_112gatherMedianIN3c108BFloat16EmLi2EEEvNS_4cuda6detail10TensorInfoIT_T0_EENS7_IlS9_EENS7_IKS8_S9_EES9_S9_S9_b.num_agpr, 0
	.set _ZN2at6native12_GLOBAL__N_112gatherMedianIN3c108BFloat16EmLi2EEEvNS_4cuda6detail10TensorInfoIT_T0_EENS7_IlS9_EENS7_IKS8_S9_EES9_S9_S9_b.numbered_sgpr, 96
	.set _ZN2at6native12_GLOBAL__N_112gatherMedianIN3c108BFloat16EmLi2EEEvNS_4cuda6detail10TensorInfoIT_T0_EENS7_IlS9_EENS7_IKS8_S9_EES9_S9_S9_b.num_named_barrier, 0
	.set _ZN2at6native12_GLOBAL__N_112gatherMedianIN3c108BFloat16EmLi2EEEvNS_4cuda6detail10TensorInfoIT_T0_EENS7_IlS9_EENS7_IKS8_S9_EES9_S9_S9_b.private_seg_size, 0
	.set _ZN2at6native12_GLOBAL__N_112gatherMedianIN3c108BFloat16EmLi2EEEvNS_4cuda6detail10TensorInfoIT_T0_EENS7_IlS9_EENS7_IKS8_S9_EES9_S9_S9_b.uses_vcc, 1
	.set _ZN2at6native12_GLOBAL__N_112gatherMedianIN3c108BFloat16EmLi2EEEvNS_4cuda6detail10TensorInfoIT_T0_EENS7_IlS9_EENS7_IKS8_S9_EES9_S9_S9_b.uses_flat_scratch, 0
	.set _ZN2at6native12_GLOBAL__N_112gatherMedianIN3c108BFloat16EmLi2EEEvNS_4cuda6detail10TensorInfoIT_T0_EENS7_IlS9_EENS7_IKS8_S9_EES9_S9_S9_b.has_dyn_sized_stack, 0
	.set _ZN2at6native12_GLOBAL__N_112gatherMedianIN3c108BFloat16EmLi2EEEvNS_4cuda6detail10TensorInfoIT_T0_EENS7_IlS9_EENS7_IKS8_S9_EES9_S9_S9_b.has_recursion, 0
	.set _ZN2at6native12_GLOBAL__N_112gatherMedianIN3c108BFloat16EmLi2EEEvNS_4cuda6detail10TensorInfoIT_T0_EENS7_IlS9_EENS7_IKS8_S9_EES9_S9_S9_b.has_indirect_call, 0
	.section	.AMDGPU.csdata,"",@progbits
; Kernel info:
; codeLenInByte = 16804
; TotalNumSgprs: 100
; NumVgprs: 53
; ScratchSize: 0
; MemoryBound: 0
; FloatMode: 240
; IeeeMode: 1
; LDSByteSize: 5152 bytes/workgroup (compile time only)
; SGPRBlocks: 12
; VGPRBlocks: 13
; NumSGPRsForWavesPerEU: 100
; NumVGPRsForWavesPerEU: 53
; Occupancy: 4
; WaveLimiterHint : 1
; COMPUTE_PGM_RSRC2:SCRATCH_EN: 0
; COMPUTE_PGM_RSRC2:USER_SGPR: 6
; COMPUTE_PGM_RSRC2:TRAP_HANDLER: 0
; COMPUTE_PGM_RSRC2:TGID_X_EN: 1
; COMPUTE_PGM_RSRC2:TGID_Y_EN: 1
; COMPUTE_PGM_RSRC2:TGID_Z_EN: 1
; COMPUTE_PGM_RSRC2:TIDIG_COMP_CNT: 0
	.section	.text._ZN2at6native12_GLOBAL__N_112gatherMedianIN3c108BFloat16EmLi3EEEvNS_4cuda6detail10TensorInfoIT_T0_EENS7_IlS9_EENS7_IKS8_S9_EES9_S9_S9_b,"axG",@progbits,_ZN2at6native12_GLOBAL__N_112gatherMedianIN3c108BFloat16EmLi3EEEvNS_4cuda6detail10TensorInfoIT_T0_EENS7_IlS9_EENS7_IKS8_S9_EES9_S9_S9_b,comdat
	.globl	_ZN2at6native12_GLOBAL__N_112gatherMedianIN3c108BFloat16EmLi3EEEvNS_4cuda6detail10TensorInfoIT_T0_EENS7_IlS9_EENS7_IKS8_S9_EES9_S9_S9_b ; -- Begin function _ZN2at6native12_GLOBAL__N_112gatherMedianIN3c108BFloat16EmLi3EEEvNS_4cuda6detail10TensorInfoIT_T0_EENS7_IlS9_EENS7_IKS8_S9_EES9_S9_S9_b
	.p2align	8
	.type	_ZN2at6native12_GLOBAL__N_112gatherMedianIN3c108BFloat16EmLi3EEEvNS_4cuda6detail10TensorInfoIT_T0_EENS7_IlS9_EENS7_IKS8_S9_EES9_S9_S9_b,@function
_ZN2at6native12_GLOBAL__N_112gatherMedianIN3c108BFloat16EmLi3EEEvNS_4cuda6detail10TensorInfoIT_T0_EENS7_IlS9_EENS7_IKS8_S9_EES9_S9_S9_b: ; @_ZN2at6native12_GLOBAL__N_112gatherMedianIN3c108BFloat16EmLi3EEEvNS_4cuda6detail10TensorInfoIT_T0_EENS7_IlS9_EENS7_IKS8_S9_EES9_S9_S9_b
; %bb.0:
	s_load_dwordx2 s[12:13], s[4:5], 0x500
	s_load_dwordx4 s[56:59], s[4:5], 0x4e0
	s_add_u32 s14, s4, 0x500
	s_addc_u32 s15, s5, 0
	s_mov_b32 s25, 0
	s_waitcnt lgkmcnt(0)
	s_mul_i32 s0, s13, s8
	s_add_i32 s0, s0, s7
	s_mul_i32 s0, s0, s12
	s_add_i32 s24, s0, s6
	v_mov_b32_e32 v1, s24
	v_mov_b32_e32 v2, s25
	v_cmp_le_u64_e32 vcc, s[58:59], v[1:2]
	s_cbranch_vccnz .LBB142_299
; %bb.1:
	s_load_dwordx4 s[28:31], s[4:5], 0x10
	s_mov_b64 s[10:11], 0
	s_mov_b64 s[8:9], 0
	s_waitcnt lgkmcnt(0)
	v_mov_b32_e32 v1, s30
	v_mov_b32_e32 v2, s31
	v_cmp_lt_u64_e32 vcc, s[24:25], v[1:2]
	s_cbranch_vccnz .LBB142_3
; %bb.2:
	v_cvt_f32_u32_e32 v1, s30
	s_sub_i32 s0, 0, s30
	s_mov_b32 s9, 0
	v_rcp_iflag_f32_e32 v1, v1
	v_mul_f32_e32 v1, 0x4f7ffffe, v1
	v_cvt_u32_f32_e32 v1, v1
	v_readfirstlane_b32 s1, v1
	s_mul_i32 s0, s0, s1
	s_mul_hi_u32 s0, s1, s0
	s_add_i32 s1, s1, s0
	s_mul_hi_u32 s0, s24, s1
	s_mul_i32 s2, s0, s30
	s_sub_i32 s2, s24, s2
	s_add_i32 s1, s0, 1
	s_sub_i32 s3, s2, s30
	s_cmp_ge_u32 s2, s30
	s_cselect_b32 s0, s1, s0
	s_cselect_b32 s2, s3, s2
	s_add_i32 s1, s0, 1
	s_cmp_ge_u32 s2, s30
	s_cselect_b32 s8, s1, s0
.LBB142_3:
	s_load_dwordx4 s[20:23], s[4:5], 0x1b0
	v_mov_b32_e32 v1, s28
	v_mov_b32_e32 v2, s29
                                        ; implicit-def: $vgpr52 : SGPR spill to VGPR lane
	v_cmp_lt_u64_e32 vcc, s[8:9], v[1:2]
	s_and_b64 vcc, exec, vcc
	s_waitcnt lgkmcnt(0)
	v_writelane_b32 v52, s20, 0
	v_writelane_b32 v52, s21, 1
	;; [unrolled: 1-line block ×4, first 2 shown]
	s_cbranch_vccnz .LBB142_5
; %bb.4:
	v_cvt_f32_u32_e32 v1, s28
	s_sub_i32 s0, 0, s28
	s_load_dwordx4 s[20:23], s[4:5], 0x1b0
	v_rcp_iflag_f32_e32 v1, v1
	v_mul_f32_e32 v1, 0x4f7ffffe, v1
	v_cvt_u32_f32_e32 v1, v1
	v_readfirstlane_b32 s1, v1
	s_mul_i32 s0, s0, s1
	s_mul_hi_u32 s0, s1, s0
	s_add_i32 s1, s1, s0
	s_mul_hi_u32 s0, s8, s1
	s_mul_i32 s2, s0, s28
	s_sub_i32 s2, s8, s2
	s_add_i32 s1, s0, 1
	s_sub_i32 s3, s2, s28
	s_cmp_ge_u32 s2, s28
	s_cselect_b32 s0, s1, s0
	s_cselect_b32 s2, s3, s2
	s_add_i32 s1, s0, 1
	s_cmp_ge_u32 s2, s28
	s_cselect_b32 s10, s1, s0
.LBB142_5:
	v_writelane_b32 v52, s10, 4
	v_writelane_b32 v52, s11, 5
	s_waitcnt lgkmcnt(0)
	v_mov_b32_e32 v1, s22
	v_writelane_b32 v52, s8, 6
	v_mov_b32_e32 v2, s23
	v_writelane_b32 v52, s9, 7
	v_cmp_lt_u64_e32 vcc, s[24:25], v[1:2]
	s_mov_b64 s[0:1], 0
	v_writelane_b32 v52, s0, 8
	v_writelane_b32 v52, s1, 9
	s_mov_b64 s[0:1], 0
	s_cbranch_vccnz .LBB142_7
; %bb.6:
	v_cvt_f32_u32_e32 v1, s22
	s_sub_i32 s0, 0, s22
	s_mov_b32 s9, 0
	v_rcp_iflag_f32_e32 v1, v1
	v_mul_f32_e32 v1, 0x4f7ffffe, v1
	v_cvt_u32_f32_e32 v1, v1
	v_readfirstlane_b32 s1, v1
	s_mul_i32 s0, s0, s1
	s_mul_hi_u32 s0, s1, s0
	s_add_i32 s1, s1, s0
	s_mul_hi_u32 s0, s24, s1
	s_mul_i32 s2, s0, s22
	s_sub_i32 s2, s24, s2
	s_add_i32 s1, s0, 1
	s_sub_i32 s3, s2, s22
	s_cmp_ge_u32 s2, s22
	s_cselect_b32 s0, s1, s0
	s_cselect_b32 s2, s3, s2
	s_add_i32 s1, s0, 1
	s_cmp_ge_u32 s2, s22
	s_cselect_b32 s8, s1, s0
	s_mov_b64 s[0:1], s[8:9]
.LBB142_7:
	s_load_dwordx2 s[80:81], s[4:5], 0x4f0
	s_load_dwordx2 s[16:17], s[4:5], 0x420
	s_mov_b64 s[18:19], s[0:1]
	s_load_dwordx4 s[0:3], s[4:5], 0x410
	s_load_dwordx4 s[8:11], s[4:5], 0x350
	v_mov_b32_e32 v1, s20
	v_mov_b32_e32 v2, s21
	v_writelane_b32 v52, s18, 10
	v_cmp_lt_u64_e32 vcc, s[18:19], v[1:2]
	v_writelane_b32 v52, s19, 11
	s_cbranch_vccnz .LBB142_9
; %bb.8:
	s_load_dwordx4 s[20:23], s[4:5], 0x1b0
	s_waitcnt lgkmcnt(0)
	v_readlane_b32 s22, v52, 10
	v_readlane_b32 s23, v52, 11
	v_cvt_f32_u32_e32 v1, s20
	s_sub_i32 s7, 0, s20
	v_rcp_iflag_f32_e32 v1, v1
	v_mul_f32_e32 v1, 0x4f7ffffe, v1
	v_cvt_u32_f32_e32 v1, v1
	v_readfirstlane_b32 s13, v1
	s_mul_i32 s7, s7, s13
	s_mul_hi_u32 s7, s13, s7
	s_add_i32 s13, s13, s7
	s_mul_hi_u32 s7, s22, s13
	s_mul_i32 s18, s7, s20
	s_sub_i32 s18, s22, s18
	s_add_i32 s13, s7, 1
	s_sub_i32 s19, s18, s20
	s_cmp_ge_u32 s18, s20
	s_cselect_b32 s7, s13, s7
	s_cselect_b32 s18, s19, s18
	s_add_i32 s13, s7, 1
	s_cmp_ge_u32 s18, s20
	s_cselect_b32 s18, s13, s7
	v_writelane_b32 v52, s18, 8
	v_writelane_b32 v52, s19, 9
.LBB142_9:
	s_load_dwordx2 s[18:19], s[4:5], 0x340
	s_waitcnt lgkmcnt(0)
	v_mov_b32_e32 v1, s10
	v_mov_b32_e32 v2, s11
	v_cmp_lt_u64_e32 vcc, s[24:25], v[1:2]
	s_mov_b64 s[20:21], 0
	s_mov_b64 s[22:23], 0
	s_cbranch_vccnz .LBB142_11
; %bb.10:
	v_cvt_f32_u32_e32 v1, s10
	s_sub_i32 s7, 0, s10
	s_mov_b32 s23, 0
	v_rcp_iflag_f32_e32 v1, v1
	v_mul_f32_e32 v1, 0x4f7ffffe, v1
	v_cvt_u32_f32_e32 v1, v1
	v_readfirstlane_b32 s13, v1
	s_mul_i32 s7, s7, s13
	s_mul_hi_u32 s7, s13, s7
	s_add_i32 s13, s13, s7
	s_mul_hi_u32 s7, s24, s13
	s_mul_i32 s21, s7, s10
	s_sub_i32 s21, s24, s21
	s_add_i32 s13, s7, 1
	s_sub_i32 s22, s21, s10
	s_cmp_ge_u32 s21, s10
	s_cselect_b32 s7, s13, s7
	s_cselect_b32 s21, s22, s21
	s_add_i32 s13, s7, 1
	s_cmp_ge_u32 s21, s10
	s_cselect_b32 s22, s13, s7
.LBB142_11:
	v_writelane_b32 v52, s28, 12
	v_writelane_b32 v52, s29, 13
	s_load_dwordx2 s[26:27], s[4:5], 0x280
	v_writelane_b32 v52, s30, 14
	v_writelane_b32 v52, s31, 15
	s_load_dwordx4 s[28:31], s[4:5], 0x270
	v_mov_b32_e32 v1, s8
	s_waitcnt lgkmcnt(0)
	v_writelane_b32 v52, s26, 16
	v_writelane_b32 v52, s27, 17
	s_load_dwordx2 s[26:27], s[4:5], 0xe0
	v_writelane_b32 v52, s28, 18
	v_writelane_b32 v52, s29, 19
	;; [unrolled: 1-line block ×4, first 2 shown]
	s_load_dwordx4 s[28:31], s[4:5], 0xd0
	s_waitcnt lgkmcnt(0)
	v_writelane_b32 v52, s26, 22
	v_writelane_b32 v52, s27, 23
	v_mov_b32_e32 v2, s9
	v_cmp_lt_u64_e32 vcc, s[22:23], v[1:2]
	v_writelane_b32 v52, s28, 24
	v_writelane_b32 v52, s29, 25
	;; [unrolled: 1-line block ×4, first 2 shown]
	s_cbranch_vccnz .LBB142_13
; %bb.12:
	v_cvt_f32_u32_e32 v1, s8
	s_sub_i32 s7, 0, s8
	v_rcp_iflag_f32_e32 v1, v1
	v_mul_f32_e32 v1, 0x4f7ffffe, v1
	v_cvt_u32_f32_e32 v1, v1
	v_readfirstlane_b32 s13, v1
	s_mul_i32 s7, s7, s13
	s_mul_hi_u32 s7, s13, s7
	s_add_i32 s13, s13, s7
	s_mul_hi_u32 s7, s22, s13
	s_mul_i32 s20, s7, s8
	s_sub_i32 s20, s22, s20
	s_add_i32 s13, s7, 1
	s_sub_i32 s21, s20, s8
	s_cmp_ge_u32 s20, s8
	s_cselect_b32 s7, s13, s7
	s_cselect_b32 s20, s21, s20
	s_add_i32 s13, s7, 1
	s_cmp_ge_u32 s20, s8
	s_cselect_b32 s20, s13, s7
.LBB142_13:
	s_load_dwordx2 s[26:27], s[4:5], 0x1a0
	s_mul_i32 s7, s22, s11
	s_mul_hi_u32 s11, s22, s10
	s_add_i32 s11, s11, s7
	s_mul_i32 s7, s22, s10
	s_waitcnt lgkmcnt(0)
	v_writelane_b32 v52, s26, 28
	v_writelane_b32 v52, s27, 29
	s_load_dwordx2 s[26:27], s[4:5], 0x0
	s_mov_b32 s10, s24
	s_sub_u32 s7, s24, s7
	s_mul_hi_u32 s13, s7, s16
	s_mul_i32 s1, s20, s1
	s_waitcnt lgkmcnt(0)
	v_writelane_b32 v52, s26, 30
	v_writelane_b32 v52, s27, 31
	;; [unrolled: 1-line block ×4, first 2 shown]
	s_subb_u32 s10, 0, s11
	s_mul_i32 s11, s7, s17
	s_add_i32 s11, s13, s11
	s_mul_i32 s10, s10, s16
	s_add_i32 s11, s11, s10
	s_mul_i32 s10, s7, s16
	s_mul_i32 s7, s20, s9
	s_mul_hi_u32 s9, s20, s8
	s_add_i32 s9, s9, s7
	s_mul_i32 s7, s20, s8
	s_sub_u32 s7, s22, s7
	s_subb_u32 s8, s23, s9
	s_mul_i32 s3, s7, s3
	s_mul_hi_u32 s9, s7, s2
	s_mul_i32 s8, s8, s2
	s_mul_i32 s2, s7, s2
	s_mul_hi_u32 s7, s20, s0
	s_add_i32 s3, s9, s3
	s_add_i32 s1, s7, s1
	s_mul_i32 s0, s20, s0
	s_add_i32 s3, s3, s8
	s_lshl_b64 s[0:1], s[0:1], 1
	s_add_u32 s7, s18, s0
	s_addc_u32 s8, s19, s1
	s_lshl_b64 s[0:1], s[2:3], 1
	s_add_u32 s2, s7, s0
	v_mov_b32_e32 v1, 0
	s_addc_u32 s3, s8, s1
	s_lshl_b64 s[0:1], s[10:11], 1
	v_cmp_gt_u64_e64 s[8:9], s[56:57], v[0:1]
	s_add_u32 s33, s2, s0
	v_mov_b32_e32 v2, 0
	v_mov_b32_e32 v3, 0
	s_addc_u32 s77, s3, s1
	v_writelane_b32 v52, s8, 34
	v_writelane_b32 v52, s9, 35
	s_and_saveexec_b64 s[0:1], s[8:9]
	s_cbranch_execz .LBB142_17
; %bb.14:
	s_load_dword s7, s[14:15], 0xc
	v_mov_b32_e32 v2, 0
	v_mov_b32_e32 v5, v1
	s_mov_b64 s[2:3], 0
	v_mov_b32_e32 v3, 0
	v_mov_b32_e32 v6, s77
	s_waitcnt lgkmcnt(0)
	s_and_b32 s7, s7, 0xffff
	v_mov_b32_e32 v4, v0
.LBB142_15:                             ; =>This Inner Loop Header: Depth=1
	v_mul_lo_u32 v9, v5, s80
	v_mul_lo_u32 v10, v4, s81
	v_mad_u64_u32 v[7:8], s[8:9], v4, s80, 0
	v_add3_u32 v8, v8, v10, v9
	v_lshlrev_b64 v[7:8], 1, v[7:8]
	v_add_co_u32_e32 v7, vcc, s33, v7
	v_addc_co_u32_e32 v8, vcc, v6, v8, vcc
	global_load_ushort v7, v[7:8], off
	v_add_co_u32_e32 v4, vcc, s7, v4
	v_addc_co_u32_e32 v5, vcc, 0, v5, vcc
	v_cmp_le_u64_e32 vcc, s[56:57], v[4:5]
	s_or_b64 s[2:3], vcc, s[2:3]
	s_waitcnt vmcnt(0)
	v_lshlrev_b32_e32 v7, 16, v7
	v_cmp_u_f32_e32 vcc, v7, v7
	v_cndmask_b32_e64 v7, 0, 1, vcc
	v_add_co_u32_e32 v2, vcc, v2, v7
	v_addc_co_u32_e32 v3, vcc, 0, v3, vcc
	s_andn2_b64 exec, exec, s[2:3]
	s_cbranch_execnz .LBB142_15
; %bb.16:
	s_or_b64 exec, exec, s[2:3]
.LBB142_17:
	s_or_b64 exec, exec, s[0:1]
	v_cmp_eq_u32_e64 s[2:3], 0, v0
	s_mov_b64 s[0:1], exec
	v_writelane_b32 v52, s2, 36
	v_writelane_b32 v52, s3, 37
	s_and_b64 s[2:3], s[0:1], s[2:3]
	s_mov_b64 exec, s[2:3]
; %bb.18:
	v_mov_b32_e32 v4, 0
	v_mov_b32_e32 v5, v4
	ds_write_b64 v4, v[4:5] offset:5136
; %bb.19:
	s_or_b64 exec, exec, s[0:1]
	v_cmp_ne_u64_e32 vcc, 0, v[2:3]
	s_mov_b64 s[8:9], 0
	s_waitcnt lgkmcnt(0)
	s_barrier
	s_and_saveexec_b64 s[0:1], vcc
	s_cbranch_execz .LBB142_24
; %bb.20:
	s_mov_b64 s[10:11], exec
.LBB142_21:                             ; =>This Inner Loop Header: Depth=1
	s_ff1_i32_b64 s2, s[10:11]
	v_readlane_b32 s7, v2, s2
	v_readlane_b32 s3, v3, s2
	s_add_u32 s8, s8, s7
	s_addc_u32 s9, s9, s3
	s_lshl_b64 s[2:3], 1, s2
	s_andn2_b64 s[10:11], s[10:11], s[2:3]
	s_cmp_lg_u64 s[10:11], 0
	s_cbranch_scc1 .LBB142_21
; %bb.22:
	v_mbcnt_lo_u32_b32 v2, exec_lo, 0
	v_mbcnt_hi_u32_b32 v2, exec_hi, v2
	v_cmp_eq_u32_e32 vcc, 0, v2
	s_and_saveexec_b64 s[2:3], vcc
	s_xor_b64 s[2:3], exec, s[2:3]
; %bb.23:
	v_mov_b32_e32 v2, s8
	v_mov_b32_e32 v4, 0
	;; [unrolled: 1-line block ×3, first 2 shown]
	ds_add_u64 v4, v[2:3] offset:5136
.LBB142_24:
	s_or_b64 exec, exec, s[0:1]
	v_mov_b32_e32 v2, 0
	s_load_dword s0, s[4:5], 0x4f8
	s_waitcnt lgkmcnt(0)
	s_barrier
	ds_read_b64 v[2:3], v2 offset:5136
	s_bitcmp1_b32 s0, 0
	s_cselect_b64 s[0:1], -1, 0
	v_mov_b32_e32 v19, s56
	v_mov_b32_e32 v20, s57
	s_waitcnt lgkmcnt(0)
	v_cmp_gt_i64_e32 vcc, 1, v[2:3]
	s_or_b64 s[0:1], s[0:1], vcc
	s_andn2_b64 vcc, exec, s[0:1]
	s_cbranch_vccnz .LBB142_26
; %bb.25:
	v_not_b32_e32 v2, v2
	v_not_b32_e32 v3, v3
	v_mov_b32_e32 v4, s57
	v_add_co_u32_e32 v2, vcc, s56, v2
	v_addc_co_u32_e32 v3, vcc, v4, v3, vcc
	v_lshrrev_b64 v[2:3], 1, v[2:3]
	v_add_co_u32_e32 v19, vcc, 1, v2
	v_addc_co_u32_e32 v20, vcc, 0, v3, vcc
.LBB142_26:
	s_mov_b64 s[0:1], exec
	v_readlane_b32 s2, v52, 36
	v_readlane_b32 s3, v52, 37
	s_and_b64 s[2:3], s[0:1], s[2:3]
	s_mov_b64 exec, s[2:3]
	s_cbranch_execz .LBB142_28
; %bb.27:
	v_mov_b32_e32 v2, 0
	v_mov_b32_e32 v4, s56
	;; [unrolled: 1-line block ×4, first 2 shown]
	ds_write_b32 v2, v2 offset:5144
	ds_write_b128 v2, v[2:5] offset:5120
.LBB142_28:
	s_or_b64 exec, exec, s[0:1]
	v_mbcnt_lo_u32_b32 v2, -1, 0
	v_mbcnt_hi_u32_b32 v23, -1, v2
	v_mad_u64_u32 v[2:3], s[0:1], s80, v0, 0
	v_cmp_gt_u32_e64 s[0:1], 2, v0
	v_writelane_b32 v52, s0, 38
	v_writelane_b32 v52, s1, 39
	v_mad_u64_u32 v[3:4], s[0:1], s81, v0, v[3:4]
	v_mov_b32_e32 v4, 0x600
	v_mov_b32_e32 v5, 0
	v_cmp_gt_u64_e64 s[0:1], s[56:57], v[4:5]
	s_waitcnt lgkmcnt(0)
	v_writelane_b32 v52, s0, 40
	s_barrier
	v_writelane_b32 v52, s1, 41
	s_load_dword s0, s[14:15], 0xc
	v_lshlrev_b64 v[2:3], 1, v[2:3]
	v_cmp_gt_u32_e32 vcc, 64, v0
	v_cmp_gt_i32_e64 s[8:9], 4, v23
	s_and_b64 s[78:79], vcc, s[8:9]
	v_add_co_u32_e32 v12, vcc, s33, v2
	v_lshlrev_b32_e32 v2, 2, v23
	v_and_b32_e32 v26, 0x100, v2
	v_lshrrev_b32_e32 v2, 1, v0
	v_mov_b32_e32 v4, s77
	s_waitcnt lgkmcnt(0)
	s_and_b32 s76, s0, 0xffff
	s_bfe_u32 s0, s0, 0xa0006
	v_and_b32_e32 v2, 0x1e0, v2
	v_addc_co_u32_e32 v13, vcc, v4, v3, vcc
	v_mov_b32_e32 v3, 0
	v_lshlrev_b64 v[4:5], v23, -1
	s_cmp_gt_u32 s76, 63
	v_or_b32_e32 v29, 0xc00, v2
	v_add_u32_e32 v2, 2, v0
	s_cselect_b64 s[2:3], -1, 0
	v_cmp_gt_u64_e32 vcc, s[56:57], v[2:3]
	v_not_b32_e32 v28, v4
	v_writelane_b32 v52, s2, 42
	v_mov_b32_e32 v4, s57
	v_not_b32_e32 v27, v5
	v_writelane_b32 v52, s3, 43
	s_add_u32 s2, s76, -1
	v_cndmask_b32_e32 v5, 0, v4, vcc
	v_mov_b32_e32 v4, s56
	s_addc_u32 s1, 0, -1
	v_cndmask_b32_e32 v2, v2, v4, vcc
	v_not_b32_e32 v4, v0
	v_writelane_b32 v52, s2, 44
	s_add_u32 s2, s2, s56
	v_add_co_u32_e32 v4, vcc, v2, v4
	s_addc_u32 s69, s1, s57
	v_addc_co_u32_e32 v5, vcc, -1, v5, vcc
	s_cmp_lt_u32 s6, s12
	v_cmp_lt_u64_e64 s[6:7], 1, v[4:5]
	v_writelane_b32 v52, s1, 45
	v_writelane_b32 v52, s6, 46
	v_and_b32_e32 v16, -2, v4
	v_mov_b32_e32 v17, v5
	s_cselect_b32 s1, 12, 18
	v_writelane_b32 v52, s7, 47
	v_cmp_ne_u64_e64 s[6:7], v[4:5], v[16:17]
	s_add_u32 s70, s14, s1
	s_addc_u32 s71, s15, 0
	v_writelane_b32 v52, s6, 48
	s_add_i32 s1, s0, -1
	v_writelane_b32 v52, s7, 49
	s_bfe_u32 s6, s76, 0x30006
	s_and_b32 s1, s1, 0xffff
	s_cmp_gt_u32 s1, 6
	s_cselect_b64 s[8:9], -1, 0
	v_writelane_b32 v52, s8, 50
	s_and_b32 s87, s0, 0x3f8
	v_writelane_b32 v52, s9, 51
	s_cmp_lg_u32 s6, 0
	v_writelane_b32 v52, s6, 52
	s_cselect_b64 s[0:1], -1, 0
	v_writelane_b32 v52, s0, 53
	v_lshlrev_b32_e32 v24, 1, v0
	v_writelane_b32 v52, s1, 54
	v_mov_b32_e32 v2, 0xc00
	s_mov_b32 s95, 0
	v_cmp_eq_u32_e64 s[4:5], 0, v23
	v_add_u32_e32 v25, 0xc00, v24
	v_lshlrev_b32_e32 v14, 2, v0
	v_mov_b32_e32 v15, v3
	s_mov_b32 s3, s80
	s_mov_b32 s65, s81
	v_lshlrev_b32_e32 v31, 3, v0
	v_lshl_or_b32 v32, v23, 3, v2
	s_lshl_b32 s38, s76, 1
	s_mov_b32 s86, 14
	s_mov_b64 s[12:13], 0
	s_movk_i32 s39, 0x3f80
	v_mov_b32_e32 v33, 0xffff
	v_mov_b32_e32 v34, 0x8000
	;; [unrolled: 1-line block ×3, first 2 shown]
	v_mov_b32_e32 v36, -1
	v_mov_b32_e32 v37, 0x5040100
	v_mov_b32_e32 v39, 0
	s_mov_b32 s88, 0
	v_mov_b32_e32 v30, 0
	v_mov_b32_e32 v38, 0
	v_add_co_u32_e32 v18, vcc, v16, v0
	v_writelane_b32 v52, s78, 55
	s_mov_b32 s89, s81
                                        ; implicit-def: $sgpr90_sgpr91
                                        ; implicit-def: $sgpr72_sgpr73
                                        ; implicit-def: $sgpr10_sgpr11
                                        ; implicit-def: $sgpr84_sgpr85
                                        ; implicit-def: $sgpr58_sgpr59
                                        ; implicit-def: $sgpr74_sgpr75
	v_writelane_b32 v52, s79, 56
	s_branch .LBB142_32
.LBB142_29:                             ;   in Loop: Header=BB142_32 Depth=1
	s_or_b64 exec, exec, s[18:19]
	s_and_b64 s[8:9], s[8:9], exec
	s_andn2_b64 s[24:25], s[24:25], exec
	s_andn2_b64 s[6:7], s[6:7], exec
	s_orn2_b64 s[18:19], s[14:15], exec
.LBB142_30:                             ;   in Loop: Header=BB142_32 Depth=1
	s_or_b64 exec, exec, s[0:1]
	s_andn2_b64 s[0:1], s[74:75], exec
	s_and_b64 s[8:9], s[8:9], exec
	s_or_b64 s[74:75], s[0:1], s[8:9]
	s_andn2_b64 s[0:1], s[58:59], exec
	s_and_b64 s[8:9], s[24:25], exec
	s_or_b64 s[58:59], s[0:1], s[8:9]
	;; [unrolled: 3-line block ×3, first 2 shown]
	s_orn2_b64 s[6:7], s[18:19], exec
.LBB142_31:                             ;   in Loop: Header=BB142_32 Depth=1
	s_or_b64 exec, exec, s[16:17]
	s_and_b64 s[0:1], exec, s[6:7]
	s_or_b64 s[12:13], s[0:1], s[12:13]
	s_andn2_b64 s[0:1], s[10:11], exec
	s_and_b64 s[6:7], s[74:75], exec
	s_or_b64 s[10:11], s[0:1], s[6:7]
	s_andn2_b64 s[0:1], s[72:73], exec
	s_and_b64 s[6:7], s[58:59], exec
	;; [unrolled: 3-line block ×3, first 2 shown]
	v_mov_b32_e32 v20, v9
	s_or_b64 s[90:91], s[0:1], s[6:7]
	v_mov_b32_e32 v19, v8
	s_andn2_b64 exec, exec, s[12:13]
	s_cbranch_execz .LBB142_295
.LBB142_32:                             ; =>This Loop Header: Depth=1
                                        ;     Child Loop BB142_37 Depth 2
                                        ;     Child Loop BB142_51 Depth 2
	;; [unrolled: 1-line block ×17, first 2 shown]
	ds_read_b128 v[4:7], v3 offset:5120
	s_waitcnt lgkmcnt(0)
	v_readfirstlane_b32 s83, v5
	v_readfirstlane_b32 s82, v4
	s_cmp_lg_u64 s[82:83], 0
	s_cbranch_scc1 .LBB142_64
; %bb.33:                               ;   in Loop: Header=BB142_32 Depth=1
	v_readlane_b32 s0, v52, 40
	v_readlane_b32 s1, v52, 41
	s_and_b64 vcc, exec, s[0:1]
	s_cbranch_vccz .LBB142_45
; %bb.34:                               ;   in Loop: Header=BB142_32 Depth=1
	s_mov_b64 s[0:1], 0x601
	v_cmp_gt_u64_e32 vcc, s[0:1], v[6:7]
	s_mov_b64 s[0:1], 0
	s_mov_b64 s[6:7], 0
	s_cbranch_vccz .LBB142_46
; %bb.35:                               ;   in Loop: Header=BB142_32 Depth=1
	global_load_ushort v6, v[12:13], off
	global_load_ushort v2, v3, s[70:71]
	v_mov_b32_e32 v5, v1
	s_mov_b64 s[8:9], 0
	v_mov_b32_e32 v4, v0
	s_branch .LBB142_37
.LBB142_36:                             ;   in Loop: Header=BB142_37 Depth=2
	s_or_b64 exec, exec, s[6:7]
	s_waitcnt vmcnt(0)
	v_mov_b32_e32 v6, v7
	s_andn2_b64 exec, exec, s[8:9]
	s_cbranch_execz .LBB142_162
.LBB142_37:                             ;   Parent Loop BB142_32 Depth=1
                                        ; =>  This Inner Loop Header: Depth=2
	s_waitcnt vmcnt(0)
	v_add_co_u32_sdwa v4, vcc, v4, v2 dst_sel:DWORD dst_unused:UNUSED_PAD src0_sel:DWORD src1_sel:WORD_0
	v_addc_co_u32_e32 v5, vcc, 0, v5, vcc
	v_cmp_gt_u64_e64 s[6:7], s[56:57], v[4:5]
	v_cmp_le_u64_e32 vcc, s[56:57], v[4:5]
	s_waitcnt lgkmcnt(0)
	v_mov_b32_e32 v8, 0
	v_mov_b32_e32 v7, 0
	s_and_saveexec_b64 s[14:15], s[6:7]
	s_cbranch_execz .LBB142_39
; %bb.38:                               ;   in Loop: Header=BB142_37 Depth=2
	v_mul_lo_u32 v7, v5, s80
	v_mul_lo_u32 v11, v4, s81
	v_mad_u64_u32 v[9:10], s[6:7], v4, s80, 0
	v_add3_u32 v10, v10, v11, v7
	v_lshlrev_b64 v[9:10], 1, v[9:10]
	v_mov_b32_e32 v7, s77
	v_add_co_u32_e64 v9, s[6:7], s33, v9
	v_addc_co_u32_e64 v10, s[6:7], v7, v10, s[6:7]
	global_load_ushort v7, v[9:10], off
.LBB142_39:                             ;   in Loop: Header=BB142_37 Depth=2
	s_or_b64 exec, exec, s[14:15]
	v_cmp_lt_i16_e64 s[6:7], -1, v6
	v_cndmask_b32_e64 v9, v33, v34, s[6:7]
	v_lshlrev_b32_e32 v10, 16, v6
	v_xor_b32_sdwa v9, v9, v6 dst_sel:DWORD dst_unused:UNUSED_PAD src0_sel:DWORD src1_sel:WORD_0
	v_cmp_o_f32_e64 s[6:7], v10, v10
	v_cndmask_b32_e64 v9, v33, v9, s[6:7]
	v_and_b32_e32 v9, v9, v38
	v_cmp_eq_u32_e64 s[14:15], v9, v30
	s_cmp_lg_u64 s[14:15], 0
	s_cselect_b64 s[6:7], -1, 0
	s_and_b64 s[6:7], s[4:5], s[6:7]
	s_and_saveexec_b64 s[16:17], s[6:7]
	s_cbranch_execz .LBB142_43
; %bb.40:                               ;   in Loop: Header=BB142_37 Depth=2
	s_mov_b64 s[20:21], exec
	v_mbcnt_lo_u32_b32 v8, s20, 0
	v_mbcnt_hi_u32_b32 v8, s21, v8
	s_bcnt1_i32_b64 s22, s[14:15]
	v_cmp_eq_u32_e64 s[6:7], 0, v8
                                        ; implicit-def: $vgpr9
	s_and_saveexec_b64 s[18:19], s[6:7]
; %bb.41:                               ;   in Loop: Header=BB142_37 Depth=2
	s_bcnt1_i32_b64 s6, s[20:21]
	s_mul_i32 s6, s22, s6
	v_mov_b32_e32 v9, s6
	ds_add_rtn_u32 v9, v3, v9 offset:5144
; %bb.42:                               ;   in Loop: Header=BB142_37 Depth=2
	s_or_b64 exec, exec, s[18:19]
	s_waitcnt lgkmcnt(0)
	v_readfirstlane_b32 s6, v9
	v_mov_b32_e32 v9, s6
	v_mad_u32_u24 v8, s22, v8, v9
.LBB142_43:                             ;   in Loop: Header=BB142_37 Depth=2
	s_or_b64 exec, exec, s[16:17]
	ds_bpermute_b32 v8, v26, v8
	s_and_b64 s[6:7], exec, vcc
	s_or_b64 s[8:9], s[6:7], s[8:9]
	s_and_saveexec_b64 s[6:7], s[14:15]
	s_cbranch_execz .LBB142_36
; %bb.44:                               ;   in Loop: Header=BB142_37 Depth=2
	v_and_b32_e32 v10, s14, v28
	v_and_b32_e32 v9, s15, v27
	v_bcnt_u32_b32 v10, v10, 0
	v_bcnt_u32_b32 v9, v9, v10
	v_lshlrev_b32_e32 v9, 1, v9
	s_waitcnt lgkmcnt(0)
	v_lshl_add_u32 v8, v8, 1, v9
	ds_write_b16 v8, v6
	s_branch .LBB142_36
.LBB142_45:                             ;   in Loop: Header=BB142_32 Depth=1
	s_mov_b64 s[0:1], -1
	s_mov_b64 s[6:7], 0
.LBB142_46:                             ;   in Loop: Header=BB142_32 Depth=1
	s_and_b64 vcc, exec, s[0:1]
	s_cbranch_vccz .LBB142_62
.LBB142_47:                             ;   in Loop: Header=BB142_32 Depth=1
	s_mov_b64 s[0:1], exec
	v_readlane_b32 s6, v52, 34
	v_readlane_b32 s7, v52, 35
	s_and_b64 s[6:7], s[0:1], s[6:7]
	s_mov_b64 exec, s[6:7]
	s_cbranch_execz .LBB142_59
; %bb.48:                               ;   in Loop: Header=BB142_32 Depth=1
	global_load_ushort v2, v3, s[70:71]
	global_load_ushort v10, v[12:13], off
	v_mov_b32_e32 v6, v0
	s_waitcnt vmcnt(1)
	v_readfirstlane_b32 s8, v2
	v_add_u32_sdwa v2, v2, v0 dst_sel:DWORD dst_unused:UNUSED_PAD src0_sel:WORD_0 src1_sel:DWORD
	v_cmp_gt_u64_e32 vcc, s[56:57], v[2:3]
	s_and_saveexec_b64 s[6:7], vcc
	s_cbranch_execz .LBB142_58
; %bb.49:                               ;   in Loop: Header=BB142_32 Depth=1
	s_and_b32 s16, s8, 0xffff
	s_cmp_eq_u32 s16, 1
	v_readlane_b32 s14, v52, 46
                                        ; implicit-def: $vgpr6_vgpr7
	s_cselect_b64 s[8:9], -1, 0
	v_readlane_b32 s15, v52, 47
	v_mov_b32_e32 v5, v1
	v_mov_b32_e32 v8, v3
	s_and_b64 s[18:19], s[14:15], s[8:9]
	s_mov_b64 s[14:15], -1
	v_mov_b32_e32 v4, v0
	v_mov_b32_e32 v7, v2
	s_and_saveexec_b64 s[8:9], s[18:19]
	s_cbranch_execz .LBB142_53
; %bb.50:                               ;   in Loop: Header=BB142_32 Depth=1
	v_add_co_u32_e32 v4, vcc, 1, v2
	v_addc_co_u32_e64 v5, s[14:15], 0, 0, vcc
	v_mov_b32_e32 v8, v16
	v_mov_b32_e32 v7, v5
	s_waitcnt vmcnt(0)
	v_lshlrev_b32_e32 v21, 16, v10
	s_mov_b64 s[14:15], 0
	v_mov_b32_e32 v9, v17
	v_mov_b32_e32 v11, v24
	;; [unrolled: 1-line block ×5, first 2 shown]
.LBB142_51:                             ;   Parent Loop BB142_32 Depth=1
                                        ; =>  This Inner Loop Header: Depth=2
	v_mul_lo_u32 v44, v5, s80
	v_mul_lo_u32 v45, v4, s81
	v_mad_u64_u32 v[42:43], s[18:19], v4, s80, 0
	v_mul_lo_u32 v10, v7, s3
	v_mul_lo_u32 v22, v6, s65
	v_mad_u64_u32 v[40:41], s[18:19], v6, s3, 0
	v_add3_u32 v43, v43, v45, v44
	v_lshlrev_b64 v[42:43], 1, v[42:43]
	v_add3_u32 v41, v41, v22, v10
	v_mov_b32_e32 v46, s77
	v_lshlrev_b64 v[40:41], 1, v[40:41]
	v_add_co_u32_e32 v42, vcc, s33, v42
	v_addc_co_u32_e32 v43, vcc, v46, v43, vcc
	v_add_co_u32_e32 v40, vcc, s33, v40
	v_addc_co_u32_e32 v41, vcc, v46, v41, vcc
	global_load_ushort v22, v[42:43], off
	global_load_ushort v10, v[40:41], off
	v_add_co_u32_e32 v6, vcc, 2, v6
	v_addc_co_u32_e32 v7, vcc, 0, v7, vcc
	v_add_co_u32_e32 v4, vcc, 2, v4
	v_addc_co_u32_e32 v5, vcc, 0, v5, vcc
	v_add_co_u32_e32 v8, vcc, -2, v8
	v_addc_co_u32_e32 v9, vcc, -1, v9, vcc
	s_mov_b32 s17, 0x5040100
	v_cmp_eq_u64_e32 vcc, 0, v[8:9]
	s_or_b64 s[14:15], vcc, s[14:15]
	s_waitcnt vmcnt(1)
	v_alignbit_b32 v21, v22, v21, 16
	s_waitcnt vmcnt(0)
	v_perm_b32 v40, v10, v22, s17
	ds_write_b32 v11, v21
	v_add_u32_e32 v11, 4, v11
	v_mov_b32_e32 v21, v40
	s_andn2_b64 exec, exec, s[14:15]
	s_cbranch_execnz .LBB142_51
; %bb.52:                               ;   in Loop: Header=BB142_32 Depth=1
	s_or_b64 exec, exec, s[14:15]
	v_readlane_b32 s14, v52, 48
	v_add_co_u32_e32 v7, vcc, v2, v16
	v_readlane_b32 s15, v52, 49
	v_addc_co_u32_e32 v8, vcc, 0, v17, vcc
	v_add_co_u32_e32 v6, vcc, -1, v7
	s_orn2_b64 s[14:15], s[14:15], exec
	v_mov_b32_e32 v4, v18
	v_mov_b32_e32 v5, v19
.LBB142_53:                             ;   in Loop: Header=BB142_32 Depth=1
	s_or_b64 exec, exec, s[8:9]
	s_and_saveexec_b64 s[8:9], s[14:15]
	s_cbranch_execz .LBB142_57
; %bb.54:                               ;   in Loop: Header=BB142_32 Depth=1
	s_mov_b64 s[14:15], 0
	s_sub_u32 s17, 0, s16
.LBB142_55:                             ;   Parent Loop BB142_32 Depth=1
                                        ; =>  This Inner Loop Header: Depth=2
	s_waitcnt vmcnt(0)
	v_mov_b32_e32 v2, v10
	v_mul_lo_u32 v9, v8, s80
	v_mul_lo_u32 v10, v7, s81
	v_mad_u64_u32 v[5:6], s[18:19], v7, s80, 0
	v_mov_b32_e32 v11, s77
	v_lshlrev_b32_e32 v4, 1, v4
	v_add3_u32 v6, v6, v10, v9
	v_lshlrev_b64 v[5:6], 1, v[5:6]
	ds_write_b16 v4, v2
	v_add_co_u32_e32 v5, vcc, s33, v5
	v_addc_co_u32_e32 v6, vcc, v11, v6, vcc
	global_load_ushort v10, v[5:6], off
	v_mov_b32_e32 v4, v7
	v_mov_b32_e32 v5, v8
	v_add_co_u32_e32 v7, vcc, s16, v7
	v_addc_co_u32_e32 v8, vcc, 0, v8, vcc
	v_cmp_le_u64_e32 vcc, s[56:57], v[7:8]
	s_or_b64 s[14:15], vcc, s[14:15]
	v_add_co_u32_e32 v6, vcc, s17, v7
	s_andn2_b64 exec, exec, s[14:15]
	s_cbranch_execnz .LBB142_55
; %bb.56:                               ;   in Loop: Header=BB142_32 Depth=1
	s_or_b64 exec, exec, s[14:15]
.LBB142_57:                             ;   in Loop: Header=BB142_32 Depth=1
	s_or_b64 exec, exec, s[8:9]
.LBB142_58:                             ;   in Loop: Header=BB142_32 Depth=1
	s_or_b64 exec, exec, s[6:7]
	v_lshlrev_b32_e32 v2, 1, v6
	s_waitcnt vmcnt(0)
	ds_write_b16 v2, v10
.LBB142_59:                             ;   in Loop: Header=BB142_32 Depth=1
	s_or_b64 exec, exec, s[0:1]
	s_waitcnt lgkmcnt(0)
	s_barrier
	s_mov_b64 s[0:1], exec
	v_readlane_b32 s6, v52, 36
	v_readlane_b32 s7, v52, 37
	s_and_b64 s[6:7], s[0:1], s[6:7]
	s_mov_b64 exec, s[6:7]
; %bb.60:                               ;   in Loop: Header=BB142_32 Depth=1
	v_mov_b32_e32 v4, s56
	v_mov_b32_e32 v5, s57
	ds_write_b64 v3, v[4:5] offset:5120
; %bb.61:                               ;   in Loop: Header=BB142_32 Depth=1
	s_or_b64 exec, exec, s[0:1]
	s_mov_b64 s[6:7], -1
	s_waitcnt lgkmcnt(0)
	s_barrier
.LBB142_62:                             ;   in Loop: Header=BB142_32 Depth=1
	s_mov_b64 s[82:83], 0
	s_and_b64 vcc, exec, s[6:7]
	s_cbranch_vccz .LBB142_64
; %bb.63:                               ;   in Loop: Header=BB142_32 Depth=1
	ds_read_b64 v[4:5], v3 offset:5120
	s_waitcnt lgkmcnt(0)
	v_readfirstlane_b32 s82, v4
.LBB142_64:                             ;   in Loop: Header=BB142_32 Depth=1
	s_cmp_lt_i32 s82, 1
	s_mov_b64 s[0:1], -1
                                        ; implicit-def: $vgpr4_vgpr5
                                        ; implicit-def: $vgpr8_vgpr9
	s_cbranch_scc1 .LBB142_74
; %bb.65:                               ;   in Loop: Header=BB142_32 Depth=1
	s_and_b64 vcc, exec, s[0:1]
	s_cbranch_vccnz .LBB142_88
.LBB142_66:                             ;   in Loop: Header=BB142_32 Depth=1
	s_lshl_b32 s6, s88, 6
	s_and_saveexec_b64 s[0:1], s[4:5]
	s_cbranch_execz .LBB142_68
.LBB142_67:                             ;   in Loop: Header=BB142_32 Depth=1
	v_lshl_add_u32 v2, s6, 3, v29
	ds_write_b128 v2, v[4:7]
	ds_write_b128 v2, v[8:11] offset:16
.LBB142_68:                             ;   in Loop: Header=BB142_32 Depth=1
	s_or_b64 exec, exec, s[0:1]
	s_waitcnt lgkmcnt(0)
	s_barrier
	s_and_saveexec_b64 s[0:1], s[78:79]
	s_cbranch_execz .LBB142_103
; %bb.69:                               ;   in Loop: Header=BB142_32 Depth=1
	v_readlane_b32 s8, v52, 42
	v_mov_b32_e32 v4, 0
	v_readlane_b32 s9, v52, 43
	v_mov_b32_e32 v5, 0
	s_andn2_b64 vcc, exec, s[8:9]
	s_cbranch_vccnz .LBB142_102
; %bb.70:                               ;   in Loop: Header=BB142_32 Depth=1
	v_readlane_b32 s8, v52, 50
	v_readlane_b32 s9, v52, 51
	s_andn2_b64 vcc, exec, s[8:9]
	s_cbranch_vccnz .LBB142_98
; %bb.71:                               ;   in Loop: Header=BB142_32 Depth=1
	v_mov_b32_e32 v4, 0
	v_lshl_add_u32 v2, s88, 9, v32
	v_mov_b32_e32 v5, 0
	s_mov_b32 s7, 0
.LBB142_72:                             ;   Parent Loop BB142_32 Depth=1
                                        ; =>  This Inner Loop Header: Depth=2
	ds_read2_b64 v[6:9], v2 offset1:4
	ds_read2_b64 v[40:43], v2 offset0:8 offset1:12
	ds_read2_b64 v[44:47], v2 offset0:16 offset1:20
	;; [unrolled: 1-line block ×3, first 2 shown]
	s_add_i32 s7, s7, 8
	s_waitcnt lgkmcnt(3)
	v_add_co_u32_e32 v4, vcc, v6, v4
	v_addc_co_u32_e32 v5, vcc, v7, v5, vcc
	v_add_co_u32_e32 v4, vcc, v8, v4
	v_addc_co_u32_e32 v5, vcc, v9, v5, vcc
	s_waitcnt lgkmcnt(2)
	v_add_co_u32_e32 v4, vcc, v40, v4
	v_addc_co_u32_e32 v5, vcc, v41, v5, vcc
	v_add_co_u32_e32 v4, vcc, v42, v4
	v_addc_co_u32_e32 v5, vcc, v43, v5, vcc
	;; [unrolled: 5-line block ×3, first 2 shown]
	s_waitcnt lgkmcnt(0)
	v_add_co_u32_e32 v4, vcc, v48, v4
	v_addc_co_u32_e32 v5, vcc, v49, v5, vcc
	v_add_co_u32_e32 v4, vcc, v50, v4
	v_add_u32_e32 v2, 0x100, v2
	s_cmp_eq_u32 s87, s7
	v_addc_co_u32_e32 v5, vcc, v51, v5, vcc
	s_cbranch_scc0 .LBB142_72
; %bb.73:                               ;   in Loop: Header=BB142_32 Depth=1
	s_mov_b32 s7, s87
	s_branch .LBB142_99
.LBB142_74:                             ;   in Loop: Header=BB142_32 Depth=1
	global_load_ushort v2, v3, s[70:71]
	s_mov_b32 s0, s95
	s_waitcnt vmcnt(0)
	v_readfirstlane_b32 s1, v2
	s_and_b32 s1, 0xffff, s1
	s_lshl_b32 s66, s1, 2
	s_mov_b32 s1, s57
	s_cmp_lg_u64 s[0:1], 0
	s_cbranch_scc0 .LBB142_97
; %bb.75:                               ;   in Loop: Header=BB142_32 Depth=1
	v_cvt_f32_u32_e32 v4, s66
	s_sub_u32 s6, 0, s66
	s_subb_u32 s7, 0, 0
	v_mac_f32_e32 v4, 0, v35
	v_rcp_f32_e32 v4, v4
	v_mul_f32_e32 v4, 0x5f7ffffc, v4
	v_mul_f32_e32 v5, 0x2f800000, v4
	v_trunc_f32_e32 v5, v5
	v_mac_f32_e32 v4, 0xcf800000, v5
	v_cvt_u32_f32_e32 v5, v5
	v_cvt_u32_f32_e32 v4, v4
	v_readfirstlane_b32 s8, v5
	v_readfirstlane_b32 s0, v4
	s_mul_i32 s1, s6, s8
	s_mul_hi_u32 s14, s6, s0
	s_mul_i32 s9, s7, s0
	s_add_i32 s1, s14, s1
	s_mul_i32 s15, s6, s0
	s_add_i32 s1, s1, s9
	s_mul_hi_u32 s14, s0, s15
	s_mul_i32 s16, s0, s1
	s_mul_hi_u32 s9, s0, s1
	s_add_u32 s14, s14, s16
	s_addc_u32 s9, 0, s9
	s_mul_hi_u32 s17, s8, s15
	s_mul_i32 s15, s8, s15
	s_add_u32 s14, s14, s15
	s_mul_hi_u32 s16, s8, s1
	s_addc_u32 s9, s9, s17
	s_addc_u32 s14, s16, 0
	s_mul_i32 s1, s8, s1
	s_add_u32 s1, s9, s1
	s_addc_u32 s9, 0, s14
	s_add_u32 s14, s0, s1
	s_cselect_b64 s[0:1], -1, 0
	s_cmp_lg_u64 s[0:1], 0
	s_addc_u32 s8, s8, s9
	s_mul_i32 s0, s6, s8
	s_mul_hi_u32 s1, s6, s14
	s_add_i32 s0, s1, s0
	s_mul_i32 s7, s7, s14
	s_add_i32 s0, s0, s7
	s_mul_i32 s6, s6, s14
	s_mul_hi_u32 s7, s8, s6
	s_mul_i32 s9, s8, s6
	s_mul_i32 s16, s14, s0
	s_mul_hi_u32 s6, s14, s6
	s_mul_hi_u32 s15, s14, s0
	s_add_u32 s6, s6, s16
	s_addc_u32 s15, 0, s15
	s_add_u32 s6, s6, s9
	s_mul_hi_u32 s1, s8, s0
	s_addc_u32 s6, s15, s7
	s_addc_u32 s1, s1, 0
	s_mul_i32 s0, s8, s0
	s_add_u32 s0, s6, s0
	s_addc_u32 s6, 0, s1
	s_add_u32 s7, s14, s0
	s_cselect_b64 s[0:1], -1, 0
	s_cmp_lg_u64 s[0:1], 0
	s_addc_u32 s0, s8, s6
	s_mul_i32 s6, s56, s0
	s_mul_hi_u32 s8, s56, s7
	s_mul_hi_u32 s1, s56, s0
	s_add_u32 s6, s8, s6
	s_addc_u32 s1, 0, s1
	s_mul_hi_u32 s9, s57, s7
	s_mul_i32 s7, s57, s7
	s_add_u32 s6, s6, s7
	s_mul_hi_u32 s8, s57, s0
	s_addc_u32 s1, s1, s9
	s_addc_u32 s6, s8, 0
	s_mul_i32 s0, s57, s0
	s_add_u32 s0, s1, s0
	s_addc_u32 s1, 0, s6
	s_mul_i32 s1, s66, s1
	s_mul_hi_u32 s6, s66, s0
	s_add_i32 s6, s6, s1
	s_mul_i32 s0, s66, s0
	s_sub_u32 s7, s56, s0
	s_cselect_b64 s[0:1], -1, 0
	s_cmp_lg_u64 s[0:1], 0
	s_subb_u32 s6, s57, s6
	s_sub_u32 s8, s7, s66
	s_cselect_b64 s[0:1], -1, 0
	s_cmp_lg_u64 s[0:1], 0
	s_subb_u32 s9, s6, 0
	;; [unrolled: 4-line block ×3, first 2 shown]
	s_cmp_ge_u32 s8, s66
	s_cselect_b32 s1, -1, 0
	s_cmp_eq_u32 s9, 0
	s_cselect_b32 s1, s1, -1
	s_cmp_lg_u32 s1, 0
	s_cselect_b32 s0, s0, s9
	s_cselect_b32 s8, s14, s8
	s_cmp_ge_u32 s7, s66
	s_cselect_b32 s1, -1, 0
	s_cmp_eq_u32 s6, 0
	s_cselect_b32 s1, s1, -1
	s_cmp_lg_u32 s1, 0
	s_cselect_b32 s1, s0, s6
	s_cselect_b32 s0, s8, s7
	s_cbranch_execnz .LBB142_77
.LBB142_76:                             ;   in Loop: Header=BB142_32 Depth=1
	v_cvt_f32_u32_e32 v4, s66
	s_sub_i32 s0, 0, s66
	v_rcp_iflag_f32_e32 v4, v4
	v_mul_f32_e32 v4, 0x4f7ffffe, v4
	v_cvt_u32_f32_e32 v4, v4
	v_readfirstlane_b32 s1, v4
	s_mul_i32 s0, s0, s1
	s_mul_hi_u32 s0, s1, s0
	s_add_i32 s1, s1, s0
	s_mul_hi_u32 s0, s56, s1
	s_mul_i32 s0, s0, s66
	s_sub_i32 s0, s56, s0
	s_sub_i32 s1, s0, s66
	s_cmp_ge_u32 s0, s66
	s_cselect_b32 s0, s1, s0
	s_sub_i32 s1, s0, s66
	s_cmp_ge_u32 s0, s66
	s_cselect_b32 s94, s1, s0
	s_mov_b64 s[0:1], s[94:95]
.LBB142_77:                             ;   in Loop: Header=BB142_32 Depth=1
	s_sub_u32 s54, s56, s0
	s_subb_u32 s55, s57, s1
	v_cmp_gt_u64_e32 vcc, s[54:55], v[14:15]
	v_mov_b32_e32 v4, 0
	v_mov_b32_e32 v6, 0
	;; [unrolled: 1-line block ×8, first 2 shown]
	s_and_saveexec_b64 s[0:1], vcc
	s_cbranch_execz .LBB142_81
; %bb.78:                               ;   in Loop: Header=BB142_32 Depth=1
	v_mov_b32_e32 v22, v15
	s_mov_b64 s[60:61], 0
	s_mov_b64 s[62:63], 0
	;; [unrolled: 1-line block ×5, first 2 shown]
	v_mov_b32_e32 v21, v14
.LBB142_79:                             ;   Parent Loop BB142_32 Depth=1
                                        ; =>  This Inner Loop Header: Depth=2
	v_mul_lo_u32 v6, v22, s80
	v_mul_lo_u32 v7, v21, s81
	v_mad_u64_u32 v[4:5], s[6:7], v21, s80, 0
	v_mov_b32_e32 v8, s77
	s_lshl_b64 s[8:9], s[80:81], 1
	v_add3_u32 v5, v5, v7, v6
	v_lshlrev_b64 v[4:5], 1, v[4:5]
	v_mov_b32_e32 v9, s9
	v_add_co_u32_e64 v4, s[6:7], s33, v4
	v_addc_co_u32_e64 v5, s[6:7], v8, v5, s[6:7]
	global_load_ushort v6, v[4:5], off
	v_add_co_u32_e64 v4, s[6:7], s8, v4
	v_addc_co_u32_e64 v5, s[6:7], v5, v9, s[6:7]
	global_load_ushort v7, v[4:5], off
	;; [unrolled: 3-line block ×4, first 2 shown]
	v_add_co_u32_e32 v21, vcc, s66, v21
	v_addc_co_u32_e32 v22, vcc, 0, v22, vcc
	v_cmp_le_u64_e32 vcc, s[54:55], v[21:22]
	s_waitcnt vmcnt(3)
	v_cmp_lt_i16_e64 s[6:7], -1, v6
	v_lshlrev_b32_e32 v5, 16, v6
	v_cndmask_b32_e64 v9, v33, v34, s[6:7]
	v_xor_b32_sdwa v6, v9, v6 dst_sel:DWORD dst_unused:UNUSED_PAD src0_sel:DWORD src1_sel:WORD_0
	v_cmp_o_f32_e64 s[6:7], v5, v5
	s_waitcnt vmcnt(2)
	v_cmp_lt_i16_e64 s[14:15], -1, v7
	v_cndmask_b32_e64 v5, v33, v34, s[14:15]
	v_cndmask_b32_e64 v6, v33, v6, s[6:7]
	v_lshlrev_b32_e32 v10, 16, v7
	v_xor_b32_sdwa v5, v5, v7 dst_sel:DWORD dst_unused:UNUSED_PAD src0_sel:DWORD src1_sel:WORD_0
	s_waitcnt vmcnt(1)
	v_cmp_lt_i16_e64 s[6:7], -1, v8
	v_lshlrev_b32_e32 v9, 16, v8
	v_cndmask_b32_e64 v7, v33, v34, s[6:7]
	v_cmp_o_f32_e64 s[14:15], v10, v10
	v_xor_b32_sdwa v7, v7, v8 dst_sel:DWORD dst_unused:UNUSED_PAD src0_sel:DWORD src1_sel:WORD_0
	s_waitcnt vmcnt(0)
	v_cmp_lt_i16_e64 s[6:7], -1, v4
	v_lshlrev_b32_e32 v10, 16, v4
	v_cndmask_b32_e64 v8, v33, v34, s[6:7]
	v_and_b32_e32 v11, v6, v38
	v_bfe_u32 v6, v6, s86, 2
	v_cmp_o_f32_e64 s[6:7], v9, v9
	v_cndmask_b32_e64 v5, v33, v5, s[14:15]
	v_cndmask_b32_e64 v7, v33, v7, s[6:7]
	v_xor_b32_sdwa v4, v8, v4 dst_sel:DWORD dst_unused:UNUSED_PAD src0_sel:DWORD src1_sel:WORD_0
	v_cmp_eq_u32_e64 s[16:17], v11, v30
	v_cmp_eq_u32_e64 s[6:7], 0, v6
	v_cmp_o_f32_e64 s[14:15], v10, v10
	v_and_b32_e32 v8, v5, v38
	v_bfe_u32 v5, v5, s86, 2
	v_cmp_eq_u32_e64 s[40:41], 1, v6
	v_cmp_eq_u32_e64 s[30:31], 2, v6
	v_cmp_eq_u32_e64 s[18:19], 3, v6
	v_cndmask_b32_e64 v4, v33, v4, s[14:15]
	v_and_b32_e32 v6, v7, v38
	v_bfe_u32 v7, v7, s86, 2
	s_and_b64 s[6:7], s[16:17], s[6:7]
	v_cmp_eq_u32_e64 s[14:15], v8, v30
	v_cmp_eq_u32_e64 s[26:27], 0, v5
	;; [unrolled: 1-line block ×5, first 2 shown]
	v_cndmask_b32_e64 v5, 0, 1, s[6:7]
	v_cmp_eq_u32_e64 s[22:23], v6, v30
	v_and_b32_e32 v6, v4, v38
	v_bfe_u32 v4, v4, s86, 2
	v_cmp_eq_u32_e64 s[6:7], 0, v7
	s_and_b64 s[8:9], s[14:15], s[26:27]
	v_cmp_eq_u32_e64 s[26:27], v6, v30
	v_cmp_eq_u32_e64 s[48:49], 0, v4
	s_and_b64 s[6:7], s[22:23], s[6:7]
	v_cmp_ne_u32_e64 s[46:47], 0, v5
	v_cndmask_b32_e64 v5, 0, 1, s[8:9]
	v_cmp_eq_u32_e64 s[50:51], 1, v4
	v_cmp_eq_u32_e64 s[52:53], 2, v4
	;; [unrolled: 1-line block ×3, first 2 shown]
	v_cndmask_b32_e64 v4, 0, 1, s[6:7]
	s_and_b64 s[8:9], s[26:27], s[48:49]
	v_cmp_ne_u32_e64 s[6:7], 0, v4
	v_cndmask_b32_e64 v4, 0, 1, s[8:9]
	s_bcnt1_i32_b64 s67, s[46:47]
	v_cmp_ne_u32_e64 s[46:47], 0, v5
	s_bcnt1_i32_b64 s8, s[6:7]
	v_cmp_ne_u32_e64 s[6:7], 0, v4
	s_bcnt1_i32_b64 s46, s[46:47]
	s_bcnt1_i32_b64 s6, s[6:7]
	s_add_u32 s7, s67, s64
	s_addc_u32 s9, 0, s65
	s_add_u32 s7, s7, s46
	s_addc_u32 s9, s9, 0
	;; [unrolled: 2-line block ×4, first 2 shown]
	s_and_b64 s[6:7], s[16:17], s[40:41]
	v_cmp_eq_u32_e64 s[44:45], 1, v7
	v_cndmask_b32_e64 v6, 0, 1, s[6:7]
	s_and_b64 s[6:7], s[14:15], s[42:43]
	v_cmp_eq_u32_e64 s[36:37], 2, v7
	v_cmp_eq_u32_e64 s[24:25], 3, v7
	v_cndmask_b32_e64 v7, 0, 1, s[6:7]
	s_and_b64 s[6:7], s[22:23], s[44:45]
	v_cndmask_b32_e64 v8, 0, 1, s[6:7]
	s_and_b64 s[6:7], s[26:27], s[50:51]
	v_cndmask_b32_e64 v9, 0, 1, s[6:7]
	v_cmp_ne_u32_e64 s[6:7], 0, v6
	v_cmp_ne_u32_e64 s[40:41], 0, v7
	;; [unrolled: 1-line block ×4, first 2 shown]
	s_bcnt1_i32_b64 s6, s[6:7]
	s_bcnt1_i32_b64 s7, s[40:41]
	s_bcnt1_i32_b64 s8, s[42:43]
	s_bcnt1_i32_b64 s9, s[44:45]
	s_add_u32 s6, s6, s78
	s_addc_u32 s40, 0, s79
	s_add_u32 s6, s6, s7
	s_addc_u32 s7, s40, 0
	;; [unrolled: 2-line block ×4, first 2 shown]
	s_and_b64 s[6:7], s[16:17], s[30:31]
	v_cndmask_b32_e64 v8, 0, 1, s[6:7]
	s_and_b64 s[6:7], s[14:15], s[34:35]
	v_cndmask_b32_e64 v9, 0, 1, s[6:7]
	;; [unrolled: 2-line block ×4, first 2 shown]
	v_cmp_ne_u32_e64 s[6:7], 0, v8
	v_cmp_ne_u32_e64 s[30:31], 0, v9
	v_cmp_ne_u32_e64 s[34:35], 0, v10
	v_cmp_ne_u32_e64 s[36:37], 0, v11
	s_bcnt1_i32_b64 s6, s[6:7]
	s_bcnt1_i32_b64 s7, s[30:31]
	;; [unrolled: 1-line block ×4, first 2 shown]
	s_add_u32 s6, s6, s92
	s_addc_u32 s30, 0, s93
	s_add_u32 s6, s6, s7
	s_addc_u32 s7, s30, 0
	;; [unrolled: 2-line block ×4, first 2 shown]
	s_and_b64 s[6:7], s[16:17], s[18:19]
	v_cndmask_b32_e64 v10, 0, 1, s[6:7]
	s_and_b64 s[6:7], s[14:15], s[20:21]
	v_cndmask_b32_e64 v11, 0, 1, s[6:7]
	;; [unrolled: 2-line block ×4, first 2 shown]
	v_cmp_ne_u32_e64 s[6:7], 0, v10
	v_cmp_ne_u32_e64 s[14:15], 0, v11
	;; [unrolled: 1-line block ×4, first 2 shown]
	s_bcnt1_i32_b64 s6, s[6:7]
	s_bcnt1_i32_b64 s7, s[14:15]
	;; [unrolled: 1-line block ×4, first 2 shown]
	s_add_u32 s6, s6, s62
	s_addc_u32 s14, 0, s63
	s_add_u32 s6, s6, s7
	s_addc_u32 s7, s14, 0
	;; [unrolled: 2-line block ×3, first 2 shown]
	s_add_u32 s62, s6, s9
	v_mov_b32_e32 v4, s64
	v_mov_b32_e32 v6, s78
	;; [unrolled: 1-line block ×3, first 2 shown]
	s_addc_u32 s63, s7, 0
	v_mov_b32_e32 v10, s62
	v_mov_b32_e32 v5, s65
	;; [unrolled: 1-line block ×4, first 2 shown]
	s_or_b64 s[60:61], vcc, s[60:61]
	v_mov_b32_e32 v11, s63
	s_andn2_b64 exec, exec, s[60:61]
	s_cbranch_execnz .LBB142_79
; %bb.80:                               ;   in Loop: Header=BB142_32 Depth=1
	s_or_b64 exec, exec, s[60:61]
	v_readlane_b32 s78, v52, 55
	v_readlane_b32 s79, v52, 56
	s_mov_b32 s65, s89
.LBB142_81:                             ;   in Loop: Header=BB142_32 Depth=1
	s_or_b64 exec, exec, s[0:1]
	v_mov_b32_e32 v22, s55
	v_add_co_u32_e32 v21, vcc, s54, v0
	v_addc_co_u32_e32 v22, vcc, 0, v22, vcc
	v_cmp_gt_u64_e32 vcc, s[56:57], v[21:22]
	s_and_saveexec_b64 s[0:1], vcc
	s_cbranch_execz .LBB142_87
; %bb.82:                               ;   in Loop: Header=BB142_32 Depth=1
	v_mul_lo_u32 v42, v22, s80
	v_mul_lo_u32 v43, v21, s81
	v_mad_u64_u32 v[40:41], s[6:7], v21, s80, 0
	s_mov_b64 s[8:9], 0
	v_add3_u32 v41, v41, v43, v42
	v_lshlrev_b64 v[40:41], 1, v[40:41]
	v_mov_b32_e32 v42, s77
	v_add_co_u32_e32 v40, vcc, s33, v40
	v_addc_co_u32_e32 v41, vcc, v42, v41, vcc
	global_load_ushort v41, v[40:41], off
	s_branch .LBB142_84
.LBB142_83:                             ;   in Loop: Header=BB142_84 Depth=2
	s_or_b64 exec, exec, s[14:15]
	s_and_b64 s[6:7], exec, vcc
	s_waitcnt vmcnt(0)
	v_cmp_lt_i16_e32 vcc, -1, v41
	v_cndmask_b32_e32 v42, v33, v34, vcc
	v_lshlrev_b32_e32 v43, 16, v41
	v_xor_b32_sdwa v41, v42, v41 dst_sel:DWORD dst_unused:UNUSED_PAD src0_sel:DWORD src1_sel:WORD_0
	v_cmp_o_f32_e32 vcc, v43, v43
	v_cndmask_b32_e32 v41, v33, v41, vcc
	v_and_b32_e32 v42, v41, v38
	v_bfe_u32 v41, v41, s86, 2
	s_or_b64 s[8:9], s[6:7], s[8:9]
	v_cmp_eq_u32_e32 vcc, v42, v30
	v_cmp_eq_u32_e64 s[6:7], 0, v41
	s_and_b64 s[6:7], vcc, s[6:7]
	v_cndmask_b32_e64 v42, 0, 1, s[6:7]
	v_cmp_ne_u32_e64 s[6:7], 0, v42
	s_bcnt1_i32_b64 s6, s[6:7]
	v_add_co_u32_e64 v4, s[6:7], s6, v4
	v_addc_co_u32_e64 v5, s[6:7], 0, v5, s[6:7]
	v_cmp_eq_u32_e64 s[6:7], 1, v41
	s_and_b64 s[6:7], vcc, s[6:7]
	v_cndmask_b32_e64 v42, 0, 1, s[6:7]
	v_cmp_ne_u32_e64 s[6:7], 0, v42
	s_bcnt1_i32_b64 s6, s[6:7]
	v_add_co_u32_e64 v6, s[6:7], s6, v6
	v_addc_co_u32_e64 v7, s[6:7], 0, v7, s[6:7]
	;; [unrolled: 7-line block ×3, first 2 shown]
	v_cmp_eq_u32_e64 s[6:7], 3, v41
	s_and_b64 s[6:7], vcc, s[6:7]
	v_cndmask_b32_e64 v41, 0, 1, s[6:7]
	v_cmp_ne_u32_e32 vcc, 0, v41
	s_bcnt1_i32_b64 s6, vcc
	v_add_co_u32_e32 v10, vcc, s6, v10
	v_addc_co_u32_e32 v11, vcc, 0, v11, vcc
	v_mov_b32_e32 v41, v40
	s_andn2_b64 exec, exec, s[8:9]
	s_cbranch_execz .LBB142_86
.LBB142_84:                             ;   Parent Loop BB142_32 Depth=1
                                        ; =>  This Inner Loop Header: Depth=2
	v_add_co_u32_sdwa v21, vcc, v21, v2 dst_sel:DWORD dst_unused:UNUSED_PAD src0_sel:DWORD src1_sel:WORD_0
	v_addc_co_u32_e32 v22, vcc, 0, v22, vcc
	v_cmp_gt_u64_e64 s[6:7], s[56:57], v[21:22]
	v_cmp_le_u64_e32 vcc, s[56:57], v[21:22]
	v_mov_b32_e32 v40, 0
	s_and_saveexec_b64 s[14:15], s[6:7]
	s_cbranch_execz .LBB142_83
; %bb.85:                               ;   in Loop: Header=BB142_84 Depth=2
	v_mul_lo_u32 v40, v22, s80
	v_mul_lo_u32 v44, v21, s81
	v_mad_u64_u32 v[42:43], s[6:7], v21, s80, 0
	v_add3_u32 v43, v43, v44, v40
	v_lshlrev_b64 v[42:43], 1, v[42:43]
	v_mov_b32_e32 v40, s77
	v_add_co_u32_e64 v42, s[6:7], s33, v42
	v_addc_co_u32_e64 v43, s[6:7], v40, v43, s[6:7]
	global_load_ushort v40, v[42:43], off
	s_branch .LBB142_83
.LBB142_86:                             ;   in Loop: Header=BB142_32 Depth=1
	s_or_b64 exec, exec, s[8:9]
.LBB142_87:                             ;   in Loop: Header=BB142_32 Depth=1
	s_or_b64 exec, exec, s[0:1]
	s_branch .LBB142_66
.LBB142_88:                             ;   in Loop: Header=BB142_32 Depth=1
	global_load_ushort v2, v3, s[70:71]
	v_mov_b32_e32 v8, 0
	v_mov_b32_e32 v9, 0
	s_waitcnt vmcnt(0)
	v_readfirstlane_b32 s0, v2
	s_and_b32 s68, 0xffff, s0
	s_lshl_b32 s83, s68, 2
	v_cvt_f32_u32_e32 v4, s83
	s_sub_i32 s0, 0, s83
	v_rcp_iflag_f32_e32 v6, v4
	v_mov_b32_e32 v4, 0
	v_mov_b32_e32 v5, 0
	v_mul_f32_e32 v6, 0x4f7ffffe, v6
	v_cvt_u32_f32_e32 v10, v6
	v_mov_b32_e32 v6, 0
	v_mov_b32_e32 v7, 0
	v_readfirstlane_b32 s1, v10
	s_mul_i32 s0, s0, s1
	s_mul_hi_u32 s0, s1, s0
	s_add_i32 s1, s1, s0
	s_mul_hi_u32 s0, s82, s1
	s_mul_i32 s1, s0, s83
	s_sub_i32 s1, s82, s1
	s_add_i32 s6, s0, 1
	s_sub_i32 s7, s1, s83
	s_cmp_ge_u32 s1, s83
	s_cselect_b32 s0, s6, s0
	s_cselect_b32 s1, s7, s1
	s_add_i32 s6, s0, 1
	s_cmp_ge_u32 s1, s83
	s_cselect_b32 s0, s6, s0
	s_mul_hi_u32 s1, s68, s0
	s_mul_i32 s0, s68, s0
	s_lshl_b64 s[60:61], s[0:1], 2
	v_cmp_gt_u64_e32 vcc, s[60:61], v[14:15]
	v_mov_b32_e32 v10, 0
	v_mov_b32_e32 v11, 0
	s_and_saveexec_b64 s[62:63], vcc
	s_cbranch_execz .LBB142_92
; %bb.89:                               ;   in Loop: Header=BB142_32 Depth=1
	v_mov_b32_e32 v22, v15
	s_lshl_b32 s1, s68, 3
	s_mov_b64 s[64:65], 0
	v_mov_b32_e32 v40, v31
	s_mov_b64 s[66:67], 0
	s_mov_b64 s[78:79], 0
	s_mov_b64 s[92:93], 0
	s_mov_b64 s[8:9], 0
	v_mov_b32_e32 v21, v14
.LBB142_90:                             ;   Parent Loop BB142_32 Depth=1
                                        ; =>  This Inner Loop Header: Depth=2
	ds_read_b64 v[4:5], v40
	v_add_co_u32_e32 v21, vcc, s83, v21
	v_addc_co_u32_e32 v22, vcc, 0, v22, vcc
	s_waitcnt lgkmcnt(0)
	v_cmp_lt_i16_e64 s[6:7], -1, v4
	v_cndmask_b32_e64 v10, v33, v34, s[6:7]
	v_cmp_gt_i16_sdwa s[6:7], v4, v36 src0_sel:WORD_1 src1_sel:DWORD
	v_lshlrev_b32_e32 v6, 16, v4
	v_cndmask_b32_e64 v11, v33, v34, s[6:7]
	v_cmp_lt_i16_e64 s[6:7], -1, v5
	v_and_b32_e32 v7, 0xffff0000, v4
	v_cndmask_b32_e64 v41, v33, v34, s[6:7]
	v_cmp_gt_i16_sdwa s[6:7], v5, v36 src0_sel:WORD_1 src1_sel:DWORD
	v_xor_b32_sdwa v11, v11, v4 dst_sel:DWORD dst_unused:UNUSED_PAD src0_sel:DWORD src1_sel:WORD_1
	v_xor_b32_sdwa v4, v10, v4 dst_sel:DWORD dst_unused:UNUSED_PAD src0_sel:DWORD src1_sel:WORD_0
	v_cmp_o_f32_e64 s[18:19], v6, v6
	v_lshlrev_b32_e32 v8, 16, v5
	v_cndmask_b32_e64 v42, v33, v34, s[6:7]
	v_cmp_o_f32_e64 s[6:7], v7, v7
	v_cndmask_b32_e64 v4, v33, v4, s[18:19]
	v_and_b32_e32 v9, 0xffff0000, v5
	v_xor_b32_sdwa v7, v41, v5 dst_sel:DWORD dst_unused:UNUSED_PAD src0_sel:DWORD src1_sel:WORD_0
	v_cmp_o_f32_e64 s[14:15], v8, v8
	v_cndmask_b32_e64 v6, v33, v11, s[6:7]
	v_and_b32_e32 v8, v4, v38
	v_bfe_u32 v4, v4, s86, 2
	v_xor_b32_sdwa v5, v42, v5 dst_sel:DWORD dst_unused:UNUSED_PAD src0_sel:DWORD src1_sel:WORD_1
	v_cmp_o_f32_e64 s[16:17], v9, v9
	v_cndmask_b32_e64 v7, v33, v7, s[14:15]
	v_and_b32_e32 v9, v6, v38
	v_bfe_u32 v6, v6, s86, 2
	v_cmp_eq_u32_e64 s[20:21], v8, v30
	v_cmp_eq_u32_e64 s[6:7], 0, v4
	v_cndmask_b32_e64 v5, v33, v5, s[16:17]
	v_and_b32_e32 v10, v7, v38
	v_bfe_u32 v7, v7, s86, 2
	v_cmp_eq_u32_e64 s[18:19], v9, v30
	v_cmp_eq_u32_e64 s[36:37], 0, v6
	s_and_b64 s[6:7], s[20:21], s[6:7]
	v_and_b32_e32 v11, v5, v38
	v_bfe_u32 v5, v5, s86, 2
	v_cmp_eq_u32_e64 s[16:17], v10, v30
	v_cmp_eq_u32_e64 s[40:41], 0, v7
	;; [unrolled: 1-line block ×5, first 2 shown]
	v_cndmask_b32_e64 v4, 0, 1, s[6:7]
	s_and_b64 s[6:7], s[18:19], s[36:37]
	v_cmp_eq_u32_e64 s[14:15], v11, v30
	v_cmp_eq_u32_e64 s[42:43], 0, v5
	;; [unrolled: 1-line block ×5, first 2 shown]
	v_cndmask_b32_e64 v5, 0, 1, s[6:7]
	s_and_b64 s[6:7], s[16:17], s[40:41]
	v_cmp_eq_u32_e64 s[46:47], 1, v6
	v_cmp_eq_u32_e64 s[54:55], 2, v6
	v_cmp_eq_u32_e64 s[26:27], 3, v6
	v_cndmask_b32_e64 v6, 0, 1, s[6:7]
	s_and_b64 s[6:7], s[14:15], s[42:43]
	v_cmp_eq_u32_e64 s[48:49], 1, v7
	v_cmp_eq_u32_e64 s[34:35], 2, v7
	;; [unrolled: 1-line block ×3, first 2 shown]
	v_cndmask_b32_e64 v7, 0, 1, s[6:7]
	v_cmp_ne_u32_e64 s[6:7], 0, v4
	v_cmp_ne_u32_e64 s[36:37], 0, v5
	v_cmp_ne_u32_e64 s[40:41], 0, v6
	v_cmp_ne_u32_e64 s[42:43], 0, v7
	s_bcnt1_i32_b64 s6, s[6:7]
	s_bcnt1_i32_b64 s7, s[36:37]
	s_bcnt1_i32_b64 s36, s[40:41]
	s_bcnt1_i32_b64 s37, s[42:43]
	s_add_u32 s6, s6, s8
	s_addc_u32 s8, 0, s9
	s_add_u32 s6, s6, s7
	s_addc_u32 s7, s8, 0
	s_add_u32 s6, s6, s36
	s_addc_u32 s7, s7, 0
	s_add_u32 s8, s6, s37
	s_addc_u32 s9, s7, 0
	s_and_b64 s[6:7], s[20:21], s[44:45]
	v_cndmask_b32_e64 v6, 0, 1, s[6:7]
	s_and_b64 s[6:7], s[18:19], s[46:47]
	v_cndmask_b32_e64 v7, 0, 1, s[6:7]
	s_and_b64 s[6:7], s[16:17], s[48:49]
	v_cndmask_b32_e64 v8, 0, 1, s[6:7]
	s_and_b64 s[6:7], s[14:15], s[50:51]
	v_cndmask_b32_e64 v9, 0, 1, s[6:7]
	v_cmp_ne_u32_e64 s[6:7], 0, v6
	v_cmp_ne_u32_e64 s[36:37], 0, v7
	v_cmp_ne_u32_e64 s[40:41], 0, v8
	v_cmp_ne_u32_e64 s[42:43], 0, v9
	s_bcnt1_i32_b64 s6, s[6:7]
	s_bcnt1_i32_b64 s7, s[36:37]
	s_bcnt1_i32_b64 s36, s[40:41]
	s_bcnt1_i32_b64 s37, s[42:43]
	s_add_u32 s6, s6, s92
	s_addc_u32 s40, 0, s93
	s_add_u32 s6, s6, s7
	s_addc_u32 s7, s40, 0
	s_add_u32 s6, s6, s36
	s_addc_u32 s7, s7, 0
	s_add_u32 s92, s6, s37
	s_addc_u32 s93, s7, 0
	s_and_b64 s[6:7], s[20:21], s[52:53]
	v_cndmask_b32_e64 v8, 0, 1, s[6:7]
	s_and_b64 s[6:7], s[18:19], s[54:55]
	v_cndmask_b32_e64 v9, 0, 1, s[6:7]
	s_and_b64 s[6:7], s[16:17], s[34:35]
	v_cndmask_b32_e64 v10, 0, 1, s[6:7]
	s_and_b64 s[6:7], s[14:15], s[30:31]
	;; [unrolled: 24-line block ×3, first 2 shown]
	v_cndmask_b32_e64 v42, 0, 1, s[6:7]
	v_cmp_ne_u32_e64 s[6:7], 0, v10
	v_cmp_ne_u32_e64 s[14:15], 0, v11
	;; [unrolled: 1-line block ×4, first 2 shown]
	s_bcnt1_i32_b64 s6, s[6:7]
	s_bcnt1_i32_b64 s7, s[14:15]
	;; [unrolled: 1-line block ×4, first 2 shown]
	s_add_u32 s6, s6, s66
	s_addc_u32 s16, 0, s67
	s_add_u32 s6, s6, s7
	s_addc_u32 s7, s16, 0
	;; [unrolled: 2-line block ×3, first 2 shown]
	v_cmp_le_u64_e32 vcc, s[60:61], v[21:22]
	s_add_u32 s66, s6, s15
	v_mov_b32_e32 v4, s8
	v_mov_b32_e32 v6, s92
	;; [unrolled: 1-line block ×3, first 2 shown]
	s_addc_u32 s67, s7, 0
	v_mov_b32_e32 v10, s66
	v_add_u32_e32 v40, s1, v40
	v_mov_b32_e32 v5, s9
	v_mov_b32_e32 v7, s93
	;; [unrolled: 1-line block ×3, first 2 shown]
	s_or_b64 s[64:65], vcc, s[64:65]
	v_mov_b32_e32 v11, s67
	s_andn2_b64 exec, exec, s[64:65]
	s_cbranch_execnz .LBB142_90
; %bb.91:                               ;   in Loop: Header=BB142_32 Depth=1
	s_or_b64 exec, exec, s[64:65]
	v_readlane_b32 s78, v52, 55
	v_readlane_b32 s79, v52, 56
	s_mov_b32 s65, s89
.LBB142_92:                             ;   in Loop: Header=BB142_32 Depth=1
	s_or_b64 exec, exec, s[62:63]
	v_mov_b32_e32 v22, s61
	v_add_co_u32_e32 v21, vcc, s60, v0
	s_and_b32 s94, s82, 0x7fffffff
	v_addc_co_u32_e32 v22, vcc, 0, v22, vcc
	v_cmp_gt_u64_e32 vcc, s[94:95], v[21:22]
	s_and_saveexec_b64 s[8:9], vcc
	s_cbranch_execz .LBB142_96
; %bb.93:                               ;   in Loop: Header=BB142_32 Depth=1
	v_lshl_add_u32 v40, s0, 3, v24
	s_lshl_b32 s22, s68, 1
	s_mov_b64 s[0:1], 0
.LBB142_94:                             ;   Parent Loop BB142_32 Depth=1
                                        ; =>  This Inner Loop Header: Depth=2
	ds_read_u16 v41, v40
	v_add_co_u32_sdwa v21, vcc, v21, v2 dst_sel:DWORD dst_unused:UNUSED_PAD src0_sel:DWORD src1_sel:WORD_0
	v_addc_co_u32_e32 v22, vcc, 0, v22, vcc
	s_waitcnt lgkmcnt(0)
	v_cmp_lt_i16_e64 s[6:7], -1, v41
	v_lshlrev_b32_e32 v42, 16, v41
	v_cndmask_b32_e64 v43, v33, v34, s[6:7]
	v_xor_b32_sdwa v41, v43, v41 dst_sel:DWORD dst_unused:UNUSED_PAD src0_sel:DWORD src1_sel:WORD_0
	v_cmp_o_f32_e64 s[6:7], v42, v42
	v_cndmask_b32_e64 v41, v33, v41, s[6:7]
	v_and_b32_e32 v42, v41, v38
	v_bfe_u32 v41, v41, s86, 2
	v_cmp_eq_u32_e64 s[6:7], v42, v30
	v_cmp_eq_u32_e64 s[14:15], 0, v41
	;; [unrolled: 1-line block ×3, first 2 shown]
	s_and_b64 s[14:15], s[6:7], s[14:15]
	v_cmp_eq_u32_e64 s[18:19], 2, v41
	v_cmp_eq_u32_e64 s[20:21], 3, v41
	v_cndmask_b32_e64 v41, 0, 1, s[14:15]
	s_and_b64 s[14:15], s[6:7], s[16:17]
	v_cndmask_b32_e64 v42, 0, 1, s[14:15]
	s_and_b64 s[14:15], s[6:7], s[18:19]
	s_and_b64 s[6:7], s[6:7], s[20:21]
	v_cndmask_b32_e64 v43, 0, 1, s[14:15]
	v_cndmask_b32_e64 v44, 0, 1, s[6:7]
	v_cmp_le_u64_e32 vcc, s[94:95], v[21:22]
	v_cmp_ne_u32_e64 s[6:7], 0, v41
	v_cmp_ne_u32_e64 s[14:15], 0, v42
	;; [unrolled: 1-line block ×4, first 2 shown]
	s_bcnt1_i32_b64 s6, s[6:7]
	s_bcnt1_i32_b64 s7, s[14:15]
	;; [unrolled: 1-line block ×4, first 2 shown]
	s_or_b64 s[0:1], vcc, s[0:1]
	v_add_co_u32_e32 v4, vcc, s6, v4
	v_addc_co_u32_e32 v5, vcc, 0, v5, vcc
	v_add_co_u32_e32 v6, vcc, s7, v6
	v_addc_co_u32_e32 v7, vcc, 0, v7, vcc
	;; [unrolled: 2-line block ×3, first 2 shown]
	v_add_co_u32_e32 v10, vcc, s15, v10
	v_add_u32_e32 v40, s22, v40
	v_addc_co_u32_e32 v11, vcc, 0, v11, vcc
	s_andn2_b64 exec, exec, s[0:1]
	s_cbranch_execnz .LBB142_94
; %bb.95:                               ;   in Loop: Header=BB142_32 Depth=1
	s_or_b64 exec, exec, s[0:1]
.LBB142_96:                             ;   in Loop: Header=BB142_32 Depth=1
	s_or_b64 exec, exec, s[8:9]
	s_lshl_b32 s6, s88, 6
	s_and_saveexec_b64 s[0:1], s[4:5]
	s_cbranch_execnz .LBB142_67
	s_branch .LBB142_68
.LBB142_97:                             ;   in Loop: Header=BB142_32 Depth=1
                                        ; implicit-def: $sgpr0_sgpr1
	s_branch .LBB142_76
.LBB142_98:                             ;   in Loop: Header=BB142_32 Depth=1
	v_mov_b32_e32 v4, 0
	v_mov_b32_e32 v5, 0
	s_mov_b32 s7, 0
.LBB142_99:                             ;   in Loop: Header=BB142_32 Depth=1
	v_readlane_b32 s8, v52, 53
	v_readlane_b32 s9, v52, 54
	s_andn2_b64 vcc, exec, s[8:9]
	s_cbranch_vccnz .LBB142_102
; %bb.100:                              ;   in Loop: Header=BB142_32 Depth=1
	s_lshl_b32 s8, s88, 9
	s_lshl_b32 s7, s7, 5
	s_add_i32 s8, s8, s7
	v_add_u32_e32 v2, s8, v32
	v_readlane_b32 s7, v52, 52
.LBB142_101:                            ;   Parent Loop BB142_32 Depth=1
                                        ; =>  This Inner Loop Header: Depth=2
	ds_read_b64 v[6:7], v2
	s_add_i32 s7, s7, -1
	v_add_u32_e32 v2, 32, v2
	s_cmp_lg_u32 s7, 0
	s_waitcnt lgkmcnt(0)
	v_add_co_u32_e32 v4, vcc, v6, v4
	v_addc_co_u32_e32 v5, vcc, v7, v5, vcc
	s_cbranch_scc1 .LBB142_101
.LBB142_102:                            ;   in Loop: Header=BB142_32 Depth=1
	v_add_lshl_u32 v2, s6, v23, 3
	ds_write_b64 v2, v[4:5] offset:3072
.LBB142_103:                            ;   in Loop: Header=BB142_32 Depth=1
	s_or_b64 exec, exec, s[0:1]
	s_lshl_b32 s0, s6, 3
	v_mov_b32_e32 v2, s0
	s_waitcnt lgkmcnt(0)
	s_barrier
	ds_read_b128 v[8:11], v2 offset:3088
	ds_read_b128 v[4:7], v2 offset:3072
	v_cmp_eq_u64_e64 s[6:7], 1, v[19:20]
	s_lshl_b32 s64, 3, s86
	s_not_b32 s54, s64
	s_waitcnt lgkmcnt(1)
	v_readfirstlane_b32 s22, v8
	s_waitcnt lgkmcnt(0)
	v_cmp_eq_u64_e32 vcc, 1, v[4:5]
	v_readfirstlane_b32 s23, v9
	v_readfirstlane_b32 s14, v10
	;; [unrolled: 1-line block ×3, first 2 shown]
	s_and_b64 s[18:19], vcc, s[6:7]
	s_mov_b64 s[6:7], -1
	s_mov_b64 s[20:21], -1
                                        ; implicit-def: $sgpr8_sgpr9
                                        ; implicit-def: $sgpr0_sgpr1
	s_and_saveexec_b64 s[16:17], s[18:19]
	s_cbranch_execz .LBB142_135
; %bb.104:                              ;   in Loop: Header=BB142_32 Depth=1
	ds_read_b64 v[8:9], v3 offset:5120
	s_waitcnt lgkmcnt(0)
	s_barrier
	v_readfirstlane_b32 s24, v8
	v_readfirstlane_b32 s25, v9
	s_mov_b64 s[0:1], exec
	v_readlane_b32 s8, v52, 38
	v_readlane_b32 s9, v52, 39
	s_and_b64 s[8:9], s[0:1], s[8:9]
	s_mov_b64 exec, s[8:9]
; %bb.105:                              ;   in Loop: Header=BB142_32 Depth=1
	ds_write_b16 v25, v3
; %bb.106:                              ;   in Loop: Header=BB142_32 Depth=1
	s_or_b64 exec, exec, s[0:1]
	v_and_b32_e32 v30, s54, v30
	v_or_b32_e32 v38, s64, v38
	s_mov_b64 s[0:1], -1
	s_mov_b64 s[8:9], 0
	s_cmp_eq_u64 s[24:25], 0
	s_mov_b64 s[20:21], 0
	s_mov_b64 s[26:27], -1
	s_waitcnt lgkmcnt(0)
	s_barrier
                                        ; implicit-def: $vgpr39
	s_cbranch_scc1 .LBB142_120
; %bb.107:                              ;   in Loop: Header=BB142_32 Depth=1
	v_readlane_b32 s20, v52, 44
	s_add_u32 s30, s24, s20
	v_readlane_b32 s20, v52, 45
	s_addc_u32 s21, s25, s20
	s_mov_b32 s20, s95
	s_cmp_lg_u64 s[20:21], 0
	s_cbranch_scc0 .LBB142_161
; %bb.108:                              ;   in Loop: Header=BB142_32 Depth=1
	v_cvt_f32_u32_e32 v2, s76
	s_sub_u32 s20, 0, s76
	s_subb_u32 s28, 0, 0
	v_mac_f32_e32 v2, 0, v35
	v_rcp_f32_e32 v2, v2
	v_mul_f32_e32 v2, 0x5f7ffffc, v2
	v_mul_f32_e32 v8, 0x2f800000, v2
	v_trunc_f32_e32 v8, v8
	v_mac_f32_e32 v2, 0xcf800000, v8
	v_cvt_u32_f32_e32 v8, v8
	v_cvt_u32_f32_e32 v2, v2
	v_readfirstlane_b32 s29, v8
	v_readfirstlane_b32 s26, v2
	s_mul_i32 s27, s20, s29
	s_mul_hi_u32 s34, s20, s26
	s_mul_i32 s31, s28, s26
	s_add_i32 s27, s34, s27
	s_mul_i32 s35, s20, s26
	s_add_i32 s27, s27, s31
	s_mul_hi_u32 s34, s26, s35
	s_mul_i32 s36, s26, s27
	s_mul_hi_u32 s31, s26, s27
	s_add_u32 s34, s34, s36
	s_addc_u32 s31, 0, s31
	s_mul_hi_u32 s37, s29, s35
	s_mul_i32 s35, s29, s35
	s_add_u32 s34, s34, s35
	s_mul_hi_u32 s36, s29, s27
	s_addc_u32 s31, s31, s37
	s_addc_u32 s34, s36, 0
	s_mul_i32 s27, s29, s27
	s_add_u32 s27, s31, s27
	s_addc_u32 s31, 0, s34
	s_add_u32 s34, s26, s27
	s_cselect_b64 s[26:27], -1, 0
	s_cmp_lg_u64 s[26:27], 0
	s_addc_u32 s29, s29, s31
	s_mul_i32 s26, s20, s29
	s_mul_hi_u32 s27, s20, s34
	s_add_i32 s26, s27, s26
	s_mul_i32 s28, s28, s34
	s_add_i32 s26, s26, s28
	s_mul_i32 s20, s20, s34
	s_mul_hi_u32 s28, s29, s20
	s_mul_i32 s31, s29, s20
	s_mul_i32 s36, s34, s26
	s_mul_hi_u32 s20, s34, s20
	s_mul_hi_u32 s35, s34, s26
	s_add_u32 s20, s20, s36
	s_addc_u32 s35, 0, s35
	s_add_u32 s20, s20, s31
	s_mul_hi_u32 s27, s29, s26
	s_addc_u32 s20, s35, s28
	s_addc_u32 s27, s27, 0
	s_mul_i32 s26, s29, s26
	s_add_u32 s20, s20, s26
	s_addc_u32 s28, 0, s27
	s_add_u32 s20, s34, s20
	s_cselect_b64 s[26:27], -1, 0
	s_cmp_lg_u64 s[26:27], 0
	s_addc_u32 s26, s29, s28
	s_mul_i32 s28, s30, s26
	s_mul_hi_u32 s29, s30, s20
	s_mul_hi_u32 s27, s30, s26
	s_add_u32 s28, s29, s28
	s_addc_u32 s27, 0, s27
	s_mul_hi_u32 s31, s21, s20
	s_mul_i32 s20, s21, s20
	s_add_u32 s20, s28, s20
	s_mul_hi_u32 s29, s21, s26
	s_addc_u32 s20, s27, s31
	s_addc_u32 s27, s29, 0
	s_mul_i32 s26, s21, s26
	s_add_u32 s20, s20, s26
	s_addc_u32 s26, 0, s27
	s_mul_i32 s26, s76, s26
	s_mul_hi_u32 s27, s76, s20
	s_add_i32 s28, s27, s26
	s_mul_i32 s20, s76, s20
	s_sub_u32 s20, s30, s20
	s_cselect_b64 s[26:27], -1, 0
	s_cmp_lg_u64 s[26:27], 0
	s_subb_u32 s28, s21, s28
	s_sub_u32 s29, s20, s76
	s_cselect_b64 s[26:27], -1, 0
	s_cmp_lg_u64 s[26:27], 0
	s_subb_u32 s31, s28, 0
	;; [unrolled: 4-line block ×3, first 2 shown]
	s_cmp_ge_u32 s29, s76
	s_cselect_b32 s27, -1, 0
	s_cmp_eq_u32 s31, 0
	s_cselect_b32 s27, s27, -1
	s_cmp_lg_u32 s27, 0
	s_cselect_b32 s26, s26, s31
	s_cselect_b32 s29, s34, s29
	s_cmp_ge_u32 s20, s76
	s_cselect_b32 s27, -1, 0
	s_cmp_eq_u32 s28, 0
	s_cselect_b32 s27, s27, -1
	s_cmp_lg_u32 s27, 0
	s_cselect_b32 s27, s26, s28
	s_cselect_b32 s26, s29, s20
	s_cbranch_execnz .LBB142_110
.LBB142_109:                            ;   in Loop: Header=BB142_32 Depth=1
	v_cvt_f32_u32_e32 v2, s76
	s_sub_i32 s20, 0, s76
	v_rcp_iflag_f32_e32 v2, v2
	v_mul_f32_e32 v2, 0x4f7ffffe, v2
	v_cvt_u32_f32_e32 v2, v2
	v_readfirstlane_b32 s26, v2
	s_mul_i32 s20, s20, s26
	s_mul_hi_u32 s20, s26, s20
	s_add_i32 s26, s26, s20
	s_mul_hi_u32 s20, s30, s26
	s_mul_i32 s20, s20, s76
	s_sub_i32 s20, s30, s20
	s_sub_i32 s26, s20, s76
	s_cmp_ge_u32 s20, s76
	s_cselect_b32 s20, s26, s20
	s_sub_i32 s26, s20, s76
	s_cmp_ge_u32 s20, s76
	s_cselect_b32 s94, s26, s20
	s_mov_b64 s[26:27], s[94:95]
.LBB142_110:                            ;   in Loop: Header=BB142_32 Depth=1
	s_sub_u32 s30, s30, s26
	s_subb_u32 s31, s21, s27
	v_cmp_gt_u64_e32 vcc, s[30:31], v[0:1]
	s_mov_b64 s[26:27], 0
	s_mov_b64 s[20:21], 0
                                        ; implicit-def: $vgpr39
	s_and_saveexec_b64 s[28:29], vcc
	s_cbranch_execz .LBB142_119
; %bb.111:                              ;   in Loop: Header=BB142_32 Depth=1
	v_mov_b32_e32 v9, v1
	v_mov_b32_e32 v2, v24
	;; [unrolled: 1-line block ×3, first 2 shown]
                                        ; implicit-def: $sgpr34_sgpr35
	s_branch .LBB142_114
.LBB142_112:                            ;   in Loop: Header=BB142_114 Depth=2
	s_or_b64 exec, exec, s[36:37]
	s_waitcnt lgkmcnt(0)
	s_barrier
	ds_read_b32 v10, v3 offset:3072
	s_mov_b64 s[36:37], -1
	s_mov_b64 s[40:41], -1
	s_waitcnt lgkmcnt(0)
	s_barrier
	v_and_b32_e32 v11, 0x7fff, v10
	v_cmp_ne_u32_e32 vcc, 0, v11
	s_cbranch_vccz .LBB142_117
.LBB142_113:                            ;   in Loop: Header=BB142_114 Depth=2
	s_and_b64 s[36:37], exec, s[36:37]
	s_or_b64 s[20:21], s[36:37], s[20:21]
	s_andn2_b64 s[34:35], s[34:35], exec
	s_and_b64 s[36:37], s[40:41], exec
	s_or_b64 s[34:35], s[34:35], s[36:37]
	s_andn2_b64 exec, exec, s[20:21]
	s_cbranch_execz .LBB142_118
.LBB142_114:                            ;   Parent Loop BB142_32 Depth=1
                                        ; =>  This Inner Loop Header: Depth=2
	v_cmp_gt_u64_e32 vcc, s[24:25], v[8:9]
	s_and_saveexec_b64 s[36:37], vcc
	s_cbranch_execz .LBB142_112
; %bb.115:                              ;   in Loop: Header=BB142_114 Depth=2
	ds_read_u16 v10, v2
	s_waitcnt lgkmcnt(0)
	v_cmp_lt_i16_e32 vcc, -1, v10
	v_cndmask_b32_e32 v11, v33, v34, vcc
	v_lshlrev_b32_e32 v21, 16, v10
	v_cmp_o_f32_e32 vcc, v21, v21
	v_xor_b32_sdwa v11, v11, v10 dst_sel:DWORD dst_unused:UNUSED_PAD src0_sel:DWORD src1_sel:WORD_0
	v_cndmask_b32_e32 v11, v33, v11, vcc
	v_and_b32_e32 v11, v11, v38
	v_cmp_eq_u32_e32 vcc, v11, v30
	s_and_b64 exec, exec, vcc
	s_cbranch_execz .LBB142_112
; %bb.116:                              ;   in Loop: Header=BB142_114 Depth=2
	v_perm_b32 v10, v10, s39, v37
	ds_write_b32 v3, v10 offset:3072
	s_branch .LBB142_112
.LBB142_117:                            ;   in Loop: Header=BB142_114 Depth=2
	v_add_co_u32_e32 v8, vcc, s76, v8
	v_addc_co_u32_e32 v9, vcc, 0, v9, vcc
	v_cmp_le_u64_e32 vcc, s[30:31], v[8:9]
	v_add_u32_e32 v2, s38, v2
	s_mov_b64 s[40:41], 0
	s_orn2_b64 s[36:37], vcc, exec
	s_branch .LBB142_113
.LBB142_118:                            ;   in Loop: Header=BB142_32 Depth=1
	s_or_b64 exec, exec, s[20:21]
	v_lshrrev_b32_e32 v39, 16, v10
	s_and_b64 s[20:21], s[34:35], exec
.LBB142_119:                            ;   in Loop: Header=BB142_32 Depth=1
	s_or_b64 exec, exec, s[28:29]
.LBB142_120:                            ;   in Loop: Header=BB142_32 Depth=1
	s_and_b64 vcc, exec, s[26:27]
	s_cbranch_vccz .LBB142_134
; %bb.121:                              ;   in Loop: Header=BB142_32 Depth=1
	s_mov_b32 s68, s95
	s_cmp_lg_u64 s[68:69], 0
	s_cbranch_scc0 .LBB142_165
; %bb.122:                              ;   in Loop: Header=BB142_32 Depth=1
	v_cvt_f32_u32_e32 v2, s76
	s_sub_u32 s8, 0, s76
	s_subb_u32 s9, 0, 0
	v_mac_f32_e32 v2, 0, v35
	v_rcp_f32_e32 v2, v2
	v_mul_f32_e32 v2, 0x5f7ffffc, v2
	v_mul_f32_e32 v8, 0x2f800000, v2
	v_trunc_f32_e32 v8, v8
	v_mac_f32_e32 v2, 0xcf800000, v8
	v_cvt_u32_f32_e32 v8, v8
	v_cvt_u32_f32_e32 v2, v2
	v_readfirstlane_b32 s24, v8
	v_readfirstlane_b32 s0, v2
	s_mul_i32 s1, s8, s24
	s_mul_hi_u32 s26, s8, s0
	s_mul_i32 s25, s9, s0
	s_add_i32 s1, s26, s1
	s_mul_i32 s27, s8, s0
	s_add_i32 s1, s1, s25
	s_mul_hi_u32 s26, s0, s27
	s_mul_i32 s28, s0, s1
	s_mul_hi_u32 s25, s0, s1
	s_add_u32 s26, s26, s28
	s_addc_u32 s25, 0, s25
	s_mul_hi_u32 s29, s24, s27
	s_mul_i32 s27, s24, s27
	s_add_u32 s26, s26, s27
	s_mul_hi_u32 s28, s24, s1
	s_addc_u32 s25, s25, s29
	s_addc_u32 s26, s28, 0
	s_mul_i32 s1, s24, s1
	s_add_u32 s1, s25, s1
	s_addc_u32 s25, 0, s26
	s_add_u32 s26, s0, s1
	s_cselect_b64 s[0:1], -1, 0
	s_cmp_lg_u64 s[0:1], 0
	s_addc_u32 s24, s24, s25
	s_mul_i32 s0, s8, s24
	s_mul_hi_u32 s1, s8, s26
	s_add_i32 s0, s1, s0
	s_mul_i32 s9, s9, s26
	s_add_i32 s0, s0, s9
	s_mul_i32 s8, s8, s26
	s_mul_hi_u32 s9, s24, s8
	s_mul_i32 s25, s24, s8
	s_mul_i32 s28, s26, s0
	s_mul_hi_u32 s8, s26, s8
	s_mul_hi_u32 s27, s26, s0
	s_add_u32 s8, s8, s28
	s_addc_u32 s27, 0, s27
	s_add_u32 s8, s8, s25
	s_mul_hi_u32 s1, s24, s0
	s_addc_u32 s8, s27, s9
	s_addc_u32 s1, s1, 0
	s_mul_i32 s0, s24, s0
	s_add_u32 s0, s8, s0
	s_addc_u32 s8, 0, s1
	s_add_u32 s9, s26, s0
	s_cselect_b64 s[0:1], -1, 0
	s_cmp_lg_u64 s[0:1], 0
	s_addc_u32 s0, s24, s8
	s_mul_i32 s8, s2, s0
	s_mul_hi_u32 s24, s2, s9
	s_mul_hi_u32 s1, s2, s0
	s_add_u32 s8, s24, s8
	s_addc_u32 s1, 0, s1
	s_mul_hi_u32 s25, s69, s9
	s_mul_i32 s9, s69, s9
	s_add_u32 s8, s8, s9
	s_mul_hi_u32 s24, s69, s0
	s_addc_u32 s1, s1, s25
	s_addc_u32 s8, s24, 0
	s_mul_i32 s0, s69, s0
	s_add_u32 s0, s1, s0
	s_addc_u32 s1, 0, s8
	s_mul_i32 s1, s76, s1
	s_mul_hi_u32 s8, s76, s0
	s_add_i32 s8, s8, s1
	s_mul_i32 s0, s76, s0
	s_sub_u32 s9, s2, s0
	s_cselect_b64 s[0:1], -1, 0
	s_cmp_lg_u64 s[0:1], 0
	s_subb_u32 s8, s69, s8
	s_sub_u32 s24, s9, s76
	s_cselect_b64 s[0:1], -1, 0
	s_cmp_lg_u64 s[0:1], 0
	s_subb_u32 s25, s8, 0
	;; [unrolled: 4-line block ×3, first 2 shown]
	s_cmp_ge_u32 s24, s76
	s_cselect_b32 s1, -1, 0
	s_cmp_eq_u32 s25, 0
	s_cselect_b32 s1, s1, -1
	s_cmp_lg_u32 s1, 0
	s_cselect_b32 s0, s0, s25
	s_cselect_b32 s24, s26, s24
	s_cmp_ge_u32 s9, s76
	s_cselect_b32 s1, -1, 0
	s_cmp_eq_u32 s8, 0
	s_cselect_b32 s1, s1, -1
	s_cmp_lg_u32 s1, 0
	s_cselect_b32 s1, s0, s8
	s_cselect_b32 s0, s24, s9
	s_cbranch_execnz .LBB142_124
.LBB142_123:                            ;   in Loop: Header=BB142_32 Depth=1
	v_cvt_f32_u32_e32 v2, s76
	s_sub_i32 s0, 0, s76
	v_rcp_iflag_f32_e32 v2, v2
	v_mul_f32_e32 v2, 0x4f7ffffe, v2
	v_cvt_u32_f32_e32 v2, v2
	v_readfirstlane_b32 s1, v2
	s_mul_i32 s0, s0, s1
	s_mul_hi_u32 s0, s1, s0
	s_add_i32 s1, s1, s0
	s_mul_hi_u32 s0, s2, s1
	s_mul_i32 s0, s0, s76
	s_sub_i32 s0, s2, s0
	s_sub_i32 s1, s0, s76
	s_cmp_ge_u32 s0, s76
	s_cselect_b32 s0, s1, s0
	s_sub_i32 s1, s0, s76
	s_cmp_ge_u32 s0, s76
	s_cselect_b32 s94, s1, s0
	s_mov_b64 s[0:1], s[94:95]
.LBB142_124:                            ;   in Loop: Header=BB142_32 Depth=1
	s_sub_u32 s8, s2, s0
	s_subb_u32 s9, s69, s1
	v_cmp_gt_u64_e32 vcc, s[8:9], v[0:1]
                                        ; implicit-def: $vgpr39
	s_and_saveexec_b64 s[0:1], vcc
	s_cbranch_execz .LBB142_133
; %bb.125:                              ;   in Loop: Header=BB142_32 Depth=1
	v_mov_b32_e32 v9, v1
	s_mov_b64 s[24:25], 0
	v_mov_b32_e32 v8, v0
                                        ; implicit-def: $sgpr26_sgpr27
	s_branch .LBB142_128
.LBB142_126:                            ;   in Loop: Header=BB142_128 Depth=2
	s_or_b64 exec, exec, s[28:29]
	s_waitcnt lgkmcnt(0)
	s_barrier
	ds_read_b32 v2, v3 offset:3072
	s_mov_b64 s[28:29], -1
	s_mov_b64 s[30:31], -1
	s_waitcnt lgkmcnt(0)
	s_barrier
	v_and_b32_e32 v10, 0x7fff, v2
	v_cmp_ne_u32_e32 vcc, 0, v10
	s_cbranch_vccz .LBB142_131
.LBB142_127:                            ;   in Loop: Header=BB142_128 Depth=2
	s_and_b64 s[28:29], exec, s[28:29]
	s_or_b64 s[24:25], s[28:29], s[24:25]
	s_andn2_b64 s[26:27], s[26:27], exec
	s_and_b64 s[28:29], s[30:31], exec
	s_or_b64 s[26:27], s[26:27], s[28:29]
	s_andn2_b64 exec, exec, s[24:25]
	s_cbranch_execz .LBB142_132
.LBB142_128:                            ;   Parent Loop BB142_32 Depth=1
                                        ; =>  This Inner Loop Header: Depth=2
	v_cmp_gt_u64_e32 vcc, s[56:57], v[8:9]
	s_and_saveexec_b64 s[28:29], vcc
	s_cbranch_execz .LBB142_126
; %bb.129:                              ;   in Loop: Header=BB142_128 Depth=2
	v_mul_lo_u32 v2, v9, s80
	v_mul_lo_u32 v21, v8, s81
	v_mad_u64_u32 v[10:11], s[30:31], v8, s80, 0
	v_add3_u32 v11, v11, v21, v2
	v_lshlrev_b64 v[10:11], 1, v[10:11]
	v_mov_b32_e32 v2, s77
	v_add_co_u32_e32 v10, vcc, s33, v10
	v_addc_co_u32_e32 v11, vcc, v2, v11, vcc
	global_load_ushort v2, v[10:11], off
	s_waitcnt vmcnt(0)
	v_cmp_lt_i16_e32 vcc, -1, v2
	v_cndmask_b32_e32 v10, v33, v34, vcc
	v_lshlrev_b32_e32 v11, 16, v2
	v_xor_b32_sdwa v10, v10, v2 dst_sel:DWORD dst_unused:UNUSED_PAD src0_sel:DWORD src1_sel:WORD_0
	v_cmp_o_f32_e32 vcc, v11, v11
	v_cndmask_b32_e32 v10, v33, v10, vcc
	v_and_b32_e32 v10, v10, v38
	v_cmp_eq_u32_e32 vcc, v10, v30
	s_and_b64 exec, exec, vcc
	s_cbranch_execz .LBB142_126
; %bb.130:                              ;   in Loop: Header=BB142_128 Depth=2
	v_perm_b32 v2, v2, s39, v37
	ds_write_b32 v3, v2 offset:3072
	s_branch .LBB142_126
.LBB142_131:                            ;   in Loop: Header=BB142_128 Depth=2
	v_add_co_u32_e32 v8, vcc, s76, v8
	v_addc_co_u32_e32 v9, vcc, 0, v9, vcc
	v_cmp_le_u64_e32 vcc, s[8:9], v[8:9]
	s_mov_b64 s[30:31], 0
	s_orn2_b64 s[28:29], vcc, exec
	s_branch .LBB142_127
.LBB142_132:                            ;   in Loop: Header=BB142_32 Depth=1
	s_or_b64 exec, exec, s[24:25]
	s_andn2_b64 s[8:9], s[20:21], exec
	s_and_b64 s[20:21], s[26:27], exec
	v_lshrrev_b32_e32 v39, 16, v2
	s_or_b64 s[20:21], s[8:9], s[20:21]
.LBB142_133:                            ;   in Loop: Header=BB142_32 Depth=1
	s_or_b64 exec, exec, s[0:1]
	s_mov_b64 s[0:1], 0
	s_mov_b64 s[8:9], -1
.LBB142_134:                            ;   in Loop: Header=BB142_32 Depth=1
	s_orn2_b64 s[20:21], s[20:21], exec
.LBB142_135:                            ;   in Loop: Header=BB142_32 Depth=1
	s_or_b64 exec, exec, s[16:17]
	s_andn2_b64 s[16:17], s[58:59], exec
	s_and_b64 s[8:9], s[8:9], exec
	s_or_b64 s[58:59], s[16:17], s[8:9]
	s_andn2_b64 s[8:9], s[84:85], exec
	s_and_b64 s[0:1], s[0:1], exec
	s_andn2_b64 s[74:75], s[74:75], exec
	s_or_b64 s[84:85], s[8:9], s[0:1]
                                        ; implicit-def: $vgpr8_vgpr9
	s_and_saveexec_b64 s[16:17], s[20:21]
	s_cbranch_execz .LBB142_31
; %bb.136:                              ;   in Loop: Header=BB142_32 Depth=1
	v_mov_b32_e32 v8, 1
	s_xor_b64 s[6:7], s[18:19], -1
	v_mov_b32_e32 v2, 1
	v_mov_b32_e32 v9, 0
	s_mov_b64 s[8:9], 0
	s_and_saveexec_b64 s[0:1], s[6:7]
	s_cbranch_execz .LBB142_145
; %bb.137:                              ;   in Loop: Header=BB142_32 Depth=1
	v_cmp_le_u64_e32 vcc, v[19:20], v[4:5]
	s_and_saveexec_b64 s[6:7], vcc
	s_xor_b64 s[6:7], exec, s[6:7]
	s_cbranch_execz .LBB142_142
; %bb.138:                              ;   in Loop: Header=BB142_32 Depth=1
	ds_read_b64 v[8:9], v3 offset:5120
	v_and_b32_e32 v30, s54, v30
	v_or_b32_e32 v38, s64, v38
	s_waitcnt lgkmcnt(0)
	v_cmp_ne_u64_e32 vcc, 0, v[8:9]
	s_cbranch_vccnz .LBB142_142
; %bb.139:                              ;   in Loop: Header=BB142_32 Depth=1
	s_mov_b64 s[8:9], exec
	v_readlane_b32 s18, v52, 36
	v_readlane_b32 s19, v52, 37
	s_and_b64 s[18:19], s[8:9], s[18:19]
	s_mov_b64 exec, s[18:19]
; %bb.140:                              ;   in Loop: Header=BB142_32 Depth=1
	ds_write_b64 v3, v[4:5] offset:5128
; %bb.141:                              ;   in Loop: Header=BB142_32 Depth=1
	s_or_b64 exec, exec, s[8:9]
	s_waitcnt lgkmcnt(0)
	s_barrier
.LBB142_142:                            ;   in Loop: Header=BB142_32 Depth=1
	s_or_saveexec_b64 s[6:7], s[6:7]
	s_mov_b64 s[8:9], 0
	v_mov_b32_e32 v2, 8
	s_xor_b64 exec, exec, s[6:7]
; %bb.143:                              ;   in Loop: Header=BB142_32 Depth=1
	v_sub_co_u32_e32 v19, vcc, v19, v4
	v_subb_co_u32_e32 v20, vcc, v20, v5, vcc
	v_mov_b32_e32 v2, 0
	s_mov_b64 s[8:9], exec
; %bb.144:                              ;   in Loop: Header=BB142_32 Depth=1
	s_or_b64 exec, exec, s[6:7]
	v_mov_b32_e32 v8, v19
	s_and_b64 s[8:9], s[8:9], exec
	v_mov_b32_e32 v9, v20
.LBB142_145:                            ;   in Loop: Header=BB142_32 Depth=1
	s_or_b64 exec, exec, s[0:1]
	s_mov_b64 s[18:19], -1
	s_mov_b64 s[0:1], -1
                                        ; implicit-def: $sgpr6_sgpr7
                                        ; implicit-def: $sgpr24_sgpr25
	s_and_saveexec_b64 s[20:21], s[8:9]
	s_xor_b64 s[20:21], exec, s[20:21]
	s_cbranch_execz .LBB142_290
; %bb.146:                              ;   in Loop: Header=BB142_32 Depth=1
	v_cmp_eq_u64_e32 vcc, 1, v[6:7]
	v_cmp_eq_u64_e64 s[6:7], 1, v[8:9]
                                        ; implicit-def: $sgpr24_sgpr25
	s_and_b64 s[28:29], vcc, s[6:7]
                                        ; implicit-def: $sgpr6_sgpr7
	s_and_saveexec_b64 s[26:27], s[28:29]
	s_cbranch_execz .LBB142_183
; %bb.147:                              ;   in Loop: Header=BB142_32 Depth=1
	ds_read_b64 v[4:5], v3 offset:5120
	s_waitcnt lgkmcnt(0)
	s_barrier
	v_readfirstlane_b32 s8, v4
	v_readfirstlane_b32 s9, v5
	s_mov_b64 s[0:1], exec
	v_readlane_b32 s6, v52, 38
	v_readlane_b32 s7, v52, 39
	s_and_b64 s[6:7], s[0:1], s[6:7]
	s_mov_b64 exec, s[6:7]
; %bb.148:                              ;   in Loop: Header=BB142_32 Depth=1
	ds_write_b16 v25, v3
; %bb.149:                              ;   in Loop: Header=BB142_32 Depth=1
	s_or_b64 exec, exec, s[0:1]
	v_and_b32_e32 v4, s54, v30
	v_lshl_or_b32 v30, 1, s86, v4
	v_or_b32_e32 v38, s64, v38
	s_mov_b64 s[6:7], -1
	s_mov_b64 s[24:25], 0
	s_cmp_eq_u64 s[8:9], 0
	s_mov_b64 s[0:1], 0
	s_mov_b64 s[30:31], -1
	s_waitcnt lgkmcnt(0)
	s_barrier
                                        ; implicit-def: $vgpr39
	s_cbranch_scc1 .LBB142_168
; %bb.150:                              ;   in Loop: Header=BB142_32 Depth=1
	v_readlane_b32 s0, v52, 44
	s_add_u32 s36, s8, s0
	v_readlane_b32 s0, v52, 45
	s_addc_u32 s1, s9, s0
	s_mov_b32 s0, s95
	s_cmp_lg_u64 s[0:1], 0
	s_cbranch_scc0 .LBB142_210
; %bb.151:                              ;   in Loop: Header=BB142_32 Depth=1
	v_cvt_f32_u32_e32 v4, s76
	s_sub_u32 s0, 0, s76
	s_subb_u32 s34, 0, 0
	v_mac_f32_e32 v4, 0, v35
	v_rcp_f32_e32 v4, v4
	v_mul_f32_e32 v4, 0x5f7ffffc, v4
	v_mul_f32_e32 v5, 0x2f800000, v4
	v_trunc_f32_e32 v5, v5
	v_mac_f32_e32 v4, 0xcf800000, v5
	v_cvt_u32_f32_e32 v5, v5
	v_cvt_u32_f32_e32 v4, v4
	v_readfirstlane_b32 s35, v5
	v_readfirstlane_b32 s30, v4
	s_mul_i32 s31, s0, s35
	s_mul_hi_u32 s40, s0, s30
	s_mul_i32 s37, s34, s30
	s_add_i32 s31, s40, s31
	s_mul_i32 s41, s0, s30
	s_add_i32 s31, s31, s37
	s_mul_hi_u32 s40, s30, s41
	s_mul_i32 s42, s30, s31
	s_mul_hi_u32 s37, s30, s31
	s_add_u32 s40, s40, s42
	s_addc_u32 s37, 0, s37
	s_mul_hi_u32 s43, s35, s41
	s_mul_i32 s41, s35, s41
	s_add_u32 s40, s40, s41
	s_mul_hi_u32 s42, s35, s31
	s_addc_u32 s37, s37, s43
	s_addc_u32 s40, s42, 0
	s_mul_i32 s31, s35, s31
	s_add_u32 s31, s37, s31
	s_addc_u32 s37, 0, s40
	s_add_u32 s40, s30, s31
	s_cselect_b64 s[30:31], -1, 0
	s_cmp_lg_u64 s[30:31], 0
	s_addc_u32 s35, s35, s37
	s_mul_i32 s30, s0, s35
	s_mul_hi_u32 s31, s0, s40
	s_add_i32 s30, s31, s30
	s_mul_i32 s34, s34, s40
	s_add_i32 s30, s30, s34
	s_mul_i32 s0, s0, s40
	s_mul_hi_u32 s34, s35, s0
	s_mul_i32 s37, s35, s0
	s_mul_i32 s42, s40, s30
	s_mul_hi_u32 s0, s40, s0
	s_mul_hi_u32 s41, s40, s30
	s_add_u32 s0, s0, s42
	s_addc_u32 s41, 0, s41
	s_add_u32 s0, s0, s37
	s_mul_hi_u32 s31, s35, s30
	s_addc_u32 s0, s41, s34
	s_addc_u32 s31, s31, 0
	s_mul_i32 s30, s35, s30
	s_add_u32 s0, s0, s30
	s_addc_u32 s34, 0, s31
	s_add_u32 s0, s40, s0
	s_cselect_b64 s[30:31], -1, 0
	s_cmp_lg_u64 s[30:31], 0
	s_addc_u32 s30, s35, s34
	s_mul_i32 s34, s36, s30
	s_mul_hi_u32 s35, s36, s0
	s_mul_hi_u32 s31, s36, s30
	s_add_u32 s34, s35, s34
	s_addc_u32 s31, 0, s31
	s_mul_hi_u32 s37, s1, s0
	s_mul_i32 s0, s1, s0
	s_add_u32 s0, s34, s0
	s_mul_hi_u32 s35, s1, s30
	s_addc_u32 s0, s31, s37
	s_addc_u32 s31, s35, 0
	s_mul_i32 s30, s1, s30
	s_add_u32 s0, s0, s30
	s_addc_u32 s30, 0, s31
	s_mul_i32 s30, s76, s30
	s_mul_hi_u32 s31, s76, s0
	s_add_i32 s34, s31, s30
	s_mul_i32 s0, s76, s0
	s_sub_u32 s0, s36, s0
	s_cselect_b64 s[30:31], -1, 0
	s_cmp_lg_u64 s[30:31], 0
	s_subb_u32 s34, s1, s34
	s_sub_u32 s35, s0, s76
	s_cselect_b64 s[30:31], -1, 0
	s_cmp_lg_u64 s[30:31], 0
	s_subb_u32 s37, s34, 0
	;; [unrolled: 4-line block ×3, first 2 shown]
	s_cmp_ge_u32 s35, s76
	s_cselect_b32 s31, -1, 0
	s_cmp_eq_u32 s37, 0
	s_cselect_b32 s31, s31, -1
	s_cmp_lg_u32 s31, 0
	s_cselect_b32 s30, s30, s37
	s_cselect_b32 s35, s40, s35
	s_cmp_ge_u32 s0, s76
	s_cselect_b32 s31, -1, 0
	s_cmp_eq_u32 s34, 0
	s_cselect_b32 s31, s31, -1
	s_cmp_lg_u32 s31, 0
	s_cselect_b32 s31, s30, s34
	s_cselect_b32 s30, s35, s0
	s_cbranch_execnz .LBB142_153
.LBB142_152:                            ;   in Loop: Header=BB142_32 Depth=1
	v_cvt_f32_u32_e32 v4, s76
	s_sub_i32 s0, 0, s76
	v_rcp_iflag_f32_e32 v4, v4
	v_mul_f32_e32 v4, 0x4f7ffffe, v4
	v_cvt_u32_f32_e32 v4, v4
	v_readfirstlane_b32 s30, v4
	s_mul_i32 s0, s0, s30
	s_mul_hi_u32 s0, s30, s0
	s_add_i32 s30, s30, s0
	s_mul_hi_u32 s0, s36, s30
	s_mul_i32 s0, s0, s76
	s_sub_i32 s0, s36, s0
	s_sub_i32 s30, s0, s76
	s_cmp_ge_u32 s0, s76
	s_cselect_b32 s0, s30, s0
	s_sub_i32 s30, s0, s76
	s_cmp_ge_u32 s0, s76
	s_cselect_b32 s94, s30, s0
	s_mov_b64 s[30:31], s[94:95]
.LBB142_153:                            ;   in Loop: Header=BB142_32 Depth=1
	s_sub_u32 s36, s36, s30
	s_subb_u32 s37, s1, s31
	v_cmp_gt_u64_e32 vcc, s[36:37], v[0:1]
	s_mov_b64 s[30:31], 0
	s_mov_b64 s[0:1], 0
                                        ; implicit-def: $vgpr39
	s_and_saveexec_b64 s[34:35], vcc
	s_cbranch_execz .LBB142_167
; %bb.154:                              ;   in Loop: Header=BB142_32 Depth=1
	v_mov_b32_e32 v5, v1
	v_mov_b32_e32 v10, v24
	;; [unrolled: 1-line block ×3, first 2 shown]
                                        ; implicit-def: $sgpr40_sgpr41
	s_branch .LBB142_157
.LBB142_155:                            ;   in Loop: Header=BB142_157 Depth=2
	s_or_b64 exec, exec, s[42:43]
	s_waitcnt lgkmcnt(0)
	s_barrier
	ds_read_b32 v11, v3 offset:3072
	s_mov_b64 s[42:43], -1
	s_mov_b64 s[44:45], -1
	s_waitcnt lgkmcnt(0)
	s_barrier
	v_and_b32_e32 v19, 0x7fff, v11
	v_cmp_ne_u32_e32 vcc, 0, v19
	s_cbranch_vccz .LBB142_160
.LBB142_156:                            ;   in Loop: Header=BB142_157 Depth=2
	s_and_b64 s[42:43], exec, s[42:43]
	s_or_b64 s[0:1], s[42:43], s[0:1]
	s_andn2_b64 s[40:41], s[40:41], exec
	s_and_b64 s[42:43], s[44:45], exec
	s_or_b64 s[40:41], s[40:41], s[42:43]
	s_andn2_b64 exec, exec, s[0:1]
	s_cbranch_execz .LBB142_166
.LBB142_157:                            ;   Parent Loop BB142_32 Depth=1
                                        ; =>  This Inner Loop Header: Depth=2
	v_cmp_gt_u64_e32 vcc, s[8:9], v[4:5]
	s_and_saveexec_b64 s[42:43], vcc
	s_cbranch_execz .LBB142_155
; %bb.158:                              ;   in Loop: Header=BB142_157 Depth=2
	ds_read_u16 v11, v10
	s_waitcnt lgkmcnt(0)
	v_cmp_lt_i16_e32 vcc, -1, v11
	v_cndmask_b32_e32 v19, v33, v34, vcc
	v_lshlrev_b32_e32 v20, 16, v11
	v_cmp_o_f32_e32 vcc, v20, v20
	v_xor_b32_sdwa v19, v19, v11 dst_sel:DWORD dst_unused:UNUSED_PAD src0_sel:DWORD src1_sel:WORD_0
	v_cndmask_b32_e32 v19, v33, v19, vcc
	v_and_b32_e32 v19, v19, v38
	v_cmp_eq_u32_e32 vcc, v19, v30
	s_and_b64 exec, exec, vcc
	s_cbranch_execz .LBB142_155
; %bb.159:                              ;   in Loop: Header=BB142_157 Depth=2
	v_perm_b32 v11, v11, s39, v37
	ds_write_b32 v3, v11 offset:3072
	s_branch .LBB142_155
.LBB142_160:                            ;   in Loop: Header=BB142_157 Depth=2
	v_add_co_u32_e32 v4, vcc, s76, v4
	v_addc_co_u32_e32 v5, vcc, 0, v5, vcc
	v_cmp_le_u64_e32 vcc, s[36:37], v[4:5]
	v_add_u32_e32 v10, s38, v10
	s_mov_b64 s[44:45], 0
	s_orn2_b64 s[42:43], vcc, exec
	s_branch .LBB142_156
.LBB142_161:                            ;   in Loop: Header=BB142_32 Depth=1
                                        ; implicit-def: $sgpr26_sgpr27
	s_branch .LBB142_109
.LBB142_162:                            ;   in Loop: Header=BB142_32 Depth=1
	s_or_b64 exec, exec, s[8:9]
	s_waitcnt lgkmcnt(0)
	s_barrier
	s_mov_b64 s[6:7], exec
	v_readlane_b32 s8, v52, 36
	v_readlane_b32 s9, v52, 37
	s_and_b64 s[8:9], s[6:7], s[8:9]
	s_mov_b64 exec, s[8:9]
	s_cbranch_execz .LBB142_164
; %bb.163:                              ;   in Loop: Header=BB142_32 Depth=1
	ds_read_b32 v4, v3 offset:5144
	s_waitcnt lgkmcnt(0)
	v_ashrrev_i32_e32 v5, 31, v4
	ds_write_b64 v3, v[4:5] offset:5120
.LBB142_164:                            ;   in Loop: Header=BB142_32 Depth=1
	s_or_b64 exec, exec, s[6:7]
	s_waitcnt lgkmcnt(0)
	s_barrier
	s_mov_b64 s[6:7], -1
	s_and_b64 vcc, exec, s[0:1]
	s_cbranch_vccnz .LBB142_47
	s_branch .LBB142_62
.LBB142_165:                            ;   in Loop: Header=BB142_32 Depth=1
                                        ; implicit-def: $sgpr0_sgpr1
	s_branch .LBB142_123
.LBB142_166:                            ;   in Loop: Header=BB142_32 Depth=1
	s_or_b64 exec, exec, s[0:1]
	v_lshrrev_b32_e32 v39, 16, v11
	s_and_b64 s[0:1], s[40:41], exec
.LBB142_167:                            ;   in Loop: Header=BB142_32 Depth=1
	s_or_b64 exec, exec, s[34:35]
.LBB142_168:                            ;   in Loop: Header=BB142_32 Depth=1
	s_and_b64 vcc, exec, s[30:31]
	s_cbranch_vccz .LBB142_182
; %bb.169:                              ;   in Loop: Header=BB142_32 Depth=1
	s_mov_b32 s68, s95
	s_cmp_lg_u64 s[68:69], 0
	s_cbranch_scc0 .LBB142_211
; %bb.170:                              ;   in Loop: Header=BB142_32 Depth=1
	v_cvt_f32_u32_e32 v4, s76
	s_sub_u32 s8, 0, s76
	s_subb_u32 s9, 0, 0
	v_mac_f32_e32 v4, 0, v35
	v_rcp_f32_e32 v4, v4
	v_mul_f32_e32 v4, 0x5f7ffffc, v4
	v_mul_f32_e32 v5, 0x2f800000, v4
	v_trunc_f32_e32 v5, v5
	v_mac_f32_e32 v4, 0xcf800000, v5
	v_cvt_u32_f32_e32 v5, v5
	v_cvt_u32_f32_e32 v4, v4
	v_readfirstlane_b32 s24, v5
	v_readfirstlane_b32 s6, v4
	s_mul_i32 s7, s8, s24
	s_mul_hi_u32 s30, s8, s6
	s_mul_i32 s25, s9, s6
	s_add_i32 s7, s30, s7
	s_mul_i32 s31, s8, s6
	s_add_i32 s7, s7, s25
	s_mul_hi_u32 s30, s6, s31
	s_mul_i32 s34, s6, s7
	s_mul_hi_u32 s25, s6, s7
	s_add_u32 s30, s30, s34
	s_addc_u32 s25, 0, s25
	s_mul_hi_u32 s35, s24, s31
	s_mul_i32 s31, s24, s31
	s_add_u32 s30, s30, s31
	s_mul_hi_u32 s34, s24, s7
	s_addc_u32 s25, s25, s35
	s_addc_u32 s30, s34, 0
	s_mul_i32 s7, s24, s7
	s_add_u32 s7, s25, s7
	s_addc_u32 s25, 0, s30
	s_add_u32 s30, s6, s7
	s_cselect_b64 s[6:7], -1, 0
	s_cmp_lg_u64 s[6:7], 0
	s_addc_u32 s24, s24, s25
	s_mul_i32 s6, s8, s24
	s_mul_hi_u32 s7, s8, s30
	s_add_i32 s6, s7, s6
	s_mul_i32 s9, s9, s30
	s_add_i32 s6, s6, s9
	s_mul_i32 s8, s8, s30
	s_mul_hi_u32 s9, s24, s8
	s_mul_i32 s25, s24, s8
	s_mul_i32 s34, s30, s6
	s_mul_hi_u32 s8, s30, s8
	s_mul_hi_u32 s31, s30, s6
	s_add_u32 s8, s8, s34
	s_addc_u32 s31, 0, s31
	s_add_u32 s8, s8, s25
	s_mul_hi_u32 s7, s24, s6
	s_addc_u32 s8, s31, s9
	s_addc_u32 s7, s7, 0
	s_mul_i32 s6, s24, s6
	s_add_u32 s6, s8, s6
	s_addc_u32 s8, 0, s7
	s_add_u32 s9, s30, s6
	s_cselect_b64 s[6:7], -1, 0
	s_cmp_lg_u64 s[6:7], 0
	s_addc_u32 s6, s24, s8
	s_mul_i32 s8, s2, s6
	s_mul_hi_u32 s24, s2, s9
	s_mul_hi_u32 s7, s2, s6
	s_add_u32 s8, s24, s8
	s_addc_u32 s7, 0, s7
	s_mul_hi_u32 s25, s69, s9
	s_mul_i32 s9, s69, s9
	s_add_u32 s8, s8, s9
	s_mul_hi_u32 s24, s69, s6
	s_addc_u32 s7, s7, s25
	s_addc_u32 s8, s24, 0
	s_mul_i32 s6, s69, s6
	s_add_u32 s6, s7, s6
	s_addc_u32 s7, 0, s8
	s_mul_i32 s7, s76, s7
	s_mul_hi_u32 s8, s76, s6
	s_add_i32 s8, s8, s7
	s_mul_i32 s6, s76, s6
	s_sub_u32 s9, s2, s6
	s_cselect_b64 s[6:7], -1, 0
	s_cmp_lg_u64 s[6:7], 0
	s_subb_u32 s8, s69, s8
	s_sub_u32 s24, s9, s76
	s_cselect_b64 s[6:7], -1, 0
	s_cmp_lg_u64 s[6:7], 0
	s_subb_u32 s25, s8, 0
	;; [unrolled: 4-line block ×3, first 2 shown]
	s_cmp_ge_u32 s24, s76
	s_cselect_b32 s7, -1, 0
	s_cmp_eq_u32 s25, 0
	s_cselect_b32 s7, s7, -1
	s_cmp_lg_u32 s7, 0
	s_cselect_b32 s6, s6, s25
	s_cselect_b32 s24, s30, s24
	s_cmp_ge_u32 s9, s76
	s_cselect_b32 s7, -1, 0
	s_cmp_eq_u32 s8, 0
	s_cselect_b32 s7, s7, -1
	s_cmp_lg_u32 s7, 0
	s_cselect_b32 s7, s6, s8
	s_cselect_b32 s6, s24, s9
	s_cbranch_execnz .LBB142_172
.LBB142_171:                            ;   in Loop: Header=BB142_32 Depth=1
	v_cvt_f32_u32_e32 v4, s76
	s_sub_i32 s6, 0, s76
	v_rcp_iflag_f32_e32 v4, v4
	v_mul_f32_e32 v4, 0x4f7ffffe, v4
	v_cvt_u32_f32_e32 v4, v4
	v_readfirstlane_b32 s7, v4
	s_mul_i32 s6, s6, s7
	s_mul_hi_u32 s6, s7, s6
	s_add_i32 s7, s7, s6
	s_mul_hi_u32 s6, s2, s7
	s_mul_i32 s6, s6, s76
	s_sub_i32 s6, s2, s6
	s_sub_i32 s7, s6, s76
	s_cmp_ge_u32 s6, s76
	s_cselect_b32 s6, s7, s6
	s_sub_i32 s7, s6, s76
	s_cmp_ge_u32 s6, s76
	s_cselect_b32 s94, s7, s6
	s_mov_b64 s[6:7], s[94:95]
.LBB142_172:                            ;   in Loop: Header=BB142_32 Depth=1
	s_sub_u32 s8, s2, s6
	s_subb_u32 s9, s69, s7
	v_cmp_gt_u64_e32 vcc, s[8:9], v[0:1]
                                        ; implicit-def: $vgpr39
	s_and_saveexec_b64 s[6:7], vcc
	s_cbranch_execz .LBB142_181
; %bb.173:                              ;   in Loop: Header=BB142_32 Depth=1
	v_mov_b32_e32 v5, v1
	s_mov_b64 s[24:25], 0
	v_mov_b32_e32 v4, v0
                                        ; implicit-def: $sgpr30_sgpr31
	s_branch .LBB142_176
.LBB142_174:                            ;   in Loop: Header=BB142_176 Depth=2
	s_or_b64 exec, exec, s[34:35]
	s_waitcnt lgkmcnt(0)
	s_barrier
	ds_read_b32 v10, v3 offset:3072
	s_mov_b64 s[34:35], -1
	s_mov_b64 s[36:37], -1
	s_waitcnt lgkmcnt(0)
	s_barrier
	v_and_b32_e32 v11, 0x7fff, v10
	v_cmp_eq_u32_e32 vcc, 0, v11
	s_cbranch_vccnz .LBB142_179
.LBB142_175:                            ;   in Loop: Header=BB142_176 Depth=2
	s_and_b64 s[34:35], exec, s[34:35]
	s_or_b64 s[24:25], s[34:35], s[24:25]
	s_andn2_b64 s[30:31], s[30:31], exec
	s_and_b64 s[34:35], s[36:37], exec
	s_or_b64 s[30:31], s[30:31], s[34:35]
	s_andn2_b64 exec, exec, s[24:25]
	s_cbranch_execz .LBB142_180
.LBB142_176:                            ;   Parent Loop BB142_32 Depth=1
                                        ; =>  This Inner Loop Header: Depth=2
	v_cmp_gt_u64_e32 vcc, s[56:57], v[4:5]
	s_and_saveexec_b64 s[34:35], vcc
	s_cbranch_execz .LBB142_174
; %bb.177:                              ;   in Loop: Header=BB142_176 Depth=2
	v_mul_lo_u32 v19, v5, s80
	v_mul_lo_u32 v20, v4, s81
	v_mad_u64_u32 v[10:11], s[36:37], v4, s80, 0
	v_add3_u32 v11, v11, v20, v19
	v_lshlrev_b64 v[10:11], 1, v[10:11]
	v_mov_b32_e32 v19, s77
	v_add_co_u32_e32 v10, vcc, s33, v10
	v_addc_co_u32_e32 v11, vcc, v19, v11, vcc
	global_load_ushort v10, v[10:11], off
	s_waitcnt vmcnt(0)
	v_cmp_lt_i16_e32 vcc, -1, v10
	v_cndmask_b32_e32 v11, v33, v34, vcc
	v_lshlrev_b32_e32 v19, 16, v10
	v_xor_b32_sdwa v11, v11, v10 dst_sel:DWORD dst_unused:UNUSED_PAD src0_sel:DWORD src1_sel:WORD_0
	v_cmp_o_f32_e32 vcc, v19, v19
	v_cndmask_b32_e32 v11, v33, v11, vcc
	v_and_b32_e32 v11, v11, v38
	v_cmp_eq_u32_e32 vcc, v11, v30
	s_and_b64 exec, exec, vcc
	s_cbranch_execz .LBB142_174
; %bb.178:                              ;   in Loop: Header=BB142_176 Depth=2
	v_perm_b32 v10, v10, s39, v37
	ds_write_b32 v3, v10 offset:3072
	s_branch .LBB142_174
.LBB142_179:                            ;   in Loop: Header=BB142_176 Depth=2
	v_add_co_u32_e32 v4, vcc, s76, v4
	v_addc_co_u32_e32 v5, vcc, 0, v5, vcc
	v_cmp_le_u64_e32 vcc, s[8:9], v[4:5]
	s_mov_b64 s[36:37], 0
	s_orn2_b64 s[34:35], vcc, exec
	s_branch .LBB142_175
.LBB142_180:                            ;   in Loop: Header=BB142_32 Depth=1
	s_or_b64 exec, exec, s[24:25]
	s_andn2_b64 s[0:1], s[0:1], exec
	s_and_b64 s[8:9], s[30:31], exec
	v_lshrrev_b32_e32 v39, 16, v10
	s_or_b64 s[0:1], s[0:1], s[8:9]
.LBB142_181:                            ;   in Loop: Header=BB142_32 Depth=1
	s_or_b64 exec, exec, s[6:7]
	s_mov_b64 s[6:7], 0
	s_mov_b64 s[24:25], -1
.LBB142_182:                            ;   in Loop: Header=BB142_32 Depth=1
	s_orn2_b64 s[0:1], s[0:1], exec
.LBB142_183:                            ;   in Loop: Header=BB142_32 Depth=1
	s_or_b64 exec, exec, s[26:27]
	s_mov_b64 s[8:9], 0
	s_and_saveexec_b64 s[26:27], s[0:1]
	s_cbranch_execz .LBB142_289
; %bb.184:                              ;   in Loop: Header=BB142_32 Depth=1
	v_mov_b32_e32 v4, 1
	s_xor_b64 s[28:29], s[28:29], -1
	v_mov_b32_e32 v2, 1
	v_mov_b32_e32 v5, 0
	s_and_saveexec_b64 s[0:1], s[28:29]
	s_cbranch_execz .LBB142_194
; %bb.185:                              ;   in Loop: Header=BB142_32 Depth=1
	v_cmp_le_u64_e32 vcc, v[8:9], v[6:7]
	s_and_saveexec_b64 s[8:9], vcc
	s_xor_b64 s[8:9], exec, s[8:9]
	s_cbranch_execz .LBB142_191
; %bb.186:                              ;   in Loop: Header=BB142_32 Depth=1
	ds_read_b64 v[4:5], v3 offset:5120
	v_and_b32_e32 v2, s54, v30
	v_lshl_or_b32 v30, 1, s86, v2
	v_or_b32_e32 v38, s64, v38
	s_waitcnt lgkmcnt(0)
	v_cmp_ne_u64_e32 vcc, 0, v[4:5]
	s_cbranch_vccnz .LBB142_190
; %bb.187:                              ;   in Loop: Header=BB142_32 Depth=1
	s_mov_b64 s[28:29], exec
	v_readlane_b32 s30, v52, 36
	v_readlane_b32 s31, v52, 37
	s_and_b64 s[30:31], s[28:29], s[30:31]
	s_mov_b64 exec, s[30:31]
; %bb.188:                              ;   in Loop: Header=BB142_32 Depth=1
	ds_write_b64 v3, v[6:7] offset:5128
; %bb.189:                              ;   in Loop: Header=BB142_32 Depth=1
	s_or_b64 exec, exec, s[28:29]
	s_waitcnt lgkmcnt(0)
	s_barrier
.LBB142_190:                            ;   in Loop: Header=BB142_32 Depth=1
                                        ; implicit-def: $vgpr4_vgpr5_vgpr6_vgpr7
.LBB142_191:                            ;   in Loop: Header=BB142_32 Depth=1
	s_or_saveexec_b64 s[8:9], s[8:9]
	s_mov_b64 s[28:29], 0
	v_mov_b32_e32 v2, 8
	s_xor_b64 exec, exec, s[8:9]
; %bb.192:                              ;   in Loop: Header=BB142_32 Depth=1
	v_sub_co_u32_e32 v8, vcc, v8, v6
	v_subb_co_u32_e32 v9, vcc, v9, v7, vcc
	v_mov_b32_e32 v2, 0
	s_mov_b64 s[28:29], exec
; %bb.193:                              ;   in Loop: Header=BB142_32 Depth=1
	s_or_b64 exec, exec, s[8:9]
	v_mov_b32_e32 v4, v8
	s_and_b64 s[8:9], s[28:29], exec
	v_mov_b32_e32 v5, v9
.LBB142_194:                            ;   in Loop: Header=BB142_32 Depth=1
	s_or_b64 exec, exec, s[0:1]
	s_mov_b64 s[0:1], -1
                                        ; implicit-def: $sgpr30_sgpr31
                                        ; implicit-def: $sgpr34_sgpr35
	s_and_saveexec_b64 s[28:29], s[8:9]
	s_cbranch_execz .LBB142_288
; %bb.195:                              ;   in Loop: Header=BB142_32 Depth=1
	s_cmp_eq_u64 s[22:23], 1
	v_cmp_eq_u64_e32 vcc, 1, v[4:5]
	s_cselect_b64 s[0:1], -1, 0
	s_and_b64 s[40:41], s[0:1], vcc
	s_mov_b64 s[0:1], -1
                                        ; implicit-def: $sgpr34_sgpr35
                                        ; implicit-def: $sgpr30_sgpr31
	s_and_saveexec_b64 s[36:37], s[40:41]
	s_cbranch_execz .LBB142_229
; %bb.196:                              ;   in Loop: Header=BB142_32 Depth=1
	ds_read_b64 v[6:7], v3 offset:5120
	s_waitcnt lgkmcnt(0)
	s_barrier
	v_readfirstlane_b32 s8, v6
	v_readfirstlane_b32 s9, v7
	s_mov_b64 s[0:1], exec
	v_readlane_b32 s30, v52, 38
	v_readlane_b32 s31, v52, 39
	s_and_b64 s[30:31], s[0:1], s[30:31]
	s_mov_b64 exec, s[30:31]
; %bb.197:                              ;   in Loop: Header=BB142_32 Depth=1
	ds_write_b16 v25, v3
; %bb.198:                              ;   in Loop: Header=BB142_32 Depth=1
	s_or_b64 exec, exec, s[0:1]
	v_and_b32_e32 v6, s54, v30
	v_lshl_or_b32 v30, 2, s86, v6
	v_or_b32_e32 v38, s64, v38
	s_mov_b64 s[30:31], -1
	s_mov_b64 s[34:35], 0
	s_cmp_eq_u64 s[8:9], 0
	s_mov_b64 s[0:1], 0
	s_mov_b64 s[42:43], -1
	s_waitcnt lgkmcnt(0)
	s_barrier
                                        ; implicit-def: $vgpr39
	s_cbranch_scc1 .LBB142_214
; %bb.199:                              ;   in Loop: Header=BB142_32 Depth=1
	v_readlane_b32 s0, v52, 44
	s_add_u32 s46, s8, s0
	v_readlane_b32 s0, v52, 45
	s_addc_u32 s1, s9, s0
	s_mov_b32 s0, s95
	s_cmp_lg_u64 s[0:1], 0
	s_cbranch_scc0 .LBB142_255
; %bb.200:                              ;   in Loop: Header=BB142_32 Depth=1
	v_cvt_f32_u32_e32 v6, s76
	s_sub_u32 s0, 0, s76
	s_subb_u32 s44, 0, 0
	v_mac_f32_e32 v6, 0, v35
	v_rcp_f32_e32 v6, v6
	v_mul_f32_e32 v6, 0x5f7ffffc, v6
	v_mul_f32_e32 v7, 0x2f800000, v6
	v_trunc_f32_e32 v7, v7
	v_mac_f32_e32 v6, 0xcf800000, v7
	v_cvt_u32_f32_e32 v7, v7
	v_cvt_u32_f32_e32 v6, v6
	v_readfirstlane_b32 s45, v7
	v_readfirstlane_b32 s42, v6
	s_mul_i32 s43, s0, s45
	s_mul_hi_u32 s48, s0, s42
	s_mul_i32 s47, s44, s42
	s_add_i32 s43, s48, s43
	s_mul_i32 s49, s0, s42
	s_add_i32 s43, s43, s47
	s_mul_hi_u32 s48, s42, s49
	s_mul_i32 s50, s42, s43
	s_mul_hi_u32 s47, s42, s43
	s_add_u32 s48, s48, s50
	s_addc_u32 s47, 0, s47
	s_mul_hi_u32 s51, s45, s49
	s_mul_i32 s49, s45, s49
	s_add_u32 s48, s48, s49
	s_mul_hi_u32 s50, s45, s43
	s_addc_u32 s47, s47, s51
	s_addc_u32 s48, s50, 0
	s_mul_i32 s43, s45, s43
	s_add_u32 s43, s47, s43
	s_addc_u32 s47, 0, s48
	s_add_u32 s48, s42, s43
	s_cselect_b64 s[42:43], -1, 0
	s_cmp_lg_u64 s[42:43], 0
	s_addc_u32 s45, s45, s47
	s_mul_i32 s42, s0, s45
	s_mul_hi_u32 s43, s0, s48
	s_add_i32 s42, s43, s42
	s_mul_i32 s44, s44, s48
	s_add_i32 s42, s42, s44
	s_mul_i32 s0, s0, s48
	s_mul_hi_u32 s44, s45, s0
	s_mul_i32 s47, s45, s0
	s_mul_i32 s50, s48, s42
	s_mul_hi_u32 s0, s48, s0
	s_mul_hi_u32 s49, s48, s42
	s_add_u32 s0, s0, s50
	s_addc_u32 s49, 0, s49
	s_add_u32 s0, s0, s47
	s_mul_hi_u32 s43, s45, s42
	s_addc_u32 s0, s49, s44
	s_addc_u32 s43, s43, 0
	s_mul_i32 s42, s45, s42
	s_add_u32 s0, s0, s42
	s_addc_u32 s44, 0, s43
	s_add_u32 s0, s48, s0
	s_cselect_b64 s[42:43], -1, 0
	s_cmp_lg_u64 s[42:43], 0
	s_addc_u32 s42, s45, s44
	s_mul_i32 s44, s46, s42
	s_mul_hi_u32 s45, s46, s0
	s_mul_hi_u32 s43, s46, s42
	s_add_u32 s44, s45, s44
	s_addc_u32 s43, 0, s43
	s_mul_hi_u32 s47, s1, s0
	s_mul_i32 s0, s1, s0
	s_add_u32 s0, s44, s0
	s_mul_hi_u32 s45, s1, s42
	s_addc_u32 s0, s43, s47
	s_addc_u32 s43, s45, 0
	s_mul_i32 s42, s1, s42
	s_add_u32 s0, s0, s42
	s_addc_u32 s42, 0, s43
	s_mul_i32 s42, s76, s42
	s_mul_hi_u32 s43, s76, s0
	s_add_i32 s44, s43, s42
	s_mul_i32 s0, s76, s0
	s_sub_u32 s0, s46, s0
	s_cselect_b64 s[42:43], -1, 0
	s_cmp_lg_u64 s[42:43], 0
	s_subb_u32 s44, s1, s44
	s_sub_u32 s45, s0, s76
	s_cselect_b64 s[42:43], -1, 0
	s_cmp_lg_u64 s[42:43], 0
	s_subb_u32 s47, s44, 0
	;; [unrolled: 4-line block ×3, first 2 shown]
	s_cmp_ge_u32 s45, s76
	s_cselect_b32 s43, -1, 0
	s_cmp_eq_u32 s47, 0
	s_cselect_b32 s43, s43, -1
	s_cmp_lg_u32 s43, 0
	s_cselect_b32 s42, s42, s47
	s_cselect_b32 s45, s48, s45
	s_cmp_ge_u32 s0, s76
	s_cselect_b32 s43, -1, 0
	s_cmp_eq_u32 s44, 0
	s_cselect_b32 s43, s43, -1
	s_cmp_lg_u32 s43, 0
	s_cselect_b32 s43, s42, s44
	s_cselect_b32 s42, s45, s0
	s_cbranch_execnz .LBB142_202
.LBB142_201:                            ;   in Loop: Header=BB142_32 Depth=1
	v_cvt_f32_u32_e32 v6, s76
	s_sub_i32 s0, 0, s76
	v_rcp_iflag_f32_e32 v6, v6
	v_mul_f32_e32 v6, 0x4f7ffffe, v6
	v_cvt_u32_f32_e32 v6, v6
	v_readfirstlane_b32 s42, v6
	s_mul_i32 s0, s0, s42
	s_mul_hi_u32 s0, s42, s0
	s_add_i32 s42, s42, s0
	s_mul_hi_u32 s0, s46, s42
	s_mul_i32 s0, s0, s76
	s_sub_i32 s0, s46, s0
	s_sub_i32 s42, s0, s76
	s_cmp_ge_u32 s0, s76
	s_cselect_b32 s0, s42, s0
	s_sub_i32 s42, s0, s76
	s_cmp_ge_u32 s0, s76
	s_cselect_b32 s94, s42, s0
	s_mov_b64 s[42:43], s[94:95]
.LBB142_202:                            ;   in Loop: Header=BB142_32 Depth=1
	s_sub_u32 s46, s46, s42
	s_subb_u32 s47, s1, s43
	v_cmp_gt_u64_e32 vcc, s[46:47], v[0:1]
	s_mov_b64 s[42:43], 0
	s_mov_b64 s[0:1], 0
                                        ; implicit-def: $vgpr39
	s_and_saveexec_b64 s[44:45], vcc
	s_cbranch_execz .LBB142_213
; %bb.203:                              ;   in Loop: Header=BB142_32 Depth=1
	v_mov_b32_e32 v7, v1
	v_mov_b32_e32 v8, v24
	;; [unrolled: 1-line block ×3, first 2 shown]
                                        ; implicit-def: $sgpr48_sgpr49
	s_branch .LBB142_206
.LBB142_204:                            ;   in Loop: Header=BB142_206 Depth=2
	s_or_b64 exec, exec, s[50:51]
	s_waitcnt lgkmcnt(0)
	s_barrier
	ds_read_b32 v9, v3 offset:3072
	s_mov_b64 s[50:51], -1
	s_mov_b64 s[52:53], -1
	s_waitcnt lgkmcnt(0)
	s_barrier
	v_and_b32_e32 v10, 0x7fff, v9
	v_cmp_ne_u32_e32 vcc, 0, v10
	s_cbranch_vccz .LBB142_209
.LBB142_205:                            ;   in Loop: Header=BB142_206 Depth=2
	s_and_b64 s[50:51], exec, s[50:51]
	s_or_b64 s[0:1], s[50:51], s[0:1]
	s_andn2_b64 s[48:49], s[48:49], exec
	s_and_b64 s[50:51], s[52:53], exec
	s_or_b64 s[48:49], s[48:49], s[50:51]
	s_andn2_b64 exec, exec, s[0:1]
	s_cbranch_execz .LBB142_212
.LBB142_206:                            ;   Parent Loop BB142_32 Depth=1
                                        ; =>  This Inner Loop Header: Depth=2
	v_cmp_gt_u64_e32 vcc, s[8:9], v[6:7]
	s_and_saveexec_b64 s[50:51], vcc
	s_cbranch_execz .LBB142_204
; %bb.207:                              ;   in Loop: Header=BB142_206 Depth=2
	ds_read_u16 v9, v8
	s_waitcnt lgkmcnt(0)
	v_cmp_lt_i16_e32 vcc, -1, v9
	v_cndmask_b32_e32 v10, v33, v34, vcc
	v_lshlrev_b32_e32 v11, 16, v9
	v_cmp_o_f32_e32 vcc, v11, v11
	v_xor_b32_sdwa v10, v10, v9 dst_sel:DWORD dst_unused:UNUSED_PAD src0_sel:DWORD src1_sel:WORD_0
	v_cndmask_b32_e32 v10, v33, v10, vcc
	v_and_b32_e32 v10, v10, v38
	v_cmp_eq_u32_e32 vcc, v10, v30
	s_and_b64 exec, exec, vcc
	s_cbranch_execz .LBB142_204
; %bb.208:                              ;   in Loop: Header=BB142_206 Depth=2
	v_perm_b32 v9, v9, s39, v37
	ds_write_b32 v3, v9 offset:3072
	s_branch .LBB142_204
.LBB142_209:                            ;   in Loop: Header=BB142_206 Depth=2
	v_add_co_u32_e32 v6, vcc, s76, v6
	v_addc_co_u32_e32 v7, vcc, 0, v7, vcc
	v_cmp_le_u64_e32 vcc, s[46:47], v[6:7]
	v_add_u32_e32 v8, s38, v8
	s_mov_b64 s[52:53], 0
	s_orn2_b64 s[50:51], vcc, exec
	s_branch .LBB142_205
.LBB142_210:                            ;   in Loop: Header=BB142_32 Depth=1
                                        ; implicit-def: $sgpr30_sgpr31
	s_branch .LBB142_152
.LBB142_211:                            ;   in Loop: Header=BB142_32 Depth=1
                                        ; implicit-def: $sgpr6_sgpr7
	s_branch .LBB142_171
.LBB142_212:                            ;   in Loop: Header=BB142_32 Depth=1
	s_or_b64 exec, exec, s[0:1]
	v_lshrrev_b32_e32 v39, 16, v9
	s_and_b64 s[0:1], s[48:49], exec
.LBB142_213:                            ;   in Loop: Header=BB142_32 Depth=1
	s_or_b64 exec, exec, s[44:45]
.LBB142_214:                            ;   in Loop: Header=BB142_32 Depth=1
	s_and_b64 vcc, exec, s[42:43]
	s_cbranch_vccz .LBB142_228
; %bb.215:                              ;   in Loop: Header=BB142_32 Depth=1
	s_mov_b32 s68, s95
	s_cmp_lg_u64 s[68:69], 0
	s_cbranch_scc0 .LBB142_256
; %bb.216:                              ;   in Loop: Header=BB142_32 Depth=1
	v_cvt_f32_u32_e32 v6, s76
	s_sub_u32 s30, 0, s76
	s_subb_u32 s31, 0, 0
	v_mac_f32_e32 v6, 0, v35
	v_rcp_f32_e32 v6, v6
	v_mul_f32_e32 v6, 0x5f7ffffc, v6
	v_mul_f32_e32 v7, 0x2f800000, v6
	v_trunc_f32_e32 v7, v7
	v_mac_f32_e32 v6, 0xcf800000, v7
	v_cvt_u32_f32_e32 v7, v7
	v_cvt_u32_f32_e32 v6, v6
	v_readfirstlane_b32 s34, v7
	v_readfirstlane_b32 s8, v6
	s_mul_i32 s9, s30, s34
	s_mul_hi_u32 s42, s30, s8
	s_mul_i32 s35, s31, s8
	s_add_i32 s9, s42, s9
	s_mul_i32 s43, s30, s8
	s_add_i32 s9, s9, s35
	s_mul_hi_u32 s42, s8, s43
	s_mul_i32 s44, s8, s9
	s_mul_hi_u32 s35, s8, s9
	s_add_u32 s42, s42, s44
	s_addc_u32 s35, 0, s35
	s_mul_hi_u32 s45, s34, s43
	s_mul_i32 s43, s34, s43
	s_add_u32 s42, s42, s43
	s_mul_hi_u32 s44, s34, s9
	s_addc_u32 s35, s35, s45
	s_addc_u32 s42, s44, 0
	s_mul_i32 s9, s34, s9
	s_add_u32 s9, s35, s9
	s_addc_u32 s35, 0, s42
	s_add_u32 s42, s8, s9
	s_cselect_b64 s[8:9], -1, 0
	s_cmp_lg_u64 s[8:9], 0
	s_addc_u32 s34, s34, s35
	s_mul_i32 s8, s30, s34
	s_mul_hi_u32 s9, s30, s42
	s_add_i32 s8, s9, s8
	s_mul_i32 s31, s31, s42
	s_add_i32 s8, s8, s31
	s_mul_i32 s30, s30, s42
	s_mul_hi_u32 s31, s34, s30
	s_mul_i32 s35, s34, s30
	s_mul_i32 s44, s42, s8
	s_mul_hi_u32 s30, s42, s30
	s_mul_hi_u32 s43, s42, s8
	s_add_u32 s30, s30, s44
	s_addc_u32 s43, 0, s43
	s_add_u32 s30, s30, s35
	s_mul_hi_u32 s9, s34, s8
	s_addc_u32 s30, s43, s31
	s_addc_u32 s9, s9, 0
	s_mul_i32 s8, s34, s8
	s_add_u32 s8, s30, s8
	s_addc_u32 s30, 0, s9
	s_add_u32 s31, s42, s8
	s_cselect_b64 s[8:9], -1, 0
	s_cmp_lg_u64 s[8:9], 0
	s_addc_u32 s8, s34, s30
	s_mul_i32 s30, s2, s8
	s_mul_hi_u32 s34, s2, s31
	s_mul_hi_u32 s9, s2, s8
	s_add_u32 s30, s34, s30
	s_addc_u32 s9, 0, s9
	s_mul_hi_u32 s35, s69, s31
	s_mul_i32 s31, s69, s31
	s_add_u32 s30, s30, s31
	s_mul_hi_u32 s34, s69, s8
	s_addc_u32 s9, s9, s35
	s_addc_u32 s30, s34, 0
	s_mul_i32 s8, s69, s8
	s_add_u32 s8, s9, s8
	s_addc_u32 s9, 0, s30
	s_mul_i32 s9, s76, s9
	s_mul_hi_u32 s30, s76, s8
	s_add_i32 s30, s30, s9
	s_mul_i32 s8, s76, s8
	s_sub_u32 s31, s2, s8
	s_cselect_b64 s[8:9], -1, 0
	s_cmp_lg_u64 s[8:9], 0
	s_subb_u32 s30, s69, s30
	s_sub_u32 s34, s31, s76
	s_cselect_b64 s[8:9], -1, 0
	s_cmp_lg_u64 s[8:9], 0
	s_subb_u32 s35, s30, 0
	;; [unrolled: 4-line block ×3, first 2 shown]
	s_cmp_ge_u32 s34, s76
	s_cselect_b32 s9, -1, 0
	s_cmp_eq_u32 s35, 0
	s_cselect_b32 s9, s9, -1
	s_cmp_lg_u32 s9, 0
	s_cselect_b32 s8, s8, s35
	s_cselect_b32 s34, s42, s34
	s_cmp_ge_u32 s31, s76
	s_cselect_b32 s9, -1, 0
	s_cmp_eq_u32 s30, 0
	s_cselect_b32 s9, s9, -1
	s_cmp_lg_u32 s9, 0
	s_cselect_b32 s9, s8, s30
	s_cselect_b32 s8, s34, s31
	s_cbranch_execnz .LBB142_218
.LBB142_217:                            ;   in Loop: Header=BB142_32 Depth=1
	v_cvt_f32_u32_e32 v6, s76
	s_sub_i32 s8, 0, s76
	v_rcp_iflag_f32_e32 v6, v6
	v_mul_f32_e32 v6, 0x4f7ffffe, v6
	v_cvt_u32_f32_e32 v6, v6
	v_readfirstlane_b32 s9, v6
	s_mul_i32 s8, s8, s9
	s_mul_hi_u32 s8, s9, s8
	s_add_i32 s9, s9, s8
	s_mul_hi_u32 s8, s2, s9
	s_mul_i32 s8, s8, s76
	s_sub_i32 s8, s2, s8
	s_sub_i32 s9, s8, s76
	s_cmp_ge_u32 s8, s76
	s_cselect_b32 s8, s9, s8
	s_sub_i32 s9, s8, s76
	s_cmp_ge_u32 s8, s76
	s_cselect_b32 s94, s9, s8
	s_mov_b64 s[8:9], s[94:95]
.LBB142_218:                            ;   in Loop: Header=BB142_32 Depth=1
	s_sub_u32 s30, s2, s8
	s_subb_u32 s31, s69, s9
	v_cmp_gt_u64_e32 vcc, s[30:31], v[0:1]
                                        ; implicit-def: $vgpr39
	s_and_saveexec_b64 s[8:9], vcc
	s_cbranch_execz .LBB142_227
; %bb.219:                              ;   in Loop: Header=BB142_32 Depth=1
	v_mov_b32_e32 v7, v1
	s_mov_b64 s[34:35], 0
	v_mov_b32_e32 v6, v0
                                        ; implicit-def: $sgpr42_sgpr43
	s_branch .LBB142_222
.LBB142_220:                            ;   in Loop: Header=BB142_222 Depth=2
	s_or_b64 exec, exec, s[44:45]
	s_waitcnt lgkmcnt(0)
	s_barrier
	ds_read_b32 v8, v3 offset:3072
	s_mov_b64 s[44:45], -1
	s_mov_b64 s[46:47], -1
	s_waitcnt lgkmcnt(0)
	s_barrier
	v_and_b32_e32 v9, 0x7fff, v8
	v_cmp_eq_u32_e32 vcc, 0, v9
	s_cbranch_vccnz .LBB142_225
.LBB142_221:                            ;   in Loop: Header=BB142_222 Depth=2
	s_and_b64 s[44:45], exec, s[44:45]
	s_or_b64 s[34:35], s[44:45], s[34:35]
	s_andn2_b64 s[42:43], s[42:43], exec
	s_and_b64 s[44:45], s[46:47], exec
	s_or_b64 s[42:43], s[42:43], s[44:45]
	s_andn2_b64 exec, exec, s[34:35]
	s_cbranch_execz .LBB142_226
.LBB142_222:                            ;   Parent Loop BB142_32 Depth=1
                                        ; =>  This Inner Loop Header: Depth=2
	v_cmp_gt_u64_e32 vcc, s[56:57], v[6:7]
	s_and_saveexec_b64 s[44:45], vcc
	s_cbranch_execz .LBB142_220
; %bb.223:                              ;   in Loop: Header=BB142_222 Depth=2
	v_mul_lo_u32 v10, v7, s80
	v_mul_lo_u32 v11, v6, s81
	v_mad_u64_u32 v[8:9], s[46:47], v6, s80, 0
	v_add3_u32 v9, v9, v11, v10
	v_lshlrev_b64 v[8:9], 1, v[8:9]
	v_mov_b32_e32 v10, s77
	v_add_co_u32_e32 v8, vcc, s33, v8
	v_addc_co_u32_e32 v9, vcc, v10, v9, vcc
	global_load_ushort v8, v[8:9], off
	s_waitcnt vmcnt(0)
	v_cmp_lt_i16_e32 vcc, -1, v8
	v_cndmask_b32_e32 v9, v33, v34, vcc
	v_lshlrev_b32_e32 v10, 16, v8
	v_xor_b32_sdwa v9, v9, v8 dst_sel:DWORD dst_unused:UNUSED_PAD src0_sel:DWORD src1_sel:WORD_0
	v_cmp_o_f32_e32 vcc, v10, v10
	v_cndmask_b32_e32 v9, v33, v9, vcc
	v_and_b32_e32 v9, v9, v38
	v_cmp_eq_u32_e32 vcc, v9, v30
	s_and_b64 exec, exec, vcc
	s_cbranch_execz .LBB142_220
; %bb.224:                              ;   in Loop: Header=BB142_222 Depth=2
	v_perm_b32 v8, v8, s39, v37
	ds_write_b32 v3, v8 offset:3072
	s_branch .LBB142_220
.LBB142_225:                            ;   in Loop: Header=BB142_222 Depth=2
	v_add_co_u32_e32 v6, vcc, s76, v6
	v_addc_co_u32_e32 v7, vcc, 0, v7, vcc
	v_cmp_le_u64_e32 vcc, s[30:31], v[6:7]
	s_mov_b64 s[46:47], 0
	s_orn2_b64 s[44:45], vcc, exec
	s_branch .LBB142_221
.LBB142_226:                            ;   in Loop: Header=BB142_32 Depth=1
	s_or_b64 exec, exec, s[34:35]
	s_andn2_b64 s[0:1], s[0:1], exec
	s_and_b64 s[30:31], s[42:43], exec
	v_lshrrev_b32_e32 v39, 16, v8
	s_or_b64 s[0:1], s[0:1], s[30:31]
.LBB142_227:                            ;   in Loop: Header=BB142_32 Depth=1
	s_or_b64 exec, exec, s[8:9]
	s_mov_b64 s[30:31], 0
	s_mov_b64 s[34:35], -1
.LBB142_228:                            ;   in Loop: Header=BB142_32 Depth=1
	s_orn2_b64 s[0:1], s[0:1], exec
.LBB142_229:                            ;   in Loop: Header=BB142_32 Depth=1
	s_or_b64 exec, exec, s[36:37]
	s_mov_b64 s[8:9], 0
	s_and_saveexec_b64 s[36:37], s[0:1]
	s_cbranch_execz .LBB142_287
; %bb.230:                              ;   in Loop: Header=BB142_32 Depth=1
	v_mov_b32_e32 v6, 1
	s_xor_b64 s[8:9], s[40:41], -1
	v_mov_b32_e32 v2, 1
	v_mov_b32_e32 v7, 0
	s_mov_b64 s[40:41], 0
	s_and_saveexec_b64 s[0:1], s[8:9]
	s_cbranch_execz .LBB142_239
; %bb.231:                              ;   in Loop: Header=BB142_32 Depth=1
	v_cmp_ge_u64_e32 vcc, s[22:23], v[4:5]
	s_and_saveexec_b64 s[8:9], vcc
	s_xor_b64 s[8:9], exec, s[8:9]
	s_cbranch_execz .LBB142_236
; %bb.232:                              ;   in Loop: Header=BB142_32 Depth=1
	ds_read_b64 v[6:7], v3 offset:5120
	v_and_b32_e32 v2, s54, v30
	v_lshl_or_b32 v30, 2, s86, v2
	v_or_b32_e32 v38, s64, v38
	s_waitcnt lgkmcnt(0)
	v_cmp_ne_u64_e32 vcc, 0, v[6:7]
	s_cbranch_vccnz .LBB142_236
; %bb.233:                              ;   in Loop: Header=BB142_32 Depth=1
	s_mov_b64 s[40:41], exec
	v_readlane_b32 s42, v52, 36
	v_readlane_b32 s43, v52, 37
	s_and_b64 s[42:43], s[40:41], s[42:43]
	s_mov_b64 exec, s[42:43]
; %bb.234:                              ;   in Loop: Header=BB142_32 Depth=1
	v_mov_b32_e32 v6, s22
	v_mov_b32_e32 v7, s23
	ds_write_b64 v3, v[6:7] offset:5128
; %bb.235:                              ;   in Loop: Header=BB142_32 Depth=1
	s_or_b64 exec, exec, s[40:41]
	s_waitcnt lgkmcnt(0)
	s_barrier
.LBB142_236:                            ;   in Loop: Header=BB142_32 Depth=1
	s_or_saveexec_b64 s[8:9], s[8:9]
	s_mov_b64 s[40:41], 0
	v_mov_b32_e32 v2, 8
	s_xor_b64 exec, exec, s[8:9]
; %bb.237:                              ;   in Loop: Header=BB142_32 Depth=1
	v_subrev_co_u32_e32 v4, vcc, s22, v4
	v_mov_b32_e32 v2, s23
	v_subb_co_u32_e32 v5, vcc, v5, v2, vcc
	v_mov_b32_e32 v2, 0
	s_mov_b64 s[40:41], exec
; %bb.238:                              ;   in Loop: Header=BB142_32 Depth=1
	s_or_b64 exec, exec, s[8:9]
	v_mov_b32_e32 v7, v5
	s_and_b64 s[40:41], s[40:41], exec
	v_mov_b32_e32 v6, v4
.LBB142_239:                            ;   in Loop: Header=BB142_32 Depth=1
	s_or_b64 exec, exec, s[0:1]
	s_mov_b64 s[8:9], -1
                                        ; implicit-def: $sgpr44_sgpr45
                                        ; implicit-def: $sgpr0_sgpr1
	s_and_saveexec_b64 s[22:23], s[40:41]
	s_cbranch_execz .LBB142_286
; %bb.240:                              ;   in Loop: Header=BB142_32 Depth=1
	s_cmp_eq_u64 s[14:15], 1
	v_cmp_eq_u64_e32 vcc, 1, v[6:7]
	s_cselect_b64 s[0:1], -1, 0
	s_and_b64 s[40:41], s[0:1], vcc
	s_mov_b64 s[46:47], -1
                                        ; implicit-def: $sgpr44_sgpr45
                                        ; implicit-def: $sgpr0_sgpr1
	s_and_saveexec_b64 s[42:43], s[40:41]
	s_cbranch_execz .LBB142_274
; %bb.241:                              ;   in Loop: Header=BB142_32 Depth=1
	ds_read_b64 v[4:5], v3 offset:5120
	s_waitcnt lgkmcnt(0)
	s_barrier
	v_readfirstlane_b32 s46, v4
	v_readfirstlane_b32 s47, v5
	s_mov_b64 s[0:1], exec
	v_readlane_b32 s8, v52, 38
	v_readlane_b32 s9, v52, 39
	s_and_b64 s[8:9], s[0:1], s[8:9]
	s_mov_b64 exec, s[8:9]
; %bb.242:                              ;   in Loop: Header=BB142_32 Depth=1
	ds_write_b16 v25, v3
; %bb.243:                              ;   in Loop: Header=BB142_32 Depth=1
	s_or_b64 exec, exec, s[0:1]
	v_or_b32_e32 v30, s64, v30
	v_or_b32_e32 v38, s64, v38
	s_mov_b64 s[0:1], -1
	s_mov_b64 s[44:45], 0
	s_cmp_eq_u64 s[46:47], 0
	s_mov_b64 s[8:9], 0
	s_mov_b64 s[48:49], -1
	s_waitcnt lgkmcnt(0)
	s_barrier
                                        ; implicit-def: $vgpr39
	s_cbranch_scc1 .LBB142_259
; %bb.244:                              ;   in Loop: Header=BB142_32 Depth=1
	v_readlane_b32 s8, v52, 44
	s_add_u32 s52, s46, s8
	v_readlane_b32 s8, v52, 45
	s_addc_u32 s9, s47, s8
	s_mov_b32 s8, s95
	s_cmp_lg_u64 s[8:9], 0
	s_cbranch_scc0 .LBB142_293
; %bb.245:                              ;   in Loop: Header=BB142_32 Depth=1
	v_cvt_f32_u32_e32 v4, s76
	s_sub_u32 s8, 0, s76
	s_subb_u32 s50, 0, 0
	v_mac_f32_e32 v4, 0, v35
	v_rcp_f32_e32 v4, v4
	v_mul_f32_e32 v4, 0x5f7ffffc, v4
	v_mul_f32_e32 v5, 0x2f800000, v4
	v_trunc_f32_e32 v5, v5
	v_mac_f32_e32 v4, 0xcf800000, v5
	v_cvt_u32_f32_e32 v5, v5
	v_cvt_u32_f32_e32 v4, v4
	v_readfirstlane_b32 s51, v5
	v_readfirstlane_b32 s48, v4
	s_mul_i32 s49, s8, s51
	s_mul_hi_u32 s54, s8, s48
	s_mul_i32 s53, s50, s48
	s_add_i32 s49, s54, s49
	s_mul_i32 s55, s8, s48
	s_add_i32 s49, s49, s53
	s_mul_hi_u32 s54, s48, s55
	s_mul_i32 s60, s48, s49
	s_mul_hi_u32 s53, s48, s49
	s_add_u32 s54, s54, s60
	s_addc_u32 s53, 0, s53
	s_mul_hi_u32 s61, s51, s55
	s_mul_i32 s55, s51, s55
	s_add_u32 s54, s54, s55
	s_mul_hi_u32 s60, s51, s49
	s_addc_u32 s53, s53, s61
	s_addc_u32 s54, s60, 0
	s_mul_i32 s49, s51, s49
	s_add_u32 s49, s53, s49
	s_addc_u32 s53, 0, s54
	s_add_u32 s54, s48, s49
	s_cselect_b64 s[48:49], -1, 0
	s_cmp_lg_u64 s[48:49], 0
	s_addc_u32 s51, s51, s53
	s_mul_i32 s48, s8, s51
	s_mul_hi_u32 s49, s8, s54
	s_add_i32 s48, s49, s48
	s_mul_i32 s50, s50, s54
	s_add_i32 s48, s48, s50
	s_mul_i32 s8, s8, s54
	s_mul_hi_u32 s50, s51, s8
	s_mul_i32 s53, s51, s8
	s_mul_i32 s60, s54, s48
	s_mul_hi_u32 s8, s54, s8
	s_mul_hi_u32 s55, s54, s48
	s_add_u32 s8, s8, s60
	s_addc_u32 s55, 0, s55
	s_add_u32 s8, s8, s53
	s_mul_hi_u32 s49, s51, s48
	s_addc_u32 s8, s55, s50
	s_addc_u32 s49, s49, 0
	s_mul_i32 s48, s51, s48
	s_add_u32 s8, s8, s48
	s_addc_u32 s50, 0, s49
	s_add_u32 s8, s54, s8
	s_cselect_b64 s[48:49], -1, 0
	s_cmp_lg_u64 s[48:49], 0
	s_addc_u32 s48, s51, s50
	s_mul_i32 s50, s52, s48
	s_mul_hi_u32 s51, s52, s8
	s_mul_hi_u32 s49, s52, s48
	s_add_u32 s50, s51, s50
	s_addc_u32 s49, 0, s49
	s_mul_hi_u32 s53, s9, s8
	s_mul_i32 s8, s9, s8
	s_add_u32 s8, s50, s8
	s_mul_hi_u32 s51, s9, s48
	s_addc_u32 s8, s49, s53
	s_addc_u32 s49, s51, 0
	s_mul_i32 s48, s9, s48
	s_add_u32 s8, s8, s48
	s_addc_u32 s48, 0, s49
	s_mul_i32 s48, s76, s48
	s_mul_hi_u32 s49, s76, s8
	s_add_i32 s50, s49, s48
	s_mul_i32 s8, s76, s8
	s_sub_u32 s8, s52, s8
	s_cselect_b64 s[48:49], -1, 0
	s_cmp_lg_u64 s[48:49], 0
	s_subb_u32 s50, s9, s50
	s_sub_u32 s51, s8, s76
	s_cselect_b64 s[48:49], -1, 0
	s_cmp_lg_u64 s[48:49], 0
	s_subb_u32 s53, s50, 0
	s_sub_u32 s54, s51, s76
	s_cselect_b64 s[48:49], -1, 0
	s_cmp_lg_u64 s[48:49], 0
	s_subb_u32 s48, s53, 0
	s_cmp_ge_u32 s51, s76
	s_cselect_b32 s49, -1, 0
	s_cmp_eq_u32 s53, 0
	s_cselect_b32 s49, s49, -1
	s_cmp_lg_u32 s49, 0
	s_cselect_b32 s48, s48, s53
	s_cselect_b32 s51, s54, s51
	s_cmp_ge_u32 s8, s76
	s_cselect_b32 s49, -1, 0
	s_cmp_eq_u32 s50, 0
	s_cselect_b32 s49, s49, -1
	s_cmp_lg_u32 s49, 0
	s_cselect_b32 s49, s48, s50
	s_cselect_b32 s48, s51, s8
	s_cbranch_execnz .LBB142_247
.LBB142_246:                            ;   in Loop: Header=BB142_32 Depth=1
	v_cvt_f32_u32_e32 v4, s76
	s_sub_i32 s8, 0, s76
	v_rcp_iflag_f32_e32 v4, v4
	v_mul_f32_e32 v4, 0x4f7ffffe, v4
	v_cvt_u32_f32_e32 v4, v4
	v_readfirstlane_b32 s48, v4
	s_mul_i32 s8, s8, s48
	s_mul_hi_u32 s8, s48, s8
	s_add_i32 s48, s48, s8
	s_mul_hi_u32 s8, s52, s48
	s_mul_i32 s8, s8, s76
	s_sub_i32 s8, s52, s8
	s_sub_i32 s48, s8, s76
	s_cmp_ge_u32 s8, s76
	s_cselect_b32 s8, s48, s8
	s_sub_i32 s48, s8, s76
	s_cmp_ge_u32 s8, s76
	s_cselect_b32 s94, s48, s8
	s_mov_b64 s[48:49], s[94:95]
.LBB142_247:                            ;   in Loop: Header=BB142_32 Depth=1
	s_sub_u32 s52, s52, s48
	s_subb_u32 s53, s9, s49
	v_cmp_gt_u64_e32 vcc, s[52:53], v[0:1]
	s_mov_b64 s[48:49], 0
	s_mov_b64 s[8:9], 0
                                        ; implicit-def: $vgpr39
	s_and_saveexec_b64 s[50:51], vcc
	s_cbranch_execz .LBB142_258
; %bb.248:                              ;   in Loop: Header=BB142_32 Depth=1
	v_mov_b32_e32 v5, v1
	v_mov_b32_e32 v8, v24
	;; [unrolled: 1-line block ×3, first 2 shown]
                                        ; implicit-def: $sgpr54_sgpr55
	s_branch .LBB142_251
.LBB142_249:                            ;   in Loop: Header=BB142_251 Depth=2
	s_or_b64 exec, exec, s[60:61]
	s_waitcnt lgkmcnt(0)
	s_barrier
	ds_read_b32 v9, v3 offset:3072
	s_mov_b64 s[60:61], -1
	s_mov_b64 s[62:63], -1
	s_waitcnt lgkmcnt(0)
	s_barrier
	v_and_b32_e32 v10, 0x7fff, v9
	v_cmp_ne_u32_e32 vcc, 0, v10
	s_cbranch_vccz .LBB142_254
.LBB142_250:                            ;   in Loop: Header=BB142_251 Depth=2
	s_and_b64 s[60:61], exec, s[60:61]
	s_or_b64 s[8:9], s[60:61], s[8:9]
	s_andn2_b64 s[54:55], s[54:55], exec
	s_and_b64 s[60:61], s[62:63], exec
	s_or_b64 s[54:55], s[54:55], s[60:61]
	s_andn2_b64 exec, exec, s[8:9]
	s_cbranch_execz .LBB142_257
.LBB142_251:                            ;   Parent Loop BB142_32 Depth=1
                                        ; =>  This Inner Loop Header: Depth=2
	v_cmp_gt_u64_e32 vcc, s[46:47], v[4:5]
	s_and_saveexec_b64 s[60:61], vcc
	s_cbranch_execz .LBB142_249
; %bb.252:                              ;   in Loop: Header=BB142_251 Depth=2
	ds_read_u16 v9, v8
	s_waitcnt lgkmcnt(0)
	v_cmp_lt_i16_e32 vcc, -1, v9
	v_cndmask_b32_e32 v10, v33, v34, vcc
	v_lshlrev_b32_e32 v11, 16, v9
	v_cmp_o_f32_e32 vcc, v11, v11
	v_xor_b32_sdwa v10, v10, v9 dst_sel:DWORD dst_unused:UNUSED_PAD src0_sel:DWORD src1_sel:WORD_0
	v_cndmask_b32_e32 v10, v33, v10, vcc
	v_and_b32_e32 v10, v10, v38
	v_cmp_eq_u32_e32 vcc, v10, v30
	s_and_b64 exec, exec, vcc
	s_cbranch_execz .LBB142_249
; %bb.253:                              ;   in Loop: Header=BB142_251 Depth=2
	v_perm_b32 v9, v9, s39, v37
	ds_write_b32 v3, v9 offset:3072
	s_branch .LBB142_249
.LBB142_254:                            ;   in Loop: Header=BB142_251 Depth=2
	v_add_co_u32_e32 v4, vcc, s76, v4
	v_addc_co_u32_e32 v5, vcc, 0, v5, vcc
	v_cmp_le_u64_e32 vcc, s[52:53], v[4:5]
	v_add_u32_e32 v8, s38, v8
	s_mov_b64 s[62:63], 0
	s_orn2_b64 s[60:61], vcc, exec
	s_branch .LBB142_250
.LBB142_255:                            ;   in Loop: Header=BB142_32 Depth=1
                                        ; implicit-def: $sgpr42_sgpr43
	s_branch .LBB142_201
.LBB142_256:                            ;   in Loop: Header=BB142_32 Depth=1
                                        ; implicit-def: $sgpr8_sgpr9
	s_branch .LBB142_217
.LBB142_257:                            ;   in Loop: Header=BB142_32 Depth=1
	s_or_b64 exec, exec, s[8:9]
	v_lshrrev_b32_e32 v39, 16, v9
	s_and_b64 s[8:9], s[54:55], exec
.LBB142_258:                            ;   in Loop: Header=BB142_32 Depth=1
	s_or_b64 exec, exec, s[50:51]
.LBB142_259:                            ;   in Loop: Header=BB142_32 Depth=1
	s_and_b64 vcc, exec, s[48:49]
	s_cbranch_vccz .LBB142_273
; %bb.260:                              ;   in Loop: Header=BB142_32 Depth=1
	s_mov_b32 s68, s95
	s_cmp_lg_u64 s[68:69], 0
	s_cbranch_scc0 .LBB142_294
; %bb.261:                              ;   in Loop: Header=BB142_32 Depth=1
	v_cvt_f32_u32_e32 v4, s76
	s_sub_u32 s44, 0, s76
	s_subb_u32 s45, 0, 0
	v_mac_f32_e32 v4, 0, v35
	v_rcp_f32_e32 v4, v4
	v_mul_f32_e32 v4, 0x5f7ffffc, v4
	v_mul_f32_e32 v5, 0x2f800000, v4
	v_trunc_f32_e32 v5, v5
	v_mac_f32_e32 v4, 0xcf800000, v5
	v_cvt_u32_f32_e32 v5, v5
	v_cvt_u32_f32_e32 v4, v4
	v_readfirstlane_b32 s46, v5
	v_readfirstlane_b32 s0, v4
	s_mul_i32 s1, s44, s46
	s_mul_hi_u32 s48, s44, s0
	s_mul_i32 s47, s45, s0
	s_add_i32 s1, s48, s1
	s_mul_i32 s49, s44, s0
	s_add_i32 s1, s1, s47
	s_mul_hi_u32 s48, s0, s49
	s_mul_i32 s50, s0, s1
	s_mul_hi_u32 s47, s0, s1
	s_add_u32 s48, s48, s50
	s_addc_u32 s47, 0, s47
	s_mul_hi_u32 s51, s46, s49
	s_mul_i32 s49, s46, s49
	s_add_u32 s48, s48, s49
	s_mul_hi_u32 s50, s46, s1
	s_addc_u32 s47, s47, s51
	s_addc_u32 s48, s50, 0
	s_mul_i32 s1, s46, s1
	s_add_u32 s1, s47, s1
	s_addc_u32 s47, 0, s48
	s_add_u32 s48, s0, s1
	s_cselect_b64 s[0:1], -1, 0
	s_cmp_lg_u64 s[0:1], 0
	s_addc_u32 s46, s46, s47
	s_mul_i32 s0, s44, s46
	s_mul_hi_u32 s1, s44, s48
	s_add_i32 s0, s1, s0
	s_mul_i32 s45, s45, s48
	s_add_i32 s0, s0, s45
	s_mul_i32 s44, s44, s48
	s_mul_hi_u32 s45, s46, s44
	s_mul_i32 s47, s46, s44
	s_mul_i32 s50, s48, s0
	s_mul_hi_u32 s44, s48, s44
	s_mul_hi_u32 s49, s48, s0
	s_add_u32 s44, s44, s50
	s_addc_u32 s49, 0, s49
	s_add_u32 s44, s44, s47
	s_mul_hi_u32 s1, s46, s0
	s_addc_u32 s44, s49, s45
	s_addc_u32 s1, s1, 0
	s_mul_i32 s0, s46, s0
	s_add_u32 s0, s44, s0
	s_addc_u32 s44, 0, s1
	s_add_u32 s45, s48, s0
	s_cselect_b64 s[0:1], -1, 0
	s_cmp_lg_u64 s[0:1], 0
	s_addc_u32 s0, s46, s44
	s_mul_i32 s44, s2, s0
	s_mul_hi_u32 s46, s2, s45
	s_mul_hi_u32 s1, s2, s0
	s_add_u32 s44, s46, s44
	s_addc_u32 s1, 0, s1
	s_mul_hi_u32 s47, s69, s45
	s_mul_i32 s45, s69, s45
	s_add_u32 s44, s44, s45
	s_mul_hi_u32 s46, s69, s0
	s_addc_u32 s1, s1, s47
	s_addc_u32 s44, s46, 0
	s_mul_i32 s0, s69, s0
	s_add_u32 s0, s1, s0
	s_addc_u32 s1, 0, s44
	s_mul_i32 s1, s76, s1
	s_mul_hi_u32 s44, s76, s0
	s_add_i32 s44, s44, s1
	s_mul_i32 s0, s76, s0
	s_sub_u32 s45, s2, s0
	s_cselect_b64 s[0:1], -1, 0
	s_cmp_lg_u64 s[0:1], 0
	s_subb_u32 s44, s69, s44
	s_sub_u32 s46, s45, s76
	s_cselect_b64 s[0:1], -1, 0
	s_cmp_lg_u64 s[0:1], 0
	s_subb_u32 s47, s44, 0
	;; [unrolled: 4-line block ×3, first 2 shown]
	s_cmp_ge_u32 s46, s76
	s_cselect_b32 s1, -1, 0
	s_cmp_eq_u32 s47, 0
	s_cselect_b32 s1, s1, -1
	s_cmp_lg_u32 s1, 0
	s_cselect_b32 s0, s0, s47
	s_cselect_b32 s46, s48, s46
	s_cmp_ge_u32 s45, s76
	s_cselect_b32 s1, -1, 0
	s_cmp_eq_u32 s44, 0
	s_cselect_b32 s1, s1, -1
	s_cmp_lg_u32 s1, 0
	s_cselect_b32 s1, s0, s44
	s_cselect_b32 s0, s46, s45
	s_cbranch_execnz .LBB142_263
.LBB142_262:                            ;   in Loop: Header=BB142_32 Depth=1
	v_cvt_f32_u32_e32 v4, s76
	s_sub_i32 s0, 0, s76
	v_rcp_iflag_f32_e32 v4, v4
	v_mul_f32_e32 v4, 0x4f7ffffe, v4
	v_cvt_u32_f32_e32 v4, v4
	v_readfirstlane_b32 s1, v4
	s_mul_i32 s0, s0, s1
	s_mul_hi_u32 s0, s1, s0
	s_add_i32 s1, s1, s0
	s_mul_hi_u32 s0, s2, s1
	s_mul_i32 s0, s0, s76
	s_sub_i32 s0, s2, s0
	s_sub_i32 s1, s0, s76
	s_cmp_ge_u32 s0, s76
	s_cselect_b32 s0, s1, s0
	s_sub_i32 s1, s0, s76
	s_cmp_ge_u32 s0, s76
	s_cselect_b32 s94, s1, s0
	s_mov_b64 s[0:1], s[94:95]
.LBB142_263:                            ;   in Loop: Header=BB142_32 Depth=1
	s_sub_u32 s44, s2, s0
	s_subb_u32 s45, s69, s1
	v_cmp_gt_u64_e32 vcc, s[44:45], v[0:1]
                                        ; implicit-def: $vgpr39
	s_and_saveexec_b64 s[0:1], vcc
	s_cbranch_execz .LBB142_272
; %bb.264:                              ;   in Loop: Header=BB142_32 Depth=1
	v_mov_b32_e32 v5, v1
	s_mov_b64 s[46:47], 0
	v_mov_b32_e32 v4, v0
                                        ; implicit-def: $sgpr48_sgpr49
	s_branch .LBB142_267
.LBB142_265:                            ;   in Loop: Header=BB142_267 Depth=2
	s_or_b64 exec, exec, s[50:51]
	s_waitcnt lgkmcnt(0)
	s_barrier
	ds_read_b32 v8, v3 offset:3072
	s_mov_b64 s[50:51], -1
	s_mov_b64 s[52:53], -1
	s_waitcnt lgkmcnt(0)
	s_barrier
	v_and_b32_e32 v9, 0x7fff, v8
	v_cmp_eq_u32_e32 vcc, 0, v9
	s_cbranch_vccnz .LBB142_270
.LBB142_266:                            ;   in Loop: Header=BB142_267 Depth=2
	s_and_b64 s[50:51], exec, s[50:51]
	s_or_b64 s[46:47], s[50:51], s[46:47]
	s_andn2_b64 s[48:49], s[48:49], exec
	s_and_b64 s[50:51], s[52:53], exec
	s_or_b64 s[48:49], s[48:49], s[50:51]
	s_andn2_b64 exec, exec, s[46:47]
	s_cbranch_execz .LBB142_271
.LBB142_267:                            ;   Parent Loop BB142_32 Depth=1
                                        ; =>  This Inner Loop Header: Depth=2
	v_cmp_gt_u64_e32 vcc, s[56:57], v[4:5]
	s_and_saveexec_b64 s[50:51], vcc
	s_cbranch_execz .LBB142_265
; %bb.268:                              ;   in Loop: Header=BB142_267 Depth=2
	v_mul_lo_u32 v10, v5, s80
	v_mul_lo_u32 v11, v4, s81
	v_mad_u64_u32 v[8:9], s[52:53], v4, s80, 0
	v_add3_u32 v9, v9, v11, v10
	v_lshlrev_b64 v[8:9], 1, v[8:9]
	v_mov_b32_e32 v10, s77
	v_add_co_u32_e32 v8, vcc, s33, v8
	v_addc_co_u32_e32 v9, vcc, v10, v9, vcc
	global_load_ushort v8, v[8:9], off
	s_waitcnt vmcnt(0)
	v_cmp_lt_i16_e32 vcc, -1, v8
	v_cndmask_b32_e32 v9, v33, v34, vcc
	v_lshlrev_b32_e32 v10, 16, v8
	v_xor_b32_sdwa v9, v9, v8 dst_sel:DWORD dst_unused:UNUSED_PAD src0_sel:DWORD src1_sel:WORD_0
	v_cmp_o_f32_e32 vcc, v10, v10
	v_cndmask_b32_e32 v9, v33, v9, vcc
	v_and_b32_e32 v9, v9, v38
	v_cmp_eq_u32_e32 vcc, v9, v30
	s_and_b64 exec, exec, vcc
	s_cbranch_execz .LBB142_265
; %bb.269:                              ;   in Loop: Header=BB142_267 Depth=2
	v_perm_b32 v8, v8, s39, v37
	ds_write_b32 v3, v8 offset:3072
	s_branch .LBB142_265
.LBB142_270:                            ;   in Loop: Header=BB142_267 Depth=2
	v_add_co_u32_e32 v4, vcc, s76, v4
	v_addc_co_u32_e32 v5, vcc, 0, v5, vcc
	v_cmp_le_u64_e32 vcc, s[44:45], v[4:5]
	s_mov_b64 s[52:53], 0
	s_orn2_b64 s[50:51], vcc, exec
	s_branch .LBB142_266
.LBB142_271:                            ;   in Loop: Header=BB142_32 Depth=1
	s_or_b64 exec, exec, s[46:47]
	s_andn2_b64 s[8:9], s[8:9], exec
	s_and_b64 s[44:45], s[48:49], exec
	v_lshrrev_b32_e32 v39, 16, v8
	s_or_b64 s[8:9], s[8:9], s[44:45]
.LBB142_272:                            ;   in Loop: Header=BB142_32 Depth=1
	s_or_b64 exec, exec, s[0:1]
	s_mov_b64 s[0:1], 0
	s_mov_b64 s[44:45], -1
.LBB142_273:                            ;   in Loop: Header=BB142_32 Depth=1
	s_orn2_b64 s[46:47], s[8:9], exec
.LBB142_274:                            ;   in Loop: Header=BB142_32 Depth=1
	s_or_b64 exec, exec, s[42:43]
	s_mov_b64 s[42:43], 0
	s_and_saveexec_b64 s[8:9], s[46:47]
	s_cbranch_execz .LBB142_285
; %bb.275:                              ;   in Loop: Header=BB142_32 Depth=1
	v_mov_b32_e32 v4, 1
	s_xor_b64 s[42:43], s[40:41], -1
	v_mov_b32_e32 v5, 0
	v_mov_b32_e32 v2, 1
	s_and_saveexec_b64 s[40:41], s[42:43]
	s_cbranch_execz .LBB142_284
; %bb.276:                              ;   in Loop: Header=BB142_32 Depth=1
	v_cmp_ge_u64_e32 vcc, s[14:15], v[6:7]
	s_and_saveexec_b64 s[42:43], vcc
	s_xor_b64 s[42:43], exec, s[42:43]
	s_cbranch_execz .LBB142_281
; %bb.277:                              ;   in Loop: Header=BB142_32 Depth=1
	ds_read_b64 v[4:5], v3 offset:5120
	v_or_b32_e32 v30, s64, v30
	v_or_b32_e32 v38, s64, v38
	s_waitcnt lgkmcnt(0)
	v_cmp_ne_u64_e32 vcc, 0, v[4:5]
	s_cbranch_vccnz .LBB142_281
; %bb.278:                              ;   in Loop: Header=BB142_32 Depth=1
	s_mov_b64 s[46:47], exec
	v_readlane_b32 s48, v52, 36
	v_readlane_b32 s49, v52, 37
	s_and_b64 s[48:49], s[46:47], s[48:49]
	s_mov_b64 exec, s[48:49]
; %bb.279:                              ;   in Loop: Header=BB142_32 Depth=1
	v_mov_b32_e32 v4, s14
	v_mov_b32_e32 v5, s15
	ds_write_b64 v3, v[4:5] offset:5128
; %bb.280:                              ;   in Loop: Header=BB142_32 Depth=1
	s_or_b64 exec, exec, s[46:47]
	s_waitcnt lgkmcnt(0)
	s_barrier
.LBB142_281:                            ;   in Loop: Header=BB142_32 Depth=1
	s_andn2_saveexec_b64 s[42:43], s[42:43]
; %bb.282:                              ;   in Loop: Header=BB142_32 Depth=1
	v_mov_b32_e32 v2, s15
	v_subrev_co_u32_e32 v6, vcc, s14, v6
	v_subb_co_u32_e32 v7, vcc, v7, v2, vcc
; %bb.283:                              ;   in Loop: Header=BB142_32 Depth=1
	s_or_b64 exec, exec, s[42:43]
	v_mov_b32_e32 v4, v6
	v_mov_b32_e32 v2, 8
	;; [unrolled: 1-line block ×3, first 2 shown]
.LBB142_284:                            ;   in Loop: Header=BB142_32 Depth=1
	s_or_b64 exec, exec, s[40:41]
	v_mov_b32_e32 v7, v5
	s_mov_b64 s[42:43], exec
	v_mov_b32_e32 v6, v4
.LBB142_285:                            ;   in Loop: Header=BB142_32 Depth=1
	s_or_b64 exec, exec, s[8:9]
	s_orn2_b64 s[8:9], s[42:43], exec
.LBB142_286:                            ;   in Loop: Header=BB142_32 Depth=1
	s_or_b64 exec, exec, s[22:23]
	s_andn2_b64 s[14:15], s[34:35], exec
	s_and_b64 s[22:23], s[44:45], exec
	s_or_b64 s[34:35], s[14:15], s[22:23]
	s_andn2_b64 s[14:15], s[30:31], exec
	s_and_b64 s[0:1], s[0:1], exec
	v_mov_b32_e32 v4, v6
	s_or_b64 s[30:31], s[14:15], s[0:1]
	s_and_b64 s[8:9], s[8:9], exec
	v_mov_b32_e32 v5, v7
.LBB142_287:                            ;   in Loop: Header=BB142_32 Depth=1
	s_or_b64 exec, exec, s[36:37]
	s_orn2_b64 s[0:1], s[8:9], exec
.LBB142_288:                            ;   in Loop: Header=BB142_32 Depth=1
	s_or_b64 exec, exec, s[28:29]
	s_andn2_b64 s[8:9], s[24:25], exec
	s_and_b64 s[14:15], s[34:35], exec
	s_or_b64 s[24:25], s[8:9], s[14:15]
	s_andn2_b64 s[6:7], s[6:7], exec
	s_and_b64 s[8:9], s[30:31], exec
	v_mov_b32_e32 v9, v5
	s_or_b64 s[6:7], s[6:7], s[8:9]
	s_and_b64 s[8:9], s[0:1], exec
	v_mov_b32_e32 v8, v4
.LBB142_289:                            ;   in Loop: Header=BB142_32 Depth=1
	s_or_b64 exec, exec, s[26:27]
	s_orn2_b64 s[0:1], s[8:9], exec
.LBB142_290:                            ;   in Loop: Header=BB142_32 Depth=1
	s_or_b64 exec, exec, s[20:21]
	s_mov_b64 s[8:9], 0
	s_and_saveexec_b64 s[14:15], s[0:1]
	s_xor_b64 s[0:1], exec, s[14:15]
	s_cbranch_execz .LBB142_30
; %bb.291:                              ;   in Loop: Header=BB142_32 Depth=1
	v_and_b32_e32 v2, 7, v2
	v_cmp_eq_u32_e32 vcc, 0, v2
	s_mov_b64 s[14:15], -1
	s_mov_b64 s[8:9], -1
	s_and_saveexec_b64 s[18:19], vcc
	s_cbranch_execz .LBB142_29
; %bb.292:                              ;   in Loop: Header=BB142_32 Depth=1
	s_xor_b32 s88, s88, 1
	s_add_i32 s20, s86, -2
	s_cmp_eq_u32 s86, 0
	s_cselect_b64 s[14:15], -1, 0
	s_xor_b64 s[8:9], exec, -1
	s_orn2_b64 s[14:15], s[14:15], exec
	s_mov_b32 s86, s20
	s_branch .LBB142_29
.LBB142_293:                            ;   in Loop: Header=BB142_32 Depth=1
                                        ; implicit-def: $sgpr48_sgpr49
	s_branch .LBB142_246
.LBB142_294:                            ;   in Loop: Header=BB142_32 Depth=1
                                        ; implicit-def: $sgpr0_sgpr1
	s_branch .LBB142_262
.LBB142_295:
	s_or_b64 exec, exec, s[12:13]
	s_xor_b64 s[4:5], s[72:73], -1
	s_xor_b64 s[2:3], s[90:91], -1
	;; [unrolled: 1-line block ×3, first 2 shown]
	s_mov_b64 s[0:1], 0
	s_and_saveexec_b64 s[8:9], s[2:3]
	s_xor_b64 s[2:3], exec, s[8:9]
	s_cbranch_execnz .LBB142_300
; %bb.296:
	s_andn2_saveexec_b64 s[2:3], s[2:3]
	s_cbranch_execnz .LBB142_313
.LBB142_297:
	s_or_b64 exec, exec, s[2:3]
	s_and_saveexec_b64 s[2:3], s[0:1]
.LBB142_298:
	; divergent unreachable
.LBB142_299:
	s_endpgm
.LBB142_300:
	s_and_saveexec_b64 s[0:1], s[4:5]
	s_xor_b64 s[4:5], exec, s[0:1]
	s_cbranch_execz .LBB142_311
; %bb.301:
	s_and_saveexec_b64 s[0:1], s[6:7]
	s_xor_b64 s[0:1], exec, s[0:1]
; %bb.302:
	v_and_b32_e32 v2, 0x8000, v30
	v_mov_b32_e32 v3, 0x8000
	v_mov_b32_e32 v4, 0xffff
	v_cmp_eq_u32_e32 vcc, 0, v2
	v_cndmask_b32_e32 v2, v3, v4, vcc
	v_xor_b32_e32 v39, v2, v30
; %bb.303:
	s_or_b64 exec, exec, s[0:1]
	v_readlane_b32 s8, v52, 12
	v_readlane_b32 s0, v52, 4
	;; [unrolled: 1-line block ×4, first 2 shown]
	s_mov_b32 s14, s0
	s_mul_i32 s0, s0, s9
	s_mul_hi_u32 s1, s14, s8
	s_add_i32 s1, s1, s0
	s_mul_i32 s0, s14, s8
	v_readlane_b32 s12, v52, 6
	v_readlane_b32 s16, v52, 24
	;; [unrolled: 1-line block ×3, first 2 shown]
	s_sub_u32 s0, s12, s0
	v_readlane_b32 s18, v52, 26
	v_readlane_b32 s19, v52, 27
	s_subb_u32 s1, s13, s1
	s_mul_i32 s6, s0, s19
	s_mul_hi_u32 s7, s0, s18
	v_readlane_b32 s10, v52, 14
	v_readlane_b32 s11, v52, 15
	;; [unrolled: 1-line block ×3, first 2 shown]
	s_add_i32 s6, s7, s6
	s_mul_i32 s1, s1, s18
	s_add_i32 s1, s6, s1
	s_mul_i32 s6, s14, s17
	s_mul_hi_u32 s7, s14, s16
	s_mul_i32 s8, s12, s11
	s_mul_hi_u32 s9, s12, s10
	s_add_i32 s7, s7, s6
	s_add_i32 s9, s9, s8
	s_mul_i32 s8, s12, s10
	v_readlane_b32 s10, v52, 32
	v_readlane_b32 s12, v52, 22
	;; [unrolled: 1-line block ×3, first 2 shown]
	s_sub_u32 s8, s10, s8
	v_readlane_b32 s13, v52, 23
	s_subb_u32 s9, 0, s9
	s_mul_i32 s10, s8, s13
	s_mul_hi_u32 s11, s8, s12
	s_mul_i32 s6, s14, s16
	s_add_i32 s10, s11, s10
	s_mul_i32 s9, s9, s12
	s_add_i32 s9, s10, s9
	s_lshl_b64 s[6:7], s[6:7], 1
	v_readlane_b32 s10, v52, 30
	s_mul_i32 s0, s0, s18
	v_readlane_b32 s11, v52, 31
	s_add_u32 s6, s10, s6
	s_addc_u32 s7, s11, s7
	s_lshl_b64 s[0:1], s[0:1], 1
	s_mul_i32 s8, s8, s12
	s_add_u32 s6, s6, s0
	s_addc_u32 s7, s7, s1
	s_lshl_b64 s[0:1], s[8:9], 1
	s_add_u32 s0, s6, s0
	s_addc_u32 s1, s7, s1
	v_mov_b32_e32 v2, 0
	global_store_short v2, v39, s[0:1]
	s_mov_b64 s[6:7], exec
	v_readlane_b32 s0, v52, 34
	v_readlane_b32 s1, v52, 35
	s_and_b64 s[0:1], s[6:7], s[0:1]
	s_mov_b64 exec, s[0:1]
	s_cbranch_execz .LBB142_310
; %bb.304:
	v_lshlrev_b32_e32 v4, 16, v39
	v_cmp_u_f32_e32 vcc, v4, v4
	s_mov_b64 s[8:9], 0
	v_mov_b32_e32 v5, s77
	s_xor_b64 s[12:13], vcc, -1
                                        ; implicit-def: $sgpr10_sgpr11
                                        ; implicit-def: $sgpr16_sgpr17
                                        ; implicit-def: $sgpr14_sgpr15
	s_branch .LBB142_306
.LBB142_305:                            ;   in Loop: Header=BB142_306 Depth=1
	s_or_b64 exec, exec, s[0:1]
	s_and_b64 s[0:1], exec, s[16:17]
	s_or_b64 s[8:9], s[0:1], s[8:9]
	s_andn2_b64 s[0:1], s[10:11], exec
	s_and_b64 s[10:11], s[14:15], exec
	s_or_b64 s[10:11], s[0:1], s[10:11]
	s_andn2_b64 exec, exec, s[8:9]
	s_cbranch_execz .LBB142_308
.LBB142_306:                            ; =>This Inner Loop Header: Depth=1
	v_mov_b32_e32 v3, v1
	v_mov_b32_e32 v2, v0
	v_mul_lo_u32 v6, v3, s80
	v_mul_lo_u32 v7, v2, s81
	v_mad_u64_u32 v[0:1], s[0:1], v2, s80, 0
	s_or_b64 s[14:15], s[14:15], exec
	s_or_b64 s[16:17], s[16:17], exec
	v_add3_u32 v1, v1, v7, v6
	v_lshlrev_b64 v[0:1], 1, v[0:1]
	v_add_co_u32_e32 v0, vcc, s33, v0
	v_addc_co_u32_e32 v1, vcc, v5, v1, vcc
	global_load_ushort v0, v[0:1], off
	s_waitcnt vmcnt(0)
	v_lshlrev_b32_e32 v0, 16, v0
	v_cmp_o_f32_e64 s[0:1], v0, v0
	v_cmp_neq_f32_e32 vcc, v0, v4
	s_or_b64 s[0:1], s[12:13], s[0:1]
	s_and_b64 s[18:19], vcc, s[0:1]
                                        ; implicit-def: $vgpr0_vgpr1
	s_and_saveexec_b64 s[0:1], s[18:19]
	s_cbranch_execz .LBB142_305
; %bb.307:                              ;   in Loop: Header=BB142_306 Depth=1
	v_add_co_u32_e32 v0, vcc, s76, v2
	v_addc_co_u32_e32 v1, vcc, 0, v3, vcc
	v_cmp_le_u64_e32 vcc, s[56:57], v[0:1]
	s_andn2_b64 s[16:17], s[16:17], exec
	s_and_b64 s[18:19], vcc, exec
	s_andn2_b64 s[14:15], s[14:15], exec
	s_or_b64 s[16:17], s[16:17], s[18:19]
	s_branch .LBB142_305
.LBB142_308:
	s_or_b64 exec, exec, s[8:9]
	s_and_saveexec_b64 s[0:1], s[10:11]
	s_xor_b64 s[0:1], exec, s[0:1]
	s_cbranch_execz .LBB142_310
; %bb.309:
	v_readlane_b32 s12, v52, 0
	v_readlane_b32 s0, v52, 8
	;; [unrolled: 1-line block ×4, first 2 shown]
	s_mov_b32 s10, s0
	s_mul_i32 s0, s0, s13
	s_mul_hi_u32 s1, s10, s12
	s_add_i32 s1, s1, s0
	s_mul_i32 s0, s10, s12
	v_readlane_b32 s12, v52, 10
	v_readlane_b32 s16, v52, 18
	;; [unrolled: 1-line block ×3, first 2 shown]
	s_sub_u32 s0, s12, s0
	v_readlane_b32 s18, v52, 20
	v_readlane_b32 s19, v52, 21
	s_subb_u32 s1, s13, s1
	s_mul_i32 s8, s0, s19
	s_mul_hi_u32 s9, s0, s18
	v_readlane_b32 s17, v52, 19
	s_add_i32 s8, s9, s8
	s_mul_i32 s1, s1, s18
	v_readlane_b32 s14, v52, 2
	v_readlane_b32 s15, v52, 3
	s_add_i32 s1, s8, s1
	s_mul_i32 s8, s10, s17
	s_mul_hi_u32 s9, s10, s16
	s_add_i32 s9, s9, s8
	s_mul_i32 s8, s10, s16
	s_mul_i32 s10, s12, s15
	s_mul_hi_u32 s11, s12, s14
	s_add_i32 s11, s11, s10
	s_mul_i32 s10, s12, s14
	v_readlane_b32 s12, v52, 32
	v_readlane_b32 s14, v52, 16
	;; [unrolled: 1-line block ×3, first 2 shown]
	s_sub_u32 s10, s12, s10
	v_readlane_b32 s15, v52, 17
	s_subb_u32 s11, 0, s11
	s_mul_i32 s12, s10, s15
	s_mul_hi_u32 s13, s10, s14
	s_add_i32 s12, s13, s12
	s_mul_i32 s11, s11, s14
	s_add_i32 s11, s12, s11
	s_lshl_b64 s[8:9], s[8:9], 3
	v_readlane_b32 s12, v52, 28
	s_mul_i32 s0, s0, s18
	v_readlane_b32 s13, v52, 29
	s_add_u32 s8, s12, s8
	s_addc_u32 s9, s13, s9
	s_lshl_b64 s[0:1], s[0:1], 3
	s_mul_i32 s10, s10, s14
	s_add_u32 s8, s8, s0
	s_addc_u32 s9, s9, s1
	s_lshl_b64 s[0:1], s[10:11], 3
	s_add_u32 s0, s8, s0
	s_addc_u32 s1, s9, s1
	v_mov_b32_e32 v0, 0
	global_store_dwordx2 v0, v[2:3], s[0:1]
.LBB142_310:
	s_or_b64 exec, exec, s[6:7]
.LBB142_311:
	s_or_saveexec_b64 s[0:1], s[4:5]
	s_mov_b64 s[4:5], 0
	s_xor_b64 exec, exec, s[0:1]
	s_cbranch_execnz .LBB142_314
.LBB142_312:
	s_or_b64 exec, exec, s[0:1]
	s_and_b64 s[0:1], s[4:5], exec
	s_andn2_saveexec_b64 s[2:3], s[2:3]
	s_cbranch_execz .LBB142_297
.LBB142_313:
	s_or_b64 s[0:1], s[0:1], exec
	s_trap 2
	s_or_b64 exec, exec, s[2:3]
	s_and_saveexec_b64 s[2:3], s[0:1]
	s_cbranch_execnz .LBB142_298
	s_branch .LBB142_299
.LBB142_314:
	s_mov_b64 s[4:5], exec
	s_trap 2
	s_branch .LBB142_312
	.section	.rodata,"a",@progbits
	.p2align	6, 0x0
	.amdhsa_kernel _ZN2at6native12_GLOBAL__N_112gatherMedianIN3c108BFloat16EmLi3EEEvNS_4cuda6detail10TensorInfoIT_T0_EENS7_IlS9_EENS7_IKS8_S9_EES9_S9_S9_b
		.amdhsa_group_segment_fixed_size 5152
		.amdhsa_private_segment_fixed_size 0
		.amdhsa_kernarg_size 1536
		.amdhsa_user_sgpr_count 6
		.amdhsa_user_sgpr_private_segment_buffer 1
		.amdhsa_user_sgpr_dispatch_ptr 0
		.amdhsa_user_sgpr_queue_ptr 0
		.amdhsa_user_sgpr_kernarg_segment_ptr 1
		.amdhsa_user_sgpr_dispatch_id 0
		.amdhsa_user_sgpr_flat_scratch_init 0
		.amdhsa_user_sgpr_private_segment_size 0
		.amdhsa_uses_dynamic_stack 0
		.amdhsa_system_sgpr_private_segment_wavefront_offset 0
		.amdhsa_system_sgpr_workgroup_id_x 1
		.amdhsa_system_sgpr_workgroup_id_y 1
		.amdhsa_system_sgpr_workgroup_id_z 1
		.amdhsa_system_sgpr_workgroup_info 0
		.amdhsa_system_vgpr_workitem_id 0
		.amdhsa_next_free_vgpr 53
		.amdhsa_next_free_sgpr 96
		.amdhsa_reserve_vcc 1
		.amdhsa_reserve_flat_scratch 0
		.amdhsa_float_round_mode_32 0
		.amdhsa_float_round_mode_16_64 0
		.amdhsa_float_denorm_mode_32 3
		.amdhsa_float_denorm_mode_16_64 3
		.amdhsa_dx10_clamp 1
		.amdhsa_ieee_mode 1
		.amdhsa_fp16_overflow 0
		.amdhsa_exception_fp_ieee_invalid_op 0
		.amdhsa_exception_fp_denorm_src 0
		.amdhsa_exception_fp_ieee_div_zero 0
		.amdhsa_exception_fp_ieee_overflow 0
		.amdhsa_exception_fp_ieee_underflow 0
		.amdhsa_exception_fp_ieee_inexact 0
		.amdhsa_exception_int_div_zero 0
	.end_amdhsa_kernel
	.section	.text._ZN2at6native12_GLOBAL__N_112gatherMedianIN3c108BFloat16EmLi3EEEvNS_4cuda6detail10TensorInfoIT_T0_EENS7_IlS9_EENS7_IKS8_S9_EES9_S9_S9_b,"axG",@progbits,_ZN2at6native12_GLOBAL__N_112gatherMedianIN3c108BFloat16EmLi3EEEvNS_4cuda6detail10TensorInfoIT_T0_EENS7_IlS9_EENS7_IKS8_S9_EES9_S9_S9_b,comdat
.Lfunc_end142:
	.size	_ZN2at6native12_GLOBAL__N_112gatherMedianIN3c108BFloat16EmLi3EEEvNS_4cuda6detail10TensorInfoIT_T0_EENS7_IlS9_EENS7_IKS8_S9_EES9_S9_S9_b, .Lfunc_end142-_ZN2at6native12_GLOBAL__N_112gatherMedianIN3c108BFloat16EmLi3EEEvNS_4cuda6detail10TensorInfoIT_T0_EENS7_IlS9_EENS7_IKS8_S9_EES9_S9_S9_b
                                        ; -- End function
	.set _ZN2at6native12_GLOBAL__N_112gatherMedianIN3c108BFloat16EmLi3EEEvNS_4cuda6detail10TensorInfoIT_T0_EENS7_IlS9_EENS7_IKS8_S9_EES9_S9_S9_b.num_vgpr, 53
	.set _ZN2at6native12_GLOBAL__N_112gatherMedianIN3c108BFloat16EmLi3EEEvNS_4cuda6detail10TensorInfoIT_T0_EENS7_IlS9_EENS7_IKS8_S9_EES9_S9_S9_b.num_agpr, 0
	.set _ZN2at6native12_GLOBAL__N_112gatherMedianIN3c108BFloat16EmLi3EEEvNS_4cuda6detail10TensorInfoIT_T0_EENS7_IlS9_EENS7_IKS8_S9_EES9_S9_S9_b.numbered_sgpr, 96
	.set _ZN2at6native12_GLOBAL__N_112gatherMedianIN3c108BFloat16EmLi3EEEvNS_4cuda6detail10TensorInfoIT_T0_EENS7_IlS9_EENS7_IKS8_S9_EES9_S9_S9_b.num_named_barrier, 0
	.set _ZN2at6native12_GLOBAL__N_112gatherMedianIN3c108BFloat16EmLi3EEEvNS_4cuda6detail10TensorInfoIT_T0_EENS7_IlS9_EENS7_IKS8_S9_EES9_S9_S9_b.private_seg_size, 0
	.set _ZN2at6native12_GLOBAL__N_112gatherMedianIN3c108BFloat16EmLi3EEEvNS_4cuda6detail10TensorInfoIT_T0_EENS7_IlS9_EENS7_IKS8_S9_EES9_S9_S9_b.uses_vcc, 1
	.set _ZN2at6native12_GLOBAL__N_112gatherMedianIN3c108BFloat16EmLi3EEEvNS_4cuda6detail10TensorInfoIT_T0_EENS7_IlS9_EENS7_IKS8_S9_EES9_S9_S9_b.uses_flat_scratch, 0
	.set _ZN2at6native12_GLOBAL__N_112gatherMedianIN3c108BFloat16EmLi3EEEvNS_4cuda6detail10TensorInfoIT_T0_EENS7_IlS9_EENS7_IKS8_S9_EES9_S9_S9_b.has_dyn_sized_stack, 0
	.set _ZN2at6native12_GLOBAL__N_112gatherMedianIN3c108BFloat16EmLi3EEEvNS_4cuda6detail10TensorInfoIT_T0_EENS7_IlS9_EENS7_IKS8_S9_EES9_S9_S9_b.has_recursion, 0
	.set _ZN2at6native12_GLOBAL__N_112gatherMedianIN3c108BFloat16EmLi3EEEvNS_4cuda6detail10TensorInfoIT_T0_EENS7_IlS9_EENS7_IKS8_S9_EES9_S9_S9_b.has_indirect_call, 0
	.section	.AMDGPU.csdata,"",@progbits
; Kernel info:
; codeLenInByte = 17488
; TotalNumSgprs: 100
; NumVgprs: 53
; ScratchSize: 0
; MemoryBound: 0
; FloatMode: 240
; IeeeMode: 1
; LDSByteSize: 5152 bytes/workgroup (compile time only)
; SGPRBlocks: 12
; VGPRBlocks: 13
; NumSGPRsForWavesPerEU: 100
; NumVGPRsForWavesPerEU: 53
; Occupancy: 4
; WaveLimiterHint : 1
; COMPUTE_PGM_RSRC2:SCRATCH_EN: 0
; COMPUTE_PGM_RSRC2:USER_SGPR: 6
; COMPUTE_PGM_RSRC2:TRAP_HANDLER: 0
; COMPUTE_PGM_RSRC2:TGID_X_EN: 1
; COMPUTE_PGM_RSRC2:TGID_Y_EN: 1
; COMPUTE_PGM_RSRC2:TGID_Z_EN: 1
; COMPUTE_PGM_RSRC2:TIDIG_COMP_CNT: 0
	.section	.text._ZN2at6native12_GLOBAL__N_112gatherMedianIN3c108BFloat16EmLin1EEEvNS_4cuda6detail10TensorInfoIT_T0_EENS7_IlS9_EENS7_IKS8_S9_EES9_S9_S9_b,"axG",@progbits,_ZN2at6native12_GLOBAL__N_112gatherMedianIN3c108BFloat16EmLin1EEEvNS_4cuda6detail10TensorInfoIT_T0_EENS7_IlS9_EENS7_IKS8_S9_EES9_S9_S9_b,comdat
	.globl	_ZN2at6native12_GLOBAL__N_112gatherMedianIN3c108BFloat16EmLin1EEEvNS_4cuda6detail10TensorInfoIT_T0_EENS7_IlS9_EENS7_IKS8_S9_EES9_S9_S9_b ; -- Begin function _ZN2at6native12_GLOBAL__N_112gatherMedianIN3c108BFloat16EmLin1EEEvNS_4cuda6detail10TensorInfoIT_T0_EENS7_IlS9_EENS7_IKS8_S9_EES9_S9_S9_b
	.p2align	8
	.type	_ZN2at6native12_GLOBAL__N_112gatherMedianIN3c108BFloat16EmLin1EEEvNS_4cuda6detail10TensorInfoIT_T0_EENS7_IlS9_EENS7_IKS8_S9_EES9_S9_S9_b,@function
_ZN2at6native12_GLOBAL__N_112gatherMedianIN3c108BFloat16EmLin1EEEvNS_4cuda6detail10TensorInfoIT_T0_EENS7_IlS9_EENS7_IKS8_S9_EES9_S9_S9_b: ; @_ZN2at6native12_GLOBAL__N_112gatherMedianIN3c108BFloat16EmLin1EEEvNS_4cuda6detail10TensorInfoIT_T0_EENS7_IlS9_EENS7_IKS8_S9_EES9_S9_S9_b
; %bb.0:
	s_load_dwordx2 s[10:11], s[4:5], 0x500
	s_load_dwordx4 s[24:27], s[4:5], 0x4e0
	s_add_u32 s12, s4, 0x500
	s_addc_u32 s13, s5, 0
	s_mov_b32 s1, 0
	s_waitcnt lgkmcnt(0)
	s_mul_i32 s0, s11, s8
	s_add_i32 s0, s0, s7
	s_mul_i32 s0, s0, s10
	s_add_i32 s0, s0, s6
	v_mov_b32_e32 v2, s1
	v_mov_b32_e32 v1, s0
	v_cmp_le_u64_e32 vcc, s[26:27], v[1:2]
	s_cbranch_vccnz .LBB143_313
; %bb.1:
	s_load_dword s2, s[4:5], 0x198
	s_load_dwordx2 s[26:27], s[4:5], 0x4f0
	s_mov_b64 s[22:23], 0
	s_mov_b64 s[30:31], s[0:1]
	s_waitcnt lgkmcnt(0)
	s_cmp_lt_i32 s2, 2
	s_cbranch_scc1 .LBB143_9
; %bb.2:
	s_add_i32 s7, s2, 1
	s_add_i32 s8, s2, -1
	s_mov_b32 s2, 0
	s_mov_b32 s9, s2
	s_lshl_b64 s[8:9], s[8:9], 3
	s_add_u32 s3, s4, s8
	s_addc_u32 s9, s5, s9
	s_add_u32 s8, s3, 8
	s_addc_u32 s9, s9, 0
	s_mov_b64 s[14:15], s[0:1]
.LBB143_3:                              ; =>This Inner Loop Header: Depth=1
	s_load_dwordx2 s[16:17], s[8:9], 0x0
	s_waitcnt lgkmcnt(0)
	s_or_b64 s[18:19], s[14:15], s[16:17]
	s_mov_b32 s3, s19
	s_cmp_lg_u64 s[2:3], 0
	s_cbranch_scc0 .LBB143_8
; %bb.4:                                ;   in Loop: Header=BB143_3 Depth=1
	v_cvt_f32_u32_e32 v1, s16
	v_cvt_f32_u32_e32 v2, s17
	s_sub_u32 s3, 0, s16
	s_subb_u32 s11, 0, s17
	v_mac_f32_e32 v1, 0x4f800000, v2
	v_rcp_f32_e32 v1, v1
	v_mul_f32_e32 v1, 0x5f7ffffc, v1
	v_mul_f32_e32 v2, 0x2f800000, v1
	v_trunc_f32_e32 v2, v2
	v_mac_f32_e32 v1, 0xcf800000, v2
	v_cvt_u32_f32_e32 v2, v2
	v_cvt_u32_f32_e32 v1, v1
	v_readfirstlane_b32 s20, v2
	v_readfirstlane_b32 s18, v1
	s_mul_i32 s19, s3, s20
	s_mul_hi_u32 s28, s3, s18
	s_mul_i32 s21, s11, s18
	s_add_i32 s19, s28, s19
	s_mul_i32 s29, s3, s18
	s_add_i32 s19, s19, s21
	s_mul_i32 s28, s18, s19
	s_mul_hi_u32 s30, s18, s29
	s_mul_hi_u32 s21, s18, s19
	s_add_u32 s28, s30, s28
	s_addc_u32 s21, 0, s21
	s_mul_hi_u32 s31, s20, s29
	s_mul_i32 s29, s20, s29
	s_add_u32 s28, s28, s29
	s_mul_hi_u32 s30, s20, s19
	s_addc_u32 s21, s21, s31
	s_addc_u32 s28, s30, 0
	s_mul_i32 s19, s20, s19
	s_add_u32 s19, s21, s19
	s_addc_u32 s21, 0, s28
	s_add_u32 s28, s18, s19
	s_cselect_b64 s[18:19], -1, 0
	s_cmp_lg_u64 s[18:19], 0
	s_addc_u32 s20, s20, s21
	s_mul_i32 s18, s3, s20
	s_mul_hi_u32 s19, s3, s28
	s_add_i32 s18, s19, s18
	s_mul_i32 s11, s11, s28
	s_add_i32 s18, s18, s11
	s_mul_i32 s3, s3, s28
	s_mul_hi_u32 s19, s20, s3
	s_mul_i32 s21, s20, s3
	s_mul_i32 s30, s28, s18
	s_mul_hi_u32 s3, s28, s3
	s_mul_hi_u32 s29, s28, s18
	s_add_u32 s3, s3, s30
	s_addc_u32 s29, 0, s29
	s_add_u32 s3, s3, s21
	s_mul_hi_u32 s11, s20, s18
	s_addc_u32 s3, s29, s19
	s_addc_u32 s11, s11, 0
	s_mul_i32 s18, s20, s18
	s_add_u32 s3, s3, s18
	s_addc_u32 s11, 0, s11
	s_add_u32 s3, s28, s3
	s_cselect_b64 s[18:19], -1, 0
	s_cmp_lg_u64 s[18:19], 0
	s_addc_u32 s11, s20, s11
	s_mul_i32 s19, s14, s11
	s_mul_hi_u32 s20, s14, s3
	s_mul_hi_u32 s18, s14, s11
	s_add_u32 s19, s20, s19
	s_addc_u32 s18, 0, s18
	s_mul_hi_u32 s21, s15, s3
	s_mul_i32 s3, s15, s3
	s_add_u32 s3, s19, s3
	s_mul_hi_u32 s20, s15, s11
	s_addc_u32 s3, s18, s21
	s_addc_u32 s18, s20, 0
	s_mul_i32 s11, s15, s11
	s_add_u32 s3, s3, s11
	s_addc_u32 s11, 0, s18
	s_mul_i32 s18, s16, s11
	s_mul_hi_u32 s19, s16, s3
	s_add_i32 s18, s19, s18
	s_mul_i32 s19, s17, s3
	s_add_i32 s28, s18, s19
	s_sub_i32 s20, s15, s28
	s_mul_i32 s18, s16, s3
	s_sub_u32 s29, s14, s18
	s_cselect_b64 s[18:19], -1, 0
	s_cmp_lg_u64 s[18:19], 0
	s_subb_u32 s30, s20, s17
	s_sub_u32 s31, s29, s16
	s_cselect_b64 s[20:21], -1, 0
	s_cmp_lg_u64 s[20:21], 0
	s_subb_u32 s20, s30, 0
	s_cmp_ge_u32 s20, s17
	s_cselect_b32 s21, -1, 0
	s_cmp_ge_u32 s31, s16
	s_cselect_b32 s30, -1, 0
	s_cmp_eq_u32 s20, s17
	s_cselect_b32 s20, s30, s21
	s_add_u32 s21, s3, 1
	s_addc_u32 s30, s11, 0
	s_add_u32 s31, s3, 2
	s_addc_u32 s33, s11, 0
	s_cmp_lg_u32 s20, 0
	s_cselect_b32 s20, s31, s21
	s_cselect_b32 s21, s33, s30
	s_cmp_lg_u64 s[18:19], 0
	s_subb_u32 s18, s15, s28
	s_cmp_ge_u32 s18, s17
	s_cselect_b32 s19, -1, 0
	s_cmp_ge_u32 s29, s16
	s_cselect_b32 s28, -1, 0
	s_cmp_eq_u32 s18, s17
	s_cselect_b32 s18, s28, s19
	s_cmp_lg_u32 s18, 0
	s_cselect_b32 s31, s21, s11
	s_cselect_b32 s30, s20, s3
	s_cbranch_execnz .LBB143_6
.LBB143_5:                              ;   in Loop: Header=BB143_3 Depth=1
	v_cvt_f32_u32_e32 v1, s16
	s_sub_i32 s3, 0, s16
	s_mov_b32 s31, s2
	v_rcp_iflag_f32_e32 v1, v1
	v_mul_f32_e32 v1, 0x4f7ffffe, v1
	v_cvt_u32_f32_e32 v1, v1
	v_readfirstlane_b32 s11, v1
	s_mul_i32 s3, s3, s11
	s_mul_hi_u32 s3, s11, s3
	s_add_i32 s11, s11, s3
	s_mul_hi_u32 s3, s14, s11
	s_mul_i32 s18, s3, s16
	s_sub_i32 s18, s14, s18
	s_add_i32 s11, s3, 1
	s_sub_i32 s19, s18, s16
	s_cmp_ge_u32 s18, s16
	s_cselect_b32 s3, s11, s3
	s_cselect_b32 s18, s19, s18
	s_add_i32 s11, s3, 1
	s_cmp_ge_u32 s18, s16
	s_cselect_b32 s30, s11, s3
.LBB143_6:                              ;   in Loop: Header=BB143_3 Depth=1
	s_mul_i32 s3, s30, s17
	s_mul_hi_u32 s11, s30, s16
	s_load_dwordx2 s[18:19], s[8:9], 0xc8
	s_add_i32 s3, s11, s3
	s_mul_i32 s11, s31, s16
	s_add_i32 s3, s3, s11
	s_mul_i32 s11, s30, s16
	s_sub_u32 s11, s14, s11
	s_subb_u32 s3, s15, s3
	s_waitcnt lgkmcnt(0)
	s_mul_i32 s3, s18, s3
	s_mul_hi_u32 s14, s18, s11
	s_add_i32 s3, s14, s3
	s_mul_i32 s14, s19, s11
	s_add_i32 s3, s3, s14
	s_mul_i32 s11, s18, s11
	s_add_u32 s22, s11, s22
	s_addc_u32 s23, s3, s23
	s_add_i32 s7, s7, -1
	s_add_u32 s8, s8, -8
	s_addc_u32 s9, s9, -1
	s_cmp_gt_u32 s7, 2
	s_cbranch_scc0 .LBB143_9
; %bb.7:                                ;   in Loop: Header=BB143_3 Depth=1
	s_mov_b64 s[14:15], s[30:31]
	s_branch .LBB143_3
.LBB143_8:                              ;   in Loop: Header=BB143_3 Depth=1
                                        ; implicit-def: $sgpr30_sgpr31
	s_branch .LBB143_5
.LBB143_9:
	s_load_dword s8, s[4:5], 0x338
	s_load_dwordx2 s[2:3], s[4:5], 0xd0
                                        ; implicit-def: $vgpr62 : SGPR spill to VGPR lane
	s_mov_b64 s[28:29], 0
	s_mov_b64 s[36:37], s[0:1]
	s_waitcnt lgkmcnt(0)
	v_writelane_b32 v62, s2, 0
	v_writelane_b32 v62, s3, 1
	s_add_u32 s2, s4, 0x1a0
	s_addc_u32 s3, s5, 0
	s_cmp_lt_i32 s8, 2
	s_cbranch_scc1 .LBB143_17
; %bb.10:
	s_add_i32 s7, s8, 1
	s_add_i32 s14, s8, -1
	s_mov_b32 s8, 0
	s_mov_b32 s15, s8
	s_lshl_b64 s[14:15], s[14:15], 3
	s_add_u32 s9, s2, s14
	s_addc_u32 s11, s3, s15
	s_add_u32 s14, s9, 8
	s_addc_u32 s15, s11, 0
	s_mov_b64 s[16:17], s[0:1]
.LBB143_11:                             ; =>This Inner Loop Header: Depth=1
	s_load_dwordx2 s[18:19], s[14:15], 0x0
	s_waitcnt lgkmcnt(0)
	s_or_b64 s[20:21], s[16:17], s[18:19]
	s_mov_b32 s9, s21
	s_cmp_lg_u64 s[8:9], 0
	s_cbranch_scc0 .LBB143_16
; %bb.12:                               ;   in Loop: Header=BB143_11 Depth=1
	v_cvt_f32_u32_e32 v1, s18
	v_cvt_f32_u32_e32 v2, s19
	s_sub_u32 s9, 0, s18
	s_subb_u32 s11, 0, s19
	v_mac_f32_e32 v1, 0x4f800000, v2
	v_rcp_f32_e32 v1, v1
	v_mul_f32_e32 v1, 0x5f7ffffc, v1
	v_mul_f32_e32 v2, 0x2f800000, v1
	v_trunc_f32_e32 v2, v2
	v_mac_f32_e32 v1, 0xcf800000, v2
	v_cvt_u32_f32_e32 v2, v2
	v_cvt_u32_f32_e32 v1, v1
	v_readfirstlane_b32 s33, v2
	v_readfirstlane_b32 s20, v1
	s_mul_i32 s21, s9, s33
	s_mul_hi_u32 s35, s9, s20
	s_mul_i32 s34, s11, s20
	s_add_i32 s21, s35, s21
	s_mul_i32 s36, s9, s20
	s_add_i32 s21, s21, s34
	s_mul_i32 s35, s20, s21
	s_mul_hi_u32 s37, s20, s36
	s_mul_hi_u32 s34, s20, s21
	s_add_u32 s35, s37, s35
	s_addc_u32 s34, 0, s34
	s_mul_hi_u32 s38, s33, s36
	s_mul_i32 s36, s33, s36
	s_add_u32 s35, s35, s36
	s_mul_hi_u32 s37, s33, s21
	s_addc_u32 s34, s34, s38
	s_addc_u32 s35, s37, 0
	s_mul_i32 s21, s33, s21
	s_add_u32 s21, s34, s21
	s_addc_u32 s34, 0, s35
	s_add_u32 s35, s20, s21
	s_cselect_b64 s[20:21], -1, 0
	s_cmp_lg_u64 s[20:21], 0
	s_addc_u32 s33, s33, s34
	s_mul_i32 s20, s9, s33
	s_mul_hi_u32 s21, s9, s35
	s_add_i32 s20, s21, s20
	s_mul_i32 s11, s11, s35
	s_add_i32 s20, s20, s11
	s_mul_i32 s9, s9, s35
	s_mul_hi_u32 s21, s33, s9
	s_mul_i32 s34, s33, s9
	s_mul_i32 s37, s35, s20
	s_mul_hi_u32 s9, s35, s9
	s_mul_hi_u32 s36, s35, s20
	s_add_u32 s9, s9, s37
	s_addc_u32 s36, 0, s36
	s_add_u32 s9, s9, s34
	s_mul_hi_u32 s11, s33, s20
	s_addc_u32 s9, s36, s21
	s_addc_u32 s11, s11, 0
	s_mul_i32 s20, s33, s20
	s_add_u32 s9, s9, s20
	s_addc_u32 s11, 0, s11
	s_add_u32 s9, s35, s9
	s_cselect_b64 s[20:21], -1, 0
	s_cmp_lg_u64 s[20:21], 0
	s_addc_u32 s11, s33, s11
	s_mul_i32 s21, s16, s11
	s_mul_hi_u32 s33, s16, s9
	s_mul_hi_u32 s20, s16, s11
	s_add_u32 s21, s33, s21
	s_addc_u32 s20, 0, s20
	s_mul_hi_u32 s34, s17, s9
	s_mul_i32 s9, s17, s9
	s_add_u32 s9, s21, s9
	s_mul_hi_u32 s33, s17, s11
	s_addc_u32 s9, s20, s34
	s_addc_u32 s20, s33, 0
	s_mul_i32 s11, s17, s11
	s_add_u32 s9, s9, s11
	s_addc_u32 s11, 0, s20
	s_mul_i32 s20, s18, s11
	s_mul_hi_u32 s21, s18, s9
	s_add_i32 s20, s21, s20
	s_mul_i32 s21, s19, s9
	s_add_i32 s33, s20, s21
	s_sub_i32 s34, s17, s33
	s_mul_i32 s20, s18, s9
	s_sub_u32 s36, s16, s20
	s_cselect_b64 s[20:21], -1, 0
	s_cmp_lg_u64 s[20:21], 0
	s_subb_u32 s37, s34, s19
	s_sub_u32 s38, s36, s18
	s_cselect_b64 s[34:35], -1, 0
	s_cmp_lg_u64 s[34:35], 0
	s_subb_u32 s34, s37, 0
	s_cmp_ge_u32 s34, s19
	s_cselect_b32 s35, -1, 0
	s_cmp_ge_u32 s38, s18
	s_cselect_b32 s37, -1, 0
	s_cmp_eq_u32 s34, s19
	s_cselect_b32 s34, s37, s35
	s_add_u32 s35, s9, 1
	s_addc_u32 s37, s11, 0
	s_add_u32 s38, s9, 2
	s_addc_u32 s39, s11, 0
	s_cmp_lg_u32 s34, 0
	s_cselect_b32 s34, s38, s35
	s_cselect_b32 s35, s39, s37
	s_cmp_lg_u64 s[20:21], 0
	s_subb_u32 s20, s17, s33
	s_cmp_ge_u32 s20, s19
	s_cselect_b32 s21, -1, 0
	s_cmp_ge_u32 s36, s18
	s_cselect_b32 s33, -1, 0
	s_cmp_eq_u32 s20, s19
	s_cselect_b32 s20, s33, s21
	s_cmp_lg_u32 s20, 0
	s_cselect_b32 s37, s35, s11
	s_cselect_b32 s36, s34, s9
	s_cbranch_execnz .LBB143_14
.LBB143_13:                             ;   in Loop: Header=BB143_11 Depth=1
	v_cvt_f32_u32_e32 v1, s18
	s_sub_i32 s9, 0, s18
	s_mov_b32 s37, s8
	v_rcp_iflag_f32_e32 v1, v1
	v_mul_f32_e32 v1, 0x4f7ffffe, v1
	v_cvt_u32_f32_e32 v1, v1
	v_readfirstlane_b32 s11, v1
	s_mul_i32 s9, s9, s11
	s_mul_hi_u32 s9, s11, s9
	s_add_i32 s11, s11, s9
	s_mul_hi_u32 s9, s16, s11
	s_mul_i32 s20, s9, s18
	s_sub_i32 s20, s16, s20
	s_add_i32 s11, s9, 1
	s_sub_i32 s21, s20, s18
	s_cmp_ge_u32 s20, s18
	s_cselect_b32 s9, s11, s9
	s_cselect_b32 s20, s21, s20
	s_add_i32 s11, s9, 1
	s_cmp_ge_u32 s20, s18
	s_cselect_b32 s36, s11, s9
.LBB143_14:                             ;   in Loop: Header=BB143_11 Depth=1
	s_mul_i32 s9, s36, s19
	s_mul_hi_u32 s11, s36, s18
	s_load_dwordx2 s[20:21], s[14:15], 0xc8
	s_add_i32 s9, s11, s9
	s_mul_i32 s11, s37, s18
	s_add_i32 s9, s9, s11
	s_mul_i32 s11, s36, s18
	s_sub_u32 s11, s16, s11
	s_subb_u32 s9, s17, s9
	s_waitcnt lgkmcnt(0)
	s_mul_i32 s9, s20, s9
	s_mul_hi_u32 s16, s20, s11
	s_add_i32 s9, s16, s9
	s_mul_i32 s16, s21, s11
	s_add_i32 s9, s9, s16
	s_mul_i32 s11, s20, s11
	s_add_u32 s28, s11, s28
	s_addc_u32 s29, s9, s29
	s_add_i32 s7, s7, -1
	s_add_u32 s14, s14, -8
	s_addc_u32 s15, s15, -1
	s_cmp_gt_u32 s7, 2
	s_cbranch_scc0 .LBB143_17
; %bb.15:                               ;   in Loop: Header=BB143_11 Depth=1
	s_mov_b64 s[16:17], s[36:37]
	s_branch .LBB143_11
.LBB143_16:                             ;   in Loop: Header=BB143_11 Depth=1
                                        ; implicit-def: $sgpr36_sgpr37
	s_branch .LBB143_13
.LBB143_17:
	s_load_dword s14, s[4:5], 0x4d8
	s_load_dwordx2 s[8:9], s[2:3], 0xd0
                                        ; kill: killed $sgpr2 killed $sgpr3
	s_add_u32 s3, s4, 0x340
	s_addc_u32 s11, s5, 0
	s_waitcnt lgkmcnt(0)
	s_cmp_lt_i32 s14, 2
	v_writelane_b32 v62, s8, 2
	v_writelane_b32 v62, s9, 3
	s_mov_b64 s[8:9], 0
	s_cbranch_scc1 .LBB143_25
; %bb.18:
	s_mov_b32 s2, 0
	s_add_i32 s8, s14, -1
	s_mov_b32 s9, s2
	s_add_i32 s7, s14, 1
	s_lshl_b64 s[8:9], s[8:9], 3
	s_add_u32 s3, s3, s8
	s_addc_u32 s8, s11, s9
	s_add_u32 s14, s3, 8
	s_addc_u32 s15, s8, 0
	s_mov_b64 s[8:9], 0
.LBB143_19:                             ; =>This Inner Loop Header: Depth=1
	s_load_dwordx2 s[16:17], s[14:15], 0x0
	s_waitcnt lgkmcnt(0)
	s_or_b64 s[18:19], s[0:1], s[16:17]
	s_mov_b32 s3, s19
	s_cmp_lg_u64 s[2:3], 0
	s_cbranch_scc0 .LBB143_24
; %bb.20:                               ;   in Loop: Header=BB143_19 Depth=1
	v_cvt_f32_u32_e32 v1, s16
	v_cvt_f32_u32_e32 v2, s17
	s_sub_u32 s3, 0, s16
	s_subb_u32 s11, 0, s17
	v_mac_f32_e32 v1, 0x4f800000, v2
	v_rcp_f32_e32 v1, v1
	v_mul_f32_e32 v1, 0x5f7ffffc, v1
	v_mul_f32_e32 v2, 0x2f800000, v1
	v_trunc_f32_e32 v2, v2
	v_mac_f32_e32 v1, 0xcf800000, v2
	v_cvt_u32_f32_e32 v2, v2
	v_cvt_u32_f32_e32 v1, v1
	v_readfirstlane_b32 s20, v2
	v_readfirstlane_b32 s18, v1
	s_mul_i32 s19, s3, s20
	s_mul_hi_u32 s33, s3, s18
	s_mul_i32 s21, s11, s18
	s_add_i32 s19, s33, s19
	s_mul_i32 s34, s3, s18
	s_add_i32 s19, s19, s21
	s_mul_i32 s33, s18, s19
	s_mul_hi_u32 s35, s18, s34
	s_mul_hi_u32 s21, s18, s19
	s_add_u32 s33, s35, s33
	s_addc_u32 s21, 0, s21
	s_mul_hi_u32 s38, s20, s34
	s_mul_i32 s34, s20, s34
	s_add_u32 s33, s33, s34
	s_mul_hi_u32 s35, s20, s19
	s_addc_u32 s21, s21, s38
	s_addc_u32 s33, s35, 0
	s_mul_i32 s19, s20, s19
	s_add_u32 s19, s21, s19
	s_addc_u32 s21, 0, s33
	s_add_u32 s33, s18, s19
	s_cselect_b64 s[18:19], -1, 0
	s_cmp_lg_u64 s[18:19], 0
	s_addc_u32 s20, s20, s21
	s_mul_i32 s18, s3, s20
	s_mul_hi_u32 s19, s3, s33
	s_add_i32 s18, s19, s18
	s_mul_i32 s11, s11, s33
	s_add_i32 s18, s18, s11
	s_mul_i32 s3, s3, s33
	s_mul_hi_u32 s19, s20, s3
	s_mul_i32 s21, s20, s3
	s_mul_i32 s35, s33, s18
	s_mul_hi_u32 s3, s33, s3
	s_mul_hi_u32 s34, s33, s18
	s_add_u32 s3, s3, s35
	s_addc_u32 s34, 0, s34
	s_add_u32 s3, s3, s21
	s_mul_hi_u32 s11, s20, s18
	s_addc_u32 s3, s34, s19
	s_addc_u32 s11, s11, 0
	s_mul_i32 s18, s20, s18
	s_add_u32 s3, s3, s18
	s_addc_u32 s11, 0, s11
	s_add_u32 s3, s33, s3
	s_cselect_b64 s[18:19], -1, 0
	s_cmp_lg_u64 s[18:19], 0
	s_addc_u32 s11, s20, s11
	s_mul_i32 s19, s0, s11
	s_mul_hi_u32 s20, s0, s3
	s_mul_hi_u32 s18, s0, s11
	s_add_u32 s19, s20, s19
	s_addc_u32 s18, 0, s18
	s_mul_hi_u32 s21, s1, s3
	s_mul_i32 s3, s1, s3
	s_add_u32 s3, s19, s3
	s_mul_hi_u32 s20, s1, s11
	s_addc_u32 s3, s18, s21
	s_addc_u32 s18, s20, 0
	s_mul_i32 s11, s1, s11
	s_add_u32 s3, s3, s11
	s_addc_u32 s11, 0, s18
	s_mul_i32 s18, s16, s11
	s_mul_hi_u32 s19, s16, s3
	s_add_i32 s18, s19, s18
	s_mul_i32 s19, s17, s3
	s_add_i32 s33, s18, s19
	s_sub_i32 s20, s1, s33
	s_mul_i32 s18, s16, s3
	s_sub_u32 s34, s0, s18
	s_cselect_b64 s[18:19], -1, 0
	s_cmp_lg_u64 s[18:19], 0
	s_subb_u32 s35, s20, s17
	s_sub_u32 s38, s34, s16
	s_cselect_b64 s[20:21], -1, 0
	s_cmp_lg_u64 s[20:21], 0
	s_subb_u32 s20, s35, 0
	s_cmp_ge_u32 s20, s17
	s_cselect_b32 s21, -1, 0
	s_cmp_ge_u32 s38, s16
	s_cselect_b32 s35, -1, 0
	s_cmp_eq_u32 s20, s17
	s_cselect_b32 s20, s35, s21
	s_add_u32 s21, s3, 1
	s_addc_u32 s35, s11, 0
	s_add_u32 s38, s3, 2
	s_addc_u32 s39, s11, 0
	s_cmp_lg_u32 s20, 0
	s_cselect_b32 s20, s38, s21
	s_cselect_b32 s21, s39, s35
	s_cmp_lg_u64 s[18:19], 0
	s_subb_u32 s18, s1, s33
	s_cmp_ge_u32 s18, s17
	s_cselect_b32 s19, -1, 0
	s_cmp_ge_u32 s34, s16
	s_cselect_b32 s33, -1, 0
	s_cmp_eq_u32 s18, s17
	s_cselect_b32 s18, s33, s19
	s_cmp_lg_u32 s18, 0
	s_cselect_b32 s19, s21, s11
	s_cselect_b32 s18, s20, s3
	s_cbranch_execnz .LBB143_22
.LBB143_21:                             ;   in Loop: Header=BB143_19 Depth=1
	v_cvt_f32_u32_e32 v1, s16
	s_sub_i32 s3, 0, s16
	v_rcp_iflag_f32_e32 v1, v1
	v_mul_f32_e32 v1, 0x4f7ffffe, v1
	v_cvt_u32_f32_e32 v1, v1
	v_readfirstlane_b32 s11, v1
	s_mul_i32 s3, s3, s11
	s_mul_hi_u32 s3, s11, s3
	s_add_i32 s11, s11, s3
	s_mul_hi_u32 s3, s0, s11
	s_mul_i32 s18, s3, s16
	s_sub_i32 s18, s0, s18
	s_add_i32 s11, s3, 1
	s_sub_i32 s19, s18, s16
	s_cmp_ge_u32 s18, s16
	s_cselect_b32 s3, s11, s3
	s_cselect_b32 s18, s19, s18
	s_add_i32 s11, s3, 1
	s_cmp_ge_u32 s18, s16
	s_cselect_b32 s18, s11, s3
	s_mov_b32 s19, s2
.LBB143_22:                             ;   in Loop: Header=BB143_19 Depth=1
	s_mul_i32 s3, s18, s17
	s_mul_hi_u32 s11, s18, s16
	s_load_dwordx2 s[20:21], s[14:15], 0xc8
	s_add_i32 s3, s11, s3
	s_mul_i32 s11, s19, s16
	s_add_i32 s3, s3, s11
	s_mul_i32 s11, s18, s16
	s_sub_u32 s0, s0, s11
	s_subb_u32 s1, s1, s3
	s_waitcnt lgkmcnt(0)
	s_mul_i32 s1, s20, s1
	s_mul_hi_u32 s3, s20, s0
	s_add_i32 s1, s3, s1
	s_mul_i32 s3, s21, s0
	s_add_i32 s1, s1, s3
	s_mul_i32 s0, s20, s0
	s_add_u32 s8, s0, s8
	s_addc_u32 s9, s1, s9
	s_add_i32 s7, s7, -1
	s_add_u32 s14, s14, -8
	s_addc_u32 s15, s15, -1
	s_cmp_gt_u32 s7, 2
	s_cbranch_scc0 .LBB143_26
; %bb.23:                               ;   in Loop: Header=BB143_19 Depth=1
	s_mov_b64 s[0:1], s[18:19]
	s_branch .LBB143_19
.LBB143_24:                             ;   in Loop: Header=BB143_19 Depth=1
                                        ; implicit-def: $sgpr18_sgpr19
	s_branch .LBB143_21
.LBB143_25:
	s_mov_b64 s[18:19], s[0:1]
.LBB143_26:
	s_load_dwordx2 s[0:1], s[4:5], 0x410
	s_load_dwordx2 s[2:3], s[4:5], 0x0
	v_mov_b32_e32 v2, 0
	v_mov_b32_e32 v1, 0
	;; [unrolled: 1-line block ×3, first 2 shown]
	s_waitcnt lgkmcnt(0)
	s_mul_i32 s1, s1, s18
	v_writelane_b32 v62, s2, 4
	v_writelane_b32 v62, s3, 5
	s_load_dwordx2 s[2:3], s[4:5], 0x1a0
	s_load_dwordx2 s[14:15], s[4:5], 0x340
	s_mul_i32 s16, s0, s18
	s_waitcnt lgkmcnt(0)
	v_writelane_b32 v62, s2, 6
	v_writelane_b32 v62, s3, 7
	s_mul_i32 s2, s0, s19
	s_mul_hi_u32 s3, s0, s18
	s_add_i32 s2, s3, s2
	s_add_i32 s17, s2, s1
	v_cmp_gt_u64_e64 s[2:3], s[24:25], v[0:1]
	s_mov_b64 s[0:1], exec
	v_writelane_b32 v62, s2, 8
	v_writelane_b32 v62, s3, 9
	s_and_b64 s[2:3], s[0:1], s[2:3]
	s_mov_b64 exec, s[2:3]
	s_cbranch_execz .LBB143_30
; %bb.27:
	v_mad_u64_u32 v[2:3], s[2:3], s26, v0, 0
	s_load_dword s7, s[12:13], 0xc
	s_lshl_b64 s[18:19], s[8:9], 1
	v_mad_u64_u32 v[3:4], s[2:3], s27, v0, v[3:4]
	s_lshl_b64 s[2:3], s[16:17], 1
	s_waitcnt lgkmcnt(0)
	s_and_b32 s7, s7, 0xffff
	s_add_u32 s11, s14, s18
	s_addc_u32 s18, s15, s19
	v_lshlrev_b64 v[2:3], 1, v[2:3]
	s_add_u32 s2, s11, s2
	s_addc_u32 s3, s18, s3
	v_mov_b32_e32 v5, s3
	v_add_co_u32_e32 v4, vcc, s2, v2
	s_mul_i32 s2, s27, s7
	s_mul_hi_u32 s3, s26, s7
	s_add_i32 s3, s3, s2
	s_mul_i32 s2, s26, s7
	v_addc_co_u32_e32 v5, vcc, v5, v3, vcc
	s_lshl_b64 s[18:19], s[2:3], 1
	v_mov_b32_e32 v2, 0
	v_mov_b32_e32 v7, v1
	s_mov_b64 s[2:3], 0
	v_mov_b32_e32 v3, 0
	v_mov_b32_e32 v8, s19
	;; [unrolled: 1-line block ×3, first 2 shown]
.LBB143_28:                             ; =>This Inner Loop Header: Depth=1
	global_load_ushort v9, v[4:5], off
	v_add_co_u32_e32 v6, vcc, s7, v6
	v_addc_co_u32_e32 v7, vcc, 0, v7, vcc
	v_add_co_u32_e32 v4, vcc, s18, v4
	v_addc_co_u32_e32 v5, vcc, v5, v8, vcc
	v_cmp_le_u64_e32 vcc, s[24:25], v[6:7]
	s_or_b64 s[2:3], vcc, s[2:3]
	s_waitcnt vmcnt(0)
	v_lshlrev_b32_e32 v9, 16, v9
	v_cmp_u_f32_e32 vcc, v9, v9
	v_cndmask_b32_e64 v9, 0, 1, vcc
	v_add_co_u32_e32 v2, vcc, v2, v9
	v_addc_co_u32_e32 v3, vcc, 0, v3, vcc
	s_andn2_b64 exec, exec, s[2:3]
	s_cbranch_execnz .LBB143_28
; %bb.29:
	s_or_b64 exec, exec, s[2:3]
.LBB143_30:
	s_or_b64 exec, exec, s[0:1]
	v_cmp_eq_u32_e64 s[2:3], 0, v0
	s_mov_b64 s[0:1], exec
	v_writelane_b32 v62, s2, 10
	v_writelane_b32 v62, s3, 11
	s_and_b64 s[2:3], s[0:1], s[2:3]
	s_mov_b64 exec, s[2:3]
; %bb.31:
	v_mov_b32_e32 v4, 0
	v_mov_b32_e32 v5, v4
	ds_write_b64 v4, v[4:5] offset:5136
; %bb.32:
	s_or_b64 exec, exec, s[0:1]
	v_cmp_ne_u64_e32 vcc, 0, v[2:3]
	s_mov_b64 s[18:19], 0
	s_waitcnt lgkmcnt(0)
	s_barrier
	s_and_saveexec_b64 s[0:1], vcc
	s_cbranch_execz .LBB143_37
; %bb.33:
	s_mov_b64 s[2:3], exec
.LBB143_34:                             ; =>This Inner Loop Header: Depth=1
	s_ff1_i32_b64 s7, s[2:3]
	v_readlane_b32 s20, v2, s7
	v_readlane_b32 s11, v3, s7
	s_add_u32 s18, s18, s20
	s_addc_u32 s19, s19, s11
	s_lshl_b64 s[20:21], 1, s7
	s_andn2_b64 s[2:3], s[2:3], s[20:21]
	s_cmp_lg_u64 s[2:3], 0
	s_cbranch_scc1 .LBB143_34
; %bb.35:
	v_mbcnt_lo_u32_b32 v2, exec_lo, 0
	v_mbcnt_hi_u32_b32 v2, exec_hi, v2
	v_cmp_eq_u32_e32 vcc, 0, v2
	s_and_saveexec_b64 s[2:3], vcc
	s_xor_b64 s[2:3], exec, s[2:3]
; %bb.36:
	v_mov_b32_e32 v2, s18
	v_mov_b32_e32 v4, 0
	v_mov_b32_e32 v3, s19
	ds_add_u64 v4, v[2:3] offset:5136
.LBB143_37:
	s_or_b64 exec, exec, s[0:1]
	v_mov_b32_e32 v2, 0
	s_load_dword s0, s[4:5], 0x4f8
	s_waitcnt lgkmcnt(0)
	s_barrier
	ds_read_b64 v[2:3], v2 offset:5136
	s_bitcmp1_b32 s0, 0
	s_cselect_b64 s[0:1], -1, 0
	v_mov_b32_e32 v30, s25
	v_mov_b32_e32 v29, s24
	s_waitcnt lgkmcnt(0)
	v_cmp_gt_i64_e32 vcc, 1, v[2:3]
	s_or_b64 s[0:1], s[0:1], vcc
	s_andn2_b64 vcc, exec, s[0:1]
	s_cbranch_vccnz .LBB143_39
; %bb.38:
	v_not_b32_e32 v2, v2
	v_not_b32_e32 v3, v3
	v_mov_b32_e32 v4, s25
	v_add_co_u32_e32 v2, vcc, s24, v2
	v_addc_co_u32_e32 v3, vcc, v4, v3, vcc
	v_lshrrev_b64 v[2:3], 1, v[2:3]
	v_add_co_u32_e32 v29, vcc, 1, v2
	v_addc_co_u32_e32 v30, vcc, 0, v3, vcc
.LBB143_39:
	s_mov_b64 s[0:1], exec
	v_readlane_b32 s2, v62, 10
	v_readlane_b32 s3, v62, 11
	s_and_b64 s[2:3], s[0:1], s[2:3]
	s_mov_b64 exec, s[2:3]
	s_cbranch_execz .LBB143_41
; %bb.40:
	v_mov_b32_e32 v2, 0
	v_mov_b32_e32 v4, s24
	;; [unrolled: 1-line block ×4, first 2 shown]
	ds_write_b32 v2, v2 offset:5144
	ds_write_b128 v2, v[2:5] offset:5120
.LBB143_41:
	s_or_b64 exec, exec, s[0:1]
	s_lshl_b64 s[18:19], s[16:17], 1
	s_add_u32 s20, s14, s18
	v_mbcnt_lo_u32_b32 v2, -1, 0
	v_mad_u64_u32 v[6:7], s[0:1], s26, v0, 0
	s_addc_u32 s21, s15, s19
	s_lshl_b64 s[44:45], s[8:9], 1
	v_mbcnt_hi_u32_b32 v41, -1, v2
	s_add_u32 s52, s20, s44
	v_cmp_gt_u32_e32 vcc, 64, v0
	v_cmp_gt_i32_e64 s[8:9], 4, v41
	s_addc_u32 s53, s21, s45
	s_and_b64 s[0:1], vcc, s[8:9]
	v_writelane_b32 v62, s0, 12
	v_mov_b32_e32 v2, v7
	v_writelane_b32 v62, s1, 13
	v_mad_u64_u32 v[2:3], s[0:1], s27, v0, v[2:3]
	v_mov_b32_e32 v3, 0x600
	v_cmp_gt_u32_e64 s[0:1], 2, v0
	v_mov_b32_e32 v4, 0
	v_writelane_b32 v62, s0, 14
	v_writelane_b32 v62, s1, 15
	v_cmp_gt_u64_e64 s[0:1], s[24:25], v[3:4]
	v_mov_b32_e32 v7, v2
	v_writelane_b32 v62, s0, 16
	v_lshlrev_b64 v[4:5], 1, v[6:7]
	s_waitcnt lgkmcnt(0)
	s_barrier
	v_writelane_b32 v62, s1, 17
	s_load_dword s0, s[12:13], 0xc
	v_mov_b32_e32 v2, s53
	v_add_co_u32_e32 v14, vcc, s52, v4
	v_addc_co_u32_e32 v15, vcc, v2, v5, vcc
	v_mov_b32_e32 v3, 0
	v_add_u32_e32 v2, 2, v0
	v_cmp_gt_u64_e32 vcc, s[24:25], v[2:3]
	v_mov_b32_e32 v8, s25
	s_waitcnt lgkmcnt(0)
	s_and_b32 s33, s0, 0xffff
	s_bfe_u32 s0, s0, 0xa0006
	v_cndmask_b32_e32 v9, 0, v8, vcc
	v_mov_b32_e32 v8, s24
	s_cmp_gt_u32 s33, 63
	v_cndmask_b32_e32 v2, v2, v8, vcc
	v_not_b32_e32 v8, v0
	s_cselect_b64 s[2:3], -1, 0
	s_add_u32 s61, s33, -1
	v_add_co_u32_e32 v8, vcc, v2, v8
	v_writelane_b32 v62, s2, 18
	s_addc_u32 s62, 0, -1
	v_addc_co_u32_e32 v9, vcc, -1, v9, vcc
	v_writelane_b32 v62, s3, 19
	s_add_u32 s64, s61, s24
	v_cmp_lt_u64_e64 s[2:3], 1, v[8:9]
	s_addc_u32 s55, s62, s25
	s_cmp_lt_u32 s6, s10
	v_writelane_b32 v62, s2, 20
	v_and_b32_e32 v16, -2, v8
	v_mov_b32_e32 v17, v9
	s_cselect_b32 s1, 12, 18
	v_writelane_b32 v62, s3, 21
	v_cmp_ne_u64_e64 s[2:3], v[8:9], v[16:17]
	s_add_u32 s56, s12, s1
	s_addc_u32 s57, s13, 0
	v_writelane_b32 v62, s2, 22
	s_add_i32 s1, s0, -1
	v_writelane_b32 v62, s3, 23
	s_bfe_u32 s2, s33, 0x30006
	s_and_b32 s1, s1, 0xffff
	s_cmp_gt_u32 s1, 6
	s_cselect_b64 s[6:7], -1, 0
	v_writelane_b32 v62, s6, 24
	s_and_b32 s65, s0, 0x3f8
	v_writelane_b32 v62, s7, 25
	s_cmp_lg_u32 s2, 0
	v_writelane_b32 v62, s2, 26
	s_cselect_b64 s[0:1], -1, 0
	v_lshlrev_b32_e32 v26, 3, v0
	v_mov_b32_e32 v8, s20
	v_writelane_b32 v62, s0, 27
	s_add_u32 s2, s18, s44
	v_or_b32_e32 v10, 6, v26
	v_mov_b32_e32 v9, s21
	v_writelane_b32 v62, s1, 28
	s_addc_u32 s3, s19, s45
	v_mad_u64_u32 v[18:19], s[0:1], s26, v10, v[8:9]
	s_add_u32 s0, s14, s2
	s_addc_u32 s1, s15, s3
	v_writelane_b32 v62, s0, 29
	v_writelane_b32 v62, s1, 30
	s_lshl_b64 s[0:1], s[26:27], 1
	v_writelane_b32 v62, s0, 31
	v_mov_b32_e32 v2, v19
	v_writelane_b32 v62, s1, 32
	v_mad_u64_u32 v[10:11], s[0:1], s27, v10, v[2:3]
	s_lshl_b64 s[0:1], s[26:27], 3
	v_writelane_b32 v62, s0, 33
	v_or_b32_e32 v11, 4, v26
	v_writelane_b32 v62, s1, 34
	v_mad_u64_u32 v[20:21], s[0:1], s26, v11, v[8:9]
	s_lshl_b32 s16, s33, 1
	v_lshlrev_b64 v[6:7], 3, v[6:7]
	s_add_u32 s0, s14, s44
	s_addc_u32 s1, s15, s45
	v_mov_b32_e32 v2, s21
	v_add_co_u32_e32 v22, vcc, s20, v6
	s_add_u32 s0, s0, s18
	v_addc_co_u32_e32 v23, vcc, v2, v7, vcc
	s_addc_u32 s1, s1, s19
	v_or_b32_e32 v7, 2, v26
	v_mov_b32_e32 v2, s1
	v_add_co_u32_e32 v12, vcc, s0, v4
	v_mad_u64_u32 v[26:27], s[0:1], s26, v7, v[8:9]
	v_addc_co_u32_e32 v13, vcc, v2, v5, vcc
	v_mov_b32_e32 v2, v21
	v_mad_u64_u32 v[4:5], s[0:1], s27, v11, v[2:3]
	v_mov_b32_e32 v2, v27
	v_mad_u64_u32 v[7:8], s[0:1], s27, v7, v[2:3]
	v_lshlrev_b32_e32 v2, 2, v41
	v_and_b32_e32 v44, 0x100, v2
	v_lshrrev_b32_e32 v2, 1, v0
	v_lshlrev_b64 v[5:6], v41, -1
	v_and_b32_e32 v2, 0x1e0, v2
	s_mul_i32 s0, s27, s33
	s_mul_hi_u32 s1, s26, s33
	v_or_b32_e32 v45, 0xc00, v2
	v_mov_b32_e32 v2, 0xc00
	s_add_i32 s1, s1, s0
	s_mul_i32 s0, s26, s33
	v_lshlrev_b32_e32 v48, 1, v0
	s_mov_b32 s47, 0
	v_cmp_eq_u32_e64 s[4:5], 0, v41
	v_lshlrev_b32_e32 v24, 2, v0
	v_mov_b32_e32 v25, v3
	v_mov_b32_e32 v19, v10
	;; [unrolled: 1-line block ×3, first 2 shown]
	v_not_b32_e32 v42, v6
	v_not_b32_e32 v43, v5
	v_mov_b32_e32 v27, v7
	s_mov_b32 s17, s26
	s_mov_b32 s46, s27
	v_lshl_or_b32 v46, v41, 3, v2
	s_lshl_b64 s[50:51], s[0:1], 1
	s_mov_b32 s66, 14
	s_mov_b64 s[68:69], 0
	s_movk_i32 s67, 0x3f80
	s_mov_b32 s48, 0
	v_add_u32_e32 v49, 0xc00, v48
	v_lshlrev_b32_e32 v50, 3, v0
	v_mov_b32_e32 v51, 0xffff
	v_mov_b32_e32 v52, 0x8000
	;; [unrolled: 1-line block ×3, first 2 shown]
	v_mov_b32_e32 v54, -1
	v_mov_b32_e32 v55, 0x5040100
	v_mov_b32_e32 v57, 0
	v_mov_b32_e32 v47, 0
	v_mov_b32_e32 v56, 0
	v_add_co_u32_e32 v28, vcc, v16, v0
                                        ; implicit-def: $sgpr70_sgpr71
                                        ; implicit-def: $sgpr74_sgpr75
                                        ; implicit-def: $sgpr72_sgpr73
                                        ; implicit-def: $sgpr78_sgpr79
                                        ; implicit-def: $sgpr80_sgpr81
                                        ; implicit-def: $sgpr76_sgpr77
	v_writelane_b32 v62, s46, 35
	s_branch .LBB143_45
.LBB143_42:                             ;   in Loop: Header=BB143_45 Depth=1
	s_or_b64 exec, exec, s[10:11]
	s_and_b64 s[8:9], s[8:9], exec
	s_andn2_b64 s[86:87], s[86:87], exec
	s_andn2_b64 s[6:7], s[6:7], exec
	s_orn2_b64 s[20:21], s[2:3], exec
.LBB143_43:                             ;   in Loop: Header=BB143_45 Depth=1
	s_or_b64 exec, exec, s[0:1]
	s_andn2_b64 s[0:1], s[76:77], exec
	s_and_b64 s[2:3], s[8:9], exec
	s_or_b64 s[76:77], s[0:1], s[2:3]
	s_andn2_b64 s[0:1], s[80:81], exec
	s_and_b64 s[2:3], s[86:87], exec
	s_or_b64 s[80:81], s[0:1], s[2:3]
	;; [unrolled: 3-line block ×3, first 2 shown]
	s_orn2_b64 s[6:7], s[20:21], exec
.LBB143_44:                             ;   in Loop: Header=BB143_45 Depth=1
	s_or_b64 exec, exec, s[18:19]
	s_and_b64 s[0:1], exec, s[6:7]
	s_or_b64 s[68:69], s[0:1], s[68:69]
	s_andn2_b64 s[0:1], s[72:73], exec
	s_and_b64 s[2:3], s[76:77], exec
	s_or_b64 s[72:73], s[0:1], s[2:3]
	s_andn2_b64 s[0:1], s[74:75], exec
	s_and_b64 s[2:3], s[80:81], exec
	;; [unrolled: 3-line block ×3, first 2 shown]
	v_mov_b32_e32 v30, v9
	s_or_b64 s[70:71], s[0:1], s[2:3]
	v_mov_b32_e32 v29, v8
	s_andn2_b64 exec, exec, s[68:69]
	s_cbranch_execz .LBB143_309
.LBB143_45:                             ; =>This Loop Header: Depth=1
                                        ;     Child Loop BB143_50 Depth 2
                                        ;     Child Loop BB143_64 Depth 2
	;; [unrolled: 1-line block ×17, first 2 shown]
	ds_read_b128 v[4:7], v3 offset:5120
	s_waitcnt lgkmcnt(0)
	v_readfirstlane_b32 s83, v5
	v_readfirstlane_b32 s82, v4
	s_cmp_lg_u64 s[82:83], 0
	s_cbranch_scc1 .LBB143_77
; %bb.46:                               ;   in Loop: Header=BB143_45 Depth=1
	v_readlane_b32 s0, v62, 16
	v_readlane_b32 s1, v62, 17
	s_and_b64 vcc, exec, s[0:1]
	s_cbranch_vccz .LBB143_58
; %bb.47:                               ;   in Loop: Header=BB143_45 Depth=1
	s_mov_b64 s[0:1], 0x601
	v_cmp_gt_u64_e32 vcc, s[0:1], v[6:7]
	s_mov_b64 s[10:11], 0
	s_mov_b64 s[0:1], 0
	s_cbranch_vccz .LBB143_59
; %bb.48:                               ;   in Loop: Header=BB143_45 Depth=1
	global_load_ushort v2, v3, s[56:57]
	global_load_ushort v8, v[14:15], off
	v_readlane_b32 s0, v62, 29
	v_readlane_b32 s1, v62, 30
	v_mov_b32_e32 v5, s1
	v_mov_b32_e32 v4, s0
	v_readlane_b32 s8, v62, 31
	v_readlane_b32 s9, v62, 32
	s_waitcnt vmcnt(1)
	v_readfirstlane_b32 s0, v2
	s_and_b32 s6, 0xffff, s0
	v_add_u32_e32 v6, s6, v0
	v_mad_u64_u32 v[4:5], s[0:1], s8, v6, v[4:5]
	s_mul_i32 s7, s9, s6
	s_mov_b64 s[0:1], 0
	v_mad_u64_u32 v[5:6], s[2:3], s9, v6, v[5:6]
	s_mul_hi_u32 s2, s8, s6
	v_mov_b32_e32 v7, v1
	s_mul_i32 s18, s8, s6
	s_add_i32 s19, s2, s7
	v_mov_b32_e32 v6, v0
	s_branch .LBB143_50
.LBB143_49:                             ;   in Loop: Header=BB143_50 Depth=2
	s_or_b64 exec, exec, s[2:3]
	v_mov_b32_e32 v8, s19
	v_add_co_u32_e32 v4, vcc, s18, v4
	v_addc_co_u32_e32 v5, vcc, v5, v8, vcc
	v_mov_b32_e32 v8, v9
	s_andn2_b64 exec, exec, s[0:1]
	s_cbranch_execz .LBB143_175
.LBB143_50:                             ;   Parent Loop BB143_45 Depth=1
                                        ; =>  This Inner Loop Header: Depth=2
	v_add_co_u32_sdwa v6, vcc, v6, v2 dst_sel:DWORD dst_unused:UNUSED_PAD src0_sel:DWORD src1_sel:WORD_0
	v_addc_co_u32_e32 v7, vcc, 0, v7, vcc
	v_cmp_gt_u64_e64 s[6:7], s[24:25], v[6:7]
	v_cmp_le_u64_e32 vcc, s[24:25], v[6:7]
	s_waitcnt lgkmcnt(0)
	v_mov_b32_e32 v10, 0
	v_mov_b32_e32 v9, 0
	s_and_saveexec_b64 s[2:3], s[6:7]
	s_cbranch_execz .LBB143_52
; %bb.51:                               ;   in Loop: Header=BB143_50 Depth=2
	global_load_ushort v9, v[4:5], off
.LBB143_52:                             ;   in Loop: Header=BB143_50 Depth=2
	s_or_b64 exec, exec, s[2:3]
	s_waitcnt vmcnt(0)
	v_cmp_lt_i16_e64 s[6:7], -1, v8
	v_cndmask_b32_e64 v11, v51, v52, s[6:7]
	v_lshlrev_b32_e32 v31, 16, v8
	v_xor_b32_sdwa v11, v11, v8 dst_sel:DWORD dst_unused:UNUSED_PAD src0_sel:DWORD src1_sel:WORD_0
	v_cmp_o_f32_e64 s[6:7], v31, v31
	v_cndmask_b32_e64 v11, v51, v11, s[6:7]
	v_and_b32_e32 v11, v11, v56
	v_cmp_eq_u32_e64 s[14:15], v11, v47
	s_cmp_lg_u64 s[14:15], 0
	s_cselect_b64 s[2:3], -1, 0
	s_and_b64 s[2:3], s[4:5], s[2:3]
	s_and_saveexec_b64 s[8:9], s[2:3]
	s_cbranch_execz .LBB143_56
; %bb.53:                               ;   in Loop: Header=BB143_50 Depth=2
	s_mov_b64 s[12:13], exec
	v_mbcnt_lo_u32_b32 v10, s12, 0
	v_mbcnt_hi_u32_b32 v10, s13, v10
	s_bcnt1_i32_b64 s20, s[14:15]
	v_cmp_eq_u32_e64 s[6:7], 0, v10
                                        ; implicit-def: $vgpr11
	s_and_saveexec_b64 s[2:3], s[6:7]
; %bb.54:                               ;   in Loop: Header=BB143_50 Depth=2
	s_bcnt1_i32_b64 s6, s[12:13]
	s_mul_i32 s6, s20, s6
	v_mov_b32_e32 v11, s6
	ds_add_rtn_u32 v11, v3, v11 offset:5144
; %bb.55:                               ;   in Loop: Header=BB143_50 Depth=2
	s_or_b64 exec, exec, s[2:3]
	s_waitcnt lgkmcnt(0)
	v_readfirstlane_b32 s2, v11
	v_mov_b32_e32 v11, s2
	v_mad_u32_u24 v10, s20, v10, v11
.LBB143_56:                             ;   in Loop: Header=BB143_50 Depth=2
	s_or_b64 exec, exec, s[8:9]
	ds_bpermute_b32 v10, v44, v10
	s_and_b64 s[2:3], exec, vcc
	s_or_b64 s[0:1], s[2:3], s[0:1]
	s_and_saveexec_b64 s[2:3], s[14:15]
	s_cbranch_execz .LBB143_49
; %bb.57:                               ;   in Loop: Header=BB143_50 Depth=2
	v_and_b32_e32 v31, s14, v43
	v_and_b32_e32 v11, s15, v42
	v_bcnt_u32_b32 v31, v31, 0
	v_bcnt_u32_b32 v11, v11, v31
	v_lshlrev_b32_e32 v11, 1, v11
	s_waitcnt lgkmcnt(0)
	v_lshl_add_u32 v10, v10, 1, v11
	ds_write_b16 v10, v8
	s_branch .LBB143_49
.LBB143_58:                             ;   in Loop: Header=BB143_45 Depth=1
	s_mov_b64 s[10:11], -1
	s_mov_b64 s[0:1], 0
.LBB143_59:                             ;   in Loop: Header=BB143_45 Depth=1
	s_and_b64 vcc, exec, s[10:11]
	s_cbranch_vccz .LBB143_75
.LBB143_60:                             ;   in Loop: Header=BB143_45 Depth=1
	s_mov_b64 s[10:11], exec
	v_readlane_b32 s0, v62, 8
	v_readlane_b32 s1, v62, 9
	s_and_b64 s[0:1], s[10:11], s[0:1]
	s_mov_b64 exec, s[0:1]
	s_cbranch_execz .LBB143_72
; %bb.61:                               ;   in Loop: Header=BB143_45 Depth=1
	global_load_ushort v2, v3, s[56:57]
	global_load_ushort v11, v[14:15], off
	v_mov_b32_e32 v6, v0
	s_waitcnt vmcnt(1)
	v_readfirstlane_b32 s0, v2
	v_add_u32_sdwa v2, v2, v0 dst_sel:DWORD dst_unused:UNUSED_PAD src0_sel:WORD_0 src1_sel:DWORD
	v_cmp_gt_u64_e32 vcc, s[24:25], v[2:3]
	s_and_saveexec_b64 s[12:13], vcc
	s_cbranch_execz .LBB143_71
; %bb.62:                               ;   in Loop: Header=BB143_45 Depth=1
	s_and_b32 s14, s0, 0xffff
	s_cmp_eq_u32 s14, 1
	v_readlane_b32 s2, v62, 20
                                        ; implicit-def: $vgpr6_vgpr7
	s_cselect_b64 s[0:1], -1, 0
	v_readlane_b32 s3, v62, 21
	v_mov_b32_e32 v8, v1
	v_mov_b32_e32 v5, v3
	s_and_b64 s[6:7], s[2:3], s[0:1]
	s_mov_b64 s[2:3], -1
	v_mov_b32_e32 v7, v0
	v_mov_b32_e32 v4, v2
	s_and_saveexec_b64 s[0:1], s[6:7]
	s_cbranch_execz .LBB143_66
; %bb.63:                               ;   in Loop: Header=BB143_45 Depth=1
	v_add_co_u32_e32 v4, vcc, 1, v2
	v_addc_co_u32_e64 v5, s[2:3], 0, 0, vcc
	v_mov_b32_e32 v8, v16
	v_mov_b32_e32 v7, v5
	s_waitcnt vmcnt(0)
	v_lshlrev_b32_e32 v31, 16, v11
	s_mov_b64 s[6:7], 0
	v_mov_b32_e32 v9, v17
	v_mov_b32_e32 v10, v48
	;; [unrolled: 1-line block ×5, first 2 shown]
.LBB143_64:                             ;   Parent Loop BB143_45 Depth=1
                                        ; =>  This Inner Loop Header: Depth=2
	v_mul_lo_u32 v37, v5, s26
	v_mul_lo_u32 v38, v4, s27
	v_mad_u64_u32 v[34:35], s[2:3], v4, s26, 0
	v_mul_lo_u32 v11, v7, s17
	v_mul_lo_u32 v36, v6, s46
	v_mad_u64_u32 v[32:33], s[2:3], v6, s17, 0
	v_add3_u32 v35, v35, v38, v37
	v_lshlrev_b64 v[34:35], 1, v[34:35]
	v_add3_u32 v33, v33, v36, v11
	v_mov_b32_e32 v39, s53
	v_lshlrev_b64 v[32:33], 1, v[32:33]
	v_add_co_u32_e32 v34, vcc, s52, v34
	v_addc_co_u32_e32 v35, vcc, v39, v35, vcc
	v_add_co_u32_e32 v32, vcc, s52, v32
	v_addc_co_u32_e32 v33, vcc, v39, v33, vcc
	global_load_ushort v34, v[34:35], off
	s_nop 0
	global_load_ushort v11, v[32:33], off
	v_add_co_u32_e32 v6, vcc, 2, v6
	v_addc_co_u32_e32 v7, vcc, 0, v7, vcc
	v_add_co_u32_e32 v4, vcc, 2, v4
	v_addc_co_u32_e32 v5, vcc, 0, v5, vcc
	v_add_co_u32_e32 v8, vcc, -2, v8
	v_addc_co_u32_e32 v9, vcc, -1, v9, vcc
	s_mov_b32 s2, 0x5040100
	v_cmp_eq_u64_e32 vcc, 0, v[8:9]
	s_or_b64 s[6:7], vcc, s[6:7]
	s_waitcnt vmcnt(1)
	v_alignbit_b32 v31, v34, v31, 16
	s_waitcnt vmcnt(0)
	v_perm_b32 v32, v11, v34, s2
	ds_write_b32 v10, v31
	v_add_u32_e32 v10, 4, v10
	v_mov_b32_e32 v31, v32
	s_andn2_b64 exec, exec, s[6:7]
	s_cbranch_execnz .LBB143_64
; %bb.65:                               ;   in Loop: Header=BB143_45 Depth=1
	s_or_b64 exec, exec, s[6:7]
	v_readlane_b32 s2, v62, 22
	v_add_co_u32_e32 v4, vcc, v2, v16
	v_readlane_b32 s3, v62, 23
	v_addc_co_u32_e32 v5, vcc, 0, v17, vcc
	v_add_co_u32_e32 v6, vcc, -1, v4
	s_orn2_b64 s[2:3], s[2:3], exec
	v_mov_b32_e32 v7, v28
	v_mov_b32_e32 v8, v29
.LBB143_66:                             ;   in Loop: Header=BB143_45 Depth=1
	s_or_b64 exec, exec, s[0:1]
	s_and_saveexec_b64 s[0:1], s[2:3]
	s_cbranch_execz .LBB143_70
; %bb.67:                               ;   in Loop: Header=BB143_45 Depth=1
	v_readlane_b32 s2, v62, 29
	v_readlane_b32 s3, v62, 30
	v_mov_b32_e32 v9, s3
	v_readlane_b32 s18, v62, 31
	v_mov_b32_e32 v8, s2
	v_readlane_b32 s19, v62, 32
	v_mad_u64_u32 v[9:10], s[2:3], s18, v4, v[8:9]
	v_mul_lo_u32 v2, s18, v5
	v_mul_lo_u32 v6, s19, v4
	s_mul_i32 s3, s19, s14
	s_mul_hi_u32 s6, s18, s14
	s_mov_b64 s[8:9], 0
	s_sub_u32 s2, 0, s14
	v_add3_u32 v10, v6, v10, v2
	s_add_i32 s3, s6, s3
	s_mul_i32 s15, s18, s14
.LBB143_68:                             ;   Parent Loop BB143_45 Depth=1
                                        ; =>  This Inner Loop Header: Depth=2
	s_waitcnt vmcnt(0)
	v_mov_b32_e32 v2, v11
	global_load_ushort v11, v[9:10], off
	v_mov_b32_e32 v32, v5
	v_mov_b32_e32 v31, v4
	v_lshlrev_b32_e32 v4, 1, v7
	ds_write_b16 v4, v2
	v_add_co_u32_e32 v4, vcc, s14, v31
	v_addc_co_u32_e32 v5, vcc, 0, v32, vcc
	v_mov_b32_e32 v2, s3
	v_add_co_u32_e32 v9, vcc, s15, v9
	v_addc_co_u32_e32 v10, vcc, v10, v2, vcc
	v_cmp_le_u64_e32 vcc, s[24:25], v[4:5]
	v_add_co_u32_e64 v6, s[6:7], s2, v4
	s_or_b64 s[8:9], vcc, s[8:9]
	v_mov_b32_e32 v7, v31
	v_mov_b32_e32 v8, v32
	s_andn2_b64 exec, exec, s[8:9]
	s_cbranch_execnz .LBB143_68
; %bb.69:                               ;   in Loop: Header=BB143_45 Depth=1
	s_or_b64 exec, exec, s[8:9]
.LBB143_70:                             ;   in Loop: Header=BB143_45 Depth=1
	s_or_b64 exec, exec, s[0:1]
.LBB143_71:                             ;   in Loop: Header=BB143_45 Depth=1
	s_or_b64 exec, exec, s[12:13]
	v_lshlrev_b32_e32 v2, 1, v6
	s_waitcnt vmcnt(0)
	ds_write_b16 v2, v11
.LBB143_72:                             ;   in Loop: Header=BB143_45 Depth=1
	s_or_b64 exec, exec, s[10:11]
	s_waitcnt lgkmcnt(0)
	s_barrier
	s_mov_b64 s[0:1], exec
	v_readlane_b32 s2, v62, 10
	v_readlane_b32 s3, v62, 11
	s_and_b64 s[2:3], s[0:1], s[2:3]
	s_mov_b64 exec, s[2:3]
; %bb.73:                               ;   in Loop: Header=BB143_45 Depth=1
	v_mov_b32_e32 v4, s24
	v_mov_b32_e32 v5, s25
	ds_write_b64 v3, v[4:5] offset:5120
; %bb.74:                               ;   in Loop: Header=BB143_45 Depth=1
	s_or_b64 exec, exec, s[0:1]
	s_mov_b64 s[0:1], -1
	s_waitcnt lgkmcnt(0)
	s_barrier
.LBB143_75:                             ;   in Loop: Header=BB143_45 Depth=1
	s_mov_b64 s[82:83], 0
	s_and_b64 vcc, exec, s[0:1]
	s_cbranch_vccz .LBB143_77
; %bb.76:                               ;   in Loop: Header=BB143_45 Depth=1
	ds_read_b64 v[4:5], v3 offset:5120
	s_waitcnt lgkmcnt(0)
	v_readfirstlane_b32 s82, v4
.LBB143_77:                             ;   in Loop: Header=BB143_45 Depth=1
	s_cmp_lt_i32 s82, 1
	s_mov_b64 s[0:1], -1
                                        ; implicit-def: $vgpr4_vgpr5
                                        ; implicit-def: $vgpr8_vgpr9
	s_cbranch_scc1 .LBB143_87
; %bb.78:                               ;   in Loop: Header=BB143_45 Depth=1
	s_and_b64 vcc, exec, s[0:1]
	s_cbranch_vccnz .LBB143_101
.LBB143_79:                             ;   in Loop: Header=BB143_45 Depth=1
	s_lshl_b32 s2, s48, 6
	s_and_saveexec_b64 s[0:1], s[4:5]
	s_cbranch_execz .LBB143_81
.LBB143_80:                             ;   in Loop: Header=BB143_45 Depth=1
	v_lshl_add_u32 v2, s2, 3, v45
	ds_write_b128 v2, v[4:7]
	ds_write_b128 v2, v[8:11] offset:16
.LBB143_81:                             ;   in Loop: Header=BB143_45 Depth=1
	s_or_b64 exec, exec, s[0:1]
	s_waitcnt lgkmcnt(0)
	s_barrier
	s_mov_b64 s[6:7], exec
	v_readlane_b32 s0, v62, 12
	v_readlane_b32 s1, v62, 13
	s_and_b64 s[0:1], s[6:7], s[0:1]
	s_mov_b64 exec, s[0:1]
	s_cbranch_execz .LBB143_116
; %bb.82:                               ;   in Loop: Header=BB143_45 Depth=1
	v_readlane_b32 s0, v62, 18
	v_mov_b32_e32 v4, 0
	v_readlane_b32 s1, v62, 19
	v_mov_b32_e32 v5, 0
	s_andn2_b64 vcc, exec, s[0:1]
	s_cbranch_vccnz .LBB143_115
; %bb.83:                               ;   in Loop: Header=BB143_45 Depth=1
	v_readlane_b32 s0, v62, 24
	v_readlane_b32 s1, v62, 25
	s_andn2_b64 vcc, exec, s[0:1]
	s_cbranch_vccnz .LBB143_111
; %bb.84:                               ;   in Loop: Header=BB143_45 Depth=1
	v_mov_b32_e32 v4, 0
	v_lshl_add_u32 v2, s48, 9, v46
	v_mov_b32_e32 v5, 0
	s_mov_b32 s0, 0
.LBB143_85:                             ;   Parent Loop BB143_45 Depth=1
                                        ; =>  This Inner Loop Header: Depth=2
	ds_read2_b64 v[6:9], v2 offset1:4
	ds_read2_b64 v[31:34], v2 offset0:8 offset1:12
	ds_read2_b64 v[35:38], v2 offset0:16 offset1:20
	;; [unrolled: 1-line block ×3, first 2 shown]
	s_add_i32 s0, s0, 8
	s_waitcnt lgkmcnt(3)
	v_add_co_u32_e32 v4, vcc, v6, v4
	v_addc_co_u32_e32 v5, vcc, v7, v5, vcc
	v_add_co_u32_e32 v4, vcc, v8, v4
	v_addc_co_u32_e32 v5, vcc, v9, v5, vcc
	s_waitcnt lgkmcnt(2)
	v_add_co_u32_e32 v4, vcc, v31, v4
	v_addc_co_u32_e32 v5, vcc, v32, v5, vcc
	v_add_co_u32_e32 v4, vcc, v33, v4
	v_addc_co_u32_e32 v5, vcc, v34, v5, vcc
	;; [unrolled: 5-line block ×3, first 2 shown]
	s_waitcnt lgkmcnt(0)
	v_add_co_u32_e32 v4, vcc, v58, v4
	v_addc_co_u32_e32 v5, vcc, v59, v5, vcc
	v_add_co_u32_e32 v4, vcc, v60, v4
	v_add_u32_e32 v2, 0x100, v2
	s_cmp_eq_u32 s65, s0
	v_addc_co_u32_e32 v5, vcc, v61, v5, vcc
	s_cbranch_scc0 .LBB143_85
; %bb.86:                               ;   in Loop: Header=BB143_45 Depth=1
	s_mov_b32 s0, s65
	s_branch .LBB143_112
.LBB143_87:                             ;   in Loop: Header=BB143_45 Depth=1
	global_load_ushort v2, v3, s[56:57]
	s_mov_b32 s0, s47
	s_waitcnt vmcnt(0)
	v_readfirstlane_b32 s1, v2
	s_and_b32 s8, s1, 0xffff
	s_lshl_b32 s9, s8, 2
	s_mov_b32 s1, s25
	s_cmp_lg_u64 s[0:1], 0
	s_cbranch_scc0 .LBB143_110
; %bb.88:                               ;   in Loop: Header=BB143_45 Depth=1
	v_cvt_f32_u32_e32 v2, s9
	s_sub_u32 s2, 0, s9
	s_subb_u32 s3, 0, 0
	v_mac_f32_e32 v2, 0, v53
	v_rcp_f32_e32 v2, v2
	v_mul_f32_e32 v2, 0x5f7ffffc, v2
	v_mul_f32_e32 v4, 0x2f800000, v2
	v_trunc_f32_e32 v4, v4
	v_mac_f32_e32 v2, 0xcf800000, v4
	v_cvt_u32_f32_e32 v4, v4
	v_cvt_u32_f32_e32 v2, v2
	v_readfirstlane_b32 s6, v4
	v_readfirstlane_b32 s0, v2
	s_mul_i32 s1, s2, s6
	s_mul_hi_u32 s10, s2, s0
	s_mul_i32 s7, s3, s0
	s_add_i32 s1, s10, s1
	s_mul_i32 s11, s2, s0
	s_add_i32 s1, s1, s7
	s_mul_hi_u32 s10, s0, s11
	s_mul_i32 s12, s0, s1
	s_mul_hi_u32 s7, s0, s1
	s_add_u32 s10, s10, s12
	s_addc_u32 s7, 0, s7
	s_mul_hi_u32 s13, s6, s11
	s_mul_i32 s11, s6, s11
	s_add_u32 s10, s10, s11
	s_mul_hi_u32 s12, s6, s1
	s_addc_u32 s7, s7, s13
	s_addc_u32 s10, s12, 0
	s_mul_i32 s1, s6, s1
	s_add_u32 s1, s7, s1
	s_addc_u32 s7, 0, s10
	s_add_u32 s10, s0, s1
	s_cselect_b64 s[0:1], -1, 0
	s_cmp_lg_u64 s[0:1], 0
	s_addc_u32 s6, s6, s7
	s_mul_i32 s0, s2, s6
	s_mul_hi_u32 s1, s2, s10
	s_add_i32 s0, s1, s0
	s_mul_i32 s3, s3, s10
	s_add_i32 s0, s0, s3
	s_mul_i32 s2, s2, s10
	s_mul_hi_u32 s3, s6, s2
	s_mul_i32 s7, s6, s2
	s_mul_i32 s12, s10, s0
	s_mul_hi_u32 s2, s10, s2
	s_mul_hi_u32 s11, s10, s0
	s_add_u32 s2, s2, s12
	s_addc_u32 s11, 0, s11
	s_add_u32 s2, s2, s7
	s_mul_hi_u32 s1, s6, s0
	s_addc_u32 s2, s11, s3
	s_addc_u32 s1, s1, 0
	s_mul_i32 s0, s6, s0
	s_add_u32 s0, s2, s0
	s_addc_u32 s2, 0, s1
	s_add_u32 s3, s10, s0
	s_cselect_b64 s[0:1], -1, 0
	s_cmp_lg_u64 s[0:1], 0
	s_addc_u32 s0, s6, s2
	s_mul_i32 s2, s24, s0
	s_mul_hi_u32 s6, s24, s3
	s_mul_hi_u32 s1, s24, s0
	s_add_u32 s2, s6, s2
	s_addc_u32 s1, 0, s1
	s_mul_hi_u32 s7, s25, s3
	s_mul_i32 s3, s25, s3
	s_add_u32 s2, s2, s3
	s_mul_hi_u32 s6, s25, s0
	s_addc_u32 s1, s1, s7
	s_addc_u32 s2, s6, 0
	s_mul_i32 s0, s25, s0
	s_add_u32 s0, s1, s0
	s_addc_u32 s1, 0, s2
	s_mul_i32 s1, s9, s1
	s_mul_hi_u32 s2, s9, s0
	s_add_i32 s2, s2, s1
	s_mul_i32 s0, s9, s0
	s_sub_u32 s3, s24, s0
	s_cselect_b64 s[0:1], -1, 0
	s_cmp_lg_u64 s[0:1], 0
	s_subb_u32 s2, s25, s2
	s_sub_u32 s6, s3, s9
	s_cselect_b64 s[0:1], -1, 0
	s_cmp_lg_u64 s[0:1], 0
	s_subb_u32 s7, s2, 0
	;; [unrolled: 4-line block ×3, first 2 shown]
	s_cmp_ge_u32 s6, s9
	s_cselect_b32 s1, -1, 0
	s_cmp_eq_u32 s7, 0
	s_cselect_b32 s1, s1, -1
	s_cmp_lg_u32 s1, 0
	s_cselect_b32 s0, s0, s7
	s_cselect_b32 s6, s10, s6
	s_cmp_ge_u32 s3, s9
	s_cselect_b32 s1, -1, 0
	s_cmp_eq_u32 s2, 0
	s_cselect_b32 s1, s1, -1
	s_cmp_lg_u32 s1, 0
	s_cselect_b32 s1, s0, s2
	s_cselect_b32 s0, s6, s3
	s_cbranch_execnz .LBB143_90
.LBB143_89:                             ;   in Loop: Header=BB143_45 Depth=1
	v_cvt_f32_u32_e32 v2, s9
	s_sub_i32 s0, 0, s9
	v_rcp_iflag_f32_e32 v2, v2
	v_mul_f32_e32 v2, 0x4f7ffffe, v2
	v_cvt_u32_f32_e32 v2, v2
	v_readfirstlane_b32 s1, v2
	s_mul_i32 s0, s0, s1
	s_mul_hi_u32 s0, s1, s0
	s_add_i32 s1, s1, s0
	s_mul_hi_u32 s0, s24, s1
	s_mul_i32 s0, s0, s9
	s_sub_i32 s0, s24, s0
	s_sub_i32 s1, s0, s9
	s_cmp_ge_u32 s0, s9
	s_cselect_b32 s0, s1, s0
	s_sub_i32 s1, s0, s9
	s_cmp_ge_u32 s0, s9
	s_cselect_b32 s46, s1, s0
	s_mov_b64 s[0:1], s[46:47]
	v_readlane_b32 s46, v62, 35
.LBB143_90:                             ;   in Loop: Header=BB143_45 Depth=1
	s_sub_u32 s84, s24, s0
	s_subb_u32 s85, s25, s1
	v_cmp_gt_u64_e32 vcc, s[84:85], v[24:25]
	v_mov_b32_e32 v4, 0
	v_mov_b32_e32 v6, 0
	;; [unrolled: 1-line block ×8, first 2 shown]
	s_and_saveexec_b64 s[86:87], vcc
	s_cbranch_execz .LBB143_94
; %bb.91:                               ;   in Loop: Header=BB143_45 Depth=1
	v_readlane_b32 s2, v62, 33
	v_readlane_b32 s3, v62, 34
	s_mul_i32 s0, s3, s8
	s_mul_hi_u32 s1, s2, s8
	v_mov_b32_e32 v32, v23
	v_mov_b32_e32 v34, v27
	v_mov_b32_e32 v36, v21
	v_mov_b32_e32 v38, v19
	v_mov_b32_e32 v40, v25
	s_add_i32 s0, s1, s0
	s_mul_i32 s1, s2, s8
	s_mov_b64 s[88:89], 0
	v_mov_b32_e32 v31, v22
	v_mov_b32_e32 v33, v26
	;; [unrolled: 1-line block ×4, first 2 shown]
	s_mov_b64 s[90:91], 0
	s_mov_b64 s[92:93], 0
	;; [unrolled: 1-line block ×4, first 2 shown]
	v_mov_b32_e32 v39, v24
.LBB143_92:                             ;   Parent Loop BB143_45 Depth=1
                                        ; =>  This Inner Loop Header: Depth=2
	v_add_co_u32_e32 v4, vcc, s44, v31
	v_mov_b32_e32 v2, s45
	v_addc_co_u32_e32 v5, vcc, v32, v2, vcc
	global_load_ushort v6, v[4:5], off
	v_add_co_u32_e32 v4, vcc, s44, v33
	v_addc_co_u32_e32 v5, vcc, v34, v2, vcc
	global_load_ushort v7, v[4:5], off
	v_add_co_u32_e32 v4, vcc, s44, v35
	;; [unrolled: 3-line block ×3, first 2 shown]
	v_addc_co_u32_e32 v5, vcc, v38, v2, vcc
	global_load_ushort v2, v[4:5], off
	s_waitcnt vmcnt(3)
	v_cmp_lt_i16_e32 vcc, -1, v6
	v_cndmask_b32_e32 v4, v51, v52, vcc
	v_lshlrev_b32_e32 v5, 16, v6
	v_cmp_o_f32_e32 vcc, v5, v5
	v_xor_b32_sdwa v4, v4, v6 dst_sel:DWORD dst_unused:UNUSED_PAD src0_sel:DWORD src1_sel:WORD_0
	v_cndmask_b32_e32 v4, v51, v4, vcc
	s_waitcnt vmcnt(2)
	v_cmp_lt_i16_e32 vcc, -1, v7
	v_cndmask_b32_e32 v5, v51, v52, vcc
	v_lshlrev_b32_e32 v6, 16, v7
	v_cmp_o_f32_e32 vcc, v6, v6
	v_xor_b32_sdwa v5, v5, v7 dst_sel:DWORD dst_unused:UNUSED_PAD src0_sel:DWORD src1_sel:WORD_0
	v_cndmask_b32_e32 v5, v51, v5, vcc
	;; [unrolled: 7-line block ×3, first 2 shown]
	s_waitcnt vmcnt(0)
	v_cmp_lt_i16_e32 vcc, -1, v2
	v_cndmask_b32_e32 v7, v51, v52, vcc
	v_lshlrev_b32_e32 v8, 16, v2
	v_cmp_o_f32_e32 vcc, v8, v8
	v_xor_b32_sdwa v2, v7, v2 dst_sel:DWORD dst_unused:UNUSED_PAD src0_sel:DWORD src1_sel:WORD_0
	v_and_b32_e32 v7, v4, v56
	v_bfe_u32 v4, v4, s66, 2
	v_cndmask_b32_e32 v2, v51, v2, vcc
	v_cmp_eq_u32_e32 vcc, v7, v47
	v_and_b32_e32 v7, v5, v56
	v_bfe_u32 v5, v5, s66, 2
	v_cmp_eq_u32_e64 s[20:21], 0, v4
	v_cmp_eq_u32_e64 s[6:7], v7, v47
	v_and_b32_e32 v7, v6, v56
	v_bfe_u32 v6, v6, s66, 2
	s_and_b64 s[2:3], vcc, s[20:21]
	v_cmp_eq_u32_e64 s[20:21], 0, v5
	v_cmp_eq_u32_e64 s[14:15], v7, v47
	v_and_b32_e32 v7, v2, v56
	v_bfe_u32 v2, v2, s66, 2
	s_and_b64 s[10:11], s[6:7], s[20:21]
	v_cmp_eq_u32_e64 s[20:21], 0, v6
	v_cmp_eq_u32_e64 s[18:19], v7, v47
	s_and_b64 s[12:13], s[14:15], s[20:21]
	v_cmp_eq_u32_e64 s[20:21], 0, v2
	v_cndmask_b32_e64 v7, 0, 1, s[2:3]
	s_and_b64 s[34:35], s[18:19], s[20:21]
	v_cmp_ne_u32_e64 s[20:21], 0, v7
	v_cndmask_b32_e64 v7, 0, 1, s[10:11]
	s_bcnt1_i32_b64 s2, s[20:21]
	v_cmp_ne_u32_e64 s[20:21], 0, v7
	v_cndmask_b32_e64 v7, 0, 1, s[12:13]
	s_bcnt1_i32_b64 s3, s[20:21]
	;; [unrolled: 3-line block ×3, first 2 shown]
	v_cmp_ne_u32_e64 s[20:21], 0, v7
	s_bcnt1_i32_b64 s11, s[20:21]
	s_add_u32 s2, s2, s40
	s_addc_u32 s12, 0, s41
	s_add_u32 s2, s2, s3
	s_addc_u32 s3, s12, 0
	;; [unrolled: 2-line block ×3, first 2 shown]
	s_add_u32 s40, s2, s11
	v_cmp_eq_u32_e64 s[20:21], 1, v4
	s_addc_u32 s41, s3, 0
	s_and_b64 s[2:3], vcc, s[20:21]
	v_cmp_eq_u32_e64 s[20:21], 1, v5
	s_and_b64 s[10:11], s[6:7], s[20:21]
	v_cmp_eq_u32_e64 s[20:21], 1, v6
	s_and_b64 s[12:13], s[14:15], s[20:21]
	v_cmp_eq_u32_e64 s[20:21], 1, v2
	v_cndmask_b32_e64 v7, 0, 1, s[2:3]
	s_and_b64 s[34:35], s[18:19], s[20:21]
	v_cmp_ne_u32_e64 s[20:21], 0, v7
	v_cndmask_b32_e64 v7, 0, 1, s[10:11]
	s_bcnt1_i32_b64 s2, s[20:21]
	v_cmp_ne_u32_e64 s[20:21], 0, v7
	v_cndmask_b32_e64 v7, 0, 1, s[12:13]
	s_bcnt1_i32_b64 s3, s[20:21]
	;; [unrolled: 3-line block ×3, first 2 shown]
	v_cmp_ne_u32_e64 s[20:21], 0, v7
	s_bcnt1_i32_b64 s11, s[20:21]
	s_add_u32 s2, s2, s94
	s_addc_u32 s12, 0, s95
	s_add_u32 s2, s2, s3
	s_addc_u32 s3, s12, 0
	;; [unrolled: 2-line block ×3, first 2 shown]
	s_add_u32 s94, s2, s11
	v_cmp_eq_u32_e64 s[20:21], 2, v4
	s_addc_u32 s95, s3, 0
	s_and_b64 s[2:3], vcc, s[20:21]
	v_cmp_eq_u32_e64 s[20:21], 2, v5
	s_and_b64 s[10:11], s[6:7], s[20:21]
	v_cmp_eq_u32_e64 s[20:21], 2, v6
	s_and_b64 s[12:13], s[14:15], s[20:21]
	v_cmp_eq_u32_e64 s[20:21], 2, v2
	v_cndmask_b32_e64 v7, 0, 1, s[2:3]
	s_and_b64 s[34:35], s[18:19], s[20:21]
	v_cmp_ne_u32_e64 s[20:21], 0, v7
	v_cndmask_b32_e64 v7, 0, 1, s[10:11]
	s_bcnt1_i32_b64 s2, s[20:21]
	v_cmp_ne_u32_e64 s[20:21], 0, v7
	v_cndmask_b32_e64 v7, 0, 1, s[12:13]
	s_bcnt1_i32_b64 s3, s[20:21]
	;; [unrolled: 3-line block ×3, first 2 shown]
	v_cmp_ne_u32_e64 s[20:21], 0, v7
	s_bcnt1_i32_b64 s11, s[20:21]
	s_add_u32 s2, s2, s92
	s_addc_u32 s12, 0, s93
	s_add_u32 s2, s2, s3
	s_addc_u32 s3, s12, 0
	;; [unrolled: 2-line block ×3, first 2 shown]
	s_add_u32 s92, s2, s11
	v_cmp_eq_u32_e64 s[20:21], 3, v4
	s_addc_u32 s93, s3, 0
	s_and_b64 s[2:3], vcc, s[20:21]
	v_cmp_eq_u32_e32 vcc, 3, v5
	s_and_b64 s[6:7], s[6:7], vcc
	v_cmp_eq_u32_e32 vcc, 3, v6
	s_and_b64 s[10:11], s[14:15], vcc
	v_cmp_eq_u32_e32 vcc, 3, v2
	v_cndmask_b32_e64 v2, 0, 1, s[2:3]
	s_and_b64 s[12:13], s[18:19], vcc
	v_cmp_ne_u32_e32 vcc, 0, v2
	v_cndmask_b32_e64 v2, 0, 1, s[6:7]
	s_bcnt1_i32_b64 s2, vcc
	v_cmp_ne_u32_e32 vcc, 0, v2
	v_cndmask_b32_e64 v2, 0, 1, s[10:11]
	s_bcnt1_i32_b64 s3, vcc
	;; [unrolled: 3-line block ×3, first 2 shown]
	v_cmp_ne_u32_e32 vcc, 0, v2
	s_bcnt1_i32_b64 s7, vcc
	v_add_co_u32_e32 v39, vcc, s9, v39
	v_addc_co_u32_e32 v40, vcc, 0, v40, vcc
	v_add_co_u32_e32 v37, vcc, s1, v37
	v_mov_b32_e32 v2, s0
	v_addc_co_u32_e32 v38, vcc, v38, v2, vcc
	s_add_u32 s2, s2, s90
	v_add_co_u32_e32 v35, vcc, s1, v35
	s_addc_u32 s10, 0, s91
	v_addc_co_u32_e32 v36, vcc, v36, v2, vcc
	s_add_u32 s2, s2, s3
	v_add_co_u32_e32 v33, vcc, s1, v33
	s_addc_u32 s3, s10, 0
	;; [unrolled: 4-line block ×3, first 2 shown]
	v_addc_co_u32_e32 v32, vcc, v32, v2, vcc
	s_add_u32 s90, s2, s7
	v_cmp_le_u64_e32 vcc, s[84:85], v[39:40]
	s_addc_u32 s91, s3, 0
	v_mov_b32_e32 v4, s40
	v_mov_b32_e32 v6, s94
	;; [unrolled: 1-line block ×4, first 2 shown]
	s_or_b64 s[88:89], vcc, s[88:89]
	v_mov_b32_e32 v5, s41
	v_mov_b32_e32 v7, s95
	;; [unrolled: 1-line block ×4, first 2 shown]
	s_andn2_b64 exec, exec, s[88:89]
	s_cbranch_execnz .LBB143_92
; %bb.93:                               ;   in Loop: Header=BB143_45 Depth=1
	s_or_b64 exec, exec, s[88:89]
.LBB143_94:                             ;   in Loop: Header=BB143_45 Depth=1
	s_or_b64 exec, exec, s[86:87]
	v_mov_b32_e32 v2, s85
	v_add_co_u32_e32 v31, vcc, s84, v0
	v_addc_co_u32_e32 v32, vcc, 0, v2, vcc
	v_cmp_gt_u64_e32 vcc, s[24:25], v[31:32]
	s_and_saveexec_b64 s[10:11], vcc
	s_cbranch_execz .LBB143_100
; %bb.95:                               ;   in Loop: Header=BB143_45 Depth=1
	v_mul_lo_u32 v2, v32, s26
	v_mul_lo_u32 v35, v31, s27
	v_mad_u64_u32 v[33:34], s[0:1], v31, s26, 0
	s_mov_b64 s[0:1], 0
	v_add3_u32 v34, v34, v35, v2
	v_lshlrev_b64 v[33:34], 1, v[33:34]
	v_mov_b32_e32 v2, s53
	v_add_co_u32_e32 v33, vcc, s52, v33
	v_addc_co_u32_e32 v34, vcc, v2, v34, vcc
	global_load_ushort v33, v[33:34], off
	s_branch .LBB143_97
.LBB143_96:                             ;   in Loop: Header=BB143_97 Depth=2
	s_or_b64 exec, exec, s[2:3]
	s_and_b64 s[2:3], exec, vcc
	s_waitcnt vmcnt(0)
	v_cmp_lt_i16_e32 vcc, -1, v33
	v_cndmask_b32_e32 v34, v51, v52, vcc
	v_lshlrev_b32_e32 v35, 16, v33
	v_xor_b32_sdwa v33, v34, v33 dst_sel:DWORD dst_unused:UNUSED_PAD src0_sel:DWORD src1_sel:WORD_0
	v_cmp_o_f32_e32 vcc, v35, v35
	v_cndmask_b32_e32 v33, v51, v33, vcc
	v_and_b32_e32 v34, v33, v56
	v_bfe_u32 v33, v33, s66, 2
	s_or_b64 s[0:1], s[2:3], s[0:1]
	v_cmp_eq_u32_e32 vcc, v34, v47
	v_cmp_eq_u32_e64 s[6:7], 0, v33
	s_and_b64 s[2:3], vcc, s[6:7]
	v_cndmask_b32_e64 v34, 0, 1, s[2:3]
	v_cmp_ne_u32_e64 s[6:7], 0, v34
	s_bcnt1_i32_b64 s2, s[6:7]
	v_add_co_u32_e64 v4, s[6:7], s2, v4
	v_addc_co_u32_e64 v5, s[6:7], 0, v5, s[6:7]
	v_cmp_eq_u32_e64 s[6:7], 1, v33
	s_and_b64 s[2:3], vcc, s[6:7]
	v_cndmask_b32_e64 v34, 0, 1, s[2:3]
	v_cmp_ne_u32_e64 s[6:7], 0, v34
	s_bcnt1_i32_b64 s2, s[6:7]
	v_add_co_u32_e64 v6, s[6:7], s2, v6
	v_addc_co_u32_e64 v7, s[6:7], 0, v7, s[6:7]
	;; [unrolled: 7-line block ×3, first 2 shown]
	v_cmp_eq_u32_e64 s[6:7], 3, v33
	s_and_b64 s[2:3], vcc, s[6:7]
	v_cndmask_b32_e64 v33, 0, 1, s[2:3]
	v_cmp_ne_u32_e32 vcc, 0, v33
	s_bcnt1_i32_b64 s2, vcc
	v_add_co_u32_e32 v10, vcc, s2, v10
	v_addc_co_u32_e32 v11, vcc, 0, v11, vcc
	v_mov_b32_e32 v33, v2
	s_andn2_b64 exec, exec, s[0:1]
	s_cbranch_execz .LBB143_99
.LBB143_97:                             ;   Parent Loop BB143_45 Depth=1
                                        ; =>  This Inner Loop Header: Depth=2
	v_add_co_u32_e32 v31, vcc, s8, v31
	v_addc_co_u32_e32 v32, vcc, 0, v32, vcc
	v_cmp_gt_u64_e64 s[6:7], s[24:25], v[31:32]
	v_cmp_le_u64_e32 vcc, s[24:25], v[31:32]
	v_mov_b32_e32 v2, 0
	s_and_saveexec_b64 s[2:3], s[6:7]
	s_cbranch_execz .LBB143_96
; %bb.98:                               ;   in Loop: Header=BB143_97 Depth=2
	v_mul_lo_u32 v2, v32, s26
	v_mul_lo_u32 v36, v31, s27
	v_mad_u64_u32 v[34:35], s[6:7], v31, s26, 0
	v_add3_u32 v35, v35, v36, v2
	v_lshlrev_b64 v[34:35], 1, v[34:35]
	v_mov_b32_e32 v2, s53
	v_add_co_u32_e64 v34, s[6:7], s52, v34
	v_addc_co_u32_e64 v35, s[6:7], v2, v35, s[6:7]
	global_load_ushort v2, v[34:35], off
	s_branch .LBB143_96
.LBB143_99:                             ;   in Loop: Header=BB143_45 Depth=1
	s_or_b64 exec, exec, s[0:1]
.LBB143_100:                            ;   in Loop: Header=BB143_45 Depth=1
	s_or_b64 exec, exec, s[10:11]
	s_branch .LBB143_79
.LBB143_101:                            ;   in Loop: Header=BB143_45 Depth=1
	global_load_ushort v2, v3, s[56:57]
	v_mov_b32_e32 v8, 0
	v_mov_b32_e32 v9, 0
	s_waitcnt vmcnt(0)
	v_readfirstlane_b32 s0, v2
	s_and_b32 s0, 0xffff, s0
	s_lshl_b32 s1, s0, 2
	v_cvt_f32_u32_e32 v4, s1
	s_sub_i32 s2, 0, s1
	v_rcp_iflag_f32_e32 v6, v4
	v_mov_b32_e32 v4, 0
	v_mov_b32_e32 v5, 0
	v_mul_f32_e32 v6, 0x4f7ffffe, v6
	v_cvt_u32_f32_e32 v10, v6
	v_mov_b32_e32 v6, 0
	v_mov_b32_e32 v7, 0
	v_readfirstlane_b32 s3, v10
	s_mul_i32 s2, s2, s3
	s_mul_hi_u32 s2, s3, s2
	s_add_i32 s3, s3, s2
	s_mul_hi_u32 s2, s82, s3
	s_mul_i32 s3, s2, s1
	s_sub_i32 s3, s82, s3
	s_add_i32 s6, s2, 1
	s_sub_i32 s7, s3, s1
	s_cmp_ge_u32 s3, s1
	s_cselect_b32 s2, s6, s2
	s_cselect_b32 s3, s7, s3
	s_add_i32 s6, s2, 1
	s_cmp_ge_u32 s3, s1
	s_cselect_b32 s2, s6, s2
	s_mul_hi_u32 s41, s0, s2
	s_mul_i32 s40, s0, s2
	s_lshl_b64 s[84:85], s[40:41], 2
	v_cmp_gt_u64_e32 vcc, s[84:85], v[24:25]
	v_mov_b32_e32 v10, 0
	v_mov_b32_e32 v11, 0
	s_and_saveexec_b64 s[86:87], vcc
	s_cbranch_execz .LBB143_105
; %bb.102:                              ;   in Loop: Header=BB143_45 Depth=1
	v_mov_b32_e32 v32, v25
	s_lshl_b32 s2, s0, 3
	s_mov_b64 s[88:89], 0
	v_mov_b32_e32 v33, v50
	s_mov_b64 s[90:91], 0
	s_mov_b64 s[92:93], 0
	;; [unrolled: 1-line block ×4, first 2 shown]
	v_mov_b32_e32 v31, v24
.LBB143_103:                            ;   Parent Loop BB143_45 Depth=1
                                        ; =>  This Inner Loop Header: Depth=2
	ds_read_b64 v[4:5], v33
	v_add_u32_e32 v33, s2, v33
	s_waitcnt lgkmcnt(0)
	v_cmp_lt_i16_e32 vcc, -1, v4
	v_cndmask_b32_e32 v6, v51, v52, vcc
	v_lshlrev_b32_e32 v7, 16, v4
	v_cmp_o_f32_e32 vcc, v7, v7
	v_xor_b32_sdwa v6, v6, v4 dst_sel:DWORD dst_unused:UNUSED_PAD src0_sel:DWORD src1_sel:WORD_0
	v_cndmask_b32_e32 v6, v51, v6, vcc
	v_cmp_gt_i16_sdwa vcc, v4, v54 src0_sel:WORD_1 src1_sel:DWORD
	v_cndmask_b32_e32 v7, v51, v52, vcc
	v_and_b32_e32 v8, 0xffff0000, v4
	v_cmp_o_f32_e32 vcc, v8, v8
	v_xor_b32_sdwa v4, v7, v4 dst_sel:DWORD dst_unused:UNUSED_PAD src0_sel:DWORD src1_sel:WORD_1
	v_cndmask_b32_e32 v4, v51, v4, vcc
	v_cmp_lt_i16_e32 vcc, -1, v5
	v_cndmask_b32_e32 v7, v51, v52, vcc
	v_lshlrev_b32_e32 v8, 16, v5
	v_cmp_o_f32_e32 vcc, v8, v8
	v_xor_b32_sdwa v7, v7, v5 dst_sel:DWORD dst_unused:UNUSED_PAD src0_sel:DWORD src1_sel:WORD_0
	v_cndmask_b32_e32 v7, v51, v7, vcc
	v_cmp_gt_i16_sdwa vcc, v5, v54 src0_sel:WORD_1 src1_sel:DWORD
	v_cndmask_b32_e32 v8, v51, v52, vcc
	v_and_b32_e32 v9, 0xffff0000, v5
	v_cmp_o_f32_e32 vcc, v9, v9
	v_xor_b32_sdwa v5, v8, v5 dst_sel:DWORD dst_unused:UNUSED_PAD src0_sel:DWORD src1_sel:WORD_1
	v_and_b32_e32 v8, v6, v56
	v_bfe_u32 v6, v6, s66, 2
	v_cndmask_b32_e32 v5, v51, v5, vcc
	v_cmp_eq_u32_e32 vcc, v8, v47
	v_and_b32_e32 v8, v4, v56
	v_bfe_u32 v4, v4, s66, 2
	v_cmp_eq_u32_e64 s[20:21], 0, v6
	v_cmp_eq_u32_e64 s[6:7], v8, v47
	v_and_b32_e32 v8, v7, v56
	v_bfe_u32 v7, v7, s66, 2
	s_and_b64 s[8:9], vcc, s[20:21]
	v_cmp_eq_u32_e64 s[20:21], 0, v4
	v_cmp_eq_u32_e64 s[14:15], v8, v47
	v_and_b32_e32 v8, v5, v56
	v_bfe_u32 v5, v5, s66, 2
	s_and_b64 s[10:11], s[6:7], s[20:21]
	v_cmp_eq_u32_e64 s[20:21], 0, v7
	v_cmp_eq_u32_e64 s[18:19], v8, v47
	s_and_b64 s[12:13], s[14:15], s[20:21]
	v_cmp_eq_u32_e64 s[20:21], 0, v5
	v_cndmask_b32_e64 v8, 0, 1, s[8:9]
	s_and_b64 s[34:35], s[18:19], s[20:21]
	v_cmp_ne_u32_e64 s[20:21], 0, v8
	v_cndmask_b32_e64 v8, 0, 1, s[10:11]
	s_bcnt1_i32_b64 s3, s[20:21]
	v_cmp_ne_u32_e64 s[20:21], 0, v8
	v_cndmask_b32_e64 v8, 0, 1, s[12:13]
	s_bcnt1_i32_b64 s8, s[20:21]
	;; [unrolled: 3-line block ×3, first 2 shown]
	v_cmp_ne_u32_e64 s[20:21], 0, v8
	s_bcnt1_i32_b64 s10, s[20:21]
	s_add_u32 s3, s3, s38
	s_addc_u32 s11, 0, s39
	s_add_u32 s3, s3, s8
	s_addc_u32 s8, s11, 0
	;; [unrolled: 2-line block ×3, first 2 shown]
	s_add_u32 s38, s3, s10
	v_cmp_eq_u32_e64 s[20:21], 1, v6
	s_addc_u32 s39, s8, 0
	s_and_b64 s[8:9], vcc, s[20:21]
	v_cmp_eq_u32_e64 s[20:21], 1, v4
	s_and_b64 s[10:11], s[6:7], s[20:21]
	v_cmp_eq_u32_e64 s[20:21], 1, v7
	s_and_b64 s[12:13], s[14:15], s[20:21]
	v_cmp_eq_u32_e64 s[20:21], 1, v5
	v_cndmask_b32_e64 v8, 0, 1, s[8:9]
	s_and_b64 s[34:35], s[18:19], s[20:21]
	v_cmp_ne_u32_e64 s[20:21], 0, v8
	v_cndmask_b32_e64 v8, 0, 1, s[10:11]
	s_bcnt1_i32_b64 s3, s[20:21]
	v_cmp_ne_u32_e64 s[20:21], 0, v8
	v_cndmask_b32_e64 v8, 0, 1, s[12:13]
	s_bcnt1_i32_b64 s8, s[20:21]
	;; [unrolled: 3-line block ×3, first 2 shown]
	v_cmp_ne_u32_e64 s[20:21], 0, v8
	s_bcnt1_i32_b64 s10, s[20:21]
	s_add_u32 s3, s3, s94
	s_addc_u32 s11, 0, s95
	s_add_u32 s3, s3, s8
	s_addc_u32 s8, s11, 0
	;; [unrolled: 2-line block ×3, first 2 shown]
	s_add_u32 s94, s3, s10
	v_cmp_eq_u32_e64 s[20:21], 2, v6
	s_addc_u32 s95, s8, 0
	s_and_b64 s[8:9], vcc, s[20:21]
	v_cmp_eq_u32_e64 s[20:21], 2, v4
	s_and_b64 s[10:11], s[6:7], s[20:21]
	v_cmp_eq_u32_e64 s[20:21], 2, v7
	s_and_b64 s[12:13], s[14:15], s[20:21]
	v_cmp_eq_u32_e64 s[20:21], 2, v5
	v_cndmask_b32_e64 v8, 0, 1, s[8:9]
	s_and_b64 s[34:35], s[18:19], s[20:21]
	v_cmp_ne_u32_e64 s[20:21], 0, v8
	v_cndmask_b32_e64 v8, 0, 1, s[10:11]
	s_bcnt1_i32_b64 s3, s[20:21]
	v_cmp_ne_u32_e64 s[20:21], 0, v8
	v_cndmask_b32_e64 v8, 0, 1, s[12:13]
	s_bcnt1_i32_b64 s8, s[20:21]
	;; [unrolled: 3-line block ×3, first 2 shown]
	v_cmp_ne_u32_e64 s[20:21], 0, v8
	s_bcnt1_i32_b64 s10, s[20:21]
	s_add_u32 s3, s3, s92
	s_addc_u32 s11, 0, s93
	s_add_u32 s3, s3, s8
	s_addc_u32 s8, s11, 0
	;; [unrolled: 2-line block ×3, first 2 shown]
	s_add_u32 s92, s3, s10
	v_cmp_eq_u32_e64 s[20:21], 3, v6
	s_addc_u32 s93, s8, 0
	s_and_b64 s[8:9], vcc, s[20:21]
	v_cmp_eq_u32_e32 vcc, 3, v4
	s_and_b64 s[6:7], s[6:7], vcc
	v_cmp_eq_u32_e32 vcc, 3, v7
	s_and_b64 s[10:11], s[14:15], vcc
	v_cmp_eq_u32_e32 vcc, 3, v5
	v_cndmask_b32_e64 v4, 0, 1, s[8:9]
	s_and_b64 s[12:13], s[18:19], vcc
	v_cmp_ne_u32_e32 vcc, 0, v4
	v_cndmask_b32_e64 v4, 0, 1, s[6:7]
	s_bcnt1_i32_b64 s3, vcc
	v_cmp_ne_u32_e32 vcc, 0, v4
	v_cndmask_b32_e64 v4, 0, 1, s[10:11]
	s_bcnt1_i32_b64 s6, vcc
	;; [unrolled: 3-line block ×3, first 2 shown]
	v_cmp_ne_u32_e32 vcc, 0, v4
	s_bcnt1_i32_b64 s8, vcc
	s_add_u32 s3, s3, s90
	s_addc_u32 s9, 0, s91
	s_add_u32 s3, s3, s6
	s_addc_u32 s6, s9, 0
	s_add_u32 s3, s3, s7
	v_add_co_u32_e32 v31, vcc, s1, v31
	s_addc_u32 s6, s6, 0
	v_addc_co_u32_e32 v32, vcc, 0, v32, vcc
	s_add_u32 s90, s3, s8
	v_cmp_le_u64_e32 vcc, s[84:85], v[31:32]
	s_addc_u32 s91, s6, 0
	v_mov_b32_e32 v4, s38
	v_mov_b32_e32 v6, s94
	v_mov_b32_e32 v8, s92
	v_mov_b32_e32 v10, s90
	s_or_b64 s[88:89], vcc, s[88:89]
	v_mov_b32_e32 v5, s39
	v_mov_b32_e32 v7, s95
	;; [unrolled: 1-line block ×4, first 2 shown]
	s_andn2_b64 exec, exec, s[88:89]
	s_cbranch_execnz .LBB143_103
; %bb.104:                              ;   in Loop: Header=BB143_45 Depth=1
	s_or_b64 exec, exec, s[88:89]
.LBB143_105:                            ;   in Loop: Header=BB143_45 Depth=1
	s_or_b64 exec, exec, s[86:87]
	v_mov_b32_e32 v32, s85
	v_add_co_u32_e32 v31, vcc, s84, v0
	s_and_b32 s46, s82, 0x7fffffff
	v_addc_co_u32_e32 v32, vcc, 0, v32, vcc
	v_cmp_gt_u64_e32 vcc, s[46:47], v[31:32]
	s_and_saveexec_b64 s[12:13], vcc
	s_cbranch_execz .LBB143_109
; %bb.106:                              ;   in Loop: Header=BB143_45 Depth=1
	v_lshl_add_u32 v33, s40, 3, v48
	s_lshl_b32 s0, s0, 1
	s_mov_b64 s[14:15], 0
.LBB143_107:                            ;   Parent Loop BB143_45 Depth=1
                                        ; =>  This Inner Loop Header: Depth=2
	ds_read_u16 v34, v33
	v_add_u32_e32 v33, s0, v33
	s_waitcnt lgkmcnt(0)
	v_cmp_lt_i16_e32 vcc, -1, v34
	v_cndmask_b32_e32 v35, v51, v52, vcc
	v_lshlrev_b32_e32 v36, 16, v34
	v_cmp_o_f32_e32 vcc, v36, v36
	v_xor_b32_sdwa v34, v35, v34 dst_sel:DWORD dst_unused:UNUSED_PAD src0_sel:DWORD src1_sel:WORD_0
	v_cndmask_b32_e32 v34, v51, v34, vcc
	v_and_b32_e32 v35, v34, v56
	v_bfe_u32 v34, v34, s66, 2
	v_cmp_eq_u32_e32 vcc, v35, v47
	v_cmp_eq_u32_e64 s[6:7], 0, v34
	s_and_b64 s[2:3], vcc, s[6:7]
	v_cndmask_b32_e64 v35, 0, 1, s[2:3]
	v_cmp_ne_u32_e64 s[6:7], 0, v35
	s_bcnt1_i32_b64 s1, s[6:7]
	v_add_co_u32_e64 v4, s[6:7], s1, v4
	v_addc_co_u32_e64 v5, s[6:7], 0, v5, s[6:7]
	v_cmp_eq_u32_e64 s[6:7], 1, v34
	s_and_b64 s[2:3], vcc, s[6:7]
	v_cndmask_b32_e64 v35, 0, 1, s[2:3]
	v_cmp_ne_u32_e64 s[6:7], 0, v35
	s_bcnt1_i32_b64 s1, s[6:7]
	v_add_co_u32_e64 v6, s[6:7], s1, v6
	v_addc_co_u32_e64 v7, s[6:7], 0, v7, s[6:7]
	;; [unrolled: 7-line block ×3, first 2 shown]
	v_cmp_eq_u32_e64 s[6:7], 3, v34
	s_and_b64 s[2:3], vcc, s[6:7]
	v_cndmask_b32_e64 v34, 0, 1, s[2:3]
	v_cmp_ne_u32_e32 vcc, 0, v34
	s_bcnt1_i32_b64 s1, vcc
	v_add_co_u32_e32 v10, vcc, s1, v10
	v_addc_co_u32_e32 v11, vcc, 0, v11, vcc
	v_add_co_u32_sdwa v31, vcc, v31, v2 dst_sel:DWORD dst_unused:UNUSED_PAD src0_sel:DWORD src1_sel:WORD_0
	v_addc_co_u32_e32 v32, vcc, 0, v32, vcc
	v_cmp_le_u64_e32 vcc, s[46:47], v[31:32]
	s_or_b64 s[14:15], vcc, s[14:15]
	s_andn2_b64 exec, exec, s[14:15]
	s_cbranch_execnz .LBB143_107
; %bb.108:                              ;   in Loop: Header=BB143_45 Depth=1
	s_or_b64 exec, exec, s[14:15]
.LBB143_109:                            ;   in Loop: Header=BB143_45 Depth=1
	s_or_b64 exec, exec, s[12:13]
	v_readlane_b32 s46, v62, 35
	s_lshl_b32 s2, s48, 6
	s_and_saveexec_b64 s[0:1], s[4:5]
	s_cbranch_execnz .LBB143_80
	s_branch .LBB143_81
.LBB143_110:                            ;   in Loop: Header=BB143_45 Depth=1
                                        ; implicit-def: $sgpr0_sgpr1
	s_branch .LBB143_89
.LBB143_111:                            ;   in Loop: Header=BB143_45 Depth=1
	v_mov_b32_e32 v4, 0
	v_mov_b32_e32 v5, 0
	s_mov_b32 s0, 0
.LBB143_112:                            ;   in Loop: Header=BB143_45 Depth=1
	v_readlane_b32 s8, v62, 27
	v_readlane_b32 s9, v62, 28
	s_andn2_b64 vcc, exec, s[8:9]
	s_cbranch_vccnz .LBB143_115
; %bb.113:                              ;   in Loop: Header=BB143_45 Depth=1
	s_lshl_b32 s1, s48, 9
	s_lshl_b32 s0, s0, 5
	s_add_i32 s1, s1, s0
	v_add_u32_e32 v2, s1, v46
	v_readlane_b32 s0, v62, 26
.LBB143_114:                            ;   Parent Loop BB143_45 Depth=1
                                        ; =>  This Inner Loop Header: Depth=2
	ds_read_b64 v[6:7], v2
	s_add_i32 s0, s0, -1
	v_add_u32_e32 v2, 32, v2
	s_cmp_lg_u32 s0, 0
	s_waitcnt lgkmcnt(0)
	v_add_co_u32_e32 v4, vcc, v6, v4
	v_addc_co_u32_e32 v5, vcc, v7, v5, vcc
	s_cbranch_scc1 .LBB143_114
.LBB143_115:                            ;   in Loop: Header=BB143_45 Depth=1
	v_add_lshl_u32 v2, s2, v41, 3
	ds_write_b64 v2, v[4:5] offset:3072
.LBB143_116:                            ;   in Loop: Header=BB143_45 Depth=1
	s_or_b64 exec, exec, s[6:7]
	s_lshl_b32 s0, s2, 3
	v_mov_b32_e32 v2, s0
	s_waitcnt lgkmcnt(0)
	s_barrier
	ds_read_b128 v[8:11], v2 offset:3088
	ds_read_b128 v[4:7], v2 offset:3072
	v_cmp_eq_u64_e64 s[6:7], 1, v[29:30]
	s_lshl_b32 s49, 3, s66
	s_not_b32 s60, s49
	s_waitcnt lgkmcnt(1)
	v_readfirstlane_b32 s84, v8
	s_waitcnt lgkmcnt(0)
	v_cmp_eq_u64_e32 vcc, 1, v[4:5]
	v_readfirstlane_b32 s85, v9
	v_readfirstlane_b32 s14, v10
	;; [unrolled: 1-line block ×3, first 2 shown]
	s_and_b64 s[20:21], vcc, s[6:7]
	s_mov_b64 s[6:7], -1
	s_mov_b64 s[0:1], -1
                                        ; implicit-def: $sgpr34_sgpr35
                                        ; implicit-def: $sgpr12_sgpr13
	s_and_saveexec_b64 s[18:19], s[20:21]
	s_cbranch_execz .LBB143_148
; %bb.117:                              ;   in Loop: Header=BB143_45 Depth=1
	ds_read_b64 v[8:9], v3 offset:5120
	s_waitcnt lgkmcnt(0)
	s_barrier
	v_readfirstlane_b32 s38, v8
	v_readfirstlane_b32 s39, v9
	s_mov_b64 s[0:1], exec
	v_readlane_b32 s2, v62, 14
	v_readlane_b32 s3, v62, 15
	s_and_b64 s[2:3], s[0:1], s[2:3]
	s_mov_b64 exec, s[2:3]
; %bb.118:                              ;   in Loop: Header=BB143_45 Depth=1
	ds_write_b16 v49, v3
; %bb.119:                              ;   in Loop: Header=BB143_45 Depth=1
	s_or_b64 exec, exec, s[0:1]
	v_and_b32_e32 v47, s60, v47
	v_or_b32_e32 v56, s49, v56
	s_mov_b64 s[12:13], -1
	s_mov_b64 s[34:35], 0
	s_cmp_eq_u64 s[38:39], 0
	s_mov_b64 s[10:11], 0
	s_mov_b64 s[0:1], -1
	s_waitcnt lgkmcnt(0)
	s_barrier
                                        ; implicit-def: $vgpr57
	s_cbranch_scc1 .LBB143_133
; %bb.120:                              ;   in Loop: Header=BB143_45 Depth=1
	s_add_u32 s8, s38, s61
	s_addc_u32 s11, s39, s62
	s_mov_b32 s10, s47
	s_cmp_lg_u64 s[10:11], 0
	s_cbranch_scc0 .LBB143_174
; %bb.121:                              ;   in Loop: Header=BB143_45 Depth=1
	v_cvt_f32_u32_e32 v2, s33
	s_sub_u32 s2, 0, s33
	s_subb_u32 s3, 0, 0
	v_mac_f32_e32 v2, 0, v53
	v_rcp_f32_e32 v2, v2
	v_mul_f32_e32 v2, 0x5f7ffffc, v2
	v_mul_f32_e32 v8, 0x2f800000, v2
	v_trunc_f32_e32 v8, v8
	v_mac_f32_e32 v2, 0xcf800000, v8
	v_cvt_u32_f32_e32 v8, v8
	v_cvt_u32_f32_e32 v2, v2
	v_readfirstlane_b32 s9, v8
	v_readfirstlane_b32 s0, v2
	s_mul_i32 s1, s2, s9
	s_mul_hi_u32 s40, s2, s0
	s_mul_i32 s10, s3, s0
	s_add_i32 s1, s40, s1
	s_mul_i32 s41, s2, s0
	s_add_i32 s1, s1, s10
	s_mul_hi_u32 s40, s0, s41
	s_mul_i32 s42, s0, s1
	s_mul_hi_u32 s10, s0, s1
	s_add_u32 s40, s40, s42
	s_addc_u32 s10, 0, s10
	s_mul_hi_u32 s43, s9, s41
	s_mul_i32 s41, s9, s41
	s_add_u32 s40, s40, s41
	s_mul_hi_u32 s42, s9, s1
	s_addc_u32 s10, s10, s43
	s_addc_u32 s40, s42, 0
	s_mul_i32 s1, s9, s1
	s_add_u32 s1, s10, s1
	s_addc_u32 s10, 0, s40
	s_add_u32 s40, s0, s1
	s_cselect_b64 s[0:1], -1, 0
	s_cmp_lg_u64 s[0:1], 0
	s_addc_u32 s9, s9, s10
	s_mul_i32 s0, s2, s9
	s_mul_hi_u32 s1, s2, s40
	s_add_i32 s0, s1, s0
	s_mul_i32 s3, s3, s40
	s_add_i32 s0, s0, s3
	s_mul_i32 s2, s2, s40
	s_mul_hi_u32 s3, s9, s2
	s_mul_i32 s10, s9, s2
	s_mul_i32 s42, s40, s0
	s_mul_hi_u32 s2, s40, s2
	s_mul_hi_u32 s41, s40, s0
	s_add_u32 s2, s2, s42
	s_addc_u32 s41, 0, s41
	s_add_u32 s2, s2, s10
	s_mul_hi_u32 s1, s9, s0
	s_addc_u32 s2, s41, s3
	s_addc_u32 s1, s1, 0
	s_mul_i32 s0, s9, s0
	s_add_u32 s0, s2, s0
	s_addc_u32 s2, 0, s1
	s_add_u32 s3, s40, s0
	s_cselect_b64 s[0:1], -1, 0
	s_cmp_lg_u64 s[0:1], 0
	s_addc_u32 s0, s9, s2
	s_mul_i32 s2, s8, s0
	s_mul_hi_u32 s9, s8, s3
	s_mul_hi_u32 s1, s8, s0
	s_add_u32 s2, s9, s2
	s_addc_u32 s1, 0, s1
	s_mul_hi_u32 s10, s11, s3
	s_mul_i32 s3, s11, s3
	s_add_u32 s2, s2, s3
	s_mul_hi_u32 s9, s11, s0
	s_addc_u32 s1, s1, s10
	s_addc_u32 s2, s9, 0
	s_mul_i32 s0, s11, s0
	s_add_u32 s0, s1, s0
	s_addc_u32 s1, 0, s2
	s_mul_i32 s1, s33, s1
	s_mul_hi_u32 s2, s33, s0
	s_add_i32 s2, s2, s1
	s_mul_i32 s0, s33, s0
	s_sub_u32 s3, s8, s0
	s_cselect_b64 s[0:1], -1, 0
	s_cmp_lg_u64 s[0:1], 0
	s_subb_u32 s2, s11, s2
	s_sub_u32 s9, s3, s33
	s_cselect_b64 s[0:1], -1, 0
	s_cmp_lg_u64 s[0:1], 0
	s_subb_u32 s10, s2, 0
	;; [unrolled: 4-line block ×3, first 2 shown]
	s_cmp_ge_u32 s9, s33
	s_cselect_b32 s1, -1, 0
	s_cmp_eq_u32 s10, 0
	s_cselect_b32 s1, s1, -1
	s_cmp_lg_u32 s1, 0
	s_cselect_b32 s0, s0, s10
	s_cselect_b32 s9, s40, s9
	s_cmp_ge_u32 s3, s33
	s_cselect_b32 s1, -1, 0
	s_cmp_eq_u32 s2, 0
	s_cselect_b32 s1, s1, -1
	s_cmp_lg_u32 s1, 0
	s_cselect_b32 s1, s0, s2
	s_cselect_b32 s0, s9, s3
	s_cbranch_execnz .LBB143_123
.LBB143_122:                            ;   in Loop: Header=BB143_45 Depth=1
	v_cvt_f32_u32_e32 v2, s33
	s_sub_i32 s0, 0, s33
	v_rcp_iflag_f32_e32 v2, v2
	v_mul_f32_e32 v2, 0x4f7ffffe, v2
	v_cvt_u32_f32_e32 v2, v2
	v_readfirstlane_b32 s1, v2
	s_mul_i32 s0, s0, s1
	s_mul_hi_u32 s0, s1, s0
	s_add_i32 s1, s1, s0
	s_mul_hi_u32 s0, s8, s1
	s_mul_i32 s0, s0, s33
	s_sub_i32 s0, s8, s0
	s_sub_i32 s1, s0, s33
	s_cmp_ge_u32 s0, s33
	s_cselect_b32 s0, s1, s0
	s_sub_i32 s1, s0, s33
	s_cmp_ge_u32 s0, s33
	s_cselect_b32 s46, s1, s0
	s_mov_b64 s[0:1], s[46:47]
	v_readlane_b32 s46, v62, 35
.LBB143_123:                            ;   in Loop: Header=BB143_45 Depth=1
	s_sub_u32 s42, s8, s0
	s_subb_u32 s43, s11, s1
	v_cmp_gt_u64_e32 vcc, s[42:43], v[0:1]
	s_mov_b64 s[0:1], 0
	s_mov_b64 s[10:11], 0
                                        ; implicit-def: $vgpr57
	s_and_saveexec_b64 s[40:41], vcc
	s_cbranch_execz .LBB143_132
; %bb.124:                              ;   in Loop: Header=BB143_45 Depth=1
	v_mov_b32_e32 v9, v1
	v_mov_b32_e32 v2, v48
	;; [unrolled: 1-line block ×3, first 2 shown]
                                        ; implicit-def: $sgpr8_sgpr9
	s_branch .LBB143_127
.LBB143_125:                            ;   in Loop: Header=BB143_127 Depth=2
	s_or_b64 exec, exec, s[2:3]
	s_waitcnt lgkmcnt(0)
	s_barrier
	ds_read_b32 v10, v3 offset:3072
	s_mov_b64 s[2:3], -1
	s_mov_b64 s[58:59], -1
	s_waitcnt lgkmcnt(0)
	s_barrier
	v_and_b32_e32 v11, 0x7fff, v10
	v_cmp_ne_u32_e32 vcc, 0, v11
	s_cbranch_vccz .LBB143_130
.LBB143_126:                            ;   in Loop: Header=BB143_127 Depth=2
	s_and_b64 s[2:3], exec, s[2:3]
	s_or_b64 s[10:11], s[2:3], s[10:11]
	s_andn2_b64 s[2:3], s[8:9], exec
	s_and_b64 s[8:9], s[58:59], exec
	s_or_b64 s[8:9], s[2:3], s[8:9]
	s_andn2_b64 exec, exec, s[10:11]
	s_cbranch_execz .LBB143_131
.LBB143_127:                            ;   Parent Loop BB143_45 Depth=1
                                        ; =>  This Inner Loop Header: Depth=2
	v_cmp_gt_u64_e32 vcc, s[38:39], v[8:9]
	s_and_saveexec_b64 s[2:3], vcc
	s_cbranch_execz .LBB143_125
; %bb.128:                              ;   in Loop: Header=BB143_127 Depth=2
	ds_read_u16 v10, v2
	s_waitcnt lgkmcnt(0)
	v_cmp_lt_i16_e32 vcc, -1, v10
	v_cndmask_b32_e32 v11, v51, v52, vcc
	v_lshlrev_b32_e32 v31, 16, v10
	v_cmp_o_f32_e32 vcc, v31, v31
	v_xor_b32_sdwa v11, v11, v10 dst_sel:DWORD dst_unused:UNUSED_PAD src0_sel:DWORD src1_sel:WORD_0
	v_cndmask_b32_e32 v11, v51, v11, vcc
	v_and_b32_e32 v11, v11, v56
	v_cmp_eq_u32_e32 vcc, v11, v47
	s_and_b64 exec, exec, vcc
	s_cbranch_execz .LBB143_125
; %bb.129:                              ;   in Loop: Header=BB143_127 Depth=2
	v_perm_b32 v10, v10, s67, v55
	ds_write_b32 v3, v10 offset:3072
	s_branch .LBB143_125
.LBB143_130:                            ;   in Loop: Header=BB143_127 Depth=2
	v_add_co_u32_e32 v8, vcc, s33, v8
	v_addc_co_u32_e32 v9, vcc, 0, v9, vcc
	v_cmp_le_u64_e32 vcc, s[42:43], v[8:9]
	v_add_u32_e32 v2, s16, v2
	s_mov_b64 s[58:59], 0
	s_orn2_b64 s[2:3], vcc, exec
	s_branch .LBB143_126
.LBB143_131:                            ;   in Loop: Header=BB143_45 Depth=1
	s_or_b64 exec, exec, s[10:11]
	v_lshrrev_b32_e32 v57, 16, v10
	s_and_b64 s[10:11], s[8:9], exec
.LBB143_132:                            ;   in Loop: Header=BB143_45 Depth=1
	s_or_b64 exec, exec, s[40:41]
.LBB143_133:                            ;   in Loop: Header=BB143_45 Depth=1
	s_and_b64 vcc, exec, s[0:1]
	s_cbranch_vccz .LBB143_147
; %bb.134:                              ;   in Loop: Header=BB143_45 Depth=1
	s_mov_b32 s54, s47
	s_cmp_lg_u64 s[54:55], 0
	s_cbranch_scc0 .LBB143_178
; %bb.135:                              ;   in Loop: Header=BB143_45 Depth=1
	v_cvt_f32_u32_e32 v2, s33
	s_sub_u32 s2, 0, s33
	s_subb_u32 s3, 0, 0
	v_mac_f32_e32 v2, 0, v53
	v_rcp_f32_e32 v2, v2
	v_mul_f32_e32 v2, 0x5f7ffffc, v2
	v_mul_f32_e32 v8, 0x2f800000, v2
	v_trunc_f32_e32 v8, v8
	v_mac_f32_e32 v2, 0xcf800000, v8
	v_cvt_u32_f32_e32 v8, v8
	v_cvt_u32_f32_e32 v2, v2
	v_readfirstlane_b32 s8, v8
	v_readfirstlane_b32 s0, v2
	s_mul_i32 s1, s2, s8
	s_mul_hi_u32 s12, s2, s0
	s_mul_i32 s9, s3, s0
	s_add_i32 s1, s12, s1
	s_mul_i32 s13, s2, s0
	s_add_i32 s1, s1, s9
	s_mul_hi_u32 s12, s0, s13
	s_mul_i32 s34, s0, s1
	s_mul_hi_u32 s9, s0, s1
	s_add_u32 s12, s12, s34
	s_addc_u32 s9, 0, s9
	s_mul_hi_u32 s35, s8, s13
	s_mul_i32 s13, s8, s13
	s_add_u32 s12, s12, s13
	s_mul_hi_u32 s34, s8, s1
	s_addc_u32 s9, s9, s35
	s_addc_u32 s12, s34, 0
	s_mul_i32 s1, s8, s1
	s_add_u32 s1, s9, s1
	s_addc_u32 s9, 0, s12
	s_add_u32 s12, s0, s1
	s_cselect_b64 s[0:1], -1, 0
	s_cmp_lg_u64 s[0:1], 0
	s_addc_u32 s8, s8, s9
	s_mul_i32 s0, s2, s8
	s_mul_hi_u32 s1, s2, s12
	s_add_i32 s0, s1, s0
	s_mul_i32 s3, s3, s12
	s_add_i32 s0, s0, s3
	s_mul_i32 s2, s2, s12
	s_mul_hi_u32 s3, s8, s2
	s_mul_i32 s9, s8, s2
	s_mul_i32 s34, s12, s0
	s_mul_hi_u32 s2, s12, s2
	s_mul_hi_u32 s13, s12, s0
	s_add_u32 s2, s2, s34
	s_addc_u32 s13, 0, s13
	s_add_u32 s2, s2, s9
	s_mul_hi_u32 s1, s8, s0
	s_addc_u32 s2, s13, s3
	s_addc_u32 s1, s1, 0
	s_mul_i32 s0, s8, s0
	s_add_u32 s0, s2, s0
	s_addc_u32 s2, 0, s1
	s_add_u32 s3, s12, s0
	s_cselect_b64 s[0:1], -1, 0
	s_cmp_lg_u64 s[0:1], 0
	s_addc_u32 s0, s8, s2
	s_mul_i32 s2, s64, s0
	s_mul_hi_u32 s8, s64, s3
	s_mul_hi_u32 s1, s64, s0
	s_add_u32 s2, s8, s2
	s_addc_u32 s1, 0, s1
	s_mul_hi_u32 s9, s55, s3
	s_mul_i32 s3, s55, s3
	s_add_u32 s2, s2, s3
	s_mul_hi_u32 s8, s55, s0
	s_addc_u32 s1, s1, s9
	s_addc_u32 s2, s8, 0
	s_mul_i32 s0, s55, s0
	s_add_u32 s0, s1, s0
	s_addc_u32 s1, 0, s2
	s_mul_i32 s1, s33, s1
	s_mul_hi_u32 s2, s33, s0
	s_add_i32 s2, s2, s1
	s_mul_i32 s0, s33, s0
	s_sub_u32 s3, s64, s0
	s_cselect_b64 s[0:1], -1, 0
	s_cmp_lg_u64 s[0:1], 0
	s_subb_u32 s2, s55, s2
	s_sub_u32 s8, s3, s33
	s_cselect_b64 s[0:1], -1, 0
	s_cmp_lg_u64 s[0:1], 0
	s_subb_u32 s9, s2, 0
	s_sub_u32 s12, s8, s33
	s_cselect_b64 s[0:1], -1, 0
	s_cmp_lg_u64 s[0:1], 0
	s_subb_u32 s0, s9, 0
	s_cmp_ge_u32 s8, s33
	s_cselect_b32 s1, -1, 0
	s_cmp_eq_u32 s9, 0
	s_cselect_b32 s1, s1, -1
	s_cmp_lg_u32 s1, 0
	s_cselect_b32 s0, s0, s9
	s_cselect_b32 s8, s12, s8
	s_cmp_ge_u32 s3, s33
	s_cselect_b32 s1, -1, 0
	s_cmp_eq_u32 s2, 0
	s_cselect_b32 s1, s1, -1
	s_cmp_lg_u32 s1, 0
	s_cselect_b32 s1, s0, s2
	s_cselect_b32 s0, s8, s3
	s_cbranch_execnz .LBB143_137
.LBB143_136:                            ;   in Loop: Header=BB143_45 Depth=1
	v_cvt_f32_u32_e32 v2, s33
	s_sub_i32 s0, 0, s33
	v_rcp_iflag_f32_e32 v2, v2
	v_mul_f32_e32 v2, 0x4f7ffffe, v2
	v_cvt_u32_f32_e32 v2, v2
	v_readfirstlane_b32 s1, v2
	s_mul_i32 s0, s0, s1
	s_mul_hi_u32 s0, s1, s0
	s_add_i32 s1, s1, s0
	s_mul_hi_u32 s0, s64, s1
	s_mul_i32 s0, s0, s33
	s_sub_i32 s0, s64, s0
	s_sub_i32 s1, s0, s33
	s_cmp_ge_u32 s0, s33
	s_cselect_b32 s0, s1, s0
	s_sub_i32 s1, s0, s33
	s_cmp_ge_u32 s0, s33
	s_cselect_b32 s46, s1, s0
	s_mov_b64 s[0:1], s[46:47]
	v_readlane_b32 s46, v62, 35
.LBB143_137:                            ;   in Loop: Header=BB143_45 Depth=1
	s_sub_u32 s12, s64, s0
	s_subb_u32 s13, s55, s1
	v_cmp_gt_u64_e32 vcc, s[12:13], v[0:1]
                                        ; implicit-def: $vgpr57
	s_and_saveexec_b64 s[0:1], vcc
	s_cbranch_execz .LBB143_146
; %bb.138:                              ;   in Loop: Header=BB143_45 Depth=1
	v_mov_b32_e32 v8, v12
	v_mov_b32_e32 v11, v1
	s_mov_b64 s[34:35], 0
	v_mov_b32_e32 v9, v13
	v_mov_b32_e32 v10, v0
                                        ; implicit-def: $sgpr38_sgpr39
	s_branch .LBB143_141
.LBB143_139:                            ;   in Loop: Header=BB143_141 Depth=2
	s_or_b64 exec, exec, s[2:3]
	s_waitcnt lgkmcnt(0)
	s_barrier
	ds_read_b32 v2, v3 offset:3072
	s_mov_b64 s[2:3], -1
	s_mov_b64 s[8:9], -1
	s_waitcnt lgkmcnt(0)
	s_barrier
	v_and_b32_e32 v31, 0x7fff, v2
	v_cmp_ne_u32_e32 vcc, 0, v31
	s_cbranch_vccz .LBB143_144
.LBB143_140:                            ;   in Loop: Header=BB143_141 Depth=2
	s_and_b64 s[2:3], exec, s[2:3]
	s_or_b64 s[34:35], s[2:3], s[34:35]
	s_andn2_b64 s[2:3], s[38:39], exec
	s_and_b64 s[8:9], s[8:9], exec
	s_or_b64 s[38:39], s[2:3], s[8:9]
	s_andn2_b64 exec, exec, s[34:35]
	s_cbranch_execz .LBB143_145
.LBB143_141:                            ;   Parent Loop BB143_45 Depth=1
                                        ; =>  This Inner Loop Header: Depth=2
	v_cmp_gt_u64_e32 vcc, s[24:25], v[10:11]
	s_and_saveexec_b64 s[2:3], vcc
	s_cbranch_execz .LBB143_139
; %bb.142:                              ;   in Loop: Header=BB143_141 Depth=2
	global_load_ushort v2, v[8:9], off
	s_waitcnt vmcnt(0)
	v_cmp_lt_i16_e32 vcc, -1, v2
	v_cndmask_b32_e32 v31, v51, v52, vcc
	v_lshlrev_b32_e32 v32, 16, v2
	v_cmp_o_f32_e32 vcc, v32, v32
	v_xor_b32_sdwa v31, v31, v2 dst_sel:DWORD dst_unused:UNUSED_PAD src0_sel:DWORD src1_sel:WORD_0
	v_cndmask_b32_e32 v31, v51, v31, vcc
	v_and_b32_e32 v31, v31, v56
	v_cmp_eq_u32_e32 vcc, v31, v47
	s_and_b64 exec, exec, vcc
	s_cbranch_execz .LBB143_139
; %bb.143:                              ;   in Loop: Header=BB143_141 Depth=2
	v_perm_b32 v2, v2, s67, v55
	ds_write_b32 v3, v2 offset:3072
	s_branch .LBB143_139
.LBB143_144:                            ;   in Loop: Header=BB143_141 Depth=2
	v_add_co_u32_e32 v10, vcc, s33, v10
	v_addc_co_u32_e32 v11, vcc, 0, v11, vcc
	v_mov_b32_e32 v31, s51
	v_add_co_u32_e32 v8, vcc, s50, v8
	v_addc_co_u32_e32 v9, vcc, v9, v31, vcc
	v_cmp_le_u64_e32 vcc, s[12:13], v[10:11]
	s_mov_b64 s[8:9], 0
	s_orn2_b64 s[2:3], vcc, exec
	s_branch .LBB143_140
.LBB143_145:                            ;   in Loop: Header=BB143_45 Depth=1
	s_or_b64 exec, exec, s[34:35]
	s_andn2_b64 s[2:3], s[10:11], exec
	s_and_b64 s[8:9], s[38:39], exec
	v_lshrrev_b32_e32 v57, 16, v2
	s_or_b64 s[10:11], s[2:3], s[8:9]
.LBB143_146:                            ;   in Loop: Header=BB143_45 Depth=1
	s_or_b64 exec, exec, s[0:1]
	s_mov_b64 s[12:13], 0
	s_mov_b64 s[34:35], -1
.LBB143_147:                            ;   in Loop: Header=BB143_45 Depth=1
	s_orn2_b64 s[0:1], s[10:11], exec
.LBB143_148:                            ;   in Loop: Header=BB143_45 Depth=1
	s_or_b64 exec, exec, s[18:19]
	s_andn2_b64 s[2:3], s[80:81], exec
	s_and_b64 s[8:9], s[34:35], exec
	s_or_b64 s[80:81], s[2:3], s[8:9]
	s_andn2_b64 s[2:3], s[78:79], exec
	s_and_b64 s[8:9], s[12:13], exec
	s_andn2_b64 s[76:77], s[76:77], exec
	s_or_b64 s[78:79], s[2:3], s[8:9]
                                        ; implicit-def: $vgpr8_vgpr9
	s_and_saveexec_b64 s[18:19], s[0:1]
	s_cbranch_execz .LBB143_44
; %bb.149:                              ;   in Loop: Header=BB143_45 Depth=1
	v_mov_b32_e32 v8, 1
	s_xor_b64 s[2:3], s[20:21], -1
	v_mov_b32_e32 v2, 1
	v_mov_b32_e32 v9, 0
	s_mov_b64 s[8:9], 0
	s_and_saveexec_b64 s[0:1], s[2:3]
	s_cbranch_execz .LBB143_158
; %bb.150:                              ;   in Loop: Header=BB143_45 Depth=1
	v_cmp_le_u64_e32 vcc, v[29:30], v[4:5]
	s_and_saveexec_b64 s[2:3], vcc
	s_xor_b64 s[6:7], exec, s[2:3]
	s_cbranch_execz .LBB143_155
; %bb.151:                              ;   in Loop: Header=BB143_45 Depth=1
	ds_read_b64 v[8:9], v3 offset:5120
	v_and_b32_e32 v47, s60, v47
	v_or_b32_e32 v56, s49, v56
	s_waitcnt lgkmcnt(0)
	v_cmp_ne_u64_e32 vcc, 0, v[8:9]
	s_cbranch_vccnz .LBB143_155
; %bb.152:                              ;   in Loop: Header=BB143_45 Depth=1
	s_mov_b64 s[2:3], exec
	v_readlane_b32 s8, v62, 10
	v_readlane_b32 s9, v62, 11
	s_and_b64 s[8:9], s[2:3], s[8:9]
	s_mov_b64 exec, s[8:9]
; %bb.153:                              ;   in Loop: Header=BB143_45 Depth=1
	ds_write_b64 v3, v[4:5] offset:5128
; %bb.154:                              ;   in Loop: Header=BB143_45 Depth=1
	s_or_b64 exec, exec, s[2:3]
	s_waitcnt lgkmcnt(0)
	s_barrier
.LBB143_155:                            ;   in Loop: Header=BB143_45 Depth=1
	s_or_saveexec_b64 s[6:7], s[6:7]
	s_mov_b64 s[8:9], 0
	v_mov_b32_e32 v2, 8
	s_xor_b64 exec, exec, s[6:7]
; %bb.156:                              ;   in Loop: Header=BB143_45 Depth=1
	v_sub_co_u32_e32 v29, vcc, v29, v4
	v_subb_co_u32_e32 v30, vcc, v30, v5, vcc
	v_mov_b32_e32 v2, 0
	s_mov_b64 s[8:9], exec
; %bb.157:                              ;   in Loop: Header=BB143_45 Depth=1
	s_or_b64 exec, exec, s[6:7]
	v_mov_b32_e32 v8, v29
	s_and_b64 s[8:9], s[8:9], exec
	v_mov_b32_e32 v9, v30
.LBB143_158:                            ;   in Loop: Header=BB143_45 Depth=1
	s_or_b64 exec, exec, s[0:1]
	s_mov_b64 s[20:21], -1
	s_mov_b64 s[0:1], -1
                                        ; implicit-def: $sgpr6_sgpr7
                                        ; implicit-def: $sgpr86_sgpr87
	s_and_saveexec_b64 s[2:3], s[8:9]
	s_xor_b64 s[82:83], exec, s[2:3]
	s_cbranch_execz .LBB143_304
; %bb.159:                              ;   in Loop: Header=BB143_45 Depth=1
	v_cmp_eq_u64_e32 vcc, 1, v[6:7]
	v_cmp_eq_u64_e64 s[6:7], 1, v[8:9]
                                        ; implicit-def: $sgpr86_sgpr87
	s_and_b64 s[38:39], vcc, s[6:7]
                                        ; implicit-def: $sgpr6_sgpr7
	s_and_saveexec_b64 s[40:41], s[38:39]
	s_cbranch_execz .LBB143_196
; %bb.160:                              ;   in Loop: Header=BB143_45 Depth=1
	ds_read_b64 v[4:5], v3 offset:5120
	s_waitcnt lgkmcnt(0)
	s_barrier
	v_readfirstlane_b32 s10, v4
	v_readfirstlane_b32 s11, v5
	s_mov_b64 s[0:1], exec
	v_readlane_b32 s2, v62, 14
	v_readlane_b32 s3, v62, 15
	s_and_b64 s[2:3], s[0:1], s[2:3]
	s_mov_b64 exec, s[2:3]
; %bb.161:                              ;   in Loop: Header=BB143_45 Depth=1
	ds_write_b16 v49, v3
; %bb.162:                              ;   in Loop: Header=BB143_45 Depth=1
	s_or_b64 exec, exec, s[0:1]
	v_and_b32_e32 v4, s60, v47
	v_lshl_or_b32 v47, 1, s66, v4
	v_or_b32_e32 v56, s49, v56
	s_mov_b64 s[6:7], -1
	s_mov_b64 s[86:87], 0
	s_cmp_eq_u64 s[10:11], 0
	s_mov_b64 s[12:13], 0
	s_mov_b64 s[34:35], -1
	s_waitcnt lgkmcnt(0)
	s_barrier
                                        ; implicit-def: $vgpr57
	s_cbranch_scc1 .LBB143_181
; %bb.163:                              ;   in Loop: Header=BB143_45 Depth=1
	s_add_u32 s8, s10, s61
	s_addc_u32 s13, s11, s62
	s_mov_b32 s12, s47
	s_cmp_lg_u64 s[12:13], 0
	s_cbranch_scc0 .LBB143_223
; %bb.164:                              ;   in Loop: Header=BB143_45 Depth=1
	v_cvt_f32_u32_e32 v4, s33
	s_sub_u32 s2, 0, s33
	s_subb_u32 s3, 0, 0
	v_mac_f32_e32 v4, 0, v53
	v_rcp_f32_e32 v4, v4
	v_mul_f32_e32 v4, 0x5f7ffffc, v4
	v_mul_f32_e32 v5, 0x2f800000, v4
	v_trunc_f32_e32 v5, v5
	v_mac_f32_e32 v4, 0xcf800000, v5
	v_cvt_u32_f32_e32 v5, v5
	v_cvt_u32_f32_e32 v4, v4
	v_readfirstlane_b32 s9, v5
	v_readfirstlane_b32 s0, v4
	s_mul_i32 s1, s2, s9
	s_mul_hi_u32 s34, s2, s0
	s_mul_i32 s12, s3, s0
	s_add_i32 s1, s34, s1
	s_mul_i32 s35, s2, s0
	s_add_i32 s1, s1, s12
	s_mul_hi_u32 s34, s0, s35
	s_mul_i32 s42, s0, s1
	s_mul_hi_u32 s12, s0, s1
	s_add_u32 s34, s34, s42
	s_addc_u32 s12, 0, s12
	s_mul_hi_u32 s43, s9, s35
	s_mul_i32 s35, s9, s35
	s_add_u32 s34, s34, s35
	s_mul_hi_u32 s42, s9, s1
	s_addc_u32 s12, s12, s43
	s_addc_u32 s34, s42, 0
	s_mul_i32 s1, s9, s1
	s_add_u32 s1, s12, s1
	s_addc_u32 s12, 0, s34
	s_add_u32 s34, s0, s1
	s_cselect_b64 s[0:1], -1, 0
	s_cmp_lg_u64 s[0:1], 0
	s_addc_u32 s9, s9, s12
	s_mul_i32 s0, s2, s9
	s_mul_hi_u32 s1, s2, s34
	s_add_i32 s0, s1, s0
	s_mul_i32 s3, s3, s34
	s_add_i32 s0, s0, s3
	s_mul_i32 s2, s2, s34
	s_mul_hi_u32 s3, s9, s2
	s_mul_i32 s12, s9, s2
	s_mul_i32 s42, s34, s0
	s_mul_hi_u32 s2, s34, s2
	s_mul_hi_u32 s35, s34, s0
	s_add_u32 s2, s2, s42
	s_addc_u32 s35, 0, s35
	s_add_u32 s2, s2, s12
	s_mul_hi_u32 s1, s9, s0
	s_addc_u32 s2, s35, s3
	s_addc_u32 s1, s1, 0
	s_mul_i32 s0, s9, s0
	s_add_u32 s0, s2, s0
	s_addc_u32 s2, 0, s1
	s_add_u32 s3, s34, s0
	s_cselect_b64 s[0:1], -1, 0
	s_cmp_lg_u64 s[0:1], 0
	s_addc_u32 s0, s9, s2
	s_mul_i32 s2, s8, s0
	s_mul_hi_u32 s9, s8, s3
	s_mul_hi_u32 s1, s8, s0
	s_add_u32 s2, s9, s2
	s_addc_u32 s1, 0, s1
	s_mul_hi_u32 s12, s13, s3
	s_mul_i32 s3, s13, s3
	s_add_u32 s2, s2, s3
	s_mul_hi_u32 s9, s13, s0
	s_addc_u32 s1, s1, s12
	s_addc_u32 s2, s9, 0
	s_mul_i32 s0, s13, s0
	s_add_u32 s0, s1, s0
	s_addc_u32 s1, 0, s2
	s_mul_i32 s1, s33, s1
	s_mul_hi_u32 s2, s33, s0
	s_add_i32 s2, s2, s1
	s_mul_i32 s0, s33, s0
	s_sub_u32 s3, s8, s0
	s_cselect_b64 s[0:1], -1, 0
	s_cmp_lg_u64 s[0:1], 0
	s_subb_u32 s2, s13, s2
	s_sub_u32 s9, s3, s33
	s_cselect_b64 s[0:1], -1, 0
	s_cmp_lg_u64 s[0:1], 0
	s_subb_u32 s12, s2, 0
	;; [unrolled: 4-line block ×3, first 2 shown]
	s_cmp_ge_u32 s9, s33
	s_cselect_b32 s1, -1, 0
	s_cmp_eq_u32 s12, 0
	s_cselect_b32 s1, s1, -1
	s_cmp_lg_u32 s1, 0
	s_cselect_b32 s0, s0, s12
	s_cselect_b32 s9, s34, s9
	s_cmp_ge_u32 s3, s33
	s_cselect_b32 s1, -1, 0
	s_cmp_eq_u32 s2, 0
	s_cselect_b32 s1, s1, -1
	s_cmp_lg_u32 s1, 0
	s_cselect_b32 s1, s0, s2
	s_cselect_b32 s0, s9, s3
	s_cbranch_execnz .LBB143_166
.LBB143_165:                            ;   in Loop: Header=BB143_45 Depth=1
	v_cvt_f32_u32_e32 v4, s33
	s_sub_i32 s0, 0, s33
	v_rcp_iflag_f32_e32 v4, v4
	v_mul_f32_e32 v4, 0x4f7ffffe, v4
	v_cvt_u32_f32_e32 v4, v4
	v_readfirstlane_b32 s1, v4
	s_mul_i32 s0, s0, s1
	s_mul_hi_u32 s0, s1, s0
	s_add_i32 s1, s1, s0
	s_mul_hi_u32 s0, s8, s1
	s_mul_i32 s0, s0, s33
	s_sub_i32 s0, s8, s0
	s_sub_i32 s1, s0, s33
	s_cmp_ge_u32 s0, s33
	s_cselect_b32 s0, s1, s0
	s_sub_i32 s1, s0, s33
	s_cmp_ge_u32 s0, s33
	s_cselect_b32 s46, s1, s0
	s_mov_b64 s[0:1], s[46:47]
	v_readlane_b32 s46, v62, 35
.LBB143_166:                            ;   in Loop: Header=BB143_45 Depth=1
	s_sub_u32 s42, s8, s0
	s_subb_u32 s43, s13, s1
	v_cmp_gt_u64_e32 vcc, s[42:43], v[0:1]
	s_mov_b64 s[34:35], 0
	s_mov_b64 s[12:13], 0
                                        ; implicit-def: $vgpr57
	s_and_saveexec_b64 s[0:1], vcc
	s_cbranch_execz .LBB143_180
; %bb.167:                              ;   in Loop: Header=BB143_45 Depth=1
	v_mov_b32_e32 v5, v1
	v_mov_b32_e32 v10, v48
	;; [unrolled: 1-line block ×3, first 2 shown]
                                        ; implicit-def: $sgpr58_sgpr59
	s_branch .LBB143_170
.LBB143_168:                            ;   in Loop: Header=BB143_170 Depth=2
	s_or_b64 exec, exec, s[8:9]
	s_waitcnt lgkmcnt(0)
	s_barrier
	ds_read_b32 v11, v3 offset:3072
	s_mov_b64 s[2:3], -1
	s_mov_b64 s[8:9], -1
	s_waitcnt lgkmcnt(0)
	s_barrier
	v_and_b32_e32 v29, 0x7fff, v11
	v_cmp_ne_u32_e32 vcc, 0, v29
	s_cbranch_vccz .LBB143_173
.LBB143_169:                            ;   in Loop: Header=BB143_170 Depth=2
	s_and_b64 s[2:3], exec, s[2:3]
	s_or_b64 s[12:13], s[2:3], s[12:13]
	s_andn2_b64 s[2:3], s[58:59], exec
	s_and_b64 s[8:9], s[8:9], exec
	s_or_b64 s[58:59], s[2:3], s[8:9]
	s_andn2_b64 exec, exec, s[12:13]
	s_cbranch_execz .LBB143_179
.LBB143_170:                            ;   Parent Loop BB143_45 Depth=1
                                        ; =>  This Inner Loop Header: Depth=2
	v_cmp_gt_u64_e32 vcc, s[10:11], v[4:5]
	s_and_saveexec_b64 s[8:9], vcc
	s_cbranch_execz .LBB143_168
; %bb.171:                              ;   in Loop: Header=BB143_170 Depth=2
	ds_read_u16 v11, v10
	s_waitcnt lgkmcnt(0)
	v_cmp_lt_i16_e32 vcc, -1, v11
	v_cndmask_b32_e32 v29, v51, v52, vcc
	v_lshlrev_b32_e32 v30, 16, v11
	v_cmp_o_f32_e32 vcc, v30, v30
	v_xor_b32_sdwa v29, v29, v11 dst_sel:DWORD dst_unused:UNUSED_PAD src0_sel:DWORD src1_sel:WORD_0
	v_cndmask_b32_e32 v29, v51, v29, vcc
	v_and_b32_e32 v29, v29, v56
	v_cmp_eq_u32_e32 vcc, v29, v47
	s_and_b64 exec, exec, vcc
	s_cbranch_execz .LBB143_168
; %bb.172:                              ;   in Loop: Header=BB143_170 Depth=2
	v_perm_b32 v11, v11, s67, v55
	ds_write_b32 v3, v11 offset:3072
	s_branch .LBB143_168
.LBB143_173:                            ;   in Loop: Header=BB143_170 Depth=2
	v_add_co_u32_e32 v4, vcc, s33, v4
	v_addc_co_u32_e32 v5, vcc, 0, v5, vcc
	v_cmp_le_u64_e32 vcc, s[42:43], v[4:5]
	v_add_u32_e32 v10, s16, v10
	s_mov_b64 s[8:9], 0
	s_orn2_b64 s[2:3], vcc, exec
	s_branch .LBB143_169
.LBB143_174:                            ;   in Loop: Header=BB143_45 Depth=1
                                        ; implicit-def: $sgpr0_sgpr1
	s_branch .LBB143_122
.LBB143_175:                            ;   in Loop: Header=BB143_45 Depth=1
	s_or_b64 exec, exec, s[0:1]
	s_waitcnt lgkmcnt(0)
	s_barrier
	s_mov_b64 s[0:1], exec
	v_readlane_b32 s2, v62, 10
	v_readlane_b32 s3, v62, 11
	s_and_b64 s[2:3], s[0:1], s[2:3]
	s_mov_b64 exec, s[2:3]
	s_cbranch_execz .LBB143_177
; %bb.176:                              ;   in Loop: Header=BB143_45 Depth=1
	ds_read_b32 v4, v3 offset:5144
	s_waitcnt lgkmcnt(0)
	v_ashrrev_i32_e32 v5, 31, v4
	ds_write_b64 v3, v[4:5] offset:5120
.LBB143_177:                            ;   in Loop: Header=BB143_45 Depth=1
	s_or_b64 exec, exec, s[0:1]
	s_waitcnt lgkmcnt(0)
	s_barrier
	s_mov_b64 s[0:1], -1
	s_and_b64 vcc, exec, s[10:11]
	s_cbranch_vccnz .LBB143_60
	s_branch .LBB143_75
.LBB143_178:                            ;   in Loop: Header=BB143_45 Depth=1
                                        ; implicit-def: $sgpr0_sgpr1
	s_branch .LBB143_136
.LBB143_179:                            ;   in Loop: Header=BB143_45 Depth=1
	s_or_b64 exec, exec, s[12:13]
	v_lshrrev_b32_e32 v57, 16, v11
	s_and_b64 s[12:13], s[58:59], exec
.LBB143_180:                            ;   in Loop: Header=BB143_45 Depth=1
	s_or_b64 exec, exec, s[0:1]
.LBB143_181:                            ;   in Loop: Header=BB143_45 Depth=1
	s_and_b64 vcc, exec, s[34:35]
	s_cbranch_vccz .LBB143_195
; %bb.182:                              ;   in Loop: Header=BB143_45 Depth=1
	s_mov_b32 s54, s47
	s_cmp_lg_u64 s[54:55], 0
	s_cbranch_scc0 .LBB143_224
; %bb.183:                              ;   in Loop: Header=BB143_45 Depth=1
	v_cvt_f32_u32_e32 v4, s33
	s_sub_u32 s2, 0, s33
	s_subb_u32 s3, 0, 0
	v_mac_f32_e32 v4, 0, v53
	v_rcp_f32_e32 v4, v4
	v_mul_f32_e32 v4, 0x5f7ffffc, v4
	v_mul_f32_e32 v5, 0x2f800000, v4
	v_trunc_f32_e32 v5, v5
	v_mac_f32_e32 v4, 0xcf800000, v5
	v_cvt_u32_f32_e32 v5, v5
	v_cvt_u32_f32_e32 v4, v4
	v_readfirstlane_b32 s6, v5
	v_readfirstlane_b32 s0, v4
	s_mul_i32 s1, s2, s6
	s_mul_hi_u32 s8, s2, s0
	s_mul_i32 s7, s3, s0
	s_add_i32 s1, s8, s1
	s_mul_i32 s9, s2, s0
	s_add_i32 s1, s1, s7
	s_mul_hi_u32 s8, s0, s9
	s_mul_i32 s10, s0, s1
	s_mul_hi_u32 s7, s0, s1
	s_add_u32 s8, s8, s10
	s_addc_u32 s7, 0, s7
	s_mul_hi_u32 s11, s6, s9
	s_mul_i32 s9, s6, s9
	s_add_u32 s8, s8, s9
	s_mul_hi_u32 s10, s6, s1
	s_addc_u32 s7, s7, s11
	s_addc_u32 s8, s10, 0
	s_mul_i32 s1, s6, s1
	s_add_u32 s1, s7, s1
	s_addc_u32 s7, 0, s8
	s_add_u32 s8, s0, s1
	s_cselect_b64 s[0:1], -1, 0
	s_cmp_lg_u64 s[0:1], 0
	s_addc_u32 s6, s6, s7
	s_mul_i32 s0, s2, s6
	s_mul_hi_u32 s1, s2, s8
	s_add_i32 s0, s1, s0
	s_mul_i32 s3, s3, s8
	s_add_i32 s0, s0, s3
	s_mul_i32 s2, s2, s8
	s_mul_hi_u32 s3, s6, s2
	s_mul_i32 s7, s6, s2
	s_mul_i32 s10, s8, s0
	s_mul_hi_u32 s2, s8, s2
	s_mul_hi_u32 s9, s8, s0
	s_add_u32 s2, s2, s10
	s_addc_u32 s9, 0, s9
	s_add_u32 s2, s2, s7
	s_mul_hi_u32 s1, s6, s0
	s_addc_u32 s2, s9, s3
	s_addc_u32 s1, s1, 0
	s_mul_i32 s0, s6, s0
	s_add_u32 s0, s2, s0
	s_addc_u32 s2, 0, s1
	s_add_u32 s3, s8, s0
	s_cselect_b64 s[0:1], -1, 0
	s_cmp_lg_u64 s[0:1], 0
	s_addc_u32 s0, s6, s2
	s_mul_i32 s2, s64, s0
	s_mul_hi_u32 s6, s64, s3
	s_mul_hi_u32 s1, s64, s0
	s_add_u32 s2, s6, s2
	s_addc_u32 s1, 0, s1
	s_mul_hi_u32 s7, s55, s3
	s_mul_i32 s3, s55, s3
	s_add_u32 s2, s2, s3
	s_mul_hi_u32 s6, s55, s0
	s_addc_u32 s1, s1, s7
	s_addc_u32 s2, s6, 0
	s_mul_i32 s0, s55, s0
	s_add_u32 s0, s1, s0
	s_addc_u32 s1, 0, s2
	s_mul_i32 s1, s33, s1
	s_mul_hi_u32 s2, s33, s0
	s_add_i32 s2, s2, s1
	s_mul_i32 s0, s33, s0
	s_sub_u32 s3, s64, s0
	s_cselect_b64 s[0:1], -1, 0
	s_cmp_lg_u64 s[0:1], 0
	s_subb_u32 s2, s55, s2
	s_sub_u32 s6, s3, s33
	s_cselect_b64 s[0:1], -1, 0
	s_cmp_lg_u64 s[0:1], 0
	s_subb_u32 s7, s2, 0
	s_sub_u32 s8, s6, s33
	s_cselect_b64 s[0:1], -1, 0
	s_cmp_lg_u64 s[0:1], 0
	s_subb_u32 s0, s7, 0
	s_cmp_ge_u32 s6, s33
	s_cselect_b32 s1, -1, 0
	s_cmp_eq_u32 s7, 0
	s_cselect_b32 s1, s1, -1
	s_cmp_lg_u32 s1, 0
	s_cselect_b32 s0, s0, s7
	s_cselect_b32 s6, s8, s6
	s_cmp_ge_u32 s3, s33
	s_cselect_b32 s1, -1, 0
	s_cmp_eq_u32 s2, 0
	s_cselect_b32 s1, s1, -1
	s_cmp_lg_u32 s1, 0
	s_cselect_b32 s1, s0, s2
	s_cselect_b32 s0, s6, s3
	s_cbranch_execnz .LBB143_185
.LBB143_184:                            ;   in Loop: Header=BB143_45 Depth=1
	v_cvt_f32_u32_e32 v4, s33
	s_sub_i32 s0, 0, s33
	v_rcp_iflag_f32_e32 v4, v4
	v_mul_f32_e32 v4, 0x4f7ffffe, v4
	v_cvt_u32_f32_e32 v4, v4
	v_readfirstlane_b32 s1, v4
	s_mul_i32 s0, s0, s1
	s_mul_hi_u32 s0, s1, s0
	s_add_i32 s1, s1, s0
	s_mul_hi_u32 s0, s64, s1
	s_mul_i32 s0, s0, s33
	s_sub_i32 s0, s64, s0
	s_sub_i32 s1, s0, s33
	s_cmp_ge_u32 s0, s33
	s_cselect_b32 s0, s1, s0
	s_sub_i32 s1, s0, s33
	s_cmp_ge_u32 s0, s33
	s_cselect_b32 s46, s1, s0
	s_mov_b64 s[0:1], s[46:47]
	v_readlane_b32 s46, v62, 35
.LBB143_185:                            ;   in Loop: Header=BB143_45 Depth=1
	s_sub_u32 s6, s64, s0
	s_subb_u32 s7, s55, s1
	v_cmp_gt_u64_e32 vcc, s[6:7], v[0:1]
                                        ; implicit-def: $vgpr57
	s_and_saveexec_b64 s[0:1], vcc
	s_cbranch_execz .LBB143_194
; %bb.186:                              ;   in Loop: Header=BB143_45 Depth=1
	v_mov_b32_e32 v4, v12
	v_mov_b32_e32 v11, v1
	s_mov_b64 s[10:11], 0
	v_mov_b32_e32 v5, v13
	v_mov_b32_e32 v10, v0
                                        ; implicit-def: $sgpr34_sgpr35
	s_branch .LBB143_189
.LBB143_187:                            ;   in Loop: Header=BB143_189 Depth=2
	s_or_b64 exec, exec, s[8:9]
	s_waitcnt lgkmcnt(0)
	s_barrier
	ds_read_b32 v29, v3 offset:3072
	s_mov_b64 s[2:3], -1
	s_mov_b64 s[8:9], -1
	s_waitcnt lgkmcnt(0)
	s_barrier
	v_and_b32_e32 v30, 0x7fff, v29
	v_cmp_eq_u32_e32 vcc, 0, v30
	s_cbranch_vccnz .LBB143_192
.LBB143_188:                            ;   in Loop: Header=BB143_189 Depth=2
	s_and_b64 s[2:3], exec, s[2:3]
	s_or_b64 s[10:11], s[2:3], s[10:11]
	s_andn2_b64 s[2:3], s[34:35], exec
	s_and_b64 s[8:9], s[8:9], exec
	s_or_b64 s[34:35], s[2:3], s[8:9]
	s_andn2_b64 exec, exec, s[10:11]
	s_cbranch_execz .LBB143_193
.LBB143_189:                            ;   Parent Loop BB143_45 Depth=1
                                        ; =>  This Inner Loop Header: Depth=2
	v_cmp_gt_u64_e32 vcc, s[24:25], v[10:11]
	s_and_saveexec_b64 s[8:9], vcc
	s_cbranch_execz .LBB143_187
; %bb.190:                              ;   in Loop: Header=BB143_189 Depth=2
	global_load_ushort v29, v[4:5], off
	s_waitcnt vmcnt(0)
	v_cmp_lt_i16_e32 vcc, -1, v29
	v_cndmask_b32_e32 v30, v51, v52, vcc
	v_lshlrev_b32_e32 v31, 16, v29
	v_cmp_o_f32_e32 vcc, v31, v31
	v_xor_b32_sdwa v30, v30, v29 dst_sel:DWORD dst_unused:UNUSED_PAD src0_sel:DWORD src1_sel:WORD_0
	v_cndmask_b32_e32 v30, v51, v30, vcc
	v_and_b32_e32 v30, v30, v56
	v_cmp_eq_u32_e32 vcc, v30, v47
	s_and_b64 exec, exec, vcc
	s_cbranch_execz .LBB143_187
; %bb.191:                              ;   in Loop: Header=BB143_189 Depth=2
	v_perm_b32 v29, v29, s67, v55
	ds_write_b32 v3, v29 offset:3072
	s_branch .LBB143_187
.LBB143_192:                            ;   in Loop: Header=BB143_189 Depth=2
	v_add_co_u32_e32 v10, vcc, s33, v10
	v_addc_co_u32_e32 v11, vcc, 0, v11, vcc
	v_mov_b32_e32 v30, s51
	v_add_co_u32_e32 v4, vcc, s50, v4
	v_addc_co_u32_e32 v5, vcc, v5, v30, vcc
	v_cmp_le_u64_e32 vcc, s[6:7], v[10:11]
	s_mov_b64 s[8:9], 0
	s_orn2_b64 s[2:3], vcc, exec
	s_branch .LBB143_188
.LBB143_193:                            ;   in Loop: Header=BB143_45 Depth=1
	s_or_b64 exec, exec, s[10:11]
	s_andn2_b64 s[2:3], s[12:13], exec
	s_and_b64 s[6:7], s[34:35], exec
	v_lshrrev_b32_e32 v57, 16, v29
	s_or_b64 s[12:13], s[2:3], s[6:7]
.LBB143_194:                            ;   in Loop: Header=BB143_45 Depth=1
	s_or_b64 exec, exec, s[0:1]
	s_mov_b64 s[6:7], 0
	s_mov_b64 s[86:87], -1
.LBB143_195:                            ;   in Loop: Header=BB143_45 Depth=1
	s_orn2_b64 s[0:1], s[12:13], exec
.LBB143_196:                            ;   in Loop: Header=BB143_45 Depth=1
	s_or_b64 exec, exec, s[40:41]
	s_mov_b64 s[8:9], 0
	s_and_saveexec_b64 s[88:89], s[0:1]
	s_cbranch_execz .LBB143_303
; %bb.197:                              ;   in Loop: Header=BB143_45 Depth=1
	v_mov_b32_e32 v4, 1
	s_xor_b64 s[0:1], s[38:39], -1
	v_mov_b32_e32 v2, 1
	v_mov_b32_e32 v5, 0
	s_and_saveexec_b64 s[10:11], s[0:1]
	s_cbranch_execz .LBB143_207
; %bb.198:                              ;   in Loop: Header=BB143_45 Depth=1
	v_cmp_le_u64_e32 vcc, v[8:9], v[6:7]
	s_and_saveexec_b64 s[0:1], vcc
	s_xor_b64 s[0:1], exec, s[0:1]
	s_cbranch_execz .LBB143_204
; %bb.199:                              ;   in Loop: Header=BB143_45 Depth=1
	ds_read_b64 v[4:5], v3 offset:5120
	v_and_b32_e32 v2, s60, v47
	v_lshl_or_b32 v47, 1, s66, v2
	v_or_b32_e32 v56, s49, v56
	s_waitcnt lgkmcnt(0)
	v_cmp_ne_u64_e32 vcc, 0, v[4:5]
	s_cbranch_vccnz .LBB143_203
; %bb.200:                              ;   in Loop: Header=BB143_45 Depth=1
	s_mov_b64 s[2:3], exec
	v_readlane_b32 s8, v62, 10
	v_readlane_b32 s9, v62, 11
	s_and_b64 s[8:9], s[2:3], s[8:9]
	s_mov_b64 exec, s[8:9]
; %bb.201:                              ;   in Loop: Header=BB143_45 Depth=1
	ds_write_b64 v3, v[6:7] offset:5128
; %bb.202:                              ;   in Loop: Header=BB143_45 Depth=1
	s_or_b64 exec, exec, s[2:3]
	s_waitcnt lgkmcnt(0)
	s_barrier
.LBB143_203:                            ;   in Loop: Header=BB143_45 Depth=1
                                        ; implicit-def: $vgpr4_vgpr5_vgpr6_vgpr7
.LBB143_204:                            ;   in Loop: Header=BB143_45 Depth=1
	s_or_saveexec_b64 s[0:1], s[0:1]
	s_mov_b64 s[8:9], 0
	v_mov_b32_e32 v2, 8
	s_xor_b64 exec, exec, s[0:1]
; %bb.205:                              ;   in Loop: Header=BB143_45 Depth=1
	v_sub_co_u32_e32 v8, vcc, v8, v6
	v_subb_co_u32_e32 v9, vcc, v9, v7, vcc
	v_mov_b32_e32 v2, 0
	s_mov_b64 s[8:9], exec
; %bb.206:                              ;   in Loop: Header=BB143_45 Depth=1
	s_or_b64 exec, exec, s[0:1]
	v_mov_b32_e32 v4, v8
	s_and_b64 s[8:9], s[8:9], exec
	v_mov_b32_e32 v5, v9
.LBB143_207:                            ;   in Loop: Header=BB143_45 Depth=1
	s_or_b64 exec, exec, s[10:11]
	s_mov_b64 s[0:1], -1
                                        ; implicit-def: $sgpr40_sgpr41
                                        ; implicit-def: $sgpr92_sgpr93
	s_and_saveexec_b64 s[90:91], s[8:9]
	s_cbranch_execz .LBB143_302
; %bb.208:                              ;   in Loop: Header=BB143_45 Depth=1
	s_cmp_eq_u64 s[84:85], 1
	v_cmp_eq_u64_e32 vcc, 1, v[4:5]
	s_cselect_b64 s[0:1], -1, 0
	s_and_b64 s[94:95], s[0:1], vcc
	s_mov_b64 s[0:1], -1
                                        ; implicit-def: $sgpr92_sgpr93
                                        ; implicit-def: $sgpr40_sgpr41
	s_and_saveexec_b64 s[38:39], s[94:95]
	s_cbranch_execz .LBB143_242
; %bb.209:                              ;   in Loop: Header=BB143_45 Depth=1
	ds_read_b64 v[6:7], v3 offset:5120
	s_waitcnt lgkmcnt(0)
	s_barrier
	v_readfirstlane_b32 s10, v6
	v_readfirstlane_b32 s11, v7
	s_mov_b64 s[0:1], exec
	v_readlane_b32 s2, v62, 14
	v_readlane_b32 s3, v62, 15
	s_and_b64 s[2:3], s[0:1], s[2:3]
	s_mov_b64 exec, s[2:3]
; %bb.210:                              ;   in Loop: Header=BB143_45 Depth=1
	ds_write_b16 v49, v3
; %bb.211:                              ;   in Loop: Header=BB143_45 Depth=1
	s_or_b64 exec, exec, s[0:1]
	v_and_b32_e32 v6, s60, v47
	v_lshl_or_b32 v47, 2, s66, v6
	v_or_b32_e32 v56, s49, v56
	s_mov_b64 s[40:41], -1
	s_mov_b64 s[92:93], 0
	s_cmp_eq_u64 s[10:11], 0
	s_mov_b64 s[12:13], 0
	s_mov_b64 s[34:35], -1
	s_waitcnt lgkmcnt(0)
	s_barrier
                                        ; implicit-def: $vgpr57
	s_cbranch_scc1 .LBB143_227
; %bb.212:                              ;   in Loop: Header=BB143_45 Depth=1
	s_add_u32 s8, s10, s61
	s_addc_u32 s13, s11, s62
	s_mov_b32 s12, s47
	s_cmp_lg_u64 s[12:13], 0
	s_cbranch_scc0 .LBB143_268
; %bb.213:                              ;   in Loop: Header=BB143_45 Depth=1
	v_cvt_f32_u32_e32 v6, s33
	s_sub_u32 s2, 0, s33
	s_subb_u32 s3, 0, 0
	v_mac_f32_e32 v6, 0, v53
	v_rcp_f32_e32 v6, v6
	v_mul_f32_e32 v6, 0x5f7ffffc, v6
	v_mul_f32_e32 v7, 0x2f800000, v6
	v_trunc_f32_e32 v7, v7
	v_mac_f32_e32 v6, 0xcf800000, v7
	v_cvt_u32_f32_e32 v7, v7
	v_cvt_u32_f32_e32 v6, v6
	v_readfirstlane_b32 s9, v7
	v_readfirstlane_b32 s0, v6
	s_mul_i32 s1, s2, s9
	s_mul_hi_u32 s34, s2, s0
	s_mul_i32 s12, s3, s0
	s_add_i32 s1, s34, s1
	s_mul_i32 s35, s2, s0
	s_add_i32 s1, s1, s12
	s_mul_hi_u32 s34, s0, s35
	s_mul_i32 s42, s0, s1
	s_mul_hi_u32 s12, s0, s1
	s_add_u32 s34, s34, s42
	s_addc_u32 s12, 0, s12
	s_mul_hi_u32 s43, s9, s35
	s_mul_i32 s35, s9, s35
	s_add_u32 s34, s34, s35
	s_mul_hi_u32 s42, s9, s1
	s_addc_u32 s12, s12, s43
	s_addc_u32 s34, s42, 0
	s_mul_i32 s1, s9, s1
	s_add_u32 s1, s12, s1
	s_addc_u32 s12, 0, s34
	s_add_u32 s34, s0, s1
	s_cselect_b64 s[0:1], -1, 0
	s_cmp_lg_u64 s[0:1], 0
	s_addc_u32 s9, s9, s12
	s_mul_i32 s0, s2, s9
	s_mul_hi_u32 s1, s2, s34
	s_add_i32 s0, s1, s0
	s_mul_i32 s3, s3, s34
	s_add_i32 s0, s0, s3
	s_mul_i32 s2, s2, s34
	s_mul_hi_u32 s3, s9, s2
	s_mul_i32 s12, s9, s2
	s_mul_i32 s42, s34, s0
	s_mul_hi_u32 s2, s34, s2
	s_mul_hi_u32 s35, s34, s0
	s_add_u32 s2, s2, s42
	s_addc_u32 s35, 0, s35
	s_add_u32 s2, s2, s12
	s_mul_hi_u32 s1, s9, s0
	s_addc_u32 s2, s35, s3
	s_addc_u32 s1, s1, 0
	s_mul_i32 s0, s9, s0
	s_add_u32 s0, s2, s0
	s_addc_u32 s2, 0, s1
	s_add_u32 s3, s34, s0
	s_cselect_b64 s[0:1], -1, 0
	s_cmp_lg_u64 s[0:1], 0
	s_addc_u32 s0, s9, s2
	s_mul_i32 s2, s8, s0
	s_mul_hi_u32 s9, s8, s3
	s_mul_hi_u32 s1, s8, s0
	s_add_u32 s2, s9, s2
	s_addc_u32 s1, 0, s1
	s_mul_hi_u32 s12, s13, s3
	s_mul_i32 s3, s13, s3
	s_add_u32 s2, s2, s3
	s_mul_hi_u32 s9, s13, s0
	s_addc_u32 s1, s1, s12
	s_addc_u32 s2, s9, 0
	s_mul_i32 s0, s13, s0
	s_add_u32 s0, s1, s0
	s_addc_u32 s1, 0, s2
	s_mul_i32 s1, s33, s1
	s_mul_hi_u32 s2, s33, s0
	s_add_i32 s2, s2, s1
	s_mul_i32 s0, s33, s0
	s_sub_u32 s3, s8, s0
	s_cselect_b64 s[0:1], -1, 0
	s_cmp_lg_u64 s[0:1], 0
	s_subb_u32 s2, s13, s2
	s_sub_u32 s9, s3, s33
	s_cselect_b64 s[0:1], -1, 0
	s_cmp_lg_u64 s[0:1], 0
	s_subb_u32 s12, s2, 0
	;; [unrolled: 4-line block ×3, first 2 shown]
	s_cmp_ge_u32 s9, s33
	s_cselect_b32 s1, -1, 0
	s_cmp_eq_u32 s12, 0
	s_cselect_b32 s1, s1, -1
	s_cmp_lg_u32 s1, 0
	s_cselect_b32 s0, s0, s12
	s_cselect_b32 s9, s34, s9
	s_cmp_ge_u32 s3, s33
	s_cselect_b32 s1, -1, 0
	s_cmp_eq_u32 s2, 0
	s_cselect_b32 s1, s1, -1
	s_cmp_lg_u32 s1, 0
	s_cselect_b32 s1, s0, s2
	s_cselect_b32 s0, s9, s3
	s_cbranch_execnz .LBB143_215
.LBB143_214:                            ;   in Loop: Header=BB143_45 Depth=1
	v_cvt_f32_u32_e32 v6, s33
	s_sub_i32 s0, 0, s33
	v_rcp_iflag_f32_e32 v6, v6
	v_mul_f32_e32 v6, 0x4f7ffffe, v6
	v_cvt_u32_f32_e32 v6, v6
	v_readfirstlane_b32 s1, v6
	s_mul_i32 s0, s0, s1
	s_mul_hi_u32 s0, s1, s0
	s_add_i32 s1, s1, s0
	s_mul_hi_u32 s0, s8, s1
	s_mul_i32 s0, s0, s33
	s_sub_i32 s0, s8, s0
	s_sub_i32 s1, s0, s33
	s_cmp_ge_u32 s0, s33
	s_cselect_b32 s0, s1, s0
	s_sub_i32 s1, s0, s33
	s_cmp_ge_u32 s0, s33
	s_cselect_b32 s46, s1, s0
	s_mov_b64 s[0:1], s[46:47]
	v_readlane_b32 s46, v62, 35
.LBB143_215:                            ;   in Loop: Header=BB143_45 Depth=1
	s_sub_u32 s42, s8, s0
	s_subb_u32 s43, s13, s1
	v_cmp_gt_u64_e32 vcc, s[42:43], v[0:1]
	s_mov_b64 s[34:35], 0
	s_mov_b64 s[12:13], 0
                                        ; implicit-def: $vgpr57
	s_and_saveexec_b64 s[0:1], vcc
	s_cbranch_execz .LBB143_226
; %bb.216:                              ;   in Loop: Header=BB143_45 Depth=1
	v_mov_b32_e32 v7, v1
	v_mov_b32_e32 v8, v48
	;; [unrolled: 1-line block ×3, first 2 shown]
                                        ; implicit-def: $sgpr58_sgpr59
	s_branch .LBB143_219
.LBB143_217:                            ;   in Loop: Header=BB143_219 Depth=2
	s_or_b64 exec, exec, s[8:9]
	s_waitcnt lgkmcnt(0)
	s_barrier
	ds_read_b32 v9, v3 offset:3072
	s_mov_b64 s[2:3], -1
	s_mov_b64 s[8:9], -1
	s_waitcnt lgkmcnt(0)
	s_barrier
	v_and_b32_e32 v10, 0x7fff, v9
	v_cmp_ne_u32_e32 vcc, 0, v10
	s_cbranch_vccz .LBB143_222
.LBB143_218:                            ;   in Loop: Header=BB143_219 Depth=2
	s_and_b64 s[2:3], exec, s[2:3]
	s_or_b64 s[12:13], s[2:3], s[12:13]
	s_andn2_b64 s[2:3], s[58:59], exec
	s_and_b64 s[8:9], s[8:9], exec
	s_or_b64 s[58:59], s[2:3], s[8:9]
	s_andn2_b64 exec, exec, s[12:13]
	s_cbranch_execz .LBB143_225
.LBB143_219:                            ;   Parent Loop BB143_45 Depth=1
                                        ; =>  This Inner Loop Header: Depth=2
	v_cmp_gt_u64_e32 vcc, s[10:11], v[6:7]
	s_and_saveexec_b64 s[8:9], vcc
	s_cbranch_execz .LBB143_217
; %bb.220:                              ;   in Loop: Header=BB143_219 Depth=2
	ds_read_u16 v9, v8
	s_waitcnt lgkmcnt(0)
	v_cmp_lt_i16_e32 vcc, -1, v9
	v_cndmask_b32_e32 v10, v51, v52, vcc
	v_lshlrev_b32_e32 v11, 16, v9
	v_cmp_o_f32_e32 vcc, v11, v11
	v_xor_b32_sdwa v10, v10, v9 dst_sel:DWORD dst_unused:UNUSED_PAD src0_sel:DWORD src1_sel:WORD_0
	v_cndmask_b32_e32 v10, v51, v10, vcc
	v_and_b32_e32 v10, v10, v56
	v_cmp_eq_u32_e32 vcc, v10, v47
	s_and_b64 exec, exec, vcc
	s_cbranch_execz .LBB143_217
; %bb.221:                              ;   in Loop: Header=BB143_219 Depth=2
	v_perm_b32 v9, v9, s67, v55
	ds_write_b32 v3, v9 offset:3072
	s_branch .LBB143_217
.LBB143_222:                            ;   in Loop: Header=BB143_219 Depth=2
	v_add_co_u32_e32 v6, vcc, s33, v6
	v_addc_co_u32_e32 v7, vcc, 0, v7, vcc
	v_cmp_le_u64_e32 vcc, s[42:43], v[6:7]
	v_add_u32_e32 v8, s16, v8
	s_mov_b64 s[8:9], 0
	s_orn2_b64 s[2:3], vcc, exec
	s_branch .LBB143_218
.LBB143_223:                            ;   in Loop: Header=BB143_45 Depth=1
                                        ; implicit-def: $sgpr0_sgpr1
	s_branch .LBB143_165
.LBB143_224:                            ;   in Loop: Header=BB143_45 Depth=1
                                        ; implicit-def: $sgpr0_sgpr1
	s_branch .LBB143_184
.LBB143_225:                            ;   in Loop: Header=BB143_45 Depth=1
	s_or_b64 exec, exec, s[12:13]
	v_lshrrev_b32_e32 v57, 16, v9
	s_and_b64 s[12:13], s[58:59], exec
.LBB143_226:                            ;   in Loop: Header=BB143_45 Depth=1
	s_or_b64 exec, exec, s[0:1]
.LBB143_227:                            ;   in Loop: Header=BB143_45 Depth=1
	s_and_b64 vcc, exec, s[34:35]
	s_cbranch_vccz .LBB143_241
; %bb.228:                              ;   in Loop: Header=BB143_45 Depth=1
	s_mov_b32 s54, s47
	s_cmp_lg_u64 s[54:55], 0
	s_cbranch_scc0 .LBB143_269
; %bb.229:                              ;   in Loop: Header=BB143_45 Depth=1
	v_cvt_f32_u32_e32 v6, s33
	s_sub_u32 s2, 0, s33
	s_subb_u32 s3, 0, 0
	v_mac_f32_e32 v6, 0, v53
	v_rcp_f32_e32 v6, v6
	v_mul_f32_e32 v6, 0x5f7ffffc, v6
	v_mul_f32_e32 v7, 0x2f800000, v6
	v_trunc_f32_e32 v7, v7
	v_mac_f32_e32 v6, 0xcf800000, v7
	v_cvt_u32_f32_e32 v7, v7
	v_cvt_u32_f32_e32 v6, v6
	v_readfirstlane_b32 s8, v7
	v_readfirstlane_b32 s0, v6
	s_mul_i32 s1, s2, s8
	s_mul_hi_u32 s10, s2, s0
	s_mul_i32 s9, s3, s0
	s_add_i32 s1, s10, s1
	s_mul_i32 s11, s2, s0
	s_add_i32 s1, s1, s9
	s_mul_hi_u32 s10, s0, s11
	s_mul_i32 s34, s0, s1
	s_mul_hi_u32 s9, s0, s1
	s_add_u32 s10, s10, s34
	s_addc_u32 s9, 0, s9
	s_mul_hi_u32 s35, s8, s11
	s_mul_i32 s11, s8, s11
	s_add_u32 s10, s10, s11
	s_mul_hi_u32 s34, s8, s1
	s_addc_u32 s9, s9, s35
	s_addc_u32 s10, s34, 0
	s_mul_i32 s1, s8, s1
	s_add_u32 s1, s9, s1
	s_addc_u32 s9, 0, s10
	s_add_u32 s10, s0, s1
	s_cselect_b64 s[0:1], -1, 0
	s_cmp_lg_u64 s[0:1], 0
	s_addc_u32 s8, s8, s9
	s_mul_i32 s0, s2, s8
	s_mul_hi_u32 s1, s2, s10
	s_add_i32 s0, s1, s0
	s_mul_i32 s3, s3, s10
	s_add_i32 s0, s0, s3
	s_mul_i32 s2, s2, s10
	s_mul_hi_u32 s3, s8, s2
	s_mul_i32 s9, s8, s2
	s_mul_i32 s34, s10, s0
	s_mul_hi_u32 s2, s10, s2
	s_mul_hi_u32 s11, s10, s0
	s_add_u32 s2, s2, s34
	s_addc_u32 s11, 0, s11
	s_add_u32 s2, s2, s9
	s_mul_hi_u32 s1, s8, s0
	s_addc_u32 s2, s11, s3
	s_addc_u32 s1, s1, 0
	s_mul_i32 s0, s8, s0
	s_add_u32 s0, s2, s0
	s_addc_u32 s2, 0, s1
	s_add_u32 s3, s10, s0
	s_cselect_b64 s[0:1], -1, 0
	s_cmp_lg_u64 s[0:1], 0
	s_addc_u32 s0, s8, s2
	s_mul_i32 s2, s64, s0
	s_mul_hi_u32 s8, s64, s3
	s_mul_hi_u32 s1, s64, s0
	s_add_u32 s2, s8, s2
	s_addc_u32 s1, 0, s1
	s_mul_hi_u32 s9, s55, s3
	s_mul_i32 s3, s55, s3
	s_add_u32 s2, s2, s3
	s_mul_hi_u32 s8, s55, s0
	s_addc_u32 s1, s1, s9
	s_addc_u32 s2, s8, 0
	s_mul_i32 s0, s55, s0
	s_add_u32 s0, s1, s0
	s_addc_u32 s1, 0, s2
	s_mul_i32 s1, s33, s1
	s_mul_hi_u32 s2, s33, s0
	s_add_i32 s2, s2, s1
	s_mul_i32 s0, s33, s0
	s_sub_u32 s3, s64, s0
	s_cselect_b64 s[0:1], -1, 0
	s_cmp_lg_u64 s[0:1], 0
	s_subb_u32 s2, s55, s2
	s_sub_u32 s8, s3, s33
	s_cselect_b64 s[0:1], -1, 0
	s_cmp_lg_u64 s[0:1], 0
	s_subb_u32 s9, s2, 0
	;; [unrolled: 4-line block ×3, first 2 shown]
	s_cmp_ge_u32 s8, s33
	s_cselect_b32 s1, -1, 0
	s_cmp_eq_u32 s9, 0
	s_cselect_b32 s1, s1, -1
	s_cmp_lg_u32 s1, 0
	s_cselect_b32 s0, s0, s9
	s_cselect_b32 s8, s10, s8
	s_cmp_ge_u32 s3, s33
	s_cselect_b32 s1, -1, 0
	s_cmp_eq_u32 s2, 0
	s_cselect_b32 s1, s1, -1
	s_cmp_lg_u32 s1, 0
	s_cselect_b32 s1, s0, s2
	s_cselect_b32 s0, s8, s3
	s_cbranch_execnz .LBB143_231
.LBB143_230:                            ;   in Loop: Header=BB143_45 Depth=1
	v_cvt_f32_u32_e32 v6, s33
	s_sub_i32 s0, 0, s33
	v_rcp_iflag_f32_e32 v6, v6
	v_mul_f32_e32 v6, 0x4f7ffffe, v6
	v_cvt_u32_f32_e32 v6, v6
	v_readfirstlane_b32 s1, v6
	s_mul_i32 s0, s0, s1
	s_mul_hi_u32 s0, s1, s0
	s_add_i32 s1, s1, s0
	s_mul_hi_u32 s0, s64, s1
	s_mul_i32 s0, s0, s33
	s_sub_i32 s0, s64, s0
	s_sub_i32 s1, s0, s33
	s_cmp_ge_u32 s0, s33
	s_cselect_b32 s0, s1, s0
	s_sub_i32 s1, s0, s33
	s_cmp_ge_u32 s0, s33
	s_cselect_b32 s46, s1, s0
	s_mov_b64 s[0:1], s[46:47]
	v_readlane_b32 s46, v62, 35
.LBB143_231:                            ;   in Loop: Header=BB143_45 Depth=1
	s_sub_u32 s10, s64, s0
	s_subb_u32 s11, s55, s1
	v_cmp_gt_u64_e32 vcc, s[10:11], v[0:1]
                                        ; implicit-def: $vgpr57
	s_and_saveexec_b64 s[0:1], vcc
	s_cbranch_execz .LBB143_240
; %bb.232:                              ;   in Loop: Header=BB143_45 Depth=1
	v_mov_b32_e32 v6, v12
	v_mov_b32_e32 v9, v1
	s_mov_b64 s[34:35], 0
	v_mov_b32_e32 v7, v13
	v_mov_b32_e32 v8, v0
                                        ; implicit-def: $sgpr40_sgpr41
	s_branch .LBB143_235
.LBB143_233:                            ;   in Loop: Header=BB143_235 Depth=2
	s_or_b64 exec, exec, s[8:9]
	s_waitcnt lgkmcnt(0)
	s_barrier
	ds_read_b32 v10, v3 offset:3072
	s_mov_b64 s[2:3], -1
	s_mov_b64 s[8:9], -1
	s_waitcnt lgkmcnt(0)
	s_barrier
	v_and_b32_e32 v11, 0x7fff, v10
	v_cmp_eq_u32_e32 vcc, 0, v11
	s_cbranch_vccnz .LBB143_238
.LBB143_234:                            ;   in Loop: Header=BB143_235 Depth=2
	s_and_b64 s[2:3], exec, s[2:3]
	s_or_b64 s[34:35], s[2:3], s[34:35]
	s_andn2_b64 s[2:3], s[40:41], exec
	s_and_b64 s[8:9], s[8:9], exec
	s_or_b64 s[40:41], s[2:3], s[8:9]
	s_andn2_b64 exec, exec, s[34:35]
	s_cbranch_execz .LBB143_239
.LBB143_235:                            ;   Parent Loop BB143_45 Depth=1
                                        ; =>  This Inner Loop Header: Depth=2
	v_cmp_gt_u64_e32 vcc, s[24:25], v[8:9]
	s_and_saveexec_b64 s[8:9], vcc
	s_cbranch_execz .LBB143_233
; %bb.236:                              ;   in Loop: Header=BB143_235 Depth=2
	global_load_ushort v10, v[6:7], off
	s_waitcnt vmcnt(0)
	v_cmp_lt_i16_e32 vcc, -1, v10
	v_cndmask_b32_e32 v11, v51, v52, vcc
	v_lshlrev_b32_e32 v29, 16, v10
	v_cmp_o_f32_e32 vcc, v29, v29
	v_xor_b32_sdwa v11, v11, v10 dst_sel:DWORD dst_unused:UNUSED_PAD src0_sel:DWORD src1_sel:WORD_0
	v_cndmask_b32_e32 v11, v51, v11, vcc
	v_and_b32_e32 v11, v11, v56
	v_cmp_eq_u32_e32 vcc, v11, v47
	s_and_b64 exec, exec, vcc
	s_cbranch_execz .LBB143_233
; %bb.237:                              ;   in Loop: Header=BB143_235 Depth=2
	v_perm_b32 v10, v10, s67, v55
	ds_write_b32 v3, v10 offset:3072
	s_branch .LBB143_233
.LBB143_238:                            ;   in Loop: Header=BB143_235 Depth=2
	v_add_co_u32_e32 v8, vcc, s33, v8
	v_addc_co_u32_e32 v9, vcc, 0, v9, vcc
	v_mov_b32_e32 v11, s51
	v_add_co_u32_e32 v6, vcc, s50, v6
	v_addc_co_u32_e32 v7, vcc, v7, v11, vcc
	v_cmp_le_u64_e32 vcc, s[10:11], v[8:9]
	s_mov_b64 s[8:9], 0
	s_orn2_b64 s[2:3], vcc, exec
	s_branch .LBB143_234
.LBB143_239:                            ;   in Loop: Header=BB143_45 Depth=1
	s_or_b64 exec, exec, s[34:35]
	s_andn2_b64 s[2:3], s[12:13], exec
	s_and_b64 s[8:9], s[40:41], exec
	v_lshrrev_b32_e32 v57, 16, v10
	s_or_b64 s[12:13], s[2:3], s[8:9]
.LBB143_240:                            ;   in Loop: Header=BB143_45 Depth=1
	s_or_b64 exec, exec, s[0:1]
	s_mov_b64 s[40:41], 0
	s_mov_b64 s[92:93], -1
.LBB143_241:                            ;   in Loop: Header=BB143_45 Depth=1
	s_orn2_b64 s[0:1], s[12:13], exec
.LBB143_242:                            ;   in Loop: Header=BB143_45 Depth=1
	s_or_b64 exec, exec, s[38:39]
	s_mov_b64 s[8:9], 0
	s_and_saveexec_b64 s[38:39], s[0:1]
	s_cbranch_execz .LBB143_301
; %bb.243:                              ;   in Loop: Header=BB143_45 Depth=1
	v_mov_b32_e32 v6, 1
	s_xor_b64 s[0:1], s[94:95], -1
	v_mov_b32_e32 v2, 1
	v_mov_b32_e32 v7, 0
	s_and_saveexec_b64 s[10:11], s[0:1]
	s_cbranch_execz .LBB143_252
; %bb.244:                              ;   in Loop: Header=BB143_45 Depth=1
	v_cmp_ge_u64_e32 vcc, s[84:85], v[4:5]
	s_and_saveexec_b64 s[0:1], vcc
	s_xor_b64 s[0:1], exec, s[0:1]
	s_cbranch_execz .LBB143_249
; %bb.245:                              ;   in Loop: Header=BB143_45 Depth=1
	ds_read_b64 v[6:7], v3 offset:5120
	v_and_b32_e32 v2, s60, v47
	v_lshl_or_b32 v47, 2, s66, v2
	v_or_b32_e32 v56, s49, v56
	s_waitcnt lgkmcnt(0)
	v_cmp_ne_u64_e32 vcc, 0, v[6:7]
	s_cbranch_vccnz .LBB143_249
; %bb.246:                              ;   in Loop: Header=BB143_45 Depth=1
	s_mov_b64 s[2:3], exec
	v_readlane_b32 s8, v62, 10
	v_readlane_b32 s9, v62, 11
	s_and_b64 s[8:9], s[2:3], s[8:9]
	s_mov_b64 exec, s[8:9]
; %bb.247:                              ;   in Loop: Header=BB143_45 Depth=1
	v_mov_b32_e32 v6, s84
	v_mov_b32_e32 v7, s85
	ds_write_b64 v3, v[6:7] offset:5128
; %bb.248:                              ;   in Loop: Header=BB143_45 Depth=1
	s_or_b64 exec, exec, s[2:3]
	s_waitcnt lgkmcnt(0)
	s_barrier
.LBB143_249:                            ;   in Loop: Header=BB143_45 Depth=1
	s_or_saveexec_b64 s[0:1], s[0:1]
	s_mov_b64 s[8:9], 0
	v_mov_b32_e32 v2, 8
	s_xor_b64 exec, exec, s[0:1]
; %bb.250:                              ;   in Loop: Header=BB143_45 Depth=1
	v_subrev_co_u32_e32 v4, vcc, s84, v4
	v_mov_b32_e32 v2, s85
	v_subb_co_u32_e32 v5, vcc, v5, v2, vcc
	v_mov_b32_e32 v2, 0
	s_mov_b64 s[8:9], exec
; %bb.251:                              ;   in Loop: Header=BB143_45 Depth=1
	s_or_b64 exec, exec, s[0:1]
	v_mov_b32_e32 v7, v5
	s_and_b64 s[8:9], s[8:9], exec
	v_mov_b32_e32 v6, v4
.LBB143_252:                            ;   in Loop: Header=BB143_45 Depth=1
	s_or_b64 exec, exec, s[10:11]
	s_mov_b64 s[0:1], -1
                                        ; implicit-def: $sgpr34_sgpr35
                                        ; implicit-def: $sgpr12_sgpr13
	s_and_saveexec_b64 s[84:85], s[8:9]
	s_cbranch_execz .LBB143_300
; %bb.253:                              ;   in Loop: Header=BB143_45 Depth=1
	s_cmp_eq_u64 s[14:15], 1
	v_cmp_eq_u64_e32 vcc, 1, v[6:7]
	s_cselect_b64 s[0:1], -1, 0
	s_and_b64 s[94:95], s[0:1], vcc
	s_mov_b64 s[0:1], -1
                                        ; implicit-def: $sgpr34_sgpr35
                                        ; implicit-def: $sgpr12_sgpr13
	s_and_saveexec_b64 s[42:43], s[94:95]
	s_cbranch_execz .LBB143_288
; %bb.254:                              ;   in Loop: Header=BB143_45 Depth=1
	ds_read_b64 v[4:5], v3 offset:5120
	v_writelane_b32 v62, s62, 36
	s_waitcnt lgkmcnt(0)
	s_barrier
	v_readfirstlane_b32 s62, v4
	v_readfirstlane_b32 s63, v5
	s_mov_b64 s[0:1], exec
	v_readlane_b32 s2, v62, 14
	v_readlane_b32 s3, v62, 15
	s_and_b64 s[2:3], s[0:1], s[2:3]
	s_mov_b64 exec, s[2:3]
; %bb.255:                              ;   in Loop: Header=BB143_45 Depth=1
	ds_write_b16 v49, v3
; %bb.256:                              ;   in Loop: Header=BB143_45 Depth=1
	s_or_b64 exec, exec, s[0:1]
	v_or_b32_e32 v47, s49, v47
	v_or_b32_e32 v56, s49, v56
	s_mov_b64 s[12:13], -1
	s_mov_b64 s[34:35], 0
	s_cmp_eq_u64 s[62:63], 0
	s_mov_b64 s[10:11], 0
	s_mov_b64 s[0:1], -1
	s_waitcnt lgkmcnt(0)
	s_barrier
                                        ; implicit-def: $vgpr57
	s_cbranch_scc1 .LBB143_272
; %bb.257:                              ;   in Loop: Header=BB143_45 Depth=1
	s_add_u32 s8, s62, s61
	v_readlane_b32 s0, v62, 36
	s_addc_u32 s11, s63, s0
	s_mov_b32 s10, s47
	s_cmp_lg_u64 s[10:11], 0
	s_cbranch_scc0 .LBB143_307
; %bb.258:                              ;   in Loop: Header=BB143_45 Depth=1
	v_cvt_f32_u32_e32 v4, s33
	s_sub_u32 s2, 0, s33
	s_subb_u32 s3, 0, 0
	v_mac_f32_e32 v4, 0, v53
	v_rcp_f32_e32 v4, v4
	v_mul_f32_e32 v4, 0x5f7ffffc, v4
	v_mul_f32_e32 v5, 0x2f800000, v4
	v_trunc_f32_e32 v5, v5
	v_mac_f32_e32 v4, 0xcf800000, v5
	v_cvt_u32_f32_e32 v5, v5
	v_cvt_u32_f32_e32 v4, v4
	v_readfirstlane_b32 s9, v5
	v_readfirstlane_b32 s0, v4
	s_mul_i32 s1, s2, s9
	s_mul_hi_u32 s46, s2, s0
	s_mul_i32 s10, s3, s0
	s_add_i32 s1, s46, s1
	s_mul_i32 s54, s2, s0
	s_add_i32 s1, s1, s10
	s_mul_hi_u32 s46, s0, s54
	s_mul_i32 s58, s0, s1
	s_mul_hi_u32 s10, s0, s1
	s_add_u32 s46, s46, s58
	s_addc_u32 s10, 0, s10
	s_mul_hi_u32 s59, s9, s54
	s_mul_i32 s54, s9, s54
	s_add_u32 s46, s46, s54
	s_mul_hi_u32 s58, s9, s1
	s_addc_u32 s10, s10, s59
	s_addc_u32 s46, s58, 0
	s_mul_i32 s1, s9, s1
	s_add_u32 s1, s10, s1
	s_addc_u32 s10, 0, s46
	s_add_u32 s46, s0, s1
	s_cselect_b64 s[0:1], -1, 0
	s_cmp_lg_u64 s[0:1], 0
	s_addc_u32 s9, s9, s10
	s_mul_i32 s0, s2, s9
	s_mul_hi_u32 s1, s2, s46
	s_add_i32 s0, s1, s0
	s_mul_i32 s3, s3, s46
	s_add_i32 s0, s0, s3
	s_mul_i32 s2, s2, s46
	s_mul_hi_u32 s3, s9, s2
	s_mul_i32 s10, s9, s2
	s_mul_i32 s58, s46, s0
	s_mul_hi_u32 s2, s46, s2
	s_mul_hi_u32 s54, s46, s0
	s_add_u32 s2, s2, s58
	s_addc_u32 s54, 0, s54
	s_add_u32 s2, s2, s10
	s_mul_hi_u32 s1, s9, s0
	s_addc_u32 s2, s54, s3
	s_addc_u32 s1, s1, 0
	s_mul_i32 s0, s9, s0
	s_add_u32 s0, s2, s0
	s_addc_u32 s2, 0, s1
	s_add_u32 s3, s46, s0
	s_cselect_b64 s[0:1], -1, 0
	s_cmp_lg_u64 s[0:1], 0
	s_addc_u32 s0, s9, s2
	s_mul_i32 s2, s8, s0
	s_mul_hi_u32 s9, s8, s3
	s_mul_hi_u32 s1, s8, s0
	s_add_u32 s2, s9, s2
	s_addc_u32 s1, 0, s1
	s_mul_hi_u32 s10, s11, s3
	s_mul_i32 s3, s11, s3
	s_add_u32 s2, s2, s3
	s_mul_hi_u32 s9, s11, s0
	s_addc_u32 s1, s1, s10
	s_addc_u32 s2, s9, 0
	s_mul_i32 s0, s11, s0
	s_add_u32 s0, s1, s0
	s_addc_u32 s1, 0, s2
	s_mul_i32 s1, s33, s1
	s_mul_hi_u32 s2, s33, s0
	s_add_i32 s2, s2, s1
	s_mul_i32 s0, s33, s0
	s_sub_u32 s3, s8, s0
	s_cselect_b64 s[0:1], -1, 0
	s_cmp_lg_u64 s[0:1], 0
	s_subb_u32 s2, s11, s2
	s_sub_u32 s9, s3, s33
	s_cselect_b64 s[0:1], -1, 0
	s_cmp_lg_u64 s[0:1], 0
	s_subb_u32 s10, s2, 0
	s_sub_u32 s46, s9, s33
	s_cselect_b64 s[0:1], -1, 0
	s_cmp_lg_u64 s[0:1], 0
	s_subb_u32 s0, s10, 0
	s_cmp_ge_u32 s9, s33
	s_cselect_b32 s1, -1, 0
	s_cmp_eq_u32 s10, 0
	s_cselect_b32 s1, s1, -1
	s_cmp_lg_u32 s1, 0
	s_cselect_b32 s0, s0, s10
	s_cselect_b32 s9, s46, s9
	s_cmp_ge_u32 s3, s33
	s_cselect_b32 s1, -1, 0
	s_cmp_eq_u32 s2, 0
	s_cselect_b32 s1, s1, -1
	s_cmp_lg_u32 s1, 0
	v_readlane_b32 s46, v62, 35
	s_cselect_b32 s1, s0, s2
	s_cselect_b32 s0, s9, s3
	s_mov_b32 s54, s61
	s_cbranch_execnz .LBB143_260
.LBB143_259:                            ;   in Loop: Header=BB143_45 Depth=1
	v_cvt_f32_u32_e32 v4, s33
	s_sub_i32 s0, 0, s33
	v_rcp_iflag_f32_e32 v4, v4
	v_mul_f32_e32 v4, 0x4f7ffffe, v4
	v_cvt_u32_f32_e32 v4, v4
	v_readfirstlane_b32 s1, v4
	s_mul_i32 s0, s0, s1
	s_mul_hi_u32 s0, s1, s0
	s_add_i32 s1, s1, s0
	s_mul_hi_u32 s0, s8, s1
	s_mul_i32 s0, s0, s33
	s_sub_i32 s0, s8, s0
	s_sub_i32 s1, s0, s33
	s_cmp_ge_u32 s0, s33
	s_cselect_b32 s0, s1, s0
	s_sub_i32 s1, s0, s33
	s_cmp_ge_u32 s0, s33
	s_cselect_b32 s46, s1, s0
	s_mov_b64 s[0:1], s[46:47]
	v_readlane_b32 s46, v62, 35
.LBB143_260:                            ;   in Loop: Header=BB143_45 Depth=1
	s_sub_u32 s60, s8, s0
	s_subb_u32 s61, s11, s1
	v_cmp_gt_u64_e32 vcc, s[60:61], v[0:1]
	s_mov_b64 s[0:1], 0
	s_mov_b64 s[10:11], 0
                                        ; implicit-def: $vgpr57
	s_and_saveexec_b64 s[58:59], vcc
	s_cbranch_execz .LBB143_271
; %bb.261:                              ;   in Loop: Header=BB143_45 Depth=1
	v_mov_b32_e32 v5, v1
	v_writelane_b32 v62, s94, 37
	v_mov_b32_e32 v8, v48
	v_mov_b32_e32 v4, v0
	v_writelane_b32 v62, s95, 38
                                        ; implicit-def: $sgpr8_sgpr9
	s_branch .LBB143_264
.LBB143_262:                            ;   in Loop: Header=BB143_264 Depth=2
	s_or_b64 exec, exec, s[2:3]
	s_waitcnt lgkmcnt(0)
	s_barrier
	ds_read_b32 v9, v3 offset:3072
	s_mov_b64 s[2:3], -1
	s_mov_b64 s[94:95], -1
	s_waitcnt lgkmcnt(0)
	s_barrier
	v_and_b32_e32 v10, 0x7fff, v9
	v_cmp_ne_u32_e32 vcc, 0, v10
	s_cbranch_vccz .LBB143_267
.LBB143_263:                            ;   in Loop: Header=BB143_264 Depth=2
	s_and_b64 s[2:3], exec, s[2:3]
	s_or_b64 s[10:11], s[2:3], s[10:11]
	s_andn2_b64 s[2:3], s[8:9], exec
	s_and_b64 s[8:9], s[94:95], exec
	s_or_b64 s[8:9], s[2:3], s[8:9]
	s_andn2_b64 exec, exec, s[10:11]
	s_cbranch_execz .LBB143_270
.LBB143_264:                            ;   Parent Loop BB143_45 Depth=1
                                        ; =>  This Inner Loop Header: Depth=2
	v_cmp_gt_u64_e32 vcc, s[62:63], v[4:5]
	s_and_saveexec_b64 s[2:3], vcc
	s_cbranch_execz .LBB143_262
; %bb.265:                              ;   in Loop: Header=BB143_264 Depth=2
	ds_read_u16 v9, v8
	s_waitcnt lgkmcnt(0)
	v_cmp_lt_i16_e32 vcc, -1, v9
	v_cndmask_b32_e32 v10, v51, v52, vcc
	v_lshlrev_b32_e32 v11, 16, v9
	v_cmp_o_f32_e32 vcc, v11, v11
	v_xor_b32_sdwa v10, v10, v9 dst_sel:DWORD dst_unused:UNUSED_PAD src0_sel:DWORD src1_sel:WORD_0
	v_cndmask_b32_e32 v10, v51, v10, vcc
	v_and_b32_e32 v10, v10, v56
	v_cmp_eq_u32_e32 vcc, v10, v47
	s_and_b64 exec, exec, vcc
	s_cbranch_execz .LBB143_262
; %bb.266:                              ;   in Loop: Header=BB143_264 Depth=2
	v_perm_b32 v9, v9, s67, v55
	ds_write_b32 v3, v9 offset:3072
	s_branch .LBB143_262
.LBB143_267:                            ;   in Loop: Header=BB143_264 Depth=2
	v_add_co_u32_e32 v4, vcc, s33, v4
	v_addc_co_u32_e32 v5, vcc, 0, v5, vcc
	v_cmp_le_u64_e32 vcc, s[60:61], v[4:5]
	v_add_u32_e32 v8, s16, v8
	s_mov_b64 s[94:95], 0
	s_orn2_b64 s[2:3], vcc, exec
	s_branch .LBB143_263
.LBB143_268:                            ;   in Loop: Header=BB143_45 Depth=1
                                        ; implicit-def: $sgpr0_sgpr1
	s_branch .LBB143_214
.LBB143_269:                            ;   in Loop: Header=BB143_45 Depth=1
                                        ; implicit-def: $sgpr0_sgpr1
	s_branch .LBB143_230
.LBB143_270:                            ;   in Loop: Header=BB143_45 Depth=1
	s_or_b64 exec, exec, s[10:11]
	v_readlane_b32 s94, v62, 37
	v_lshrrev_b32_e32 v57, 16, v9
	s_and_b64 s[10:11], s[8:9], exec
	v_readlane_b32 s95, v62, 38
.LBB143_271:                            ;   in Loop: Header=BB143_45 Depth=1
	s_or_b64 exec, exec, s[58:59]
	s_mov_b32 s61, s54
.LBB143_272:                            ;   in Loop: Header=BB143_45 Depth=1
	s_and_b64 vcc, exec, s[0:1]
	s_cbranch_vccz .LBB143_284
; %bb.273:                              ;   in Loop: Header=BB143_45 Depth=1
	s_mov_b32 s54, s47
	s_cmp_lg_u64 s[54:55], 0
	v_readlane_b32 s62, v62, 36
	s_cbranch_scc0 .LBB143_308
; %bb.274:                              ;   in Loop: Header=BB143_45 Depth=1
	v_cvt_f32_u32_e32 v4, s33
	s_sub_u32 s2, 0, s33
	s_subb_u32 s3, 0, 0
	v_mac_f32_e32 v4, 0, v53
	v_rcp_f32_e32 v4, v4
	v_mul_f32_e32 v4, 0x5f7ffffc, v4
	v_mul_f32_e32 v5, 0x2f800000, v4
	v_trunc_f32_e32 v5, v5
	v_mac_f32_e32 v4, 0xcf800000, v5
	v_cvt_u32_f32_e32 v5, v5
	v_cvt_u32_f32_e32 v4, v4
	v_readfirstlane_b32 s8, v5
	v_readfirstlane_b32 s0, v4
	s_mul_i32 s1, s2, s8
	s_mul_hi_u32 s12, s2, s0
	s_mul_i32 s9, s3, s0
	s_add_i32 s1, s12, s1
	s_mul_i32 s13, s2, s0
	s_add_i32 s1, s1, s9
	s_mul_hi_u32 s12, s0, s13
	s_mul_i32 s34, s0, s1
	s_mul_hi_u32 s9, s0, s1
	s_add_u32 s12, s12, s34
	s_addc_u32 s9, 0, s9
	s_mul_hi_u32 s35, s8, s13
	s_mul_i32 s13, s8, s13
	s_add_u32 s12, s12, s13
	s_mul_hi_u32 s34, s8, s1
	s_addc_u32 s9, s9, s35
	s_addc_u32 s12, s34, 0
	s_mul_i32 s1, s8, s1
	s_add_u32 s1, s9, s1
	s_addc_u32 s9, 0, s12
	s_add_u32 s12, s0, s1
	s_cselect_b64 s[0:1], -1, 0
	s_cmp_lg_u64 s[0:1], 0
	s_addc_u32 s8, s8, s9
	s_mul_i32 s0, s2, s8
	s_mul_hi_u32 s1, s2, s12
	s_add_i32 s0, s1, s0
	s_mul_i32 s3, s3, s12
	s_add_i32 s0, s0, s3
	s_mul_i32 s2, s2, s12
	s_mul_hi_u32 s3, s8, s2
	s_mul_i32 s9, s8, s2
	s_mul_i32 s34, s12, s0
	s_mul_hi_u32 s2, s12, s2
	s_mul_hi_u32 s13, s12, s0
	s_add_u32 s2, s2, s34
	s_addc_u32 s13, 0, s13
	s_add_u32 s2, s2, s9
	s_mul_hi_u32 s1, s8, s0
	s_addc_u32 s2, s13, s3
	s_addc_u32 s1, s1, 0
	s_mul_i32 s0, s8, s0
	s_add_u32 s0, s2, s0
	s_addc_u32 s2, 0, s1
	s_add_u32 s3, s12, s0
	s_cselect_b64 s[0:1], -1, 0
	s_cmp_lg_u64 s[0:1], 0
	s_addc_u32 s0, s8, s2
	s_mul_i32 s2, s64, s0
	s_mul_hi_u32 s8, s64, s3
	s_mul_hi_u32 s1, s64, s0
	s_add_u32 s2, s8, s2
	s_addc_u32 s1, 0, s1
	s_mul_hi_u32 s9, s55, s3
	s_mul_i32 s3, s55, s3
	s_add_u32 s2, s2, s3
	s_mul_hi_u32 s8, s55, s0
	s_addc_u32 s1, s1, s9
	s_addc_u32 s2, s8, 0
	s_mul_i32 s0, s55, s0
	s_add_u32 s0, s1, s0
	s_addc_u32 s1, 0, s2
	s_mul_i32 s1, s33, s1
	s_mul_hi_u32 s2, s33, s0
	s_add_i32 s2, s2, s1
	s_mul_i32 s0, s33, s0
	s_sub_u32 s3, s64, s0
	s_cselect_b64 s[0:1], -1, 0
	s_cmp_lg_u64 s[0:1], 0
	s_subb_u32 s2, s55, s2
	s_sub_u32 s8, s3, s33
	s_cselect_b64 s[0:1], -1, 0
	s_cmp_lg_u64 s[0:1], 0
	s_subb_u32 s9, s2, 0
	;; [unrolled: 4-line block ×3, first 2 shown]
	s_cmp_ge_u32 s8, s33
	s_cselect_b32 s1, -1, 0
	s_cmp_eq_u32 s9, 0
	s_cselect_b32 s1, s1, -1
	s_cmp_lg_u32 s1, 0
	s_cselect_b32 s0, s0, s9
	s_cselect_b32 s8, s12, s8
	s_cmp_ge_u32 s3, s33
	s_cselect_b32 s1, -1, 0
	s_cmp_eq_u32 s2, 0
	s_cselect_b32 s1, s1, -1
	s_cmp_lg_u32 s1, 0
	s_cselect_b32 s1, s0, s2
	s_cselect_b32 s0, s8, s3
	s_cbranch_execnz .LBB143_276
.LBB143_275:                            ;   in Loop: Header=BB143_45 Depth=1
	v_cvt_f32_u32_e32 v4, s33
	s_sub_i32 s0, 0, s33
	v_rcp_iflag_f32_e32 v4, v4
	v_mul_f32_e32 v4, 0x4f7ffffe, v4
	v_cvt_u32_f32_e32 v4, v4
	v_readfirstlane_b32 s1, v4
	s_mul_i32 s0, s0, s1
	s_mul_hi_u32 s0, s1, s0
	s_add_i32 s1, s1, s0
	s_mul_hi_u32 s0, s64, s1
	s_mul_i32 s0, s0, s33
	s_sub_i32 s0, s64, s0
	s_sub_i32 s1, s0, s33
	s_cmp_ge_u32 s0, s33
	s_cselect_b32 s0, s1, s0
	s_sub_i32 s1, s0, s33
	s_cmp_ge_u32 s0, s33
	s_cselect_b32 s46, s1, s0
	s_mov_b64 s[0:1], s[46:47]
	v_readlane_b32 s46, v62, 35
.LBB143_276:                            ;   in Loop: Header=BB143_45 Depth=1
	s_sub_u32 s12, s64, s0
	s_subb_u32 s13, s55, s1
	v_cmp_gt_u64_e32 vcc, s[12:13], v[0:1]
                                        ; implicit-def: $vgpr57
	s_and_saveexec_b64 s[0:1], vcc
	s_cbranch_execz .LBB143_286
; %bb.277:                              ;   in Loop: Header=BB143_45 Depth=1
	v_mov_b32_e32 v4, v12
	v_mov_b32_e32 v9, v1
	s_mov_b64 s[34:35], 0
	v_mov_b32_e32 v5, v13
	v_mov_b32_e32 v8, v0
                                        ; implicit-def: $sgpr58_sgpr59
	s_branch .LBB143_280
.LBB143_278:                            ;   in Loop: Header=BB143_280 Depth=2
	s_or_b64 exec, exec, s[2:3]
	s_waitcnt lgkmcnt(0)
	s_barrier
	ds_read_b32 v10, v3 offset:3072
	s_mov_b64 s[2:3], -1
	s_mov_b64 s[8:9], -1
	s_waitcnt lgkmcnt(0)
	s_barrier
	v_and_b32_e32 v11, 0x7fff, v10
	v_cmp_eq_u32_e32 vcc, 0, v11
	s_cbranch_vccnz .LBB143_283
.LBB143_279:                            ;   in Loop: Header=BB143_280 Depth=2
	s_and_b64 s[2:3], exec, s[2:3]
	s_or_b64 s[34:35], s[2:3], s[34:35]
	s_andn2_b64 s[2:3], s[58:59], exec
	s_and_b64 s[8:9], s[8:9], exec
	s_or_b64 s[58:59], s[2:3], s[8:9]
	s_andn2_b64 exec, exec, s[34:35]
	s_cbranch_execz .LBB143_285
.LBB143_280:                            ;   Parent Loop BB143_45 Depth=1
                                        ; =>  This Inner Loop Header: Depth=2
	v_cmp_gt_u64_e32 vcc, s[24:25], v[8:9]
	s_and_saveexec_b64 s[2:3], vcc
	s_cbranch_execz .LBB143_278
; %bb.281:                              ;   in Loop: Header=BB143_280 Depth=2
	global_load_ushort v10, v[4:5], off
	s_waitcnt vmcnt(0)
	v_cmp_lt_i16_e32 vcc, -1, v10
	v_cndmask_b32_e32 v11, v51, v52, vcc
	v_lshlrev_b32_e32 v29, 16, v10
	v_cmp_o_f32_e32 vcc, v29, v29
	v_xor_b32_sdwa v11, v11, v10 dst_sel:DWORD dst_unused:UNUSED_PAD src0_sel:DWORD src1_sel:WORD_0
	v_cndmask_b32_e32 v11, v51, v11, vcc
	v_and_b32_e32 v11, v11, v56
	v_cmp_eq_u32_e32 vcc, v11, v47
	s_and_b64 exec, exec, vcc
	s_cbranch_execz .LBB143_278
; %bb.282:                              ;   in Loop: Header=BB143_280 Depth=2
	v_perm_b32 v10, v10, s67, v55
	ds_write_b32 v3, v10 offset:3072
	s_branch .LBB143_278
.LBB143_283:                            ;   in Loop: Header=BB143_280 Depth=2
	v_add_co_u32_e32 v8, vcc, s33, v8
	v_addc_co_u32_e32 v9, vcc, 0, v9, vcc
	v_mov_b32_e32 v11, s51
	v_add_co_u32_e32 v4, vcc, s50, v4
	v_addc_co_u32_e32 v5, vcc, v5, v11, vcc
	v_cmp_le_u64_e32 vcc, s[12:13], v[8:9]
	s_mov_b64 s[8:9], 0
	s_orn2_b64 s[2:3], vcc, exec
	s_branch .LBB143_279
.LBB143_284:                            ;   in Loop: Header=BB143_45 Depth=1
	v_readlane_b32 s62, v62, 36
	s_branch .LBB143_287
.LBB143_285:                            ;   in Loop: Header=BB143_45 Depth=1
	s_or_b64 exec, exec, s[34:35]
	s_andn2_b64 s[2:3], s[10:11], exec
	s_and_b64 s[8:9], s[58:59], exec
	v_lshrrev_b32_e32 v57, 16, v10
	s_or_b64 s[10:11], s[2:3], s[8:9]
.LBB143_286:                            ;   in Loop: Header=BB143_45 Depth=1
	s_or_b64 exec, exec, s[0:1]
	s_mov_b64 s[12:13], 0
	s_mov_b64 s[34:35], -1
.LBB143_287:                            ;   in Loop: Header=BB143_45 Depth=1
	s_orn2_b64 s[0:1], s[10:11], exec
.LBB143_288:                            ;   in Loop: Header=BB143_45 Depth=1
	s_or_b64 exec, exec, s[42:43]
	s_mov_b64 s[2:3], 0
	s_and_saveexec_b64 s[10:11], s[0:1]
	s_cbranch_execz .LBB143_299
; %bb.289:                              ;   in Loop: Header=BB143_45 Depth=1
	v_mov_b32_e32 v4, 1
	s_xor_b64 s[2:3], s[94:95], -1
	v_mov_b32_e32 v5, 0
	v_mov_b32_e32 v2, 1
	s_and_saveexec_b64 s[0:1], s[2:3]
	s_cbranch_execz .LBB143_298
; %bb.290:                              ;   in Loop: Header=BB143_45 Depth=1
	v_cmp_ge_u64_e32 vcc, s[14:15], v[6:7]
	s_and_saveexec_b64 s[2:3], vcc
	s_xor_b64 s[8:9], exec, s[2:3]
	s_cbranch_execz .LBB143_295
; %bb.291:                              ;   in Loop: Header=BB143_45 Depth=1
	ds_read_b64 v[4:5], v3 offset:5120
	v_or_b32_e32 v47, s49, v47
	v_or_b32_e32 v56, s49, v56
	s_waitcnt lgkmcnt(0)
	v_cmp_ne_u64_e32 vcc, 0, v[4:5]
	s_cbranch_vccnz .LBB143_295
; %bb.292:                              ;   in Loop: Header=BB143_45 Depth=1
	s_mov_b64 s[2:3], exec
	v_readlane_b32 s42, v62, 10
	v_readlane_b32 s43, v62, 11
	s_and_b64 s[42:43], s[2:3], s[42:43]
	s_mov_b64 exec, s[42:43]
; %bb.293:                              ;   in Loop: Header=BB143_45 Depth=1
	v_mov_b32_e32 v4, s14
	v_mov_b32_e32 v5, s15
	ds_write_b64 v3, v[4:5] offset:5128
; %bb.294:                              ;   in Loop: Header=BB143_45 Depth=1
	s_or_b64 exec, exec, s[2:3]
	s_waitcnt lgkmcnt(0)
	s_barrier
.LBB143_295:                            ;   in Loop: Header=BB143_45 Depth=1
	s_andn2_saveexec_b64 s[2:3], s[8:9]
; %bb.296:                              ;   in Loop: Header=BB143_45 Depth=1
	v_mov_b32_e32 v2, s15
	v_subrev_co_u32_e32 v6, vcc, s14, v6
	v_subb_co_u32_e32 v7, vcc, v7, v2, vcc
; %bb.297:                              ;   in Loop: Header=BB143_45 Depth=1
	s_or_b64 exec, exec, s[2:3]
	v_mov_b32_e32 v4, v6
	v_mov_b32_e32 v2, 8
	;; [unrolled: 1-line block ×3, first 2 shown]
.LBB143_298:                            ;   in Loop: Header=BB143_45 Depth=1
	s_or_b64 exec, exec, s[0:1]
	v_mov_b32_e32 v7, v5
	s_mov_b64 s[2:3], exec
	v_mov_b32_e32 v6, v4
.LBB143_299:                            ;   in Loop: Header=BB143_45 Depth=1
	s_or_b64 exec, exec, s[10:11]
	s_orn2_b64 s[0:1], s[2:3], exec
.LBB143_300:                            ;   in Loop: Header=BB143_45 Depth=1
	s_or_b64 exec, exec, s[84:85]
	s_andn2_b64 s[2:3], s[92:93], exec
	s_and_b64 s[8:9], s[34:35], exec
	s_or_b64 s[92:93], s[2:3], s[8:9]
	s_andn2_b64 s[2:3], s[40:41], exec
	s_and_b64 s[8:9], s[12:13], exec
	v_mov_b32_e32 v4, v6
	s_or_b64 s[40:41], s[2:3], s[8:9]
	s_and_b64 s[8:9], s[0:1], exec
	v_mov_b32_e32 v5, v7
.LBB143_301:                            ;   in Loop: Header=BB143_45 Depth=1
	s_or_b64 exec, exec, s[38:39]
	s_orn2_b64 s[0:1], s[8:9], exec
.LBB143_302:                            ;   in Loop: Header=BB143_45 Depth=1
	s_or_b64 exec, exec, s[90:91]
	s_andn2_b64 s[2:3], s[86:87], exec
	s_and_b64 s[8:9], s[92:93], exec
	s_or_b64 s[86:87], s[2:3], s[8:9]
	s_andn2_b64 s[2:3], s[6:7], exec
	s_and_b64 s[6:7], s[40:41], exec
	v_mov_b32_e32 v9, v5
	s_or_b64 s[6:7], s[2:3], s[6:7]
	s_and_b64 s[8:9], s[0:1], exec
	v_mov_b32_e32 v8, v4
.LBB143_303:                            ;   in Loop: Header=BB143_45 Depth=1
	s_or_b64 exec, exec, s[88:89]
	s_orn2_b64 s[0:1], s[8:9], exec
.LBB143_304:                            ;   in Loop: Header=BB143_45 Depth=1
	s_or_b64 exec, exec, s[82:83]
	s_mov_b64 s[8:9], 0
	s_and_saveexec_b64 s[2:3], s[0:1]
	s_xor_b64 s[0:1], exec, s[2:3]
	s_cbranch_execz .LBB143_43
; %bb.305:                              ;   in Loop: Header=BB143_45 Depth=1
	v_and_b32_e32 v2, 7, v2
	v_cmp_eq_u32_e32 vcc, 0, v2
	s_mov_b64 s[2:3], -1
	s_mov_b64 s[8:9], -1
	s_and_saveexec_b64 s[10:11], vcc
	s_cbranch_execz .LBB143_42
; %bb.306:                              ;   in Loop: Header=BB143_45 Depth=1
	s_xor_b32 s48, s48, 1
	s_add_i32 s12, s66, -2
	s_cmp_eq_u32 s66, 0
	s_cselect_b64 s[2:3], -1, 0
	s_xor_b64 s[8:9], exec, -1
	s_orn2_b64 s[2:3], s[2:3], exec
	s_mov_b32 s66, s12
	s_branch .LBB143_42
.LBB143_307:                            ;   in Loop: Header=BB143_45 Depth=1
                                        ; implicit-def: $sgpr0_sgpr1
	s_mov_b32 s54, s61
	s_branch .LBB143_259
.LBB143_308:                            ;   in Loop: Header=BB143_45 Depth=1
                                        ; implicit-def: $sgpr0_sgpr1
	s_branch .LBB143_275
.LBB143_309:
	s_or_b64 exec, exec, s[68:69]
	s_xor_b64 s[4:5], s[74:75], -1
	s_xor_b64 s[2:3], s[70:71], -1
	;; [unrolled: 1-line block ×3, first 2 shown]
	s_mov_b64 s[0:1], 0
	s_and_saveexec_b64 s[8:9], s[2:3]
	s_xor_b64 s[2:3], exec, s[8:9]
	s_cbranch_execnz .LBB143_314
; %bb.310:
	s_andn2_saveexec_b64 s[2:3], s[2:3]
	s_cbranch_execnz .LBB143_327
.LBB143_311:
	s_or_b64 exec, exec, s[2:3]
	s_and_saveexec_b64 s[2:3], s[0:1]
.LBB143_312:
	; divergent unreachable
.LBB143_313:
	s_endpgm
.LBB143_314:
	s_and_saveexec_b64 s[0:1], s[4:5]
	s_xor_b64 s[4:5], exec, s[0:1]
	s_cbranch_execz .LBB143_325
; %bb.315:
	s_and_saveexec_b64 s[0:1], s[6:7]
	s_xor_b64 s[0:1], exec, s[0:1]
; %bb.316:
	v_and_b32_e32 v2, 0x8000, v47
	v_mov_b32_e32 v3, 0x8000
	v_mov_b32_e32 v4, 0xffff
	v_cmp_eq_u32_e32 vcc, 0, v2
	v_cndmask_b32_e32 v2, v3, v4, vcc
	v_xor_b32_e32 v57, v2, v47
; %bb.317:
	s_or_b64 exec, exec, s[0:1]
	v_readlane_b32 s6, v62, 0
	v_readlane_b32 s7, v62, 1
	s_mul_i32 s0, s6, s31
	s_mul_hi_u32 s1, s6, s30
	s_add_i32 s0, s1, s0
	s_mul_i32 s1, s7, s30
	s_add_i32 s1, s0, s1
	s_mul_i32 s0, s6, s30
	s_lshl_b64 s[0:1], s[0:1], 1
	v_readlane_b32 s6, v62, 4
	v_readlane_b32 s7, v62, 5
	s_add_u32 s6, s6, s0
	s_addc_u32 s7, s7, s1
	s_lshl_b64 s[0:1], s[22:23], 1
	s_add_u32 s0, s6, s0
	s_addc_u32 s1, s7, s1
	v_mov_b32_e32 v2, 0
	global_store_short v2, v57, s[0:1]
	s_mov_b64 s[6:7], exec
	v_readlane_b32 s0, v62, 8
	v_readlane_b32 s1, v62, 9
	s_and_b64 s[0:1], s[6:7], s[0:1]
	s_mov_b64 exec, s[0:1]
	s_cbranch_execz .LBB143_324
; %bb.318:
	v_lshlrev_b32_e32 v4, 16, v57
	v_cmp_u_f32_e32 vcc, v4, v4
	s_mov_b64 s[8:9], 0
	s_xor_b64 s[12:13], vcc, -1
                                        ; implicit-def: $sgpr10_sgpr11
                                        ; implicit-def: $sgpr16_sgpr17
                                        ; implicit-def: $sgpr14_sgpr15
	s_branch .LBB143_320
.LBB143_319:                            ;   in Loop: Header=BB143_320 Depth=1
	s_or_b64 exec, exec, s[0:1]
	s_and_b64 s[0:1], exec, s[16:17]
	s_or_b64 s[8:9], s[0:1], s[8:9]
	s_andn2_b64 s[0:1], s[10:11], exec
	s_and_b64 s[10:11], s[14:15], exec
	s_or_b64 s[10:11], s[0:1], s[10:11]
	s_andn2_b64 exec, exec, s[8:9]
	s_cbranch_execz .LBB143_322
.LBB143_320:                            ; =>This Inner Loop Header: Depth=1
	global_load_ushort v5, v[12:13], off
	v_mov_b32_e32 v3, v1
	v_mov_b32_e32 v2, v0
	s_or_b64 s[14:15], s[14:15], exec
	s_or_b64 s[16:17], s[16:17], exec
	s_waitcnt vmcnt(0)
	v_lshlrev_b32_e32 v0, 16, v5
	v_cmp_o_f32_e64 s[0:1], v0, v0
	v_cmp_neq_f32_e32 vcc, v0, v4
	s_or_b64 s[0:1], s[12:13], s[0:1]
	s_and_b64 s[18:19], vcc, s[0:1]
                                        ; implicit-def: $vgpr0_vgpr1
	s_and_saveexec_b64 s[0:1], s[18:19]
	s_cbranch_execz .LBB143_319
; %bb.321:                              ;   in Loop: Header=BB143_320 Depth=1
	v_add_co_u32_e32 v0, vcc, s33, v2
	v_addc_co_u32_e32 v1, vcc, 0, v3, vcc
	v_mov_b32_e32 v5, s51
	v_add_co_u32_e32 v12, vcc, s50, v12
	v_addc_co_u32_e32 v13, vcc, v13, v5, vcc
	v_cmp_le_u64_e32 vcc, s[24:25], v[0:1]
	s_andn2_b64 s[16:17], s[16:17], exec
	s_and_b64 s[18:19], vcc, exec
	s_andn2_b64 s[14:15], s[14:15], exec
	s_or_b64 s[16:17], s[16:17], s[18:19]
	s_branch .LBB143_319
.LBB143_322:
	s_or_b64 exec, exec, s[8:9]
	s_and_saveexec_b64 s[0:1], s[10:11]
	s_xor_b64 s[0:1], exec, s[0:1]
	s_cbranch_execz .LBB143_324
; %bb.323:
	v_readlane_b32 s8, v62, 2
	v_readlane_b32 s9, v62, 3
	s_mul_i32 s0, s8, s37
	s_mul_hi_u32 s1, s8, s36
	s_add_i32 s0, s1, s0
	s_mul_i32 s1, s9, s36
	s_add_i32 s1, s0, s1
	s_mul_i32 s0, s8, s36
	s_lshl_b64 s[0:1], s[0:1], 3
	v_readlane_b32 s8, v62, 6
	v_readlane_b32 s9, v62, 7
	s_add_u32 s8, s8, s0
	s_addc_u32 s9, s9, s1
	s_lshl_b64 s[0:1], s[28:29], 3
	s_add_u32 s0, s8, s0
	s_addc_u32 s1, s9, s1
	v_mov_b32_e32 v0, 0
	global_store_dwordx2 v0, v[2:3], s[0:1]
.LBB143_324:
	s_or_b64 exec, exec, s[6:7]
.LBB143_325:
	s_or_saveexec_b64 s[0:1], s[4:5]
	s_mov_b64 s[4:5], 0
	s_xor_b64 exec, exec, s[0:1]
	s_cbranch_execnz .LBB143_328
.LBB143_326:
	s_or_b64 exec, exec, s[0:1]
	s_and_b64 s[0:1], s[4:5], exec
	s_andn2_saveexec_b64 s[2:3], s[2:3]
	s_cbranch_execz .LBB143_311
.LBB143_327:
	s_or_b64 s[0:1], s[0:1], exec
	s_trap 2
	s_or_b64 exec, exec, s[2:3]
	s_and_saveexec_b64 s[2:3], s[0:1]
	s_cbranch_execnz .LBB143_312
	s_branch .LBB143_313
.LBB143_328:
	s_mov_b64 s[4:5], exec
	s_trap 2
	s_branch .LBB143_326
	.section	.rodata,"a",@progbits
	.p2align	6, 0x0
	.amdhsa_kernel _ZN2at6native12_GLOBAL__N_112gatherMedianIN3c108BFloat16EmLin1EEEvNS_4cuda6detail10TensorInfoIT_T0_EENS7_IlS9_EENS7_IKS8_S9_EES9_S9_S9_b
		.amdhsa_group_segment_fixed_size 5152
		.amdhsa_private_segment_fixed_size 0
		.amdhsa_kernarg_size 1536
		.amdhsa_user_sgpr_count 6
		.amdhsa_user_sgpr_private_segment_buffer 1
		.amdhsa_user_sgpr_dispatch_ptr 0
		.amdhsa_user_sgpr_queue_ptr 0
		.amdhsa_user_sgpr_kernarg_segment_ptr 1
		.amdhsa_user_sgpr_dispatch_id 0
		.amdhsa_user_sgpr_flat_scratch_init 0
		.amdhsa_user_sgpr_private_segment_size 0
		.amdhsa_uses_dynamic_stack 0
		.amdhsa_system_sgpr_private_segment_wavefront_offset 0
		.amdhsa_system_sgpr_workgroup_id_x 1
		.amdhsa_system_sgpr_workgroup_id_y 1
		.amdhsa_system_sgpr_workgroup_id_z 1
		.amdhsa_system_sgpr_workgroup_info 0
		.amdhsa_system_vgpr_workitem_id 0
		.amdhsa_next_free_vgpr 63
		.amdhsa_next_free_sgpr 96
		.amdhsa_reserve_vcc 1
		.amdhsa_reserve_flat_scratch 0
		.amdhsa_float_round_mode_32 0
		.amdhsa_float_round_mode_16_64 0
		.amdhsa_float_denorm_mode_32 3
		.amdhsa_float_denorm_mode_16_64 3
		.amdhsa_dx10_clamp 1
		.amdhsa_ieee_mode 1
		.amdhsa_fp16_overflow 0
		.amdhsa_exception_fp_ieee_invalid_op 0
		.amdhsa_exception_fp_denorm_src 0
		.amdhsa_exception_fp_ieee_div_zero 0
		.amdhsa_exception_fp_ieee_overflow 0
		.amdhsa_exception_fp_ieee_underflow 0
		.amdhsa_exception_fp_ieee_inexact 0
		.amdhsa_exception_int_div_zero 0
	.end_amdhsa_kernel
	.section	.text._ZN2at6native12_GLOBAL__N_112gatherMedianIN3c108BFloat16EmLin1EEEvNS_4cuda6detail10TensorInfoIT_T0_EENS7_IlS9_EENS7_IKS8_S9_EES9_S9_S9_b,"axG",@progbits,_ZN2at6native12_GLOBAL__N_112gatherMedianIN3c108BFloat16EmLin1EEEvNS_4cuda6detail10TensorInfoIT_T0_EENS7_IlS9_EENS7_IKS8_S9_EES9_S9_S9_b,comdat
.Lfunc_end143:
	.size	_ZN2at6native12_GLOBAL__N_112gatherMedianIN3c108BFloat16EmLin1EEEvNS_4cuda6detail10TensorInfoIT_T0_EENS7_IlS9_EENS7_IKS8_S9_EES9_S9_S9_b, .Lfunc_end143-_ZN2at6native12_GLOBAL__N_112gatherMedianIN3c108BFloat16EmLin1EEEvNS_4cuda6detail10TensorInfoIT_T0_EENS7_IlS9_EENS7_IKS8_S9_EES9_S9_S9_b
                                        ; -- End function
	.set _ZN2at6native12_GLOBAL__N_112gatherMedianIN3c108BFloat16EmLin1EEEvNS_4cuda6detail10TensorInfoIT_T0_EENS7_IlS9_EENS7_IKS8_S9_EES9_S9_S9_b.num_vgpr, 63
	.set _ZN2at6native12_GLOBAL__N_112gatherMedianIN3c108BFloat16EmLin1EEEvNS_4cuda6detail10TensorInfoIT_T0_EENS7_IlS9_EENS7_IKS8_S9_EES9_S9_S9_b.num_agpr, 0
	.set _ZN2at6native12_GLOBAL__N_112gatherMedianIN3c108BFloat16EmLin1EEEvNS_4cuda6detail10TensorInfoIT_T0_EENS7_IlS9_EENS7_IKS8_S9_EES9_S9_S9_b.numbered_sgpr, 96
	.set _ZN2at6native12_GLOBAL__N_112gatherMedianIN3c108BFloat16EmLin1EEEvNS_4cuda6detail10TensorInfoIT_T0_EENS7_IlS9_EENS7_IKS8_S9_EES9_S9_S9_b.num_named_barrier, 0
	.set _ZN2at6native12_GLOBAL__N_112gatherMedianIN3c108BFloat16EmLin1EEEvNS_4cuda6detail10TensorInfoIT_T0_EENS7_IlS9_EENS7_IKS8_S9_EES9_S9_S9_b.private_seg_size, 0
	.set _ZN2at6native12_GLOBAL__N_112gatherMedianIN3c108BFloat16EmLin1EEEvNS_4cuda6detail10TensorInfoIT_T0_EENS7_IlS9_EENS7_IKS8_S9_EES9_S9_S9_b.uses_vcc, 1
	.set _ZN2at6native12_GLOBAL__N_112gatherMedianIN3c108BFloat16EmLin1EEEvNS_4cuda6detail10TensorInfoIT_T0_EENS7_IlS9_EENS7_IKS8_S9_EES9_S9_S9_b.uses_flat_scratch, 0
	.set _ZN2at6native12_GLOBAL__N_112gatherMedianIN3c108BFloat16EmLin1EEEvNS_4cuda6detail10TensorInfoIT_T0_EENS7_IlS9_EENS7_IKS8_S9_EES9_S9_S9_b.has_dyn_sized_stack, 0
	.set _ZN2at6native12_GLOBAL__N_112gatherMedianIN3c108BFloat16EmLin1EEEvNS_4cuda6detail10TensorInfoIT_T0_EENS7_IlS9_EENS7_IKS8_S9_EES9_S9_S9_b.has_recursion, 0
	.set _ZN2at6native12_GLOBAL__N_112gatherMedianIN3c108BFloat16EmLin1EEEvNS_4cuda6detail10TensorInfoIT_T0_EENS7_IlS9_EENS7_IKS8_S9_EES9_S9_S9_b.has_indirect_call, 0
	.section	.AMDGPU.csdata,"",@progbits
; Kernel info:
; codeLenInByte = 18444
; TotalNumSgprs: 100
; NumVgprs: 63
; ScratchSize: 0
; MemoryBound: 0
; FloatMode: 240
; IeeeMode: 1
; LDSByteSize: 5152 bytes/workgroup (compile time only)
; SGPRBlocks: 12
; VGPRBlocks: 15
; NumSGPRsForWavesPerEU: 100
; NumVGPRsForWavesPerEU: 63
; Occupancy: 4
; WaveLimiterHint : 1
; COMPUTE_PGM_RSRC2:SCRATCH_EN: 0
; COMPUTE_PGM_RSRC2:USER_SGPR: 6
; COMPUTE_PGM_RSRC2:TRAP_HANDLER: 0
; COMPUTE_PGM_RSRC2:TGID_X_EN: 1
; COMPUTE_PGM_RSRC2:TGID_Y_EN: 1
; COMPUTE_PGM_RSRC2:TGID_Z_EN: 1
; COMPUTE_PGM_RSRC2:TIDIG_COMP_CNT: 0
	.section	.AMDGPU.gpr_maximums,"",@progbits
	.set amdgpu.max_num_vgpr, 0
	.set amdgpu.max_num_agpr, 0
	.set amdgpu.max_num_sgpr, 0
	.section	.AMDGPU.csdata,"",@progbits
	.type	__hip_cuid_ee4190c3eb2dc9f3,@object ; @__hip_cuid_ee4190c3eb2dc9f3
	.section	.bss,"aw",@nobits
	.globl	__hip_cuid_ee4190c3eb2dc9f3
__hip_cuid_ee4190c3eb2dc9f3:
	.byte	0                               ; 0x0
	.size	__hip_cuid_ee4190c3eb2dc9f3, 1

	.ident	"AMD clang version 22.0.0git (https://github.com/RadeonOpenCompute/llvm-project roc-7.2.4 26084 f58b06dce1f9c15707c5f808fd002e18c2accf7e)"
	.section	".note.GNU-stack","",@progbits
	.addrsig
	.addrsig_sym __hip_cuid_ee4190c3eb2dc9f3
	.amdgpu_metadata
---
amdhsa.kernels:
  - .args:
      - .offset:         0
        .size:           216
        .value_kind:     by_value
      - .offset:         216
        .size:           4
        .value_kind:     by_value
      - .offset:         220
        .size:           4
        .value_kind:     by_value
      - .offset:         224
        .size:           4
        .value_kind:     by_value
      - .offset:         228
        .size:           4
        .value_kind:     by_value
      - .offset:         232
        .size:           216
        .value_kind:     by_value
      - .offset:         448
        .size:           216
        .value_kind:     by_value
      - .offset:         664
        .size:           4
        .value_kind:     hidden_block_count_x
      - .offset:         668
        .size:           4
        .value_kind:     hidden_block_count_y
      - .offset:         672
        .size:           4
        .value_kind:     hidden_block_count_z
      - .offset:         676
        .size:           2
        .value_kind:     hidden_group_size_x
      - .offset:         678
        .size:           2
        .value_kind:     hidden_group_size_y
      - .offset:         680
        .size:           2
        .value_kind:     hidden_group_size_z
      - .offset:         682
        .size:           2
        .value_kind:     hidden_remainder_x
      - .offset:         684
        .size:           2
        .value_kind:     hidden_remainder_y
      - .offset:         686
        .size:           2
        .value_kind:     hidden_remainder_z
      - .offset:         704
        .size:           8
        .value_kind:     hidden_global_offset_x
      - .offset:         712
        .size:           8
        .value_kind:     hidden_global_offset_y
      - .offset:         720
        .size:           8
        .value_kind:     hidden_global_offset_z
      - .offset:         728
        .size:           2
        .value_kind:     hidden_grid_dims
    .group_segment_fixed_size: 4112
    .kernarg_segment_align: 8
    .kernarg_segment_size: 920
    .language:       OpenCL C
    .language_version:
      - 2
      - 0
    .max_flat_workgroup_size: 1024
    .name:           _ZN2at6native12_GLOBAL__N_114gatherKthValueIhiLi1EEEvNS_4cuda6detail10TensorInfoIKT_T0_EES8_S8_S8_S8_NS5_IS6_S8_EENS5_IlS8_EE
    .private_segment_fixed_size: 0
    .sgpr_count:     100
    .sgpr_spill_count: 22
    .symbol:         _ZN2at6native12_GLOBAL__N_114gatherKthValueIhiLi1EEEvNS_4cuda6detail10TensorInfoIKT_T0_EES8_S8_S8_S8_NS5_IS6_S8_EENS5_IlS8_EE.kd
    .uniform_work_group_size: 1
    .uses_dynamic_stack: false
    .vgpr_count:     44
    .vgpr_spill_count: 0
    .wavefront_size: 64
  - .args:
      - .offset:         0
        .size:           216
        .value_kind:     by_value
      - .offset:         216
        .size:           4
        .value_kind:     by_value
      - .offset:         220
        .size:           4
        .value_kind:     by_value
      - .offset:         224
        .size:           4
        .value_kind:     by_value
      - .offset:         228
        .size:           4
        .value_kind:     by_value
      - .offset:         232
        .size:           216
        .value_kind:     by_value
      - .offset:         448
        .size:           216
        .value_kind:     by_value
      - .offset:         664
        .size:           4
        .value_kind:     hidden_block_count_x
      - .offset:         668
        .size:           4
        .value_kind:     hidden_block_count_y
      - .offset:         672
        .size:           4
        .value_kind:     hidden_block_count_z
      - .offset:         676
        .size:           2
        .value_kind:     hidden_group_size_x
      - .offset:         678
        .size:           2
        .value_kind:     hidden_group_size_y
      - .offset:         680
        .size:           2
        .value_kind:     hidden_group_size_z
      - .offset:         682
        .size:           2
        .value_kind:     hidden_remainder_x
      - .offset:         684
        .size:           2
        .value_kind:     hidden_remainder_y
      - .offset:         686
        .size:           2
        .value_kind:     hidden_remainder_z
      - .offset:         704
        .size:           8
        .value_kind:     hidden_global_offset_x
      - .offset:         712
        .size:           8
        .value_kind:     hidden_global_offset_y
      - .offset:         720
        .size:           8
        .value_kind:     hidden_global_offset_z
      - .offset:         728
        .size:           2
        .value_kind:     hidden_grid_dims
    .group_segment_fixed_size: 4112
    .kernarg_segment_align: 8
    .kernarg_segment_size: 920
    .language:       OpenCL C
    .language_version:
      - 2
      - 0
    .max_flat_workgroup_size: 1024
    .name:           _ZN2at6native12_GLOBAL__N_114gatherKthValueIhiLi2EEEvNS_4cuda6detail10TensorInfoIKT_T0_EES8_S8_S8_S8_NS5_IS6_S8_EENS5_IlS8_EE
    .private_segment_fixed_size: 0
    .sgpr_count:     100
    .sgpr_spill_count: 34
    .symbol:         _ZN2at6native12_GLOBAL__N_114gatherKthValueIhiLi2EEEvNS_4cuda6detail10TensorInfoIKT_T0_EES8_S8_S8_S8_NS5_IS6_S8_EENS5_IlS8_EE.kd
    .uniform_work_group_size: 1
    .uses_dynamic_stack: false
    .vgpr_count:     44
    .vgpr_spill_count: 0
    .wavefront_size: 64
  - .args:
      - .offset:         0
        .size:           216
        .value_kind:     by_value
      - .offset:         216
        .size:           4
        .value_kind:     by_value
      - .offset:         220
        .size:           4
        .value_kind:     by_value
      - .offset:         224
        .size:           4
        .value_kind:     by_value
      - .offset:         228
        .size:           4
        .value_kind:     by_value
      - .offset:         232
        .size:           216
        .value_kind:     by_value
      - .offset:         448
        .size:           216
        .value_kind:     by_value
      - .offset:         664
        .size:           4
        .value_kind:     hidden_block_count_x
      - .offset:         668
        .size:           4
        .value_kind:     hidden_block_count_y
      - .offset:         672
        .size:           4
        .value_kind:     hidden_block_count_z
      - .offset:         676
        .size:           2
        .value_kind:     hidden_group_size_x
      - .offset:         678
        .size:           2
        .value_kind:     hidden_group_size_y
      - .offset:         680
        .size:           2
        .value_kind:     hidden_group_size_z
      - .offset:         682
        .size:           2
        .value_kind:     hidden_remainder_x
      - .offset:         684
        .size:           2
        .value_kind:     hidden_remainder_y
      - .offset:         686
        .size:           2
        .value_kind:     hidden_remainder_z
      - .offset:         704
        .size:           8
        .value_kind:     hidden_global_offset_x
      - .offset:         712
        .size:           8
        .value_kind:     hidden_global_offset_y
      - .offset:         720
        .size:           8
        .value_kind:     hidden_global_offset_z
      - .offset:         728
        .size:           2
        .value_kind:     hidden_grid_dims
    .group_segment_fixed_size: 4112
    .kernarg_segment_align: 8
    .kernarg_segment_size: 920
    .language:       OpenCL C
    .language_version:
      - 2
      - 0
    .max_flat_workgroup_size: 1024
    .name:           _ZN2at6native12_GLOBAL__N_114gatherKthValueIhiLi3EEEvNS_4cuda6detail10TensorInfoIKT_T0_EES8_S8_S8_S8_NS5_IS6_S8_EENS5_IlS8_EE
    .private_segment_fixed_size: 0
    .sgpr_count:     100
    .sgpr_spill_count: 44
    .symbol:         _ZN2at6native12_GLOBAL__N_114gatherKthValueIhiLi3EEEvNS_4cuda6detail10TensorInfoIKT_T0_EES8_S8_S8_S8_NS5_IS6_S8_EENS5_IlS8_EE.kd
    .uniform_work_group_size: 1
    .uses_dynamic_stack: false
    .vgpr_count:     44
    .vgpr_spill_count: 0
    .wavefront_size: 64
  - .args:
      - .offset:         0
        .size:           216
        .value_kind:     by_value
      - .offset:         216
        .size:           4
        .value_kind:     by_value
      - .offset:         220
        .size:           4
        .value_kind:     by_value
      - .offset:         224
        .size:           4
        .value_kind:     by_value
      - .offset:         228
        .size:           4
        .value_kind:     by_value
      - .offset:         232
        .size:           216
        .value_kind:     by_value
      - .offset:         448
        .size:           216
        .value_kind:     by_value
      - .offset:         664
        .size:           4
        .value_kind:     hidden_block_count_x
      - .offset:         668
        .size:           4
        .value_kind:     hidden_block_count_y
      - .offset:         672
        .size:           4
        .value_kind:     hidden_block_count_z
      - .offset:         676
        .size:           2
        .value_kind:     hidden_group_size_x
      - .offset:         678
        .size:           2
        .value_kind:     hidden_group_size_y
      - .offset:         680
        .size:           2
        .value_kind:     hidden_group_size_z
      - .offset:         682
        .size:           2
        .value_kind:     hidden_remainder_x
      - .offset:         684
        .size:           2
        .value_kind:     hidden_remainder_y
      - .offset:         686
        .size:           2
        .value_kind:     hidden_remainder_z
      - .offset:         704
        .size:           8
        .value_kind:     hidden_global_offset_x
      - .offset:         712
        .size:           8
        .value_kind:     hidden_global_offset_y
      - .offset:         720
        .size:           8
        .value_kind:     hidden_global_offset_z
      - .offset:         728
        .size:           2
        .value_kind:     hidden_grid_dims
    .group_segment_fixed_size: 4112
    .kernarg_segment_align: 8
    .kernarg_segment_size: 920
    .language:       OpenCL C
    .language_version:
      - 2
      - 0
    .max_flat_workgroup_size: 1024
    .name:           _ZN2at6native12_GLOBAL__N_114gatherKthValueIhiLin1EEEvNS_4cuda6detail10TensorInfoIKT_T0_EES8_S8_S8_S8_NS5_IS6_S8_EENS5_IlS8_EE
    .private_segment_fixed_size: 0
    .sgpr_count:     100
    .sgpr_spill_count: 25
    .symbol:         _ZN2at6native12_GLOBAL__N_114gatherKthValueIhiLin1EEEvNS_4cuda6detail10TensorInfoIKT_T0_EES8_S8_S8_S8_NS5_IS6_S8_EENS5_IlS8_EE.kd
    .uniform_work_group_size: 1
    .uses_dynamic_stack: false
    .vgpr_count:     44
    .vgpr_spill_count: 0
    .wavefront_size: 64
  - .args:
      - .offset:         0
        .size:           416
        .value_kind:     by_value
      - .offset:         416
        .size:           8
        .value_kind:     by_value
      - .offset:         424
        .size:           8
        .value_kind:     by_value
      - .offset:         432
        .size:           8
        .value_kind:     by_value
      - .offset:         440
        .size:           8
        .value_kind:     by_value
      - .offset:         448
        .size:           416
        .value_kind:     by_value
      - .offset:         864
        .size:           416
        .value_kind:     by_value
      - .offset:         1280
        .size:           4
        .value_kind:     hidden_block_count_x
      - .offset:         1284
        .size:           4
        .value_kind:     hidden_block_count_y
      - .offset:         1288
        .size:           4
        .value_kind:     hidden_block_count_z
      - .offset:         1292
        .size:           2
        .value_kind:     hidden_group_size_x
      - .offset:         1294
        .size:           2
        .value_kind:     hidden_group_size_y
      - .offset:         1296
        .size:           2
        .value_kind:     hidden_group_size_z
      - .offset:         1298
        .size:           2
        .value_kind:     hidden_remainder_x
      - .offset:         1300
        .size:           2
        .value_kind:     hidden_remainder_y
      - .offset:         1302
        .size:           2
        .value_kind:     hidden_remainder_z
      - .offset:         1320
        .size:           8
        .value_kind:     hidden_global_offset_x
      - .offset:         1328
        .size:           8
        .value_kind:     hidden_global_offset_y
      - .offset:         1336
        .size:           8
        .value_kind:     hidden_global_offset_z
      - .offset:         1344
        .size:           2
        .value_kind:     hidden_grid_dims
    .group_segment_fixed_size: 5144
    .kernarg_segment_align: 8
    .kernarg_segment_size: 1536
    .language:       OpenCL C
    .language_version:
      - 2
      - 0
    .max_flat_workgroup_size: 1024
    .name:           _ZN2at6native12_GLOBAL__N_114gatherKthValueIhlLi1EEEvNS_4cuda6detail10TensorInfoIKT_T0_EES8_S8_S8_S8_NS5_IS6_S8_EENS5_IlS8_EE
    .private_segment_fixed_size: 0
    .sgpr_count:     100
    .sgpr_spill_count: 33
    .symbol:         _ZN2at6native12_GLOBAL__N_114gatherKthValueIhlLi1EEEvNS_4cuda6detail10TensorInfoIKT_T0_EES8_S8_S8_S8_NS5_IS6_S8_EENS5_IlS8_EE.kd
    .uniform_work_group_size: 1
    .uses_dynamic_stack: false
    .vgpr_count:     63
    .vgpr_spill_count: 0
    .wavefront_size: 64
  - .args:
      - .offset:         0
        .size:           416
        .value_kind:     by_value
      - .offset:         416
        .size:           8
        .value_kind:     by_value
      - .offset:         424
        .size:           8
        .value_kind:     by_value
      - .offset:         432
        .size:           8
        .value_kind:     by_value
      - .offset:         440
        .size:           8
        .value_kind:     by_value
      - .offset:         448
        .size:           416
        .value_kind:     by_value
      - .offset:         864
        .size:           416
        .value_kind:     by_value
      - .offset:         1280
        .size:           4
        .value_kind:     hidden_block_count_x
      - .offset:         1284
        .size:           4
        .value_kind:     hidden_block_count_y
      - .offset:         1288
        .size:           4
        .value_kind:     hidden_block_count_z
      - .offset:         1292
        .size:           2
        .value_kind:     hidden_group_size_x
      - .offset:         1294
        .size:           2
        .value_kind:     hidden_group_size_y
      - .offset:         1296
        .size:           2
        .value_kind:     hidden_group_size_z
      - .offset:         1298
        .size:           2
        .value_kind:     hidden_remainder_x
      - .offset:         1300
        .size:           2
        .value_kind:     hidden_remainder_y
      - .offset:         1302
        .size:           2
        .value_kind:     hidden_remainder_z
      - .offset:         1320
        .size:           8
        .value_kind:     hidden_global_offset_x
      - .offset:         1328
        .size:           8
        .value_kind:     hidden_global_offset_y
      - .offset:         1336
        .size:           8
        .value_kind:     hidden_global_offset_z
      - .offset:         1344
        .size:           2
        .value_kind:     hidden_grid_dims
    .group_segment_fixed_size: 5144
    .kernarg_segment_align: 8
    .kernarg_segment_size: 1536
    .language:       OpenCL C
    .language_version:
      - 2
      - 0
    .max_flat_workgroup_size: 1024
    .name:           _ZN2at6native12_GLOBAL__N_114gatherKthValueIhlLi2EEEvNS_4cuda6detail10TensorInfoIKT_T0_EES8_S8_S8_S8_NS5_IS6_S8_EENS5_IlS8_EE
    .private_segment_fixed_size: 0
    .sgpr_count:     100
    .sgpr_spill_count: 53
    .symbol:         _ZN2at6native12_GLOBAL__N_114gatherKthValueIhlLi2EEEvNS_4cuda6detail10TensorInfoIKT_T0_EES8_S8_S8_S8_NS5_IS6_S8_EENS5_IlS8_EE.kd
    .uniform_work_group_size: 1
    .uses_dynamic_stack: false
    .vgpr_count:     58
    .vgpr_spill_count: 0
    .wavefront_size: 64
  - .args:
      - .offset:         0
        .size:           416
        .value_kind:     by_value
      - .offset:         416
        .size:           8
        .value_kind:     by_value
      - .offset:         424
        .size:           8
        .value_kind:     by_value
      - .offset:         432
        .size:           8
        .value_kind:     by_value
      - .offset:         440
        .size:           8
        .value_kind:     by_value
      - .offset:         448
        .size:           416
        .value_kind:     by_value
      - .offset:         864
        .size:           416
        .value_kind:     by_value
      - .offset:         1280
        .size:           4
        .value_kind:     hidden_block_count_x
      - .offset:         1284
        .size:           4
        .value_kind:     hidden_block_count_y
      - .offset:         1288
        .size:           4
        .value_kind:     hidden_block_count_z
      - .offset:         1292
        .size:           2
        .value_kind:     hidden_group_size_x
      - .offset:         1294
        .size:           2
        .value_kind:     hidden_group_size_y
      - .offset:         1296
        .size:           2
        .value_kind:     hidden_group_size_z
      - .offset:         1298
        .size:           2
        .value_kind:     hidden_remainder_x
      - .offset:         1300
        .size:           2
        .value_kind:     hidden_remainder_y
      - .offset:         1302
        .size:           2
        .value_kind:     hidden_remainder_z
      - .offset:         1320
        .size:           8
        .value_kind:     hidden_global_offset_x
      - .offset:         1328
        .size:           8
        .value_kind:     hidden_global_offset_y
      - .offset:         1336
        .size:           8
        .value_kind:     hidden_global_offset_z
      - .offset:         1344
        .size:           2
        .value_kind:     hidden_grid_dims
    .group_segment_fixed_size: 5144
    .kernarg_segment_align: 8
    .kernarg_segment_size: 1536
    .language:       OpenCL C
    .language_version:
      - 2
      - 0
    .max_flat_workgroup_size: 1024
    .name:           _ZN2at6native12_GLOBAL__N_114gatherKthValueIhlLi3EEEvNS_4cuda6detail10TensorInfoIKT_T0_EES8_S8_S8_S8_NS5_IS6_S8_EENS5_IlS8_EE
    .private_segment_fixed_size: 0
    .sgpr_count:     100
    .sgpr_spill_count: 63
    .symbol:         _ZN2at6native12_GLOBAL__N_114gatherKthValueIhlLi3EEEvNS_4cuda6detail10TensorInfoIKT_T0_EES8_S8_S8_S8_NS5_IS6_S8_EENS5_IlS8_EE.kd
    .uniform_work_group_size: 1
    .uses_dynamic_stack: false
    .vgpr_count:     58
    .vgpr_spill_count: 0
    .wavefront_size: 64
  - .args:
      - .offset:         0
        .size:           416
        .value_kind:     by_value
      - .offset:         416
        .size:           8
        .value_kind:     by_value
      - .offset:         424
        .size:           8
        .value_kind:     by_value
      - .offset:         432
        .size:           8
        .value_kind:     by_value
      - .offset:         440
        .size:           8
        .value_kind:     by_value
      - .offset:         448
        .size:           416
        .value_kind:     by_value
      - .offset:         864
        .size:           416
        .value_kind:     by_value
      - .offset:         1280
        .size:           4
        .value_kind:     hidden_block_count_x
      - .offset:         1284
        .size:           4
        .value_kind:     hidden_block_count_y
      - .offset:         1288
        .size:           4
        .value_kind:     hidden_block_count_z
      - .offset:         1292
        .size:           2
        .value_kind:     hidden_group_size_x
      - .offset:         1294
        .size:           2
        .value_kind:     hidden_group_size_y
      - .offset:         1296
        .size:           2
        .value_kind:     hidden_group_size_z
      - .offset:         1298
        .size:           2
        .value_kind:     hidden_remainder_x
      - .offset:         1300
        .size:           2
        .value_kind:     hidden_remainder_y
      - .offset:         1302
        .size:           2
        .value_kind:     hidden_remainder_z
      - .offset:         1320
        .size:           8
        .value_kind:     hidden_global_offset_x
      - .offset:         1328
        .size:           8
        .value_kind:     hidden_global_offset_y
      - .offset:         1336
        .size:           8
        .value_kind:     hidden_global_offset_z
      - .offset:         1344
        .size:           2
        .value_kind:     hidden_grid_dims
    .group_segment_fixed_size: 5144
    .kernarg_segment_align: 8
    .kernarg_segment_size: 1536
    .language:       OpenCL C
    .language_version:
      - 2
      - 0
    .max_flat_workgroup_size: 1024
    .name:           _ZN2at6native12_GLOBAL__N_114gatherKthValueIhlLin1EEEvNS_4cuda6detail10TensorInfoIKT_T0_EES8_S8_S8_S8_NS5_IS6_S8_EENS5_IlS8_EE
    .private_segment_fixed_size: 0
    .sgpr_count:     100
    .sgpr_spill_count: 42
    .symbol:         _ZN2at6native12_GLOBAL__N_114gatherKthValueIhlLin1EEEvNS_4cuda6detail10TensorInfoIKT_T0_EES8_S8_S8_S8_NS5_IS6_S8_EENS5_IlS8_EE.kd
    .uniform_work_group_size: 1
    .uses_dynamic_stack: false
    .vgpr_count:     58
    .vgpr_spill_count: 0
    .wavefront_size: 64
  - .args:
      - .offset:         0
        .size:           216
        .value_kind:     by_value
      - .offset:         216
        .size:           4
        .value_kind:     by_value
      - .offset:         220
        .size:           4
        .value_kind:     by_value
      - .offset:         224
        .size:           4
        .value_kind:     by_value
      - .offset:         228
        .size:           4
        .value_kind:     by_value
      - .offset:         232
        .size:           216
        .value_kind:     by_value
      - .offset:         448
        .size:           216
        .value_kind:     by_value
      - .offset:         664
        .size:           4
        .value_kind:     hidden_block_count_x
      - .offset:         668
        .size:           4
        .value_kind:     hidden_block_count_y
      - .offset:         672
        .size:           4
        .value_kind:     hidden_block_count_z
      - .offset:         676
        .size:           2
        .value_kind:     hidden_group_size_x
      - .offset:         678
        .size:           2
        .value_kind:     hidden_group_size_y
      - .offset:         680
        .size:           2
        .value_kind:     hidden_group_size_z
      - .offset:         682
        .size:           2
        .value_kind:     hidden_remainder_x
      - .offset:         684
        .size:           2
        .value_kind:     hidden_remainder_y
      - .offset:         686
        .size:           2
        .value_kind:     hidden_remainder_z
      - .offset:         704
        .size:           8
        .value_kind:     hidden_global_offset_x
      - .offset:         712
        .size:           8
        .value_kind:     hidden_global_offset_y
      - .offset:         720
        .size:           8
        .value_kind:     hidden_global_offset_z
      - .offset:         728
        .size:           2
        .value_kind:     hidden_grid_dims
    .group_segment_fixed_size: 4112
    .kernarg_segment_align: 8
    .kernarg_segment_size: 920
    .language:       OpenCL C
    .language_version:
      - 2
      - 0
    .max_flat_workgroup_size: 1024
    .name:           _ZN2at6native12_GLOBAL__N_114gatherKthValueIaiLi1EEEvNS_4cuda6detail10TensorInfoIKT_T0_EES8_S8_S8_S8_NS5_IS6_S8_EENS5_IlS8_EE
    .private_segment_fixed_size: 0
    .sgpr_count:     100
    .sgpr_spill_count: 24
    .symbol:         _ZN2at6native12_GLOBAL__N_114gatherKthValueIaiLi1EEEvNS_4cuda6detail10TensorInfoIKT_T0_EES8_S8_S8_S8_NS5_IS6_S8_EENS5_IlS8_EE.kd
    .uniform_work_group_size: 1
    .uses_dynamic_stack: false
    .vgpr_count:     44
    .vgpr_spill_count: 0
    .wavefront_size: 64
  - .args:
      - .offset:         0
        .size:           216
        .value_kind:     by_value
      - .offset:         216
        .size:           4
        .value_kind:     by_value
      - .offset:         220
        .size:           4
        .value_kind:     by_value
      - .offset:         224
        .size:           4
        .value_kind:     by_value
      - .offset:         228
        .size:           4
        .value_kind:     by_value
      - .offset:         232
        .size:           216
        .value_kind:     by_value
      - .offset:         448
        .size:           216
        .value_kind:     by_value
      - .offset:         664
        .size:           4
        .value_kind:     hidden_block_count_x
      - .offset:         668
        .size:           4
        .value_kind:     hidden_block_count_y
      - .offset:         672
        .size:           4
        .value_kind:     hidden_block_count_z
      - .offset:         676
        .size:           2
        .value_kind:     hidden_group_size_x
      - .offset:         678
        .size:           2
        .value_kind:     hidden_group_size_y
      - .offset:         680
        .size:           2
        .value_kind:     hidden_group_size_z
      - .offset:         682
        .size:           2
        .value_kind:     hidden_remainder_x
      - .offset:         684
        .size:           2
        .value_kind:     hidden_remainder_y
      - .offset:         686
        .size:           2
        .value_kind:     hidden_remainder_z
      - .offset:         704
        .size:           8
        .value_kind:     hidden_global_offset_x
      - .offset:         712
        .size:           8
        .value_kind:     hidden_global_offset_y
      - .offset:         720
        .size:           8
        .value_kind:     hidden_global_offset_z
      - .offset:         728
        .size:           2
        .value_kind:     hidden_grid_dims
    .group_segment_fixed_size: 4112
    .kernarg_segment_align: 8
    .kernarg_segment_size: 920
    .language:       OpenCL C
    .language_version:
      - 2
      - 0
    .max_flat_workgroup_size: 1024
    .name:           _ZN2at6native12_GLOBAL__N_114gatherKthValueIaiLi2EEEvNS_4cuda6detail10TensorInfoIKT_T0_EES8_S8_S8_S8_NS5_IS6_S8_EENS5_IlS8_EE
    .private_segment_fixed_size: 0
    .sgpr_count:     100
    .sgpr_spill_count: 36
    .symbol:         _ZN2at6native12_GLOBAL__N_114gatherKthValueIaiLi2EEEvNS_4cuda6detail10TensorInfoIKT_T0_EES8_S8_S8_S8_NS5_IS6_S8_EENS5_IlS8_EE.kd
    .uniform_work_group_size: 1
    .uses_dynamic_stack: false
    .vgpr_count:     44
    .vgpr_spill_count: 0
    .wavefront_size: 64
  - .args:
      - .offset:         0
        .size:           216
        .value_kind:     by_value
      - .offset:         216
        .size:           4
        .value_kind:     by_value
      - .offset:         220
        .size:           4
        .value_kind:     by_value
      - .offset:         224
        .size:           4
        .value_kind:     by_value
      - .offset:         228
        .size:           4
        .value_kind:     by_value
      - .offset:         232
        .size:           216
        .value_kind:     by_value
      - .offset:         448
        .size:           216
        .value_kind:     by_value
      - .offset:         664
        .size:           4
        .value_kind:     hidden_block_count_x
      - .offset:         668
        .size:           4
        .value_kind:     hidden_block_count_y
      - .offset:         672
        .size:           4
        .value_kind:     hidden_block_count_z
      - .offset:         676
        .size:           2
        .value_kind:     hidden_group_size_x
      - .offset:         678
        .size:           2
        .value_kind:     hidden_group_size_y
      - .offset:         680
        .size:           2
        .value_kind:     hidden_group_size_z
      - .offset:         682
        .size:           2
        .value_kind:     hidden_remainder_x
      - .offset:         684
        .size:           2
        .value_kind:     hidden_remainder_y
      - .offset:         686
        .size:           2
        .value_kind:     hidden_remainder_z
      - .offset:         704
        .size:           8
        .value_kind:     hidden_global_offset_x
      - .offset:         712
        .size:           8
        .value_kind:     hidden_global_offset_y
      - .offset:         720
        .size:           8
        .value_kind:     hidden_global_offset_z
      - .offset:         728
        .size:           2
        .value_kind:     hidden_grid_dims
    .group_segment_fixed_size: 4112
    .kernarg_segment_align: 8
    .kernarg_segment_size: 920
    .language:       OpenCL C
    .language_version:
      - 2
      - 0
    .max_flat_workgroup_size: 1024
    .name:           _ZN2at6native12_GLOBAL__N_114gatherKthValueIaiLi3EEEvNS_4cuda6detail10TensorInfoIKT_T0_EES8_S8_S8_S8_NS5_IS6_S8_EENS5_IlS8_EE
    .private_segment_fixed_size: 0
    .sgpr_count:     100
    .sgpr_spill_count: 46
    .symbol:         _ZN2at6native12_GLOBAL__N_114gatherKthValueIaiLi3EEEvNS_4cuda6detail10TensorInfoIKT_T0_EES8_S8_S8_S8_NS5_IS6_S8_EENS5_IlS8_EE.kd
    .uniform_work_group_size: 1
    .uses_dynamic_stack: false
    .vgpr_count:     44
    .vgpr_spill_count: 0
    .wavefront_size: 64
  - .args:
      - .offset:         0
        .size:           216
        .value_kind:     by_value
      - .offset:         216
        .size:           4
        .value_kind:     by_value
      - .offset:         220
        .size:           4
        .value_kind:     by_value
      - .offset:         224
        .size:           4
        .value_kind:     by_value
      - .offset:         228
        .size:           4
        .value_kind:     by_value
      - .offset:         232
        .size:           216
        .value_kind:     by_value
      - .offset:         448
        .size:           216
        .value_kind:     by_value
      - .offset:         664
        .size:           4
        .value_kind:     hidden_block_count_x
      - .offset:         668
        .size:           4
        .value_kind:     hidden_block_count_y
      - .offset:         672
        .size:           4
        .value_kind:     hidden_block_count_z
      - .offset:         676
        .size:           2
        .value_kind:     hidden_group_size_x
      - .offset:         678
        .size:           2
        .value_kind:     hidden_group_size_y
      - .offset:         680
        .size:           2
        .value_kind:     hidden_group_size_z
      - .offset:         682
        .size:           2
        .value_kind:     hidden_remainder_x
      - .offset:         684
        .size:           2
        .value_kind:     hidden_remainder_y
      - .offset:         686
        .size:           2
        .value_kind:     hidden_remainder_z
      - .offset:         704
        .size:           8
        .value_kind:     hidden_global_offset_x
      - .offset:         712
        .size:           8
        .value_kind:     hidden_global_offset_y
      - .offset:         720
        .size:           8
        .value_kind:     hidden_global_offset_z
      - .offset:         728
        .size:           2
        .value_kind:     hidden_grid_dims
    .group_segment_fixed_size: 4112
    .kernarg_segment_align: 8
    .kernarg_segment_size: 920
    .language:       OpenCL C
    .language_version:
      - 2
      - 0
    .max_flat_workgroup_size: 1024
    .name:           _ZN2at6native12_GLOBAL__N_114gatherKthValueIaiLin1EEEvNS_4cuda6detail10TensorInfoIKT_T0_EES8_S8_S8_S8_NS5_IS6_S8_EENS5_IlS8_EE
    .private_segment_fixed_size: 0
    .sgpr_count:     100
    .sgpr_spill_count: 26
    .symbol:         _ZN2at6native12_GLOBAL__N_114gatherKthValueIaiLin1EEEvNS_4cuda6detail10TensorInfoIKT_T0_EES8_S8_S8_S8_NS5_IS6_S8_EENS5_IlS8_EE.kd
    .uniform_work_group_size: 1
    .uses_dynamic_stack: false
    .vgpr_count:     44
    .vgpr_spill_count: 0
    .wavefront_size: 64
  - .args:
      - .offset:         0
        .size:           416
        .value_kind:     by_value
      - .offset:         416
        .size:           8
        .value_kind:     by_value
      - .offset:         424
        .size:           8
        .value_kind:     by_value
      - .offset:         432
        .size:           8
        .value_kind:     by_value
      - .offset:         440
        .size:           8
        .value_kind:     by_value
      - .offset:         448
        .size:           416
        .value_kind:     by_value
      - .offset:         864
        .size:           416
        .value_kind:     by_value
      - .offset:         1280
        .size:           4
        .value_kind:     hidden_block_count_x
      - .offset:         1284
        .size:           4
        .value_kind:     hidden_block_count_y
      - .offset:         1288
        .size:           4
        .value_kind:     hidden_block_count_z
      - .offset:         1292
        .size:           2
        .value_kind:     hidden_group_size_x
      - .offset:         1294
        .size:           2
        .value_kind:     hidden_group_size_y
      - .offset:         1296
        .size:           2
        .value_kind:     hidden_group_size_z
      - .offset:         1298
        .size:           2
        .value_kind:     hidden_remainder_x
      - .offset:         1300
        .size:           2
        .value_kind:     hidden_remainder_y
      - .offset:         1302
        .size:           2
        .value_kind:     hidden_remainder_z
      - .offset:         1320
        .size:           8
        .value_kind:     hidden_global_offset_x
      - .offset:         1328
        .size:           8
        .value_kind:     hidden_global_offset_y
      - .offset:         1336
        .size:           8
        .value_kind:     hidden_global_offset_z
      - .offset:         1344
        .size:           2
        .value_kind:     hidden_grid_dims
    .group_segment_fixed_size: 5144
    .kernarg_segment_align: 8
    .kernarg_segment_size: 1536
    .language:       OpenCL C
    .language_version:
      - 2
      - 0
    .max_flat_workgroup_size: 1024
    .name:           _ZN2at6native12_GLOBAL__N_114gatherKthValueIalLi1EEEvNS_4cuda6detail10TensorInfoIKT_T0_EES8_S8_S8_S8_NS5_IS6_S8_EENS5_IlS8_EE
    .private_segment_fixed_size: 0
    .sgpr_count:     100
    .sgpr_spill_count: 34
    .symbol:         _ZN2at6native12_GLOBAL__N_114gatherKthValueIalLi1EEEvNS_4cuda6detail10TensorInfoIKT_T0_EES8_S8_S8_S8_NS5_IS6_S8_EENS5_IlS8_EE.kd
    .uniform_work_group_size: 1
    .uses_dynamic_stack: false
    .vgpr_count:     63
    .vgpr_spill_count: 0
    .wavefront_size: 64
  - .args:
      - .offset:         0
        .size:           416
        .value_kind:     by_value
      - .offset:         416
        .size:           8
        .value_kind:     by_value
      - .offset:         424
        .size:           8
        .value_kind:     by_value
      - .offset:         432
        .size:           8
        .value_kind:     by_value
      - .offset:         440
        .size:           8
        .value_kind:     by_value
      - .offset:         448
        .size:           416
        .value_kind:     by_value
      - .offset:         864
        .size:           416
        .value_kind:     by_value
      - .offset:         1280
        .size:           4
        .value_kind:     hidden_block_count_x
      - .offset:         1284
        .size:           4
        .value_kind:     hidden_block_count_y
      - .offset:         1288
        .size:           4
        .value_kind:     hidden_block_count_z
      - .offset:         1292
        .size:           2
        .value_kind:     hidden_group_size_x
      - .offset:         1294
        .size:           2
        .value_kind:     hidden_group_size_y
      - .offset:         1296
        .size:           2
        .value_kind:     hidden_group_size_z
      - .offset:         1298
        .size:           2
        .value_kind:     hidden_remainder_x
      - .offset:         1300
        .size:           2
        .value_kind:     hidden_remainder_y
      - .offset:         1302
        .size:           2
        .value_kind:     hidden_remainder_z
      - .offset:         1320
        .size:           8
        .value_kind:     hidden_global_offset_x
      - .offset:         1328
        .size:           8
        .value_kind:     hidden_global_offset_y
      - .offset:         1336
        .size:           8
        .value_kind:     hidden_global_offset_z
      - .offset:         1344
        .size:           2
        .value_kind:     hidden_grid_dims
    .group_segment_fixed_size: 5144
    .kernarg_segment_align: 8
    .kernarg_segment_size: 1536
    .language:       OpenCL C
    .language_version:
      - 2
      - 0
    .max_flat_workgroup_size: 1024
    .name:           _ZN2at6native12_GLOBAL__N_114gatherKthValueIalLi2EEEvNS_4cuda6detail10TensorInfoIKT_T0_EES8_S8_S8_S8_NS5_IS6_S8_EENS5_IlS8_EE
    .private_segment_fixed_size: 0
    .sgpr_count:     100
    .sgpr_spill_count: 54
    .symbol:         _ZN2at6native12_GLOBAL__N_114gatherKthValueIalLi2EEEvNS_4cuda6detail10TensorInfoIKT_T0_EES8_S8_S8_S8_NS5_IS6_S8_EENS5_IlS8_EE.kd
    .uniform_work_group_size: 1
    .uses_dynamic_stack: false
    .vgpr_count:     58
    .vgpr_spill_count: 0
    .wavefront_size: 64
  - .args:
      - .offset:         0
        .size:           416
        .value_kind:     by_value
      - .offset:         416
        .size:           8
        .value_kind:     by_value
      - .offset:         424
        .size:           8
        .value_kind:     by_value
      - .offset:         432
        .size:           8
        .value_kind:     by_value
      - .offset:         440
        .size:           8
        .value_kind:     by_value
      - .offset:         448
        .size:           416
        .value_kind:     by_value
      - .offset:         864
        .size:           416
        .value_kind:     by_value
      - .offset:         1280
        .size:           4
        .value_kind:     hidden_block_count_x
      - .offset:         1284
        .size:           4
        .value_kind:     hidden_block_count_y
      - .offset:         1288
        .size:           4
        .value_kind:     hidden_block_count_z
      - .offset:         1292
        .size:           2
        .value_kind:     hidden_group_size_x
      - .offset:         1294
        .size:           2
        .value_kind:     hidden_group_size_y
      - .offset:         1296
        .size:           2
        .value_kind:     hidden_group_size_z
      - .offset:         1298
        .size:           2
        .value_kind:     hidden_remainder_x
      - .offset:         1300
        .size:           2
        .value_kind:     hidden_remainder_y
      - .offset:         1302
        .size:           2
        .value_kind:     hidden_remainder_z
      - .offset:         1320
        .size:           8
        .value_kind:     hidden_global_offset_x
      - .offset:         1328
        .size:           8
        .value_kind:     hidden_global_offset_y
      - .offset:         1336
        .size:           8
        .value_kind:     hidden_global_offset_z
      - .offset:         1344
        .size:           2
        .value_kind:     hidden_grid_dims
    .group_segment_fixed_size: 5144
    .kernarg_segment_align: 8
    .kernarg_segment_size: 1536
    .language:       OpenCL C
    .language_version:
      - 2
      - 0
    .max_flat_workgroup_size: 1024
    .name:           _ZN2at6native12_GLOBAL__N_114gatherKthValueIalLi3EEEvNS_4cuda6detail10TensorInfoIKT_T0_EES8_S8_S8_S8_NS5_IS6_S8_EENS5_IlS8_EE
    .private_segment_fixed_size: 0
    .sgpr_count:     100
    .sgpr_spill_count: 64
    .symbol:         _ZN2at6native12_GLOBAL__N_114gatherKthValueIalLi3EEEvNS_4cuda6detail10TensorInfoIKT_T0_EES8_S8_S8_S8_NS5_IS6_S8_EENS5_IlS8_EE.kd
    .uniform_work_group_size: 1
    .uses_dynamic_stack: false
    .vgpr_count:     58
    .vgpr_spill_count: 0
    .wavefront_size: 64
  - .args:
      - .offset:         0
        .size:           416
        .value_kind:     by_value
      - .offset:         416
        .size:           8
        .value_kind:     by_value
      - .offset:         424
        .size:           8
        .value_kind:     by_value
      - .offset:         432
        .size:           8
        .value_kind:     by_value
      - .offset:         440
        .size:           8
        .value_kind:     by_value
      - .offset:         448
        .size:           416
        .value_kind:     by_value
      - .offset:         864
        .size:           416
        .value_kind:     by_value
      - .offset:         1280
        .size:           4
        .value_kind:     hidden_block_count_x
      - .offset:         1284
        .size:           4
        .value_kind:     hidden_block_count_y
      - .offset:         1288
        .size:           4
        .value_kind:     hidden_block_count_z
      - .offset:         1292
        .size:           2
        .value_kind:     hidden_group_size_x
      - .offset:         1294
        .size:           2
        .value_kind:     hidden_group_size_y
      - .offset:         1296
        .size:           2
        .value_kind:     hidden_group_size_z
      - .offset:         1298
        .size:           2
        .value_kind:     hidden_remainder_x
      - .offset:         1300
        .size:           2
        .value_kind:     hidden_remainder_y
      - .offset:         1302
        .size:           2
        .value_kind:     hidden_remainder_z
      - .offset:         1320
        .size:           8
        .value_kind:     hidden_global_offset_x
      - .offset:         1328
        .size:           8
        .value_kind:     hidden_global_offset_y
      - .offset:         1336
        .size:           8
        .value_kind:     hidden_global_offset_z
      - .offset:         1344
        .size:           2
        .value_kind:     hidden_grid_dims
    .group_segment_fixed_size: 5144
    .kernarg_segment_align: 8
    .kernarg_segment_size: 1536
    .language:       OpenCL C
    .language_version:
      - 2
      - 0
    .max_flat_workgroup_size: 1024
    .name:           _ZN2at6native12_GLOBAL__N_114gatherKthValueIalLin1EEEvNS_4cuda6detail10TensorInfoIKT_T0_EES8_S8_S8_S8_NS5_IS6_S8_EENS5_IlS8_EE
    .private_segment_fixed_size: 0
    .sgpr_count:     100
    .sgpr_spill_count: 44
    .symbol:         _ZN2at6native12_GLOBAL__N_114gatherKthValueIalLin1EEEvNS_4cuda6detail10TensorInfoIKT_T0_EES8_S8_S8_S8_NS5_IS6_S8_EENS5_IlS8_EE.kd
    .uniform_work_group_size: 1
    .uses_dynamic_stack: false
    .vgpr_count:     58
    .vgpr_spill_count: 0
    .wavefront_size: 64
  - .args:
      - .offset:         0
        .size:           216
        .value_kind:     by_value
      - .offset:         216
        .size:           4
        .value_kind:     by_value
      - .offset:         220
        .size:           4
        .value_kind:     by_value
      - .offset:         224
        .size:           4
        .value_kind:     by_value
      - .offset:         228
        .size:           4
        .value_kind:     by_value
      - .offset:         232
        .size:           216
        .value_kind:     by_value
      - .offset:         448
        .size:           216
        .value_kind:     by_value
      - .offset:         664
        .size:           4
        .value_kind:     hidden_block_count_x
      - .offset:         668
        .size:           4
        .value_kind:     hidden_block_count_y
      - .offset:         672
        .size:           4
        .value_kind:     hidden_block_count_z
      - .offset:         676
        .size:           2
        .value_kind:     hidden_group_size_x
      - .offset:         678
        .size:           2
        .value_kind:     hidden_group_size_y
      - .offset:         680
        .size:           2
        .value_kind:     hidden_group_size_z
      - .offset:         682
        .size:           2
        .value_kind:     hidden_remainder_x
      - .offset:         684
        .size:           2
        .value_kind:     hidden_remainder_y
      - .offset:         686
        .size:           2
        .value_kind:     hidden_remainder_z
      - .offset:         704
        .size:           8
        .value_kind:     hidden_global_offset_x
      - .offset:         712
        .size:           8
        .value_kind:     hidden_global_offset_y
      - .offset:         720
        .size:           8
        .value_kind:     hidden_global_offset_z
      - .offset:         728
        .size:           2
        .value_kind:     hidden_grid_dims
    .group_segment_fixed_size: 4112
    .kernarg_segment_align: 8
    .kernarg_segment_size: 920
    .language:       OpenCL C
    .language_version:
      - 2
      - 0
    .max_flat_workgroup_size: 1024
    .name:           _ZN2at6native12_GLOBAL__N_114gatherKthValueIiiLi1EEEvNS_4cuda6detail10TensorInfoIKT_T0_EES8_S8_S8_S8_NS5_IS6_S8_EENS5_IlS8_EE
    .private_segment_fixed_size: 0
    .sgpr_count:     100
    .sgpr_spill_count: 22
    .symbol:         _ZN2at6native12_GLOBAL__N_114gatherKthValueIiiLi1EEEvNS_4cuda6detail10TensorInfoIKT_T0_EES8_S8_S8_S8_NS5_IS6_S8_EENS5_IlS8_EE.kd
    .uniform_work_group_size: 1
    .uses_dynamic_stack: false
    .vgpr_count:     49
    .vgpr_spill_count: 0
    .wavefront_size: 64
  - .args:
      - .offset:         0
        .size:           216
        .value_kind:     by_value
      - .offset:         216
        .size:           4
        .value_kind:     by_value
      - .offset:         220
        .size:           4
        .value_kind:     by_value
      - .offset:         224
        .size:           4
        .value_kind:     by_value
      - .offset:         228
        .size:           4
        .value_kind:     by_value
      - .offset:         232
        .size:           216
        .value_kind:     by_value
      - .offset:         448
        .size:           216
        .value_kind:     by_value
      - .offset:         664
        .size:           4
        .value_kind:     hidden_block_count_x
      - .offset:         668
        .size:           4
        .value_kind:     hidden_block_count_y
      - .offset:         672
        .size:           4
        .value_kind:     hidden_block_count_z
      - .offset:         676
        .size:           2
        .value_kind:     hidden_group_size_x
      - .offset:         678
        .size:           2
        .value_kind:     hidden_group_size_y
      - .offset:         680
        .size:           2
        .value_kind:     hidden_group_size_z
      - .offset:         682
        .size:           2
        .value_kind:     hidden_remainder_x
      - .offset:         684
        .size:           2
        .value_kind:     hidden_remainder_y
      - .offset:         686
        .size:           2
        .value_kind:     hidden_remainder_z
      - .offset:         704
        .size:           8
        .value_kind:     hidden_global_offset_x
      - .offset:         712
        .size:           8
        .value_kind:     hidden_global_offset_y
      - .offset:         720
        .size:           8
        .value_kind:     hidden_global_offset_z
      - .offset:         728
        .size:           2
        .value_kind:     hidden_grid_dims
    .group_segment_fixed_size: 4112
    .kernarg_segment_align: 8
    .kernarg_segment_size: 920
    .language:       OpenCL C
    .language_version:
      - 2
      - 0
    .max_flat_workgroup_size: 1024
    .name:           _ZN2at6native12_GLOBAL__N_114gatherKthValueIiiLi2EEEvNS_4cuda6detail10TensorInfoIKT_T0_EES8_S8_S8_S8_NS5_IS6_S8_EENS5_IlS8_EE
    .private_segment_fixed_size: 0
    .sgpr_count:     100
    .sgpr_spill_count: 34
    .symbol:         _ZN2at6native12_GLOBAL__N_114gatherKthValueIiiLi2EEEvNS_4cuda6detail10TensorInfoIKT_T0_EES8_S8_S8_S8_NS5_IS6_S8_EENS5_IlS8_EE.kd
    .uniform_work_group_size: 1
    .uses_dynamic_stack: false
    .vgpr_count:     49
    .vgpr_spill_count: 0
    .wavefront_size: 64
  - .args:
      - .offset:         0
        .size:           216
        .value_kind:     by_value
      - .offset:         216
        .size:           4
        .value_kind:     by_value
      - .offset:         220
        .size:           4
        .value_kind:     by_value
      - .offset:         224
        .size:           4
        .value_kind:     by_value
      - .offset:         228
        .size:           4
        .value_kind:     by_value
      - .offset:         232
        .size:           216
        .value_kind:     by_value
      - .offset:         448
        .size:           216
        .value_kind:     by_value
      - .offset:         664
        .size:           4
        .value_kind:     hidden_block_count_x
      - .offset:         668
        .size:           4
        .value_kind:     hidden_block_count_y
      - .offset:         672
        .size:           4
        .value_kind:     hidden_block_count_z
      - .offset:         676
        .size:           2
        .value_kind:     hidden_group_size_x
      - .offset:         678
        .size:           2
        .value_kind:     hidden_group_size_y
      - .offset:         680
        .size:           2
        .value_kind:     hidden_group_size_z
      - .offset:         682
        .size:           2
        .value_kind:     hidden_remainder_x
      - .offset:         684
        .size:           2
        .value_kind:     hidden_remainder_y
      - .offset:         686
        .size:           2
        .value_kind:     hidden_remainder_z
      - .offset:         704
        .size:           8
        .value_kind:     hidden_global_offset_x
      - .offset:         712
        .size:           8
        .value_kind:     hidden_global_offset_y
      - .offset:         720
        .size:           8
        .value_kind:     hidden_global_offset_z
      - .offset:         728
        .size:           2
        .value_kind:     hidden_grid_dims
    .group_segment_fixed_size: 4112
    .kernarg_segment_align: 8
    .kernarg_segment_size: 920
    .language:       OpenCL C
    .language_version:
      - 2
      - 0
    .max_flat_workgroup_size: 1024
    .name:           _ZN2at6native12_GLOBAL__N_114gatherKthValueIiiLi3EEEvNS_4cuda6detail10TensorInfoIKT_T0_EES8_S8_S8_S8_NS5_IS6_S8_EENS5_IlS8_EE
    .private_segment_fixed_size: 0
    .sgpr_count:     100
    .sgpr_spill_count: 44
    .symbol:         _ZN2at6native12_GLOBAL__N_114gatherKthValueIiiLi3EEEvNS_4cuda6detail10TensorInfoIKT_T0_EES8_S8_S8_S8_NS5_IS6_S8_EENS5_IlS8_EE.kd
    .uniform_work_group_size: 1
    .uses_dynamic_stack: false
    .vgpr_count:     49
    .vgpr_spill_count: 0
    .wavefront_size: 64
  - .args:
      - .offset:         0
        .size:           216
        .value_kind:     by_value
      - .offset:         216
        .size:           4
        .value_kind:     by_value
      - .offset:         220
        .size:           4
        .value_kind:     by_value
      - .offset:         224
        .size:           4
        .value_kind:     by_value
      - .offset:         228
        .size:           4
        .value_kind:     by_value
      - .offset:         232
        .size:           216
        .value_kind:     by_value
      - .offset:         448
        .size:           216
        .value_kind:     by_value
      - .offset:         664
        .size:           4
        .value_kind:     hidden_block_count_x
      - .offset:         668
        .size:           4
        .value_kind:     hidden_block_count_y
      - .offset:         672
        .size:           4
        .value_kind:     hidden_block_count_z
      - .offset:         676
        .size:           2
        .value_kind:     hidden_group_size_x
      - .offset:         678
        .size:           2
        .value_kind:     hidden_group_size_y
      - .offset:         680
        .size:           2
        .value_kind:     hidden_group_size_z
      - .offset:         682
        .size:           2
        .value_kind:     hidden_remainder_x
      - .offset:         684
        .size:           2
        .value_kind:     hidden_remainder_y
      - .offset:         686
        .size:           2
        .value_kind:     hidden_remainder_z
      - .offset:         704
        .size:           8
        .value_kind:     hidden_global_offset_x
      - .offset:         712
        .size:           8
        .value_kind:     hidden_global_offset_y
      - .offset:         720
        .size:           8
        .value_kind:     hidden_global_offset_z
      - .offset:         728
        .size:           2
        .value_kind:     hidden_grid_dims
    .group_segment_fixed_size: 4112
    .kernarg_segment_align: 8
    .kernarg_segment_size: 920
    .language:       OpenCL C
    .language_version:
      - 2
      - 0
    .max_flat_workgroup_size: 1024
    .name:           _ZN2at6native12_GLOBAL__N_114gatherKthValueIiiLin1EEEvNS_4cuda6detail10TensorInfoIKT_T0_EES8_S8_S8_S8_NS5_IS6_S8_EENS5_IlS8_EE
    .private_segment_fixed_size: 0
    .sgpr_count:     100
    .sgpr_spill_count: 25
    .symbol:         _ZN2at6native12_GLOBAL__N_114gatherKthValueIiiLin1EEEvNS_4cuda6detail10TensorInfoIKT_T0_EES8_S8_S8_S8_NS5_IS6_S8_EENS5_IlS8_EE.kd
    .uniform_work_group_size: 1
    .uses_dynamic_stack: false
    .vgpr_count:     49
    .vgpr_spill_count: 0
    .wavefront_size: 64
  - .args:
      - .offset:         0
        .size:           416
        .value_kind:     by_value
      - .offset:         416
        .size:           8
        .value_kind:     by_value
      - .offset:         424
        .size:           8
        .value_kind:     by_value
      - .offset:         432
        .size:           8
        .value_kind:     by_value
      - .offset:         440
        .size:           8
        .value_kind:     by_value
      - .offset:         448
        .size:           416
        .value_kind:     by_value
      - .offset:         864
        .size:           416
        .value_kind:     by_value
      - .offset:         1280
        .size:           4
        .value_kind:     hidden_block_count_x
      - .offset:         1284
        .size:           4
        .value_kind:     hidden_block_count_y
      - .offset:         1288
        .size:           4
        .value_kind:     hidden_block_count_z
      - .offset:         1292
        .size:           2
        .value_kind:     hidden_group_size_x
      - .offset:         1294
        .size:           2
        .value_kind:     hidden_group_size_y
      - .offset:         1296
        .size:           2
        .value_kind:     hidden_group_size_z
      - .offset:         1298
        .size:           2
        .value_kind:     hidden_remainder_x
      - .offset:         1300
        .size:           2
        .value_kind:     hidden_remainder_y
      - .offset:         1302
        .size:           2
        .value_kind:     hidden_remainder_z
      - .offset:         1320
        .size:           8
        .value_kind:     hidden_global_offset_x
      - .offset:         1328
        .size:           8
        .value_kind:     hidden_global_offset_y
      - .offset:         1336
        .size:           8
        .value_kind:     hidden_global_offset_z
      - .offset:         1344
        .size:           2
        .value_kind:     hidden_grid_dims
    .group_segment_fixed_size: 5144
    .kernarg_segment_align: 8
    .kernarg_segment_size: 1536
    .language:       OpenCL C
    .language_version:
      - 2
      - 0
    .max_flat_workgroup_size: 1024
    .name:           _ZN2at6native12_GLOBAL__N_114gatherKthValueIilLi1EEEvNS_4cuda6detail10TensorInfoIKT_T0_EES8_S8_S8_S8_NS5_IS6_S8_EENS5_IlS8_EE
    .private_segment_fixed_size: 0
    .sgpr_count:     100
    .sgpr_spill_count: 36
    .symbol:         _ZN2at6native12_GLOBAL__N_114gatherKthValueIilLi1EEEvNS_4cuda6detail10TensorInfoIKT_T0_EES8_S8_S8_S8_NS5_IS6_S8_EENS5_IlS8_EE.kd
    .uniform_work_group_size: 1
    .uses_dynamic_stack: false
    .vgpr_count:     55
    .vgpr_spill_count: 0
    .wavefront_size: 64
  - .args:
      - .offset:         0
        .size:           416
        .value_kind:     by_value
      - .offset:         416
        .size:           8
        .value_kind:     by_value
      - .offset:         424
        .size:           8
        .value_kind:     by_value
      - .offset:         432
        .size:           8
        .value_kind:     by_value
      - .offset:         440
        .size:           8
        .value_kind:     by_value
      - .offset:         448
        .size:           416
        .value_kind:     by_value
      - .offset:         864
        .size:           416
        .value_kind:     by_value
      - .offset:         1280
        .size:           4
        .value_kind:     hidden_block_count_x
      - .offset:         1284
        .size:           4
        .value_kind:     hidden_block_count_y
      - .offset:         1288
        .size:           4
        .value_kind:     hidden_block_count_z
      - .offset:         1292
        .size:           2
        .value_kind:     hidden_group_size_x
      - .offset:         1294
        .size:           2
        .value_kind:     hidden_group_size_y
      - .offset:         1296
        .size:           2
        .value_kind:     hidden_group_size_z
      - .offset:         1298
        .size:           2
        .value_kind:     hidden_remainder_x
      - .offset:         1300
        .size:           2
        .value_kind:     hidden_remainder_y
      - .offset:         1302
        .size:           2
        .value_kind:     hidden_remainder_z
      - .offset:         1320
        .size:           8
        .value_kind:     hidden_global_offset_x
      - .offset:         1328
        .size:           8
        .value_kind:     hidden_global_offset_y
      - .offset:         1336
        .size:           8
        .value_kind:     hidden_global_offset_z
      - .offset:         1344
        .size:           2
        .value_kind:     hidden_grid_dims
    .group_segment_fixed_size: 5144
    .kernarg_segment_align: 8
    .kernarg_segment_size: 1536
    .language:       OpenCL C
    .language_version:
      - 2
      - 0
    .max_flat_workgroup_size: 1024
    .name:           _ZN2at6native12_GLOBAL__N_114gatherKthValueIilLi2EEEvNS_4cuda6detail10TensorInfoIKT_T0_EES8_S8_S8_S8_NS5_IS6_S8_EENS5_IlS8_EE
    .private_segment_fixed_size: 0
    .sgpr_count:     100
    .sgpr_spill_count: 50
    .symbol:         _ZN2at6native12_GLOBAL__N_114gatherKthValueIilLi2EEEvNS_4cuda6detail10TensorInfoIKT_T0_EES8_S8_S8_S8_NS5_IS6_S8_EENS5_IlS8_EE.kd
    .uniform_work_group_size: 1
    .uses_dynamic_stack: false
    .vgpr_count:     57
    .vgpr_spill_count: 0
    .wavefront_size: 64
  - .args:
      - .offset:         0
        .size:           416
        .value_kind:     by_value
      - .offset:         416
        .size:           8
        .value_kind:     by_value
      - .offset:         424
        .size:           8
        .value_kind:     by_value
      - .offset:         432
        .size:           8
        .value_kind:     by_value
      - .offset:         440
        .size:           8
        .value_kind:     by_value
      - .offset:         448
        .size:           416
        .value_kind:     by_value
      - .offset:         864
        .size:           416
        .value_kind:     by_value
      - .offset:         1280
        .size:           4
        .value_kind:     hidden_block_count_x
      - .offset:         1284
        .size:           4
        .value_kind:     hidden_block_count_y
      - .offset:         1288
        .size:           4
        .value_kind:     hidden_block_count_z
      - .offset:         1292
        .size:           2
        .value_kind:     hidden_group_size_x
      - .offset:         1294
        .size:           2
        .value_kind:     hidden_group_size_y
      - .offset:         1296
        .size:           2
        .value_kind:     hidden_group_size_z
      - .offset:         1298
        .size:           2
        .value_kind:     hidden_remainder_x
      - .offset:         1300
        .size:           2
        .value_kind:     hidden_remainder_y
      - .offset:         1302
        .size:           2
        .value_kind:     hidden_remainder_z
      - .offset:         1320
        .size:           8
        .value_kind:     hidden_global_offset_x
      - .offset:         1328
        .size:           8
        .value_kind:     hidden_global_offset_y
      - .offset:         1336
        .size:           8
        .value_kind:     hidden_global_offset_z
      - .offset:         1344
        .size:           2
        .value_kind:     hidden_grid_dims
    .group_segment_fixed_size: 5144
    .kernarg_segment_align: 8
    .kernarg_segment_size: 1536
    .language:       OpenCL C
    .language_version:
      - 2
      - 0
    .max_flat_workgroup_size: 1024
    .name:           _ZN2at6native12_GLOBAL__N_114gatherKthValueIilLi3EEEvNS_4cuda6detail10TensorInfoIKT_T0_EES8_S8_S8_S8_NS5_IS6_S8_EENS5_IlS8_EE
    .private_segment_fixed_size: 0
    .sgpr_count:     100
    .sgpr_spill_count: 63
    .symbol:         _ZN2at6native12_GLOBAL__N_114gatherKthValueIilLi3EEEvNS_4cuda6detail10TensorInfoIKT_T0_EES8_S8_S8_S8_NS5_IS6_S8_EENS5_IlS8_EE.kd
    .uniform_work_group_size: 1
    .uses_dynamic_stack: false
    .vgpr_count:     57
    .vgpr_spill_count: 0
    .wavefront_size: 64
  - .args:
      - .offset:         0
        .size:           416
        .value_kind:     by_value
      - .offset:         416
        .size:           8
        .value_kind:     by_value
      - .offset:         424
        .size:           8
        .value_kind:     by_value
      - .offset:         432
        .size:           8
        .value_kind:     by_value
      - .offset:         440
        .size:           8
        .value_kind:     by_value
      - .offset:         448
        .size:           416
        .value_kind:     by_value
      - .offset:         864
        .size:           416
        .value_kind:     by_value
      - .offset:         1280
        .size:           4
        .value_kind:     hidden_block_count_x
      - .offset:         1284
        .size:           4
        .value_kind:     hidden_block_count_y
      - .offset:         1288
        .size:           4
        .value_kind:     hidden_block_count_z
      - .offset:         1292
        .size:           2
        .value_kind:     hidden_group_size_x
      - .offset:         1294
        .size:           2
        .value_kind:     hidden_group_size_y
      - .offset:         1296
        .size:           2
        .value_kind:     hidden_group_size_z
      - .offset:         1298
        .size:           2
        .value_kind:     hidden_remainder_x
      - .offset:         1300
        .size:           2
        .value_kind:     hidden_remainder_y
      - .offset:         1302
        .size:           2
        .value_kind:     hidden_remainder_z
      - .offset:         1320
        .size:           8
        .value_kind:     hidden_global_offset_x
      - .offset:         1328
        .size:           8
        .value_kind:     hidden_global_offset_y
      - .offset:         1336
        .size:           8
        .value_kind:     hidden_global_offset_z
      - .offset:         1344
        .size:           2
        .value_kind:     hidden_grid_dims
    .group_segment_fixed_size: 5144
    .kernarg_segment_align: 8
    .kernarg_segment_size: 1536
    .language:       OpenCL C
    .language_version:
      - 2
      - 0
    .max_flat_workgroup_size: 1024
    .name:           _ZN2at6native12_GLOBAL__N_114gatherKthValueIilLin1EEEvNS_4cuda6detail10TensorInfoIKT_T0_EES8_S8_S8_S8_NS5_IS6_S8_EENS5_IlS8_EE
    .private_segment_fixed_size: 0
    .sgpr_count:     100
    .sgpr_spill_count: 46
    .symbol:         _ZN2at6native12_GLOBAL__N_114gatherKthValueIilLin1EEEvNS_4cuda6detail10TensorInfoIKT_T0_EES8_S8_S8_S8_NS5_IS6_S8_EENS5_IlS8_EE.kd
    .uniform_work_group_size: 1
    .uses_dynamic_stack: false
    .vgpr_count:     59
    .vgpr_spill_count: 0
    .wavefront_size: 64
  - .args:
      - .offset:         0
        .size:           216
        .value_kind:     by_value
      - .offset:         216
        .size:           4
        .value_kind:     by_value
      - .offset:         220
        .size:           4
        .value_kind:     by_value
      - .offset:         224
        .size:           4
        .value_kind:     by_value
      - .offset:         228
        .size:           4
        .value_kind:     by_value
      - .offset:         232
        .size:           216
        .value_kind:     by_value
      - .offset:         448
        .size:           216
        .value_kind:     by_value
      - .offset:         664
        .size:           4
        .value_kind:     hidden_block_count_x
      - .offset:         668
        .size:           4
        .value_kind:     hidden_block_count_y
      - .offset:         672
        .size:           4
        .value_kind:     hidden_block_count_z
      - .offset:         676
        .size:           2
        .value_kind:     hidden_group_size_x
      - .offset:         678
        .size:           2
        .value_kind:     hidden_group_size_y
      - .offset:         680
        .size:           2
        .value_kind:     hidden_group_size_z
      - .offset:         682
        .size:           2
        .value_kind:     hidden_remainder_x
      - .offset:         684
        .size:           2
        .value_kind:     hidden_remainder_y
      - .offset:         686
        .size:           2
        .value_kind:     hidden_remainder_z
      - .offset:         704
        .size:           8
        .value_kind:     hidden_global_offset_x
      - .offset:         712
        .size:           8
        .value_kind:     hidden_global_offset_y
      - .offset:         720
        .size:           8
        .value_kind:     hidden_global_offset_z
      - .offset:         728
        .size:           2
        .value_kind:     hidden_grid_dims
    .group_segment_fixed_size: 4112
    .kernarg_segment_align: 8
    .kernarg_segment_size: 920
    .language:       OpenCL C
    .language_version:
      - 2
      - 0
    .max_flat_workgroup_size: 1024
    .name:           _ZN2at6native12_GLOBAL__N_114gatherKthValueIliLi1EEEvNS_4cuda6detail10TensorInfoIKT_T0_EES8_S8_S8_S8_NS5_IS6_S8_EENS5_IlS8_EE
    .private_segment_fixed_size: 0
    .sgpr_count:     100
    .sgpr_spill_count: 22
    .symbol:         _ZN2at6native12_GLOBAL__N_114gatherKthValueIliLi1EEEvNS_4cuda6detail10TensorInfoIKT_T0_EES8_S8_S8_S8_NS5_IS6_S8_EENS5_IlS8_EE.kd
    .uniform_work_group_size: 1
    .uses_dynamic_stack: false
    .vgpr_count:     47
    .vgpr_spill_count: 0
    .wavefront_size: 64
  - .args:
      - .offset:         0
        .size:           216
        .value_kind:     by_value
      - .offset:         216
        .size:           4
        .value_kind:     by_value
      - .offset:         220
        .size:           4
        .value_kind:     by_value
      - .offset:         224
        .size:           4
        .value_kind:     by_value
      - .offset:         228
        .size:           4
        .value_kind:     by_value
      - .offset:         232
        .size:           216
        .value_kind:     by_value
      - .offset:         448
        .size:           216
        .value_kind:     by_value
      - .offset:         664
        .size:           4
        .value_kind:     hidden_block_count_x
      - .offset:         668
        .size:           4
        .value_kind:     hidden_block_count_y
      - .offset:         672
        .size:           4
        .value_kind:     hidden_block_count_z
      - .offset:         676
        .size:           2
        .value_kind:     hidden_group_size_x
      - .offset:         678
        .size:           2
        .value_kind:     hidden_group_size_y
      - .offset:         680
        .size:           2
        .value_kind:     hidden_group_size_z
      - .offset:         682
        .size:           2
        .value_kind:     hidden_remainder_x
      - .offset:         684
        .size:           2
        .value_kind:     hidden_remainder_y
      - .offset:         686
        .size:           2
        .value_kind:     hidden_remainder_z
      - .offset:         704
        .size:           8
        .value_kind:     hidden_global_offset_x
      - .offset:         712
        .size:           8
        .value_kind:     hidden_global_offset_y
      - .offset:         720
        .size:           8
        .value_kind:     hidden_global_offset_z
      - .offset:         728
        .size:           2
        .value_kind:     hidden_grid_dims
    .group_segment_fixed_size: 4112
    .kernarg_segment_align: 8
    .kernarg_segment_size: 920
    .language:       OpenCL C
    .language_version:
      - 2
      - 0
    .max_flat_workgroup_size: 1024
    .name:           _ZN2at6native12_GLOBAL__N_114gatherKthValueIliLi2EEEvNS_4cuda6detail10TensorInfoIKT_T0_EES8_S8_S8_S8_NS5_IS6_S8_EENS5_IlS8_EE
    .private_segment_fixed_size: 0
    .sgpr_count:     100
    .sgpr_spill_count: 34
    .symbol:         _ZN2at6native12_GLOBAL__N_114gatherKthValueIliLi2EEEvNS_4cuda6detail10TensorInfoIKT_T0_EES8_S8_S8_S8_NS5_IS6_S8_EENS5_IlS8_EE.kd
    .uniform_work_group_size: 1
    .uses_dynamic_stack: false
    .vgpr_count:     47
    .vgpr_spill_count: 0
    .wavefront_size: 64
  - .args:
      - .offset:         0
        .size:           216
        .value_kind:     by_value
      - .offset:         216
        .size:           4
        .value_kind:     by_value
      - .offset:         220
        .size:           4
        .value_kind:     by_value
      - .offset:         224
        .size:           4
        .value_kind:     by_value
      - .offset:         228
        .size:           4
        .value_kind:     by_value
      - .offset:         232
        .size:           216
        .value_kind:     by_value
      - .offset:         448
        .size:           216
        .value_kind:     by_value
      - .offset:         664
        .size:           4
        .value_kind:     hidden_block_count_x
      - .offset:         668
        .size:           4
        .value_kind:     hidden_block_count_y
      - .offset:         672
        .size:           4
        .value_kind:     hidden_block_count_z
      - .offset:         676
        .size:           2
        .value_kind:     hidden_group_size_x
      - .offset:         678
        .size:           2
        .value_kind:     hidden_group_size_y
      - .offset:         680
        .size:           2
        .value_kind:     hidden_group_size_z
      - .offset:         682
        .size:           2
        .value_kind:     hidden_remainder_x
      - .offset:         684
        .size:           2
        .value_kind:     hidden_remainder_y
      - .offset:         686
        .size:           2
        .value_kind:     hidden_remainder_z
      - .offset:         704
        .size:           8
        .value_kind:     hidden_global_offset_x
      - .offset:         712
        .size:           8
        .value_kind:     hidden_global_offset_y
      - .offset:         720
        .size:           8
        .value_kind:     hidden_global_offset_z
      - .offset:         728
        .size:           2
        .value_kind:     hidden_grid_dims
    .group_segment_fixed_size: 4112
    .kernarg_segment_align: 8
    .kernarg_segment_size: 920
    .language:       OpenCL C
    .language_version:
      - 2
      - 0
    .max_flat_workgroup_size: 1024
    .name:           _ZN2at6native12_GLOBAL__N_114gatherKthValueIliLi3EEEvNS_4cuda6detail10TensorInfoIKT_T0_EES8_S8_S8_S8_NS5_IS6_S8_EENS5_IlS8_EE
    .private_segment_fixed_size: 0
    .sgpr_count:     100
    .sgpr_spill_count: 44
    .symbol:         _ZN2at6native12_GLOBAL__N_114gatherKthValueIliLi3EEEvNS_4cuda6detail10TensorInfoIKT_T0_EES8_S8_S8_S8_NS5_IS6_S8_EENS5_IlS8_EE.kd
    .uniform_work_group_size: 1
    .uses_dynamic_stack: false
    .vgpr_count:     47
    .vgpr_spill_count: 0
    .wavefront_size: 64
  - .args:
      - .offset:         0
        .size:           216
        .value_kind:     by_value
      - .offset:         216
        .size:           4
        .value_kind:     by_value
      - .offset:         220
        .size:           4
        .value_kind:     by_value
      - .offset:         224
        .size:           4
        .value_kind:     by_value
      - .offset:         228
        .size:           4
        .value_kind:     by_value
      - .offset:         232
        .size:           216
        .value_kind:     by_value
      - .offset:         448
        .size:           216
        .value_kind:     by_value
      - .offset:         664
        .size:           4
        .value_kind:     hidden_block_count_x
      - .offset:         668
        .size:           4
        .value_kind:     hidden_block_count_y
      - .offset:         672
        .size:           4
        .value_kind:     hidden_block_count_z
      - .offset:         676
        .size:           2
        .value_kind:     hidden_group_size_x
      - .offset:         678
        .size:           2
        .value_kind:     hidden_group_size_y
      - .offset:         680
        .size:           2
        .value_kind:     hidden_group_size_z
      - .offset:         682
        .size:           2
        .value_kind:     hidden_remainder_x
      - .offset:         684
        .size:           2
        .value_kind:     hidden_remainder_y
      - .offset:         686
        .size:           2
        .value_kind:     hidden_remainder_z
      - .offset:         704
        .size:           8
        .value_kind:     hidden_global_offset_x
      - .offset:         712
        .size:           8
        .value_kind:     hidden_global_offset_y
      - .offset:         720
        .size:           8
        .value_kind:     hidden_global_offset_z
      - .offset:         728
        .size:           2
        .value_kind:     hidden_grid_dims
    .group_segment_fixed_size: 4112
    .kernarg_segment_align: 8
    .kernarg_segment_size: 920
    .language:       OpenCL C
    .language_version:
      - 2
      - 0
    .max_flat_workgroup_size: 1024
    .name:           _ZN2at6native12_GLOBAL__N_114gatherKthValueIliLin1EEEvNS_4cuda6detail10TensorInfoIKT_T0_EES8_S8_S8_S8_NS5_IS6_S8_EENS5_IlS8_EE
    .private_segment_fixed_size: 0
    .sgpr_count:     100
    .sgpr_spill_count: 24
    .symbol:         _ZN2at6native12_GLOBAL__N_114gatherKthValueIliLin1EEEvNS_4cuda6detail10TensorInfoIKT_T0_EES8_S8_S8_S8_NS5_IS6_S8_EENS5_IlS8_EE.kd
    .uniform_work_group_size: 1
    .uses_dynamic_stack: false
    .vgpr_count:     47
    .vgpr_spill_count: 0
    .wavefront_size: 64
  - .args:
      - .offset:         0
        .size:           416
        .value_kind:     by_value
      - .offset:         416
        .size:           8
        .value_kind:     by_value
      - .offset:         424
        .size:           8
        .value_kind:     by_value
      - .offset:         432
        .size:           8
        .value_kind:     by_value
      - .offset:         440
        .size:           8
        .value_kind:     by_value
      - .offset:         448
        .size:           416
        .value_kind:     by_value
      - .offset:         864
        .size:           416
        .value_kind:     by_value
      - .offset:         1280
        .size:           4
        .value_kind:     hidden_block_count_x
      - .offset:         1284
        .size:           4
        .value_kind:     hidden_block_count_y
      - .offset:         1288
        .size:           4
        .value_kind:     hidden_block_count_z
      - .offset:         1292
        .size:           2
        .value_kind:     hidden_group_size_x
      - .offset:         1294
        .size:           2
        .value_kind:     hidden_group_size_y
      - .offset:         1296
        .size:           2
        .value_kind:     hidden_group_size_z
      - .offset:         1298
        .size:           2
        .value_kind:     hidden_remainder_x
      - .offset:         1300
        .size:           2
        .value_kind:     hidden_remainder_y
      - .offset:         1302
        .size:           2
        .value_kind:     hidden_remainder_z
      - .offset:         1320
        .size:           8
        .value_kind:     hidden_global_offset_x
      - .offset:         1328
        .size:           8
        .value_kind:     hidden_global_offset_y
      - .offset:         1336
        .size:           8
        .value_kind:     hidden_global_offset_z
      - .offset:         1344
        .size:           2
        .value_kind:     hidden_grid_dims
    .group_segment_fixed_size: 5144
    .kernarg_segment_align: 8
    .kernarg_segment_size: 1536
    .language:       OpenCL C
    .language_version:
      - 2
      - 0
    .max_flat_workgroup_size: 1024
    .name:           _ZN2at6native12_GLOBAL__N_114gatherKthValueIllLi1EEEvNS_4cuda6detail10TensorInfoIKT_T0_EES8_S8_S8_S8_NS5_IS6_S8_EENS5_IlS8_EE
    .private_segment_fixed_size: 0
    .sgpr_count:     100
    .sgpr_spill_count: 27
    .symbol:         _ZN2at6native12_GLOBAL__N_114gatherKthValueIllLi1EEEvNS_4cuda6detail10TensorInfoIKT_T0_EES8_S8_S8_S8_NS5_IS6_S8_EENS5_IlS8_EE.kd
    .uniform_work_group_size: 1
    .uses_dynamic_stack: false
    .vgpr_count:     61
    .vgpr_spill_count: 0
    .wavefront_size: 64
  - .args:
      - .offset:         0
        .size:           416
        .value_kind:     by_value
      - .offset:         416
        .size:           8
        .value_kind:     by_value
      - .offset:         424
        .size:           8
        .value_kind:     by_value
      - .offset:         432
        .size:           8
        .value_kind:     by_value
      - .offset:         440
        .size:           8
        .value_kind:     by_value
      - .offset:         448
        .size:           416
        .value_kind:     by_value
      - .offset:         864
        .size:           416
        .value_kind:     by_value
      - .offset:         1280
        .size:           4
        .value_kind:     hidden_block_count_x
      - .offset:         1284
        .size:           4
        .value_kind:     hidden_block_count_y
      - .offset:         1288
        .size:           4
        .value_kind:     hidden_block_count_z
      - .offset:         1292
        .size:           2
        .value_kind:     hidden_group_size_x
      - .offset:         1294
        .size:           2
        .value_kind:     hidden_group_size_y
      - .offset:         1296
        .size:           2
        .value_kind:     hidden_group_size_z
      - .offset:         1298
        .size:           2
        .value_kind:     hidden_remainder_x
      - .offset:         1300
        .size:           2
        .value_kind:     hidden_remainder_y
      - .offset:         1302
        .size:           2
        .value_kind:     hidden_remainder_z
      - .offset:         1320
        .size:           8
        .value_kind:     hidden_global_offset_x
      - .offset:         1328
        .size:           8
        .value_kind:     hidden_global_offset_y
      - .offset:         1336
        .size:           8
        .value_kind:     hidden_global_offset_z
      - .offset:         1344
        .size:           2
        .value_kind:     hidden_grid_dims
    .group_segment_fixed_size: 5144
    .kernarg_segment_align: 8
    .kernarg_segment_size: 1536
    .language:       OpenCL C
    .language_version:
      - 2
      - 0
    .max_flat_workgroup_size: 1024
    .name:           _ZN2at6native12_GLOBAL__N_114gatherKthValueIllLi2EEEvNS_4cuda6detail10TensorInfoIKT_T0_EES8_S8_S8_S8_NS5_IS6_S8_EENS5_IlS8_EE
    .private_segment_fixed_size: 0
    .sgpr_count:     100
    .sgpr_spill_count: 44
    .symbol:         _ZN2at6native12_GLOBAL__N_114gatherKthValueIllLi2EEEvNS_4cuda6detail10TensorInfoIKT_T0_EES8_S8_S8_S8_NS5_IS6_S8_EENS5_IlS8_EE.kd
    .uniform_work_group_size: 1
    .uses_dynamic_stack: false
    .vgpr_count:     63
    .vgpr_spill_count: 0
    .wavefront_size: 64
  - .args:
      - .offset:         0
        .size:           416
        .value_kind:     by_value
      - .offset:         416
        .size:           8
        .value_kind:     by_value
      - .offset:         424
        .size:           8
        .value_kind:     by_value
      - .offset:         432
        .size:           8
        .value_kind:     by_value
      - .offset:         440
        .size:           8
        .value_kind:     by_value
      - .offset:         448
        .size:           416
        .value_kind:     by_value
      - .offset:         864
        .size:           416
        .value_kind:     by_value
      - .offset:         1280
        .size:           4
        .value_kind:     hidden_block_count_x
      - .offset:         1284
        .size:           4
        .value_kind:     hidden_block_count_y
      - .offset:         1288
        .size:           4
        .value_kind:     hidden_block_count_z
      - .offset:         1292
        .size:           2
        .value_kind:     hidden_group_size_x
      - .offset:         1294
        .size:           2
        .value_kind:     hidden_group_size_y
      - .offset:         1296
        .size:           2
        .value_kind:     hidden_group_size_z
      - .offset:         1298
        .size:           2
        .value_kind:     hidden_remainder_x
      - .offset:         1300
        .size:           2
        .value_kind:     hidden_remainder_y
      - .offset:         1302
        .size:           2
        .value_kind:     hidden_remainder_z
      - .offset:         1320
        .size:           8
        .value_kind:     hidden_global_offset_x
      - .offset:         1328
        .size:           8
        .value_kind:     hidden_global_offset_y
      - .offset:         1336
        .size:           8
        .value_kind:     hidden_global_offset_z
      - .offset:         1344
        .size:           2
        .value_kind:     hidden_grid_dims
    .group_segment_fixed_size: 5144
    .kernarg_segment_align: 8
    .kernarg_segment_size: 1536
    .language:       OpenCL C
    .language_version:
      - 2
      - 0
    .max_flat_workgroup_size: 1024
    .name:           _ZN2at6native12_GLOBAL__N_114gatherKthValueIllLi3EEEvNS_4cuda6detail10TensorInfoIKT_T0_EES8_S8_S8_S8_NS5_IS6_S8_EENS5_IlS8_EE
    .private_segment_fixed_size: 0
    .sgpr_count:     100
    .sgpr_spill_count: 59
    .symbol:         _ZN2at6native12_GLOBAL__N_114gatherKthValueIllLi3EEEvNS_4cuda6detail10TensorInfoIKT_T0_EES8_S8_S8_S8_NS5_IS6_S8_EENS5_IlS8_EE.kd
    .uniform_work_group_size: 1
    .uses_dynamic_stack: false
    .vgpr_count:     57
    .vgpr_spill_count: 0
    .wavefront_size: 64
  - .args:
      - .offset:         0
        .size:           416
        .value_kind:     by_value
      - .offset:         416
        .size:           8
        .value_kind:     by_value
      - .offset:         424
        .size:           8
        .value_kind:     by_value
      - .offset:         432
        .size:           8
        .value_kind:     by_value
      - .offset:         440
        .size:           8
        .value_kind:     by_value
      - .offset:         448
        .size:           416
        .value_kind:     by_value
      - .offset:         864
        .size:           416
        .value_kind:     by_value
      - .offset:         1280
        .size:           4
        .value_kind:     hidden_block_count_x
      - .offset:         1284
        .size:           4
        .value_kind:     hidden_block_count_y
      - .offset:         1288
        .size:           4
        .value_kind:     hidden_block_count_z
      - .offset:         1292
        .size:           2
        .value_kind:     hidden_group_size_x
      - .offset:         1294
        .size:           2
        .value_kind:     hidden_group_size_y
      - .offset:         1296
        .size:           2
        .value_kind:     hidden_group_size_z
      - .offset:         1298
        .size:           2
        .value_kind:     hidden_remainder_x
      - .offset:         1300
        .size:           2
        .value_kind:     hidden_remainder_y
      - .offset:         1302
        .size:           2
        .value_kind:     hidden_remainder_z
      - .offset:         1320
        .size:           8
        .value_kind:     hidden_global_offset_x
      - .offset:         1328
        .size:           8
        .value_kind:     hidden_global_offset_y
      - .offset:         1336
        .size:           8
        .value_kind:     hidden_global_offset_z
      - .offset:         1344
        .size:           2
        .value_kind:     hidden_grid_dims
    .group_segment_fixed_size: 5144
    .kernarg_segment_align: 8
    .kernarg_segment_size: 1536
    .language:       OpenCL C
    .language_version:
      - 2
      - 0
    .max_flat_workgroup_size: 1024
    .name:           _ZN2at6native12_GLOBAL__N_114gatherKthValueIllLin1EEEvNS_4cuda6detail10TensorInfoIKT_T0_EES8_S8_S8_S8_NS5_IS6_S8_EENS5_IlS8_EE
    .private_segment_fixed_size: 0
    .sgpr_count:     100
    .sgpr_spill_count: 36
    .symbol:         _ZN2at6native12_GLOBAL__N_114gatherKthValueIllLin1EEEvNS_4cuda6detail10TensorInfoIKT_T0_EES8_S8_S8_S8_NS5_IS6_S8_EENS5_IlS8_EE.kd
    .uniform_work_group_size: 1
    .uses_dynamic_stack: false
    .vgpr_count:     61
    .vgpr_spill_count: 0
    .wavefront_size: 64
  - .args:
      - .offset:         0
        .size:           216
        .value_kind:     by_value
      - .offset:         216
        .size:           4
        .value_kind:     by_value
      - .offset:         220
        .size:           4
        .value_kind:     by_value
      - .offset:         224
        .size:           4
        .value_kind:     by_value
      - .offset:         228
        .size:           4
        .value_kind:     by_value
      - .offset:         232
        .size:           216
        .value_kind:     by_value
      - .offset:         448
        .size:           216
        .value_kind:     by_value
      - .offset:         664
        .size:           4
        .value_kind:     hidden_block_count_x
      - .offset:         668
        .size:           4
        .value_kind:     hidden_block_count_y
      - .offset:         672
        .size:           4
        .value_kind:     hidden_block_count_z
      - .offset:         676
        .size:           2
        .value_kind:     hidden_group_size_x
      - .offset:         678
        .size:           2
        .value_kind:     hidden_group_size_y
      - .offset:         680
        .size:           2
        .value_kind:     hidden_group_size_z
      - .offset:         682
        .size:           2
        .value_kind:     hidden_remainder_x
      - .offset:         684
        .size:           2
        .value_kind:     hidden_remainder_y
      - .offset:         686
        .size:           2
        .value_kind:     hidden_remainder_z
      - .offset:         704
        .size:           8
        .value_kind:     hidden_global_offset_x
      - .offset:         712
        .size:           8
        .value_kind:     hidden_global_offset_y
      - .offset:         720
        .size:           8
        .value_kind:     hidden_global_offset_z
      - .offset:         728
        .size:           2
        .value_kind:     hidden_grid_dims
    .group_segment_fixed_size: 4112
    .kernarg_segment_align: 8
    .kernarg_segment_size: 920
    .language:       OpenCL C
    .language_version:
      - 2
      - 0
    .max_flat_workgroup_size: 1024
    .name:           _ZN2at6native12_GLOBAL__N_114gatherKthValueIsiLi1EEEvNS_4cuda6detail10TensorInfoIKT_T0_EES8_S8_S8_S8_NS5_IS6_S8_EENS5_IlS8_EE
    .private_segment_fixed_size: 0
    .sgpr_count:     100
    .sgpr_spill_count: 26
    .symbol:         _ZN2at6native12_GLOBAL__N_114gatherKthValueIsiLi1EEEvNS_4cuda6detail10TensorInfoIKT_T0_EES8_S8_S8_S8_NS5_IS6_S8_EENS5_IlS8_EE.kd
    .uniform_work_group_size: 1
    .uses_dynamic_stack: false
    .vgpr_count:     49
    .vgpr_spill_count: 0
    .wavefront_size: 64
  - .args:
      - .offset:         0
        .size:           216
        .value_kind:     by_value
      - .offset:         216
        .size:           4
        .value_kind:     by_value
      - .offset:         220
        .size:           4
        .value_kind:     by_value
      - .offset:         224
        .size:           4
        .value_kind:     by_value
      - .offset:         228
        .size:           4
        .value_kind:     by_value
      - .offset:         232
        .size:           216
        .value_kind:     by_value
      - .offset:         448
        .size:           216
        .value_kind:     by_value
      - .offset:         664
        .size:           4
        .value_kind:     hidden_block_count_x
      - .offset:         668
        .size:           4
        .value_kind:     hidden_block_count_y
      - .offset:         672
        .size:           4
        .value_kind:     hidden_block_count_z
      - .offset:         676
        .size:           2
        .value_kind:     hidden_group_size_x
      - .offset:         678
        .size:           2
        .value_kind:     hidden_group_size_y
      - .offset:         680
        .size:           2
        .value_kind:     hidden_group_size_z
      - .offset:         682
        .size:           2
        .value_kind:     hidden_remainder_x
      - .offset:         684
        .size:           2
        .value_kind:     hidden_remainder_y
      - .offset:         686
        .size:           2
        .value_kind:     hidden_remainder_z
      - .offset:         704
        .size:           8
        .value_kind:     hidden_global_offset_x
      - .offset:         712
        .size:           8
        .value_kind:     hidden_global_offset_y
      - .offset:         720
        .size:           8
        .value_kind:     hidden_global_offset_z
      - .offset:         728
        .size:           2
        .value_kind:     hidden_grid_dims
    .group_segment_fixed_size: 4112
    .kernarg_segment_align: 8
    .kernarg_segment_size: 920
    .language:       OpenCL C
    .language_version:
      - 2
      - 0
    .max_flat_workgroup_size: 1024
    .name:           _ZN2at6native12_GLOBAL__N_114gatherKthValueIsiLi2EEEvNS_4cuda6detail10TensorInfoIKT_T0_EES8_S8_S8_S8_NS5_IS6_S8_EENS5_IlS8_EE
    .private_segment_fixed_size: 0
    .sgpr_count:     100
    .sgpr_spill_count: 38
    .symbol:         _ZN2at6native12_GLOBAL__N_114gatherKthValueIsiLi2EEEvNS_4cuda6detail10TensorInfoIKT_T0_EES8_S8_S8_S8_NS5_IS6_S8_EENS5_IlS8_EE.kd
    .uniform_work_group_size: 1
    .uses_dynamic_stack: false
    .vgpr_count:     49
    .vgpr_spill_count: 0
    .wavefront_size: 64
  - .args:
      - .offset:         0
        .size:           216
        .value_kind:     by_value
      - .offset:         216
        .size:           4
        .value_kind:     by_value
      - .offset:         220
        .size:           4
        .value_kind:     by_value
      - .offset:         224
        .size:           4
        .value_kind:     by_value
      - .offset:         228
        .size:           4
        .value_kind:     by_value
      - .offset:         232
        .size:           216
        .value_kind:     by_value
      - .offset:         448
        .size:           216
        .value_kind:     by_value
      - .offset:         664
        .size:           4
        .value_kind:     hidden_block_count_x
      - .offset:         668
        .size:           4
        .value_kind:     hidden_block_count_y
      - .offset:         672
        .size:           4
        .value_kind:     hidden_block_count_z
      - .offset:         676
        .size:           2
        .value_kind:     hidden_group_size_x
      - .offset:         678
        .size:           2
        .value_kind:     hidden_group_size_y
      - .offset:         680
        .size:           2
        .value_kind:     hidden_group_size_z
      - .offset:         682
        .size:           2
        .value_kind:     hidden_remainder_x
      - .offset:         684
        .size:           2
        .value_kind:     hidden_remainder_y
      - .offset:         686
        .size:           2
        .value_kind:     hidden_remainder_z
      - .offset:         704
        .size:           8
        .value_kind:     hidden_global_offset_x
      - .offset:         712
        .size:           8
        .value_kind:     hidden_global_offset_y
      - .offset:         720
        .size:           8
        .value_kind:     hidden_global_offset_z
      - .offset:         728
        .size:           2
        .value_kind:     hidden_grid_dims
    .group_segment_fixed_size: 4112
    .kernarg_segment_align: 8
    .kernarg_segment_size: 920
    .language:       OpenCL C
    .language_version:
      - 2
      - 0
    .max_flat_workgroup_size: 1024
    .name:           _ZN2at6native12_GLOBAL__N_114gatherKthValueIsiLi3EEEvNS_4cuda6detail10TensorInfoIKT_T0_EES8_S8_S8_S8_NS5_IS6_S8_EENS5_IlS8_EE
    .private_segment_fixed_size: 0
    .sgpr_count:     100
    .sgpr_spill_count: 48
    .symbol:         _ZN2at6native12_GLOBAL__N_114gatherKthValueIsiLi3EEEvNS_4cuda6detail10TensorInfoIKT_T0_EES8_S8_S8_S8_NS5_IS6_S8_EENS5_IlS8_EE.kd
    .uniform_work_group_size: 1
    .uses_dynamic_stack: false
    .vgpr_count:     49
    .vgpr_spill_count: 0
    .wavefront_size: 64
  - .args:
      - .offset:         0
        .size:           216
        .value_kind:     by_value
      - .offset:         216
        .size:           4
        .value_kind:     by_value
      - .offset:         220
        .size:           4
        .value_kind:     by_value
      - .offset:         224
        .size:           4
        .value_kind:     by_value
      - .offset:         228
        .size:           4
        .value_kind:     by_value
      - .offset:         232
        .size:           216
        .value_kind:     by_value
      - .offset:         448
        .size:           216
        .value_kind:     by_value
      - .offset:         664
        .size:           4
        .value_kind:     hidden_block_count_x
      - .offset:         668
        .size:           4
        .value_kind:     hidden_block_count_y
      - .offset:         672
        .size:           4
        .value_kind:     hidden_block_count_z
      - .offset:         676
        .size:           2
        .value_kind:     hidden_group_size_x
      - .offset:         678
        .size:           2
        .value_kind:     hidden_group_size_y
      - .offset:         680
        .size:           2
        .value_kind:     hidden_group_size_z
      - .offset:         682
        .size:           2
        .value_kind:     hidden_remainder_x
      - .offset:         684
        .size:           2
        .value_kind:     hidden_remainder_y
      - .offset:         686
        .size:           2
        .value_kind:     hidden_remainder_z
      - .offset:         704
        .size:           8
        .value_kind:     hidden_global_offset_x
      - .offset:         712
        .size:           8
        .value_kind:     hidden_global_offset_y
      - .offset:         720
        .size:           8
        .value_kind:     hidden_global_offset_z
      - .offset:         728
        .size:           2
        .value_kind:     hidden_grid_dims
    .group_segment_fixed_size: 4112
    .kernarg_segment_align: 8
    .kernarg_segment_size: 920
    .language:       OpenCL C
    .language_version:
      - 2
      - 0
    .max_flat_workgroup_size: 1024
    .name:           _ZN2at6native12_GLOBAL__N_114gatherKthValueIsiLin1EEEvNS_4cuda6detail10TensorInfoIKT_T0_EES8_S8_S8_S8_NS5_IS6_S8_EENS5_IlS8_EE
    .private_segment_fixed_size: 0
    .sgpr_count:     100
    .sgpr_spill_count: 29
    .symbol:         _ZN2at6native12_GLOBAL__N_114gatherKthValueIsiLin1EEEvNS_4cuda6detail10TensorInfoIKT_T0_EES8_S8_S8_S8_NS5_IS6_S8_EENS5_IlS8_EE.kd
    .uniform_work_group_size: 1
    .uses_dynamic_stack: false
    .vgpr_count:     49
    .vgpr_spill_count: 0
    .wavefront_size: 64
  - .args:
      - .offset:         0
        .size:           416
        .value_kind:     by_value
      - .offset:         416
        .size:           8
        .value_kind:     by_value
      - .offset:         424
        .size:           8
        .value_kind:     by_value
      - .offset:         432
        .size:           8
        .value_kind:     by_value
      - .offset:         440
        .size:           8
        .value_kind:     by_value
      - .offset:         448
        .size:           416
        .value_kind:     by_value
      - .offset:         864
        .size:           416
        .value_kind:     by_value
      - .offset:         1280
        .size:           4
        .value_kind:     hidden_block_count_x
      - .offset:         1284
        .size:           4
        .value_kind:     hidden_block_count_y
      - .offset:         1288
        .size:           4
        .value_kind:     hidden_block_count_z
      - .offset:         1292
        .size:           2
        .value_kind:     hidden_group_size_x
      - .offset:         1294
        .size:           2
        .value_kind:     hidden_group_size_y
      - .offset:         1296
        .size:           2
        .value_kind:     hidden_group_size_z
      - .offset:         1298
        .size:           2
        .value_kind:     hidden_remainder_x
      - .offset:         1300
        .size:           2
        .value_kind:     hidden_remainder_y
      - .offset:         1302
        .size:           2
        .value_kind:     hidden_remainder_z
      - .offset:         1320
        .size:           8
        .value_kind:     hidden_global_offset_x
      - .offset:         1328
        .size:           8
        .value_kind:     hidden_global_offset_y
      - .offset:         1336
        .size:           8
        .value_kind:     hidden_global_offset_z
      - .offset:         1344
        .size:           2
        .value_kind:     hidden_grid_dims
    .group_segment_fixed_size: 5144
    .kernarg_segment_align: 8
    .kernarg_segment_size: 1536
    .language:       OpenCL C
    .language_version:
      - 2
      - 0
    .max_flat_workgroup_size: 1024
    .name:           _ZN2at6native12_GLOBAL__N_114gatherKthValueIslLi1EEEvNS_4cuda6detail10TensorInfoIKT_T0_EES8_S8_S8_S8_NS5_IS6_S8_EENS5_IlS8_EE
    .private_segment_fixed_size: 0
    .sgpr_count:     100
    .sgpr_spill_count: 31
    .symbol:         _ZN2at6native12_GLOBAL__N_114gatherKthValueIslLi1EEEvNS_4cuda6detail10TensorInfoIKT_T0_EES8_S8_S8_S8_NS5_IS6_S8_EENS5_IlS8_EE.kd
    .uniform_work_group_size: 1
    .uses_dynamic_stack: false
    .vgpr_count:     57
    .vgpr_spill_count: 0
    .wavefront_size: 64
  - .args:
      - .offset:         0
        .size:           416
        .value_kind:     by_value
      - .offset:         416
        .size:           8
        .value_kind:     by_value
      - .offset:         424
        .size:           8
        .value_kind:     by_value
      - .offset:         432
        .size:           8
        .value_kind:     by_value
      - .offset:         440
        .size:           8
        .value_kind:     by_value
      - .offset:         448
        .size:           416
        .value_kind:     by_value
      - .offset:         864
        .size:           416
        .value_kind:     by_value
      - .offset:         1280
        .size:           4
        .value_kind:     hidden_block_count_x
      - .offset:         1284
        .size:           4
        .value_kind:     hidden_block_count_y
      - .offset:         1288
        .size:           4
        .value_kind:     hidden_block_count_z
      - .offset:         1292
        .size:           2
        .value_kind:     hidden_group_size_x
      - .offset:         1294
        .size:           2
        .value_kind:     hidden_group_size_y
      - .offset:         1296
        .size:           2
        .value_kind:     hidden_group_size_z
      - .offset:         1298
        .size:           2
        .value_kind:     hidden_remainder_x
      - .offset:         1300
        .size:           2
        .value_kind:     hidden_remainder_y
      - .offset:         1302
        .size:           2
        .value_kind:     hidden_remainder_z
      - .offset:         1320
        .size:           8
        .value_kind:     hidden_global_offset_x
      - .offset:         1328
        .size:           8
        .value_kind:     hidden_global_offset_y
      - .offset:         1336
        .size:           8
        .value_kind:     hidden_global_offset_z
      - .offset:         1344
        .size:           2
        .value_kind:     hidden_grid_dims
    .group_segment_fixed_size: 5144
    .kernarg_segment_align: 8
    .kernarg_segment_size: 1536
    .language:       OpenCL C
    .language_version:
      - 2
      - 0
    .max_flat_workgroup_size: 1024
    .name:           _ZN2at6native12_GLOBAL__N_114gatherKthValueIslLi2EEEvNS_4cuda6detail10TensorInfoIKT_T0_EES8_S8_S8_S8_NS5_IS6_S8_EENS5_IlS8_EE
    .private_segment_fixed_size: 0
    .sgpr_count:     100
    .sgpr_spill_count: 49
    .symbol:         _ZN2at6native12_GLOBAL__N_114gatherKthValueIslLi2EEEvNS_4cuda6detail10TensorInfoIKT_T0_EES8_S8_S8_S8_NS5_IS6_S8_EENS5_IlS8_EE.kd
    .uniform_work_group_size: 1
    .uses_dynamic_stack: false
    .vgpr_count:     59
    .vgpr_spill_count: 0
    .wavefront_size: 64
  - .args:
      - .offset:         0
        .size:           416
        .value_kind:     by_value
      - .offset:         416
        .size:           8
        .value_kind:     by_value
      - .offset:         424
        .size:           8
        .value_kind:     by_value
      - .offset:         432
        .size:           8
        .value_kind:     by_value
      - .offset:         440
        .size:           8
        .value_kind:     by_value
      - .offset:         448
        .size:           416
        .value_kind:     by_value
      - .offset:         864
        .size:           416
        .value_kind:     by_value
      - .offset:         1280
        .size:           4
        .value_kind:     hidden_block_count_x
      - .offset:         1284
        .size:           4
        .value_kind:     hidden_block_count_y
      - .offset:         1288
        .size:           4
        .value_kind:     hidden_block_count_z
      - .offset:         1292
        .size:           2
        .value_kind:     hidden_group_size_x
      - .offset:         1294
        .size:           2
        .value_kind:     hidden_group_size_y
      - .offset:         1296
        .size:           2
        .value_kind:     hidden_group_size_z
      - .offset:         1298
        .size:           2
        .value_kind:     hidden_remainder_x
      - .offset:         1300
        .size:           2
        .value_kind:     hidden_remainder_y
      - .offset:         1302
        .size:           2
        .value_kind:     hidden_remainder_z
      - .offset:         1320
        .size:           8
        .value_kind:     hidden_global_offset_x
      - .offset:         1328
        .size:           8
        .value_kind:     hidden_global_offset_y
      - .offset:         1336
        .size:           8
        .value_kind:     hidden_global_offset_z
      - .offset:         1344
        .size:           2
        .value_kind:     hidden_grid_dims
    .group_segment_fixed_size: 5144
    .kernarg_segment_align: 8
    .kernarg_segment_size: 1536
    .language:       OpenCL C
    .language_version:
      - 2
      - 0
    .max_flat_workgroup_size: 1024
    .name:           _ZN2at6native12_GLOBAL__N_114gatherKthValueIslLi3EEEvNS_4cuda6detail10TensorInfoIKT_T0_EES8_S8_S8_S8_NS5_IS6_S8_EENS5_IlS8_EE
    .private_segment_fixed_size: 0
    .sgpr_count:     100
    .sgpr_spill_count: 61
    .symbol:         _ZN2at6native12_GLOBAL__N_114gatherKthValueIslLi3EEEvNS_4cuda6detail10TensorInfoIKT_T0_EES8_S8_S8_S8_NS5_IS6_S8_EENS5_IlS8_EE.kd
    .uniform_work_group_size: 1
    .uses_dynamic_stack: false
    .vgpr_count:     54
    .vgpr_spill_count: 0
    .wavefront_size: 64
  - .args:
      - .offset:         0
        .size:           416
        .value_kind:     by_value
      - .offset:         416
        .size:           8
        .value_kind:     by_value
      - .offset:         424
        .size:           8
        .value_kind:     by_value
      - .offset:         432
        .size:           8
        .value_kind:     by_value
      - .offset:         440
        .size:           8
        .value_kind:     by_value
      - .offset:         448
        .size:           416
        .value_kind:     by_value
      - .offset:         864
        .size:           416
        .value_kind:     by_value
      - .offset:         1280
        .size:           4
        .value_kind:     hidden_block_count_x
      - .offset:         1284
        .size:           4
        .value_kind:     hidden_block_count_y
      - .offset:         1288
        .size:           4
        .value_kind:     hidden_block_count_z
      - .offset:         1292
        .size:           2
        .value_kind:     hidden_group_size_x
      - .offset:         1294
        .size:           2
        .value_kind:     hidden_group_size_y
      - .offset:         1296
        .size:           2
        .value_kind:     hidden_group_size_z
      - .offset:         1298
        .size:           2
        .value_kind:     hidden_remainder_x
      - .offset:         1300
        .size:           2
        .value_kind:     hidden_remainder_y
      - .offset:         1302
        .size:           2
        .value_kind:     hidden_remainder_z
      - .offset:         1320
        .size:           8
        .value_kind:     hidden_global_offset_x
      - .offset:         1328
        .size:           8
        .value_kind:     hidden_global_offset_y
      - .offset:         1336
        .size:           8
        .value_kind:     hidden_global_offset_z
      - .offset:         1344
        .size:           2
        .value_kind:     hidden_grid_dims
    .group_segment_fixed_size: 5144
    .kernarg_segment_align: 8
    .kernarg_segment_size: 1536
    .language:       OpenCL C
    .language_version:
      - 2
      - 0
    .max_flat_workgroup_size: 1024
    .name:           _ZN2at6native12_GLOBAL__N_114gatherKthValueIslLin1EEEvNS_4cuda6detail10TensorInfoIKT_T0_EES8_S8_S8_S8_NS5_IS6_S8_EENS5_IlS8_EE
    .private_segment_fixed_size: 0
    .sgpr_count:     100
    .sgpr_spill_count: 41
    .symbol:         _ZN2at6native12_GLOBAL__N_114gatherKthValueIslLin1EEEvNS_4cuda6detail10TensorInfoIKT_T0_EES8_S8_S8_S8_NS5_IS6_S8_EENS5_IlS8_EE.kd
    .uniform_work_group_size: 1
    .uses_dynamic_stack: false
    .vgpr_count:     61
    .vgpr_spill_count: 0
    .wavefront_size: 64
  - .args:
      - .offset:         0
        .size:           216
        .value_kind:     by_value
      - .offset:         216
        .size:           4
        .value_kind:     by_value
      - .offset:         220
        .size:           4
        .value_kind:     by_value
      - .offset:         224
        .size:           4
        .value_kind:     by_value
      - .offset:         228
        .size:           4
        .value_kind:     by_value
      - .offset:         232
        .size:           216
        .value_kind:     by_value
      - .offset:         448
        .size:           216
        .value_kind:     by_value
      - .offset:         664
        .size:           4
        .value_kind:     hidden_block_count_x
      - .offset:         668
        .size:           4
        .value_kind:     hidden_block_count_y
      - .offset:         672
        .size:           4
        .value_kind:     hidden_block_count_z
      - .offset:         676
        .size:           2
        .value_kind:     hidden_group_size_x
      - .offset:         678
        .size:           2
        .value_kind:     hidden_group_size_y
      - .offset:         680
        .size:           2
        .value_kind:     hidden_group_size_z
      - .offset:         682
        .size:           2
        .value_kind:     hidden_remainder_x
      - .offset:         684
        .size:           2
        .value_kind:     hidden_remainder_y
      - .offset:         686
        .size:           2
        .value_kind:     hidden_remainder_z
      - .offset:         704
        .size:           8
        .value_kind:     hidden_global_offset_x
      - .offset:         712
        .size:           8
        .value_kind:     hidden_global_offset_y
      - .offset:         720
        .size:           8
        .value_kind:     hidden_global_offset_z
      - .offset:         728
        .size:           2
        .value_kind:     hidden_grid_dims
    .group_segment_fixed_size: 4112
    .kernarg_segment_align: 8
    .kernarg_segment_size: 920
    .language:       OpenCL C
    .language_version:
      - 2
      - 0
    .max_flat_workgroup_size: 1024
    .name:           _ZN2at6native12_GLOBAL__N_114gatherKthValueIdiLi1EEEvNS_4cuda6detail10TensorInfoIKT_T0_EES8_S8_S8_S8_NS5_IS6_S8_EENS5_IlS8_EE
    .private_segment_fixed_size: 0
    .sgpr_count:     100
    .sgpr_spill_count: 21
    .symbol:         _ZN2at6native12_GLOBAL__N_114gatherKthValueIdiLi1EEEvNS_4cuda6detail10TensorInfoIKT_T0_EES8_S8_S8_S8_NS5_IS6_S8_EENS5_IlS8_EE.kd
    .uniform_work_group_size: 1
    .uses_dynamic_stack: false
    .vgpr_count:     48
    .vgpr_spill_count: 0
    .wavefront_size: 64
  - .args:
      - .offset:         0
        .size:           216
        .value_kind:     by_value
      - .offset:         216
        .size:           4
        .value_kind:     by_value
      - .offset:         220
        .size:           4
        .value_kind:     by_value
      - .offset:         224
        .size:           4
        .value_kind:     by_value
      - .offset:         228
        .size:           4
        .value_kind:     by_value
      - .offset:         232
        .size:           216
        .value_kind:     by_value
      - .offset:         448
        .size:           216
        .value_kind:     by_value
      - .offset:         664
        .size:           4
        .value_kind:     hidden_block_count_x
      - .offset:         668
        .size:           4
        .value_kind:     hidden_block_count_y
      - .offset:         672
        .size:           4
        .value_kind:     hidden_block_count_z
      - .offset:         676
        .size:           2
        .value_kind:     hidden_group_size_x
      - .offset:         678
        .size:           2
        .value_kind:     hidden_group_size_y
      - .offset:         680
        .size:           2
        .value_kind:     hidden_group_size_z
      - .offset:         682
        .size:           2
        .value_kind:     hidden_remainder_x
      - .offset:         684
        .size:           2
        .value_kind:     hidden_remainder_y
      - .offset:         686
        .size:           2
        .value_kind:     hidden_remainder_z
      - .offset:         704
        .size:           8
        .value_kind:     hidden_global_offset_x
      - .offset:         712
        .size:           8
        .value_kind:     hidden_global_offset_y
      - .offset:         720
        .size:           8
        .value_kind:     hidden_global_offset_z
      - .offset:         728
        .size:           2
        .value_kind:     hidden_grid_dims
    .group_segment_fixed_size: 4112
    .kernarg_segment_align: 8
    .kernarg_segment_size: 920
    .language:       OpenCL C
    .language_version:
      - 2
      - 0
    .max_flat_workgroup_size: 1024
    .name:           _ZN2at6native12_GLOBAL__N_114gatherKthValueIdiLi2EEEvNS_4cuda6detail10TensorInfoIKT_T0_EES8_S8_S8_S8_NS5_IS6_S8_EENS5_IlS8_EE
    .private_segment_fixed_size: 0
    .sgpr_count:     100
    .sgpr_spill_count: 31
    .symbol:         _ZN2at6native12_GLOBAL__N_114gatherKthValueIdiLi2EEEvNS_4cuda6detail10TensorInfoIKT_T0_EES8_S8_S8_S8_NS5_IS6_S8_EENS5_IlS8_EE.kd
    .uniform_work_group_size: 1
    .uses_dynamic_stack: false
    .vgpr_count:     48
    .vgpr_spill_count: 0
    .wavefront_size: 64
  - .args:
      - .offset:         0
        .size:           216
        .value_kind:     by_value
      - .offset:         216
        .size:           4
        .value_kind:     by_value
      - .offset:         220
        .size:           4
        .value_kind:     by_value
      - .offset:         224
        .size:           4
        .value_kind:     by_value
      - .offset:         228
        .size:           4
        .value_kind:     by_value
      - .offset:         232
        .size:           216
        .value_kind:     by_value
      - .offset:         448
        .size:           216
        .value_kind:     by_value
      - .offset:         664
        .size:           4
        .value_kind:     hidden_block_count_x
      - .offset:         668
        .size:           4
        .value_kind:     hidden_block_count_y
      - .offset:         672
        .size:           4
        .value_kind:     hidden_block_count_z
      - .offset:         676
        .size:           2
        .value_kind:     hidden_group_size_x
      - .offset:         678
        .size:           2
        .value_kind:     hidden_group_size_y
      - .offset:         680
        .size:           2
        .value_kind:     hidden_group_size_z
      - .offset:         682
        .size:           2
        .value_kind:     hidden_remainder_x
      - .offset:         684
        .size:           2
        .value_kind:     hidden_remainder_y
      - .offset:         686
        .size:           2
        .value_kind:     hidden_remainder_z
      - .offset:         704
        .size:           8
        .value_kind:     hidden_global_offset_x
      - .offset:         712
        .size:           8
        .value_kind:     hidden_global_offset_y
      - .offset:         720
        .size:           8
        .value_kind:     hidden_global_offset_z
      - .offset:         728
        .size:           2
        .value_kind:     hidden_grid_dims
    .group_segment_fixed_size: 4112
    .kernarg_segment_align: 8
    .kernarg_segment_size: 920
    .language:       OpenCL C
    .language_version:
      - 2
      - 0
    .max_flat_workgroup_size: 1024
    .name:           _ZN2at6native12_GLOBAL__N_114gatherKthValueIdiLi3EEEvNS_4cuda6detail10TensorInfoIKT_T0_EES8_S8_S8_S8_NS5_IS6_S8_EENS5_IlS8_EE
    .private_segment_fixed_size: 0
    .sgpr_count:     100
    .sgpr_spill_count: 41
    .symbol:         _ZN2at6native12_GLOBAL__N_114gatherKthValueIdiLi3EEEvNS_4cuda6detail10TensorInfoIKT_T0_EES8_S8_S8_S8_NS5_IS6_S8_EENS5_IlS8_EE.kd
    .uniform_work_group_size: 1
    .uses_dynamic_stack: false
    .vgpr_count:     48
    .vgpr_spill_count: 0
    .wavefront_size: 64
  - .args:
      - .offset:         0
        .size:           216
        .value_kind:     by_value
      - .offset:         216
        .size:           4
        .value_kind:     by_value
      - .offset:         220
        .size:           4
        .value_kind:     by_value
      - .offset:         224
        .size:           4
        .value_kind:     by_value
      - .offset:         228
        .size:           4
        .value_kind:     by_value
      - .offset:         232
        .size:           216
        .value_kind:     by_value
      - .offset:         448
        .size:           216
        .value_kind:     by_value
      - .offset:         664
        .size:           4
        .value_kind:     hidden_block_count_x
      - .offset:         668
        .size:           4
        .value_kind:     hidden_block_count_y
      - .offset:         672
        .size:           4
        .value_kind:     hidden_block_count_z
      - .offset:         676
        .size:           2
        .value_kind:     hidden_group_size_x
      - .offset:         678
        .size:           2
        .value_kind:     hidden_group_size_y
      - .offset:         680
        .size:           2
        .value_kind:     hidden_group_size_z
      - .offset:         682
        .size:           2
        .value_kind:     hidden_remainder_x
      - .offset:         684
        .size:           2
        .value_kind:     hidden_remainder_y
      - .offset:         686
        .size:           2
        .value_kind:     hidden_remainder_z
      - .offset:         704
        .size:           8
        .value_kind:     hidden_global_offset_x
      - .offset:         712
        .size:           8
        .value_kind:     hidden_global_offset_y
      - .offset:         720
        .size:           8
        .value_kind:     hidden_global_offset_z
      - .offset:         728
        .size:           2
        .value_kind:     hidden_grid_dims
    .group_segment_fixed_size: 4112
    .kernarg_segment_align: 8
    .kernarg_segment_size: 920
    .language:       OpenCL C
    .language_version:
      - 2
      - 0
    .max_flat_workgroup_size: 1024
    .name:           _ZN2at6native12_GLOBAL__N_114gatherKthValueIdiLin1EEEvNS_4cuda6detail10TensorInfoIKT_T0_EES8_S8_S8_S8_NS5_IS6_S8_EENS5_IlS8_EE
    .private_segment_fixed_size: 0
    .sgpr_count:     100
    .sgpr_spill_count: 23
    .symbol:         _ZN2at6native12_GLOBAL__N_114gatherKthValueIdiLin1EEEvNS_4cuda6detail10TensorInfoIKT_T0_EES8_S8_S8_S8_NS5_IS6_S8_EENS5_IlS8_EE.kd
    .uniform_work_group_size: 1
    .uses_dynamic_stack: false
    .vgpr_count:     48
    .vgpr_spill_count: 0
    .wavefront_size: 64
  - .args:
      - .offset:         0
        .size:           416
        .value_kind:     by_value
      - .offset:         416
        .size:           8
        .value_kind:     by_value
      - .offset:         424
        .size:           8
        .value_kind:     by_value
      - .offset:         432
        .size:           8
        .value_kind:     by_value
      - .offset:         440
        .size:           8
        .value_kind:     by_value
      - .offset:         448
        .size:           416
        .value_kind:     by_value
      - .offset:         864
        .size:           416
        .value_kind:     by_value
      - .offset:         1280
        .size:           4
        .value_kind:     hidden_block_count_x
      - .offset:         1284
        .size:           4
        .value_kind:     hidden_block_count_y
      - .offset:         1288
        .size:           4
        .value_kind:     hidden_block_count_z
      - .offset:         1292
        .size:           2
        .value_kind:     hidden_group_size_x
      - .offset:         1294
        .size:           2
        .value_kind:     hidden_group_size_y
      - .offset:         1296
        .size:           2
        .value_kind:     hidden_group_size_z
      - .offset:         1298
        .size:           2
        .value_kind:     hidden_remainder_x
      - .offset:         1300
        .size:           2
        .value_kind:     hidden_remainder_y
      - .offset:         1302
        .size:           2
        .value_kind:     hidden_remainder_z
      - .offset:         1320
        .size:           8
        .value_kind:     hidden_global_offset_x
      - .offset:         1328
        .size:           8
        .value_kind:     hidden_global_offset_y
      - .offset:         1336
        .size:           8
        .value_kind:     hidden_global_offset_z
      - .offset:         1344
        .size:           2
        .value_kind:     hidden_grid_dims
    .group_segment_fixed_size: 5144
    .kernarg_segment_align: 8
    .kernarg_segment_size: 1536
    .language:       OpenCL C
    .language_version:
      - 2
      - 0
    .max_flat_workgroup_size: 1024
    .name:           _ZN2at6native12_GLOBAL__N_114gatherKthValueIdlLi1EEEvNS_4cuda6detail10TensorInfoIKT_T0_EES8_S8_S8_S8_NS5_IS6_S8_EENS5_IlS8_EE
    .private_segment_fixed_size: 0
    .sgpr_count:     100
    .sgpr_spill_count: 25
    .symbol:         _ZN2at6native12_GLOBAL__N_114gatherKthValueIdlLi1EEEvNS_4cuda6detail10TensorInfoIKT_T0_EES8_S8_S8_S8_NS5_IS6_S8_EENS5_IlS8_EE.kd
    .uniform_work_group_size: 1
    .uses_dynamic_stack: false
    .vgpr_count:     58
    .vgpr_spill_count: 0
    .wavefront_size: 64
  - .args:
      - .offset:         0
        .size:           416
        .value_kind:     by_value
      - .offset:         416
        .size:           8
        .value_kind:     by_value
      - .offset:         424
        .size:           8
        .value_kind:     by_value
      - .offset:         432
        .size:           8
        .value_kind:     by_value
      - .offset:         440
        .size:           8
        .value_kind:     by_value
      - .offset:         448
        .size:           416
        .value_kind:     by_value
      - .offset:         864
        .size:           416
        .value_kind:     by_value
      - .offset:         1280
        .size:           4
        .value_kind:     hidden_block_count_x
      - .offset:         1284
        .size:           4
        .value_kind:     hidden_block_count_y
      - .offset:         1288
        .size:           4
        .value_kind:     hidden_block_count_z
      - .offset:         1292
        .size:           2
        .value_kind:     hidden_group_size_x
      - .offset:         1294
        .size:           2
        .value_kind:     hidden_group_size_y
      - .offset:         1296
        .size:           2
        .value_kind:     hidden_group_size_z
      - .offset:         1298
        .size:           2
        .value_kind:     hidden_remainder_x
      - .offset:         1300
        .size:           2
        .value_kind:     hidden_remainder_y
      - .offset:         1302
        .size:           2
        .value_kind:     hidden_remainder_z
      - .offset:         1320
        .size:           8
        .value_kind:     hidden_global_offset_x
      - .offset:         1328
        .size:           8
        .value_kind:     hidden_global_offset_y
      - .offset:         1336
        .size:           8
        .value_kind:     hidden_global_offset_z
      - .offset:         1344
        .size:           2
        .value_kind:     hidden_grid_dims
    .group_segment_fixed_size: 5144
    .kernarg_segment_align: 8
    .kernarg_segment_size: 1536
    .language:       OpenCL C
    .language_version:
      - 2
      - 0
    .max_flat_workgroup_size: 1024
    .name:           _ZN2at6native12_GLOBAL__N_114gatherKthValueIdlLi2EEEvNS_4cuda6detail10TensorInfoIKT_T0_EES8_S8_S8_S8_NS5_IS6_S8_EENS5_IlS8_EE
    .private_segment_fixed_size: 0
    .sgpr_count:     100
    .sgpr_spill_count: 44
    .symbol:         _ZN2at6native12_GLOBAL__N_114gatherKthValueIdlLi2EEEvNS_4cuda6detail10TensorInfoIKT_T0_EES8_S8_S8_S8_NS5_IS6_S8_EENS5_IlS8_EE.kd
    .uniform_work_group_size: 1
    .uses_dynamic_stack: false
    .vgpr_count:     60
    .vgpr_spill_count: 0
    .wavefront_size: 64
  - .args:
      - .offset:         0
        .size:           416
        .value_kind:     by_value
      - .offset:         416
        .size:           8
        .value_kind:     by_value
      - .offset:         424
        .size:           8
        .value_kind:     by_value
      - .offset:         432
        .size:           8
        .value_kind:     by_value
      - .offset:         440
        .size:           8
        .value_kind:     by_value
      - .offset:         448
        .size:           416
        .value_kind:     by_value
      - .offset:         864
        .size:           416
        .value_kind:     by_value
      - .offset:         1280
        .size:           4
        .value_kind:     hidden_block_count_x
      - .offset:         1284
        .size:           4
        .value_kind:     hidden_block_count_y
      - .offset:         1288
        .size:           4
        .value_kind:     hidden_block_count_z
      - .offset:         1292
        .size:           2
        .value_kind:     hidden_group_size_x
      - .offset:         1294
        .size:           2
        .value_kind:     hidden_group_size_y
      - .offset:         1296
        .size:           2
        .value_kind:     hidden_group_size_z
      - .offset:         1298
        .size:           2
        .value_kind:     hidden_remainder_x
      - .offset:         1300
        .size:           2
        .value_kind:     hidden_remainder_y
      - .offset:         1302
        .size:           2
        .value_kind:     hidden_remainder_z
      - .offset:         1320
        .size:           8
        .value_kind:     hidden_global_offset_x
      - .offset:         1328
        .size:           8
        .value_kind:     hidden_global_offset_y
      - .offset:         1336
        .size:           8
        .value_kind:     hidden_global_offset_z
      - .offset:         1344
        .size:           2
        .value_kind:     hidden_grid_dims
    .group_segment_fixed_size: 5144
    .kernarg_segment_align: 8
    .kernarg_segment_size: 1536
    .language:       OpenCL C
    .language_version:
      - 2
      - 0
    .max_flat_workgroup_size: 1024
    .name:           _ZN2at6native12_GLOBAL__N_114gatherKthValueIdlLi3EEEvNS_4cuda6detail10TensorInfoIKT_T0_EES8_S8_S8_S8_NS5_IS6_S8_EENS5_IlS8_EE
    .private_segment_fixed_size: 0
    .sgpr_count:     100
    .sgpr_spill_count: 55
    .symbol:         _ZN2at6native12_GLOBAL__N_114gatherKthValueIdlLi3EEEvNS_4cuda6detail10TensorInfoIKT_T0_EES8_S8_S8_S8_NS5_IS6_S8_EENS5_IlS8_EE.kd
    .uniform_work_group_size: 1
    .uses_dynamic_stack: false
    .vgpr_count:     58
    .vgpr_spill_count: 0
    .wavefront_size: 64
  - .args:
      - .offset:         0
        .size:           416
        .value_kind:     by_value
      - .offset:         416
        .size:           8
        .value_kind:     by_value
      - .offset:         424
        .size:           8
        .value_kind:     by_value
      - .offset:         432
        .size:           8
        .value_kind:     by_value
      - .offset:         440
        .size:           8
        .value_kind:     by_value
      - .offset:         448
        .size:           416
        .value_kind:     by_value
      - .offset:         864
        .size:           416
        .value_kind:     by_value
      - .offset:         1280
        .size:           4
        .value_kind:     hidden_block_count_x
      - .offset:         1284
        .size:           4
        .value_kind:     hidden_block_count_y
      - .offset:         1288
        .size:           4
        .value_kind:     hidden_block_count_z
      - .offset:         1292
        .size:           2
        .value_kind:     hidden_group_size_x
      - .offset:         1294
        .size:           2
        .value_kind:     hidden_group_size_y
      - .offset:         1296
        .size:           2
        .value_kind:     hidden_group_size_z
      - .offset:         1298
        .size:           2
        .value_kind:     hidden_remainder_x
      - .offset:         1300
        .size:           2
        .value_kind:     hidden_remainder_y
      - .offset:         1302
        .size:           2
        .value_kind:     hidden_remainder_z
      - .offset:         1320
        .size:           8
        .value_kind:     hidden_global_offset_x
      - .offset:         1328
        .size:           8
        .value_kind:     hidden_global_offset_y
      - .offset:         1336
        .size:           8
        .value_kind:     hidden_global_offset_z
      - .offset:         1344
        .size:           2
        .value_kind:     hidden_grid_dims
    .group_segment_fixed_size: 5144
    .kernarg_segment_align: 8
    .kernarg_segment_size: 1536
    .language:       OpenCL C
    .language_version:
      - 2
      - 0
    .max_flat_workgroup_size: 1024
    .name:           _ZN2at6native12_GLOBAL__N_114gatherKthValueIdlLin1EEEvNS_4cuda6detail10TensorInfoIKT_T0_EES8_S8_S8_S8_NS5_IS6_S8_EENS5_IlS8_EE
    .private_segment_fixed_size: 0
    .sgpr_count:     100
    .sgpr_spill_count: 37
    .symbol:         _ZN2at6native12_GLOBAL__N_114gatherKthValueIdlLin1EEEvNS_4cuda6detail10TensorInfoIKT_T0_EES8_S8_S8_S8_NS5_IS6_S8_EENS5_IlS8_EE.kd
    .uniform_work_group_size: 1
    .uses_dynamic_stack: false
    .vgpr_count:     60
    .vgpr_spill_count: 0
    .wavefront_size: 64
  - .args:
      - .offset:         0
        .size:           216
        .value_kind:     by_value
      - .offset:         216
        .size:           4
        .value_kind:     by_value
      - .offset:         220
        .size:           4
        .value_kind:     by_value
      - .offset:         224
        .size:           4
        .value_kind:     by_value
      - .offset:         228
        .size:           4
        .value_kind:     by_value
      - .offset:         232
        .size:           216
        .value_kind:     by_value
      - .offset:         448
        .size:           216
        .value_kind:     by_value
      - .offset:         664
        .size:           4
        .value_kind:     hidden_block_count_x
      - .offset:         668
        .size:           4
        .value_kind:     hidden_block_count_y
      - .offset:         672
        .size:           4
        .value_kind:     hidden_block_count_z
      - .offset:         676
        .size:           2
        .value_kind:     hidden_group_size_x
      - .offset:         678
        .size:           2
        .value_kind:     hidden_group_size_y
      - .offset:         680
        .size:           2
        .value_kind:     hidden_group_size_z
      - .offset:         682
        .size:           2
        .value_kind:     hidden_remainder_x
      - .offset:         684
        .size:           2
        .value_kind:     hidden_remainder_y
      - .offset:         686
        .size:           2
        .value_kind:     hidden_remainder_z
      - .offset:         704
        .size:           8
        .value_kind:     hidden_global_offset_x
      - .offset:         712
        .size:           8
        .value_kind:     hidden_global_offset_y
      - .offset:         720
        .size:           8
        .value_kind:     hidden_global_offset_z
      - .offset:         728
        .size:           2
        .value_kind:     hidden_grid_dims
    .group_segment_fixed_size: 4112
    .kernarg_segment_align: 8
    .kernarg_segment_size: 920
    .language:       OpenCL C
    .language_version:
      - 2
      - 0
    .max_flat_workgroup_size: 1024
    .name:           _ZN2at6native12_GLOBAL__N_114gatherKthValueIfiLi1EEEvNS_4cuda6detail10TensorInfoIKT_T0_EES8_S8_S8_S8_NS5_IS6_S8_EENS5_IlS8_EE
    .private_segment_fixed_size: 0
    .sgpr_count:     100
    .sgpr_spill_count: 24
    .symbol:         _ZN2at6native12_GLOBAL__N_114gatherKthValueIfiLi1EEEvNS_4cuda6detail10TensorInfoIKT_T0_EES8_S8_S8_S8_NS5_IS6_S8_EENS5_IlS8_EE.kd
    .uniform_work_group_size: 1
    .uses_dynamic_stack: false
    .vgpr_count:     49
    .vgpr_spill_count: 0
    .wavefront_size: 64
  - .args:
      - .offset:         0
        .size:           216
        .value_kind:     by_value
      - .offset:         216
        .size:           4
        .value_kind:     by_value
      - .offset:         220
        .size:           4
        .value_kind:     by_value
      - .offset:         224
        .size:           4
        .value_kind:     by_value
      - .offset:         228
        .size:           4
        .value_kind:     by_value
      - .offset:         232
        .size:           216
        .value_kind:     by_value
      - .offset:         448
        .size:           216
        .value_kind:     by_value
      - .offset:         664
        .size:           4
        .value_kind:     hidden_block_count_x
      - .offset:         668
        .size:           4
        .value_kind:     hidden_block_count_y
      - .offset:         672
        .size:           4
        .value_kind:     hidden_block_count_z
      - .offset:         676
        .size:           2
        .value_kind:     hidden_group_size_x
      - .offset:         678
        .size:           2
        .value_kind:     hidden_group_size_y
      - .offset:         680
        .size:           2
        .value_kind:     hidden_group_size_z
      - .offset:         682
        .size:           2
        .value_kind:     hidden_remainder_x
      - .offset:         684
        .size:           2
        .value_kind:     hidden_remainder_y
      - .offset:         686
        .size:           2
        .value_kind:     hidden_remainder_z
      - .offset:         704
        .size:           8
        .value_kind:     hidden_global_offset_x
      - .offset:         712
        .size:           8
        .value_kind:     hidden_global_offset_y
      - .offset:         720
        .size:           8
        .value_kind:     hidden_global_offset_z
      - .offset:         728
        .size:           2
        .value_kind:     hidden_grid_dims
    .group_segment_fixed_size: 4112
    .kernarg_segment_align: 8
    .kernarg_segment_size: 920
    .language:       OpenCL C
    .language_version:
      - 2
      - 0
    .max_flat_workgroup_size: 1024
    .name:           _ZN2at6native12_GLOBAL__N_114gatherKthValueIfiLi2EEEvNS_4cuda6detail10TensorInfoIKT_T0_EES8_S8_S8_S8_NS5_IS6_S8_EENS5_IlS8_EE
    .private_segment_fixed_size: 0
    .sgpr_count:     100
    .sgpr_spill_count: 36
    .symbol:         _ZN2at6native12_GLOBAL__N_114gatherKthValueIfiLi2EEEvNS_4cuda6detail10TensorInfoIKT_T0_EES8_S8_S8_S8_NS5_IS6_S8_EENS5_IlS8_EE.kd
    .uniform_work_group_size: 1
    .uses_dynamic_stack: false
    .vgpr_count:     49
    .vgpr_spill_count: 0
    .wavefront_size: 64
  - .args:
      - .offset:         0
        .size:           216
        .value_kind:     by_value
      - .offset:         216
        .size:           4
        .value_kind:     by_value
      - .offset:         220
        .size:           4
        .value_kind:     by_value
      - .offset:         224
        .size:           4
        .value_kind:     by_value
      - .offset:         228
        .size:           4
        .value_kind:     by_value
      - .offset:         232
        .size:           216
        .value_kind:     by_value
      - .offset:         448
        .size:           216
        .value_kind:     by_value
      - .offset:         664
        .size:           4
        .value_kind:     hidden_block_count_x
      - .offset:         668
        .size:           4
        .value_kind:     hidden_block_count_y
      - .offset:         672
        .size:           4
        .value_kind:     hidden_block_count_z
      - .offset:         676
        .size:           2
        .value_kind:     hidden_group_size_x
      - .offset:         678
        .size:           2
        .value_kind:     hidden_group_size_y
      - .offset:         680
        .size:           2
        .value_kind:     hidden_group_size_z
      - .offset:         682
        .size:           2
        .value_kind:     hidden_remainder_x
      - .offset:         684
        .size:           2
        .value_kind:     hidden_remainder_y
      - .offset:         686
        .size:           2
        .value_kind:     hidden_remainder_z
      - .offset:         704
        .size:           8
        .value_kind:     hidden_global_offset_x
      - .offset:         712
        .size:           8
        .value_kind:     hidden_global_offset_y
      - .offset:         720
        .size:           8
        .value_kind:     hidden_global_offset_z
      - .offset:         728
        .size:           2
        .value_kind:     hidden_grid_dims
    .group_segment_fixed_size: 4112
    .kernarg_segment_align: 8
    .kernarg_segment_size: 920
    .language:       OpenCL C
    .language_version:
      - 2
      - 0
    .max_flat_workgroup_size: 1024
    .name:           _ZN2at6native12_GLOBAL__N_114gatherKthValueIfiLi3EEEvNS_4cuda6detail10TensorInfoIKT_T0_EES8_S8_S8_S8_NS5_IS6_S8_EENS5_IlS8_EE
    .private_segment_fixed_size: 0
    .sgpr_count:     100
    .sgpr_spill_count: 46
    .symbol:         _ZN2at6native12_GLOBAL__N_114gatherKthValueIfiLi3EEEvNS_4cuda6detail10TensorInfoIKT_T0_EES8_S8_S8_S8_NS5_IS6_S8_EENS5_IlS8_EE.kd
    .uniform_work_group_size: 1
    .uses_dynamic_stack: false
    .vgpr_count:     49
    .vgpr_spill_count: 0
    .wavefront_size: 64
  - .args:
      - .offset:         0
        .size:           216
        .value_kind:     by_value
      - .offset:         216
        .size:           4
        .value_kind:     by_value
      - .offset:         220
        .size:           4
        .value_kind:     by_value
      - .offset:         224
        .size:           4
        .value_kind:     by_value
      - .offset:         228
        .size:           4
        .value_kind:     by_value
      - .offset:         232
        .size:           216
        .value_kind:     by_value
      - .offset:         448
        .size:           216
        .value_kind:     by_value
      - .offset:         664
        .size:           4
        .value_kind:     hidden_block_count_x
      - .offset:         668
        .size:           4
        .value_kind:     hidden_block_count_y
      - .offset:         672
        .size:           4
        .value_kind:     hidden_block_count_z
      - .offset:         676
        .size:           2
        .value_kind:     hidden_group_size_x
      - .offset:         678
        .size:           2
        .value_kind:     hidden_group_size_y
      - .offset:         680
        .size:           2
        .value_kind:     hidden_group_size_z
      - .offset:         682
        .size:           2
        .value_kind:     hidden_remainder_x
      - .offset:         684
        .size:           2
        .value_kind:     hidden_remainder_y
      - .offset:         686
        .size:           2
        .value_kind:     hidden_remainder_z
      - .offset:         704
        .size:           8
        .value_kind:     hidden_global_offset_x
      - .offset:         712
        .size:           8
        .value_kind:     hidden_global_offset_y
      - .offset:         720
        .size:           8
        .value_kind:     hidden_global_offset_z
      - .offset:         728
        .size:           2
        .value_kind:     hidden_grid_dims
    .group_segment_fixed_size: 4112
    .kernarg_segment_align: 8
    .kernarg_segment_size: 920
    .language:       OpenCL C
    .language_version:
      - 2
      - 0
    .max_flat_workgroup_size: 1024
    .name:           _ZN2at6native12_GLOBAL__N_114gatherKthValueIfiLin1EEEvNS_4cuda6detail10TensorInfoIKT_T0_EES8_S8_S8_S8_NS5_IS6_S8_EENS5_IlS8_EE
    .private_segment_fixed_size: 0
    .sgpr_count:     100
    .sgpr_spill_count: 26
    .symbol:         _ZN2at6native12_GLOBAL__N_114gatherKthValueIfiLin1EEEvNS_4cuda6detail10TensorInfoIKT_T0_EES8_S8_S8_S8_NS5_IS6_S8_EENS5_IlS8_EE.kd
    .uniform_work_group_size: 1
    .uses_dynamic_stack: false
    .vgpr_count:     49
    .vgpr_spill_count: 0
    .wavefront_size: 64
  - .args:
      - .offset:         0
        .size:           416
        .value_kind:     by_value
      - .offset:         416
        .size:           8
        .value_kind:     by_value
      - .offset:         424
        .size:           8
        .value_kind:     by_value
      - .offset:         432
        .size:           8
        .value_kind:     by_value
      - .offset:         440
        .size:           8
        .value_kind:     by_value
      - .offset:         448
        .size:           416
        .value_kind:     by_value
      - .offset:         864
        .size:           416
        .value_kind:     by_value
      - .offset:         1280
        .size:           4
        .value_kind:     hidden_block_count_x
      - .offset:         1284
        .size:           4
        .value_kind:     hidden_block_count_y
      - .offset:         1288
        .size:           4
        .value_kind:     hidden_block_count_z
      - .offset:         1292
        .size:           2
        .value_kind:     hidden_group_size_x
      - .offset:         1294
        .size:           2
        .value_kind:     hidden_group_size_y
      - .offset:         1296
        .size:           2
        .value_kind:     hidden_group_size_z
      - .offset:         1298
        .size:           2
        .value_kind:     hidden_remainder_x
      - .offset:         1300
        .size:           2
        .value_kind:     hidden_remainder_y
      - .offset:         1302
        .size:           2
        .value_kind:     hidden_remainder_z
      - .offset:         1320
        .size:           8
        .value_kind:     hidden_global_offset_x
      - .offset:         1328
        .size:           8
        .value_kind:     hidden_global_offset_y
      - .offset:         1336
        .size:           8
        .value_kind:     hidden_global_offset_z
      - .offset:         1344
        .size:           2
        .value_kind:     hidden_grid_dims
    .group_segment_fixed_size: 5144
    .kernarg_segment_align: 8
    .kernarg_segment_size: 1536
    .language:       OpenCL C
    .language_version:
      - 2
      - 0
    .max_flat_workgroup_size: 1024
    .name:           _ZN2at6native12_GLOBAL__N_114gatherKthValueIflLi1EEEvNS_4cuda6detail10TensorInfoIKT_T0_EES8_S8_S8_S8_NS5_IS6_S8_EENS5_IlS8_EE
    .private_segment_fixed_size: 0
    .sgpr_count:     100
    .sgpr_spill_count: 37
    .symbol:         _ZN2at6native12_GLOBAL__N_114gatherKthValueIflLi1EEEvNS_4cuda6detail10TensorInfoIKT_T0_EES8_S8_S8_S8_NS5_IS6_S8_EENS5_IlS8_EE.kd
    .uniform_work_group_size: 1
    .uses_dynamic_stack: false
    .vgpr_count:     55
    .vgpr_spill_count: 0
    .wavefront_size: 64
  - .args:
      - .offset:         0
        .size:           416
        .value_kind:     by_value
      - .offset:         416
        .size:           8
        .value_kind:     by_value
      - .offset:         424
        .size:           8
        .value_kind:     by_value
      - .offset:         432
        .size:           8
        .value_kind:     by_value
      - .offset:         440
        .size:           8
        .value_kind:     by_value
      - .offset:         448
        .size:           416
        .value_kind:     by_value
      - .offset:         864
        .size:           416
        .value_kind:     by_value
      - .offset:         1280
        .size:           4
        .value_kind:     hidden_block_count_x
      - .offset:         1284
        .size:           4
        .value_kind:     hidden_block_count_y
      - .offset:         1288
        .size:           4
        .value_kind:     hidden_block_count_z
      - .offset:         1292
        .size:           2
        .value_kind:     hidden_group_size_x
      - .offset:         1294
        .size:           2
        .value_kind:     hidden_group_size_y
      - .offset:         1296
        .size:           2
        .value_kind:     hidden_group_size_z
      - .offset:         1298
        .size:           2
        .value_kind:     hidden_remainder_x
      - .offset:         1300
        .size:           2
        .value_kind:     hidden_remainder_y
      - .offset:         1302
        .size:           2
        .value_kind:     hidden_remainder_z
      - .offset:         1320
        .size:           8
        .value_kind:     hidden_global_offset_x
      - .offset:         1328
        .size:           8
        .value_kind:     hidden_global_offset_y
      - .offset:         1336
        .size:           8
        .value_kind:     hidden_global_offset_z
      - .offset:         1344
        .size:           2
        .value_kind:     hidden_grid_dims
    .group_segment_fixed_size: 5144
    .kernarg_segment_align: 8
    .kernarg_segment_size: 1536
    .language:       OpenCL C
    .language_version:
      - 2
      - 0
    .max_flat_workgroup_size: 1024
    .name:           _ZN2at6native12_GLOBAL__N_114gatherKthValueIflLi2EEEvNS_4cuda6detail10TensorInfoIKT_T0_EES8_S8_S8_S8_NS5_IS6_S8_EENS5_IlS8_EE
    .private_segment_fixed_size: 0
    .sgpr_count:     100
    .sgpr_spill_count: 51
    .symbol:         _ZN2at6native12_GLOBAL__N_114gatherKthValueIflLi2EEEvNS_4cuda6detail10TensorInfoIKT_T0_EES8_S8_S8_S8_NS5_IS6_S8_EENS5_IlS8_EE.kd
    .uniform_work_group_size: 1
    .uses_dynamic_stack: false
    .vgpr_count:     57
    .vgpr_spill_count: 0
    .wavefront_size: 64
  - .args:
      - .offset:         0
        .size:           416
        .value_kind:     by_value
      - .offset:         416
        .size:           8
        .value_kind:     by_value
      - .offset:         424
        .size:           8
        .value_kind:     by_value
      - .offset:         432
        .size:           8
        .value_kind:     by_value
      - .offset:         440
        .size:           8
        .value_kind:     by_value
      - .offset:         448
        .size:           416
        .value_kind:     by_value
      - .offset:         864
        .size:           416
        .value_kind:     by_value
      - .offset:         1280
        .size:           4
        .value_kind:     hidden_block_count_x
      - .offset:         1284
        .size:           4
        .value_kind:     hidden_block_count_y
      - .offset:         1288
        .size:           4
        .value_kind:     hidden_block_count_z
      - .offset:         1292
        .size:           2
        .value_kind:     hidden_group_size_x
      - .offset:         1294
        .size:           2
        .value_kind:     hidden_group_size_y
      - .offset:         1296
        .size:           2
        .value_kind:     hidden_group_size_z
      - .offset:         1298
        .size:           2
        .value_kind:     hidden_remainder_x
      - .offset:         1300
        .size:           2
        .value_kind:     hidden_remainder_y
      - .offset:         1302
        .size:           2
        .value_kind:     hidden_remainder_z
      - .offset:         1320
        .size:           8
        .value_kind:     hidden_global_offset_x
      - .offset:         1328
        .size:           8
        .value_kind:     hidden_global_offset_y
      - .offset:         1336
        .size:           8
        .value_kind:     hidden_global_offset_z
      - .offset:         1344
        .size:           2
        .value_kind:     hidden_grid_dims
    .group_segment_fixed_size: 5144
    .kernarg_segment_align: 8
    .kernarg_segment_size: 1536
    .language:       OpenCL C
    .language_version:
      - 2
      - 0
    .max_flat_workgroup_size: 1024
    .name:           _ZN2at6native12_GLOBAL__N_114gatherKthValueIflLi3EEEvNS_4cuda6detail10TensorInfoIKT_T0_EES8_S8_S8_S8_NS5_IS6_S8_EENS5_IlS8_EE
    .private_segment_fixed_size: 0
    .sgpr_count:     100
    .sgpr_spill_count: 63
    .symbol:         _ZN2at6native12_GLOBAL__N_114gatherKthValueIflLi3EEEvNS_4cuda6detail10TensorInfoIKT_T0_EES8_S8_S8_S8_NS5_IS6_S8_EENS5_IlS8_EE.kd
    .uniform_work_group_size: 1
    .uses_dynamic_stack: false
    .vgpr_count:     51
    .vgpr_spill_count: 0
    .wavefront_size: 64
  - .args:
      - .offset:         0
        .size:           416
        .value_kind:     by_value
      - .offset:         416
        .size:           8
        .value_kind:     by_value
      - .offset:         424
        .size:           8
        .value_kind:     by_value
      - .offset:         432
        .size:           8
        .value_kind:     by_value
      - .offset:         440
        .size:           8
        .value_kind:     by_value
      - .offset:         448
        .size:           416
        .value_kind:     by_value
      - .offset:         864
        .size:           416
        .value_kind:     by_value
      - .offset:         1280
        .size:           4
        .value_kind:     hidden_block_count_x
      - .offset:         1284
        .size:           4
        .value_kind:     hidden_block_count_y
      - .offset:         1288
        .size:           4
        .value_kind:     hidden_block_count_z
      - .offset:         1292
        .size:           2
        .value_kind:     hidden_group_size_x
      - .offset:         1294
        .size:           2
        .value_kind:     hidden_group_size_y
      - .offset:         1296
        .size:           2
        .value_kind:     hidden_group_size_z
      - .offset:         1298
        .size:           2
        .value_kind:     hidden_remainder_x
      - .offset:         1300
        .size:           2
        .value_kind:     hidden_remainder_y
      - .offset:         1302
        .size:           2
        .value_kind:     hidden_remainder_z
      - .offset:         1320
        .size:           8
        .value_kind:     hidden_global_offset_x
      - .offset:         1328
        .size:           8
        .value_kind:     hidden_global_offset_y
      - .offset:         1336
        .size:           8
        .value_kind:     hidden_global_offset_z
      - .offset:         1344
        .size:           2
        .value_kind:     hidden_grid_dims
    .group_segment_fixed_size: 5144
    .kernarg_segment_align: 8
    .kernarg_segment_size: 1536
    .language:       OpenCL C
    .language_version:
      - 2
      - 0
    .max_flat_workgroup_size: 1024
    .name:           _ZN2at6native12_GLOBAL__N_114gatherKthValueIflLin1EEEvNS_4cuda6detail10TensorInfoIKT_T0_EES8_S8_S8_S8_NS5_IS6_S8_EENS5_IlS8_EE
    .private_segment_fixed_size: 0
    .sgpr_count:     100
    .sgpr_spill_count: 42
    .symbol:         _ZN2at6native12_GLOBAL__N_114gatherKthValueIflLin1EEEvNS_4cuda6detail10TensorInfoIKT_T0_EES8_S8_S8_S8_NS5_IS6_S8_EENS5_IlS8_EE.kd
    .uniform_work_group_size: 1
    .uses_dynamic_stack: false
    .vgpr_count:     59
    .vgpr_spill_count: 0
    .wavefront_size: 64
  - .args:
      - .offset:         0
        .size:           216
        .value_kind:     by_value
      - .offset:         216
        .size:           4
        .value_kind:     by_value
      - .offset:         220
        .size:           4
        .value_kind:     by_value
      - .offset:         224
        .size:           4
        .value_kind:     by_value
      - .offset:         228
        .size:           4
        .value_kind:     by_value
      - .offset:         232
        .size:           216
        .value_kind:     by_value
      - .offset:         448
        .size:           216
        .value_kind:     by_value
      - .offset:         664
        .size:           4
        .value_kind:     hidden_block_count_x
      - .offset:         668
        .size:           4
        .value_kind:     hidden_block_count_y
      - .offset:         672
        .size:           4
        .value_kind:     hidden_block_count_z
      - .offset:         676
        .size:           2
        .value_kind:     hidden_group_size_x
      - .offset:         678
        .size:           2
        .value_kind:     hidden_group_size_y
      - .offset:         680
        .size:           2
        .value_kind:     hidden_group_size_z
      - .offset:         682
        .size:           2
        .value_kind:     hidden_remainder_x
      - .offset:         684
        .size:           2
        .value_kind:     hidden_remainder_y
      - .offset:         686
        .size:           2
        .value_kind:     hidden_remainder_z
      - .offset:         704
        .size:           8
        .value_kind:     hidden_global_offset_x
      - .offset:         712
        .size:           8
        .value_kind:     hidden_global_offset_y
      - .offset:         720
        .size:           8
        .value_kind:     hidden_global_offset_z
      - .offset:         728
        .size:           2
        .value_kind:     hidden_grid_dims
    .group_segment_fixed_size: 4112
    .kernarg_segment_align: 8
    .kernarg_segment_size: 920
    .language:       OpenCL C
    .language_version:
      - 2
      - 0
    .max_flat_workgroup_size: 1024
    .name:           _ZN2at6native12_GLOBAL__N_114gatherKthValueIN3c104HalfEiLi1EEEvNS_4cuda6detail10TensorInfoIKT_T0_EESA_SA_SA_SA_NS7_IS8_SA_EENS7_IlSA_EE
    .private_segment_fixed_size: 0
    .sgpr_count:     100
    .sgpr_spill_count: 19
    .symbol:         _ZN2at6native12_GLOBAL__N_114gatherKthValueIN3c104HalfEiLi1EEEvNS_4cuda6detail10TensorInfoIKT_T0_EESA_SA_SA_SA_NS7_IS8_SA_EENS7_IlSA_EE.kd
    .uniform_work_group_size: 1
    .uses_dynamic_stack: false
    .vgpr_count:     45
    .vgpr_spill_count: 0
    .wavefront_size: 64
  - .args:
      - .offset:         0
        .size:           216
        .value_kind:     by_value
      - .offset:         216
        .size:           4
        .value_kind:     by_value
      - .offset:         220
        .size:           4
        .value_kind:     by_value
      - .offset:         224
        .size:           4
        .value_kind:     by_value
      - .offset:         228
        .size:           4
        .value_kind:     by_value
      - .offset:         232
        .size:           216
        .value_kind:     by_value
      - .offset:         448
        .size:           216
        .value_kind:     by_value
      - .offset:         664
        .size:           4
        .value_kind:     hidden_block_count_x
      - .offset:         668
        .size:           4
        .value_kind:     hidden_block_count_y
      - .offset:         672
        .size:           4
        .value_kind:     hidden_block_count_z
      - .offset:         676
        .size:           2
        .value_kind:     hidden_group_size_x
      - .offset:         678
        .size:           2
        .value_kind:     hidden_group_size_y
      - .offset:         680
        .size:           2
        .value_kind:     hidden_group_size_z
      - .offset:         682
        .size:           2
        .value_kind:     hidden_remainder_x
      - .offset:         684
        .size:           2
        .value_kind:     hidden_remainder_y
      - .offset:         686
        .size:           2
        .value_kind:     hidden_remainder_z
      - .offset:         704
        .size:           8
        .value_kind:     hidden_global_offset_x
      - .offset:         712
        .size:           8
        .value_kind:     hidden_global_offset_y
      - .offset:         720
        .size:           8
        .value_kind:     hidden_global_offset_z
      - .offset:         728
        .size:           2
        .value_kind:     hidden_grid_dims
    .group_segment_fixed_size: 4112
    .kernarg_segment_align: 8
    .kernarg_segment_size: 920
    .language:       OpenCL C
    .language_version:
      - 2
      - 0
    .max_flat_workgroup_size: 1024
    .name:           _ZN2at6native12_GLOBAL__N_114gatherKthValueIN3c104HalfEiLi2EEEvNS_4cuda6detail10TensorInfoIKT_T0_EESA_SA_SA_SA_NS7_IS8_SA_EENS7_IlSA_EE
    .private_segment_fixed_size: 0
    .sgpr_count:     100
    .sgpr_spill_count: 30
    .symbol:         _ZN2at6native12_GLOBAL__N_114gatherKthValueIN3c104HalfEiLi2EEEvNS_4cuda6detail10TensorInfoIKT_T0_EESA_SA_SA_SA_NS7_IS8_SA_EENS7_IlSA_EE.kd
    .uniform_work_group_size: 1
    .uses_dynamic_stack: false
    .vgpr_count:     45
    .vgpr_spill_count: 0
    .wavefront_size: 64
  - .args:
      - .offset:         0
        .size:           216
        .value_kind:     by_value
      - .offset:         216
        .size:           4
        .value_kind:     by_value
      - .offset:         220
        .size:           4
        .value_kind:     by_value
      - .offset:         224
        .size:           4
        .value_kind:     by_value
      - .offset:         228
        .size:           4
        .value_kind:     by_value
      - .offset:         232
        .size:           216
        .value_kind:     by_value
      - .offset:         448
        .size:           216
        .value_kind:     by_value
      - .offset:         664
        .size:           4
        .value_kind:     hidden_block_count_x
      - .offset:         668
        .size:           4
        .value_kind:     hidden_block_count_y
      - .offset:         672
        .size:           4
        .value_kind:     hidden_block_count_z
      - .offset:         676
        .size:           2
        .value_kind:     hidden_group_size_x
      - .offset:         678
        .size:           2
        .value_kind:     hidden_group_size_y
      - .offset:         680
        .size:           2
        .value_kind:     hidden_group_size_z
      - .offset:         682
        .size:           2
        .value_kind:     hidden_remainder_x
      - .offset:         684
        .size:           2
        .value_kind:     hidden_remainder_y
      - .offset:         686
        .size:           2
        .value_kind:     hidden_remainder_z
      - .offset:         704
        .size:           8
        .value_kind:     hidden_global_offset_x
      - .offset:         712
        .size:           8
        .value_kind:     hidden_global_offset_y
      - .offset:         720
        .size:           8
        .value_kind:     hidden_global_offset_z
      - .offset:         728
        .size:           2
        .value_kind:     hidden_grid_dims
    .group_segment_fixed_size: 4112
    .kernarg_segment_align: 8
    .kernarg_segment_size: 920
    .language:       OpenCL C
    .language_version:
      - 2
      - 0
    .max_flat_workgroup_size: 1024
    .name:           _ZN2at6native12_GLOBAL__N_114gatherKthValueIN3c104HalfEiLi3EEEvNS_4cuda6detail10TensorInfoIKT_T0_EESA_SA_SA_SA_NS7_IS8_SA_EENS7_IlSA_EE
    .private_segment_fixed_size: 0
    .sgpr_count:     100
    .sgpr_spill_count: 42
    .symbol:         _ZN2at6native12_GLOBAL__N_114gatherKthValueIN3c104HalfEiLi3EEEvNS_4cuda6detail10TensorInfoIKT_T0_EESA_SA_SA_SA_NS7_IS8_SA_EENS7_IlSA_EE.kd
    .uniform_work_group_size: 1
    .uses_dynamic_stack: false
    .vgpr_count:     45
    .vgpr_spill_count: 0
    .wavefront_size: 64
  - .args:
      - .offset:         0
        .size:           216
        .value_kind:     by_value
      - .offset:         216
        .size:           4
        .value_kind:     by_value
      - .offset:         220
        .size:           4
        .value_kind:     by_value
      - .offset:         224
        .size:           4
        .value_kind:     by_value
      - .offset:         228
        .size:           4
        .value_kind:     by_value
      - .offset:         232
        .size:           216
        .value_kind:     by_value
      - .offset:         448
        .size:           216
        .value_kind:     by_value
      - .offset:         664
        .size:           4
        .value_kind:     hidden_block_count_x
      - .offset:         668
        .size:           4
        .value_kind:     hidden_block_count_y
      - .offset:         672
        .size:           4
        .value_kind:     hidden_block_count_z
      - .offset:         676
        .size:           2
        .value_kind:     hidden_group_size_x
      - .offset:         678
        .size:           2
        .value_kind:     hidden_group_size_y
      - .offset:         680
        .size:           2
        .value_kind:     hidden_group_size_z
      - .offset:         682
        .size:           2
        .value_kind:     hidden_remainder_x
      - .offset:         684
        .size:           2
        .value_kind:     hidden_remainder_y
      - .offset:         686
        .size:           2
        .value_kind:     hidden_remainder_z
      - .offset:         704
        .size:           8
        .value_kind:     hidden_global_offset_x
      - .offset:         712
        .size:           8
        .value_kind:     hidden_global_offset_y
      - .offset:         720
        .size:           8
        .value_kind:     hidden_global_offset_z
      - .offset:         728
        .size:           2
        .value_kind:     hidden_grid_dims
    .group_segment_fixed_size: 4112
    .kernarg_segment_align: 8
    .kernarg_segment_size: 920
    .language:       OpenCL C
    .language_version:
      - 2
      - 0
    .max_flat_workgroup_size: 1024
    .name:           _ZN2at6native12_GLOBAL__N_114gatherKthValueIN3c104HalfEiLin1EEEvNS_4cuda6detail10TensorInfoIKT_T0_EESA_SA_SA_SA_NS7_IS8_SA_EENS7_IlSA_EE
    .private_segment_fixed_size: 0
    .sgpr_count:     100
    .sgpr_spill_count: 20
    .symbol:         _ZN2at6native12_GLOBAL__N_114gatherKthValueIN3c104HalfEiLin1EEEvNS_4cuda6detail10TensorInfoIKT_T0_EESA_SA_SA_SA_NS7_IS8_SA_EENS7_IlSA_EE.kd
    .uniform_work_group_size: 1
    .uses_dynamic_stack: false
    .vgpr_count:     45
    .vgpr_spill_count: 0
    .wavefront_size: 64
  - .args:
      - .offset:         0
        .size:           416
        .value_kind:     by_value
      - .offset:         416
        .size:           8
        .value_kind:     by_value
      - .offset:         424
        .size:           8
        .value_kind:     by_value
      - .offset:         432
        .size:           8
        .value_kind:     by_value
      - .offset:         440
        .size:           8
        .value_kind:     by_value
      - .offset:         448
        .size:           416
        .value_kind:     by_value
      - .offset:         864
        .size:           416
        .value_kind:     by_value
      - .offset:         1280
        .size:           4
        .value_kind:     hidden_block_count_x
      - .offset:         1284
        .size:           4
        .value_kind:     hidden_block_count_y
      - .offset:         1288
        .size:           4
        .value_kind:     hidden_block_count_z
      - .offset:         1292
        .size:           2
        .value_kind:     hidden_group_size_x
      - .offset:         1294
        .size:           2
        .value_kind:     hidden_group_size_y
      - .offset:         1296
        .size:           2
        .value_kind:     hidden_group_size_z
      - .offset:         1298
        .size:           2
        .value_kind:     hidden_remainder_x
      - .offset:         1300
        .size:           2
        .value_kind:     hidden_remainder_y
      - .offset:         1302
        .size:           2
        .value_kind:     hidden_remainder_z
      - .offset:         1320
        .size:           8
        .value_kind:     hidden_global_offset_x
      - .offset:         1328
        .size:           8
        .value_kind:     hidden_global_offset_y
      - .offset:         1336
        .size:           8
        .value_kind:     hidden_global_offset_z
      - .offset:         1344
        .size:           2
        .value_kind:     hidden_grid_dims
    .group_segment_fixed_size: 5144
    .kernarg_segment_align: 8
    .kernarg_segment_size: 1536
    .language:       OpenCL C
    .language_version:
      - 2
      - 0
    .max_flat_workgroup_size: 1024
    .name:           _ZN2at6native12_GLOBAL__N_114gatherKthValueIN3c104HalfElLi1EEEvNS_4cuda6detail10TensorInfoIKT_T0_EESA_SA_SA_SA_NS7_IS8_SA_EENS7_IlSA_EE
    .private_segment_fixed_size: 0
    .sgpr_count:     100
    .sgpr_spill_count: 29
    .symbol:         _ZN2at6native12_GLOBAL__N_114gatherKthValueIN3c104HalfElLi1EEEvNS_4cuda6detail10TensorInfoIKT_T0_EESA_SA_SA_SA_NS7_IS8_SA_EENS7_IlSA_EE.kd
    .uniform_work_group_size: 1
    .uses_dynamic_stack: false
    .vgpr_count:     60
    .vgpr_spill_count: 0
    .wavefront_size: 64
  - .args:
      - .offset:         0
        .size:           416
        .value_kind:     by_value
      - .offset:         416
        .size:           8
        .value_kind:     by_value
      - .offset:         424
        .size:           8
        .value_kind:     by_value
      - .offset:         432
        .size:           8
        .value_kind:     by_value
      - .offset:         440
        .size:           8
        .value_kind:     by_value
      - .offset:         448
        .size:           416
        .value_kind:     by_value
      - .offset:         864
        .size:           416
        .value_kind:     by_value
      - .offset:         1280
        .size:           4
        .value_kind:     hidden_block_count_x
      - .offset:         1284
        .size:           4
        .value_kind:     hidden_block_count_y
      - .offset:         1288
        .size:           4
        .value_kind:     hidden_block_count_z
      - .offset:         1292
        .size:           2
        .value_kind:     hidden_group_size_x
      - .offset:         1294
        .size:           2
        .value_kind:     hidden_group_size_y
      - .offset:         1296
        .size:           2
        .value_kind:     hidden_group_size_z
      - .offset:         1298
        .size:           2
        .value_kind:     hidden_remainder_x
      - .offset:         1300
        .size:           2
        .value_kind:     hidden_remainder_y
      - .offset:         1302
        .size:           2
        .value_kind:     hidden_remainder_z
      - .offset:         1320
        .size:           8
        .value_kind:     hidden_global_offset_x
      - .offset:         1328
        .size:           8
        .value_kind:     hidden_global_offset_y
      - .offset:         1336
        .size:           8
        .value_kind:     hidden_global_offset_z
      - .offset:         1344
        .size:           2
        .value_kind:     hidden_grid_dims
    .group_segment_fixed_size: 5144
    .kernarg_segment_align: 8
    .kernarg_segment_size: 1536
    .language:       OpenCL C
    .language_version:
      - 2
      - 0
    .max_flat_workgroup_size: 1024
    .name:           _ZN2at6native12_GLOBAL__N_114gatherKthValueIN3c104HalfElLi2EEEvNS_4cuda6detail10TensorInfoIKT_T0_EESA_SA_SA_SA_NS7_IS8_SA_EENS7_IlSA_EE
    .private_segment_fixed_size: 0
    .sgpr_count:     100
    .sgpr_spill_count: 47
    .symbol:         _ZN2at6native12_GLOBAL__N_114gatherKthValueIN3c104HalfElLi2EEEvNS_4cuda6detail10TensorInfoIKT_T0_EESA_SA_SA_SA_NS7_IS8_SA_EENS7_IlSA_EE.kd
    .uniform_work_group_size: 1
    .uses_dynamic_stack: false
    .vgpr_count:     62
    .vgpr_spill_count: 0
    .wavefront_size: 64
  - .args:
      - .offset:         0
        .size:           416
        .value_kind:     by_value
      - .offset:         416
        .size:           8
        .value_kind:     by_value
      - .offset:         424
        .size:           8
        .value_kind:     by_value
      - .offset:         432
        .size:           8
        .value_kind:     by_value
      - .offset:         440
        .size:           8
        .value_kind:     by_value
      - .offset:         448
        .size:           416
        .value_kind:     by_value
      - .offset:         864
        .size:           416
        .value_kind:     by_value
      - .offset:         1280
        .size:           4
        .value_kind:     hidden_block_count_x
      - .offset:         1284
        .size:           4
        .value_kind:     hidden_block_count_y
      - .offset:         1288
        .size:           4
        .value_kind:     hidden_block_count_z
      - .offset:         1292
        .size:           2
        .value_kind:     hidden_group_size_x
      - .offset:         1294
        .size:           2
        .value_kind:     hidden_group_size_y
      - .offset:         1296
        .size:           2
        .value_kind:     hidden_group_size_z
      - .offset:         1298
        .size:           2
        .value_kind:     hidden_remainder_x
      - .offset:         1300
        .size:           2
        .value_kind:     hidden_remainder_y
      - .offset:         1302
        .size:           2
        .value_kind:     hidden_remainder_z
      - .offset:         1320
        .size:           8
        .value_kind:     hidden_global_offset_x
      - .offset:         1328
        .size:           8
        .value_kind:     hidden_global_offset_y
      - .offset:         1336
        .size:           8
        .value_kind:     hidden_global_offset_z
      - .offset:         1344
        .size:           2
        .value_kind:     hidden_grid_dims
    .group_segment_fixed_size: 5144
    .kernarg_segment_align: 8
    .kernarg_segment_size: 1536
    .language:       OpenCL C
    .language_version:
      - 2
      - 0
    .max_flat_workgroup_size: 1024
    .name:           _ZN2at6native12_GLOBAL__N_114gatherKthValueIN3c104HalfElLi3EEEvNS_4cuda6detail10TensorInfoIKT_T0_EESA_SA_SA_SA_NS7_IS8_SA_EENS7_IlSA_EE
    .private_segment_fixed_size: 0
    .sgpr_count:     100
    .sgpr_spill_count: 59
    .symbol:         _ZN2at6native12_GLOBAL__N_114gatherKthValueIN3c104HalfElLi3EEEvNS_4cuda6detail10TensorInfoIKT_T0_EESA_SA_SA_SA_NS7_IS8_SA_EENS7_IlSA_EE.kd
    .uniform_work_group_size: 1
    .uses_dynamic_stack: false
    .vgpr_count:     57
    .vgpr_spill_count: 0
    .wavefront_size: 64
  - .args:
      - .offset:         0
        .size:           416
        .value_kind:     by_value
      - .offset:         416
        .size:           8
        .value_kind:     by_value
      - .offset:         424
        .size:           8
        .value_kind:     by_value
      - .offset:         432
        .size:           8
        .value_kind:     by_value
      - .offset:         440
        .size:           8
        .value_kind:     by_value
      - .offset:         448
        .size:           416
        .value_kind:     by_value
      - .offset:         864
        .size:           416
        .value_kind:     by_value
      - .offset:         1280
        .size:           4
        .value_kind:     hidden_block_count_x
      - .offset:         1284
        .size:           4
        .value_kind:     hidden_block_count_y
      - .offset:         1288
        .size:           4
        .value_kind:     hidden_block_count_z
      - .offset:         1292
        .size:           2
        .value_kind:     hidden_group_size_x
      - .offset:         1294
        .size:           2
        .value_kind:     hidden_group_size_y
      - .offset:         1296
        .size:           2
        .value_kind:     hidden_group_size_z
      - .offset:         1298
        .size:           2
        .value_kind:     hidden_remainder_x
      - .offset:         1300
        .size:           2
        .value_kind:     hidden_remainder_y
      - .offset:         1302
        .size:           2
        .value_kind:     hidden_remainder_z
      - .offset:         1320
        .size:           8
        .value_kind:     hidden_global_offset_x
      - .offset:         1328
        .size:           8
        .value_kind:     hidden_global_offset_y
      - .offset:         1336
        .size:           8
        .value_kind:     hidden_global_offset_z
      - .offset:         1344
        .size:           2
        .value_kind:     hidden_grid_dims
    .group_segment_fixed_size: 5144
    .kernarg_segment_align: 8
    .kernarg_segment_size: 1536
    .language:       OpenCL C
    .language_version:
      - 2
      - 0
    .max_flat_workgroup_size: 1024
    .name:           _ZN2at6native12_GLOBAL__N_114gatherKthValueIN3c104HalfElLin1EEEvNS_4cuda6detail10TensorInfoIKT_T0_EESA_SA_SA_SA_NS7_IS8_SA_EENS7_IlSA_EE
    .private_segment_fixed_size: 0
    .sgpr_count:     100
    .sgpr_spill_count: 38
    .symbol:         _ZN2at6native12_GLOBAL__N_114gatherKthValueIN3c104HalfElLin1EEEvNS_4cuda6detail10TensorInfoIKT_T0_EESA_SA_SA_SA_NS7_IS8_SA_EENS7_IlSA_EE.kd
    .uniform_work_group_size: 1
    .uses_dynamic_stack: false
    .vgpr_count:     64
    .vgpr_spill_count: 0
    .wavefront_size: 64
  - .args:
      - .offset:         0
        .size:           216
        .value_kind:     by_value
      - .offset:         216
        .size:           4
        .value_kind:     by_value
      - .offset:         220
        .size:           4
        .value_kind:     by_value
      - .offset:         224
        .size:           4
        .value_kind:     by_value
      - .offset:         228
        .size:           4
        .value_kind:     by_value
      - .offset:         232
        .size:           216
        .value_kind:     by_value
      - .offset:         448
        .size:           216
        .value_kind:     by_value
      - .offset:         664
        .size:           4
        .value_kind:     hidden_block_count_x
      - .offset:         668
        .size:           4
        .value_kind:     hidden_block_count_y
      - .offset:         672
        .size:           4
        .value_kind:     hidden_block_count_z
      - .offset:         676
        .size:           2
        .value_kind:     hidden_group_size_x
      - .offset:         678
        .size:           2
        .value_kind:     hidden_group_size_y
      - .offset:         680
        .size:           2
        .value_kind:     hidden_group_size_z
      - .offset:         682
        .size:           2
        .value_kind:     hidden_remainder_x
      - .offset:         684
        .size:           2
        .value_kind:     hidden_remainder_y
      - .offset:         686
        .size:           2
        .value_kind:     hidden_remainder_z
      - .offset:         704
        .size:           8
        .value_kind:     hidden_global_offset_x
      - .offset:         712
        .size:           8
        .value_kind:     hidden_global_offset_y
      - .offset:         720
        .size:           8
        .value_kind:     hidden_global_offset_z
      - .offset:         728
        .size:           2
        .value_kind:     hidden_grid_dims
    .group_segment_fixed_size: 4112
    .kernarg_segment_align: 8
    .kernarg_segment_size: 920
    .language:       OpenCL C
    .language_version:
      - 2
      - 0
    .max_flat_workgroup_size: 1024
    .name:           _ZN2at6native12_GLOBAL__N_114gatherKthValueIN3c108BFloat16EiLi1EEEvNS_4cuda6detail10TensorInfoIKT_T0_EESA_SA_SA_SA_NS7_IS8_SA_EENS7_IlSA_EE
    .private_segment_fixed_size: 0
    .sgpr_count:     100
    .sgpr_spill_count: 19
    .symbol:         _ZN2at6native12_GLOBAL__N_114gatherKthValueIN3c108BFloat16EiLi1EEEvNS_4cuda6detail10TensorInfoIKT_T0_EESA_SA_SA_SA_NS7_IS8_SA_EENS7_IlSA_EE.kd
    .uniform_work_group_size: 1
    .uses_dynamic_stack: false
    .vgpr_count:     45
    .vgpr_spill_count: 0
    .wavefront_size: 64
  - .args:
      - .offset:         0
        .size:           216
        .value_kind:     by_value
      - .offset:         216
        .size:           4
        .value_kind:     by_value
      - .offset:         220
        .size:           4
        .value_kind:     by_value
      - .offset:         224
        .size:           4
        .value_kind:     by_value
      - .offset:         228
        .size:           4
        .value_kind:     by_value
      - .offset:         232
        .size:           216
        .value_kind:     by_value
      - .offset:         448
        .size:           216
        .value_kind:     by_value
      - .offset:         664
        .size:           4
        .value_kind:     hidden_block_count_x
      - .offset:         668
        .size:           4
        .value_kind:     hidden_block_count_y
      - .offset:         672
        .size:           4
        .value_kind:     hidden_block_count_z
      - .offset:         676
        .size:           2
        .value_kind:     hidden_group_size_x
      - .offset:         678
        .size:           2
        .value_kind:     hidden_group_size_y
      - .offset:         680
        .size:           2
        .value_kind:     hidden_group_size_z
      - .offset:         682
        .size:           2
        .value_kind:     hidden_remainder_x
      - .offset:         684
        .size:           2
        .value_kind:     hidden_remainder_y
      - .offset:         686
        .size:           2
        .value_kind:     hidden_remainder_z
      - .offset:         704
        .size:           8
        .value_kind:     hidden_global_offset_x
      - .offset:         712
        .size:           8
        .value_kind:     hidden_global_offset_y
      - .offset:         720
        .size:           8
        .value_kind:     hidden_global_offset_z
      - .offset:         728
        .size:           2
        .value_kind:     hidden_grid_dims
    .group_segment_fixed_size: 4112
    .kernarg_segment_align: 8
    .kernarg_segment_size: 920
    .language:       OpenCL C
    .language_version:
      - 2
      - 0
    .max_flat_workgroup_size: 1024
    .name:           _ZN2at6native12_GLOBAL__N_114gatherKthValueIN3c108BFloat16EiLi2EEEvNS_4cuda6detail10TensorInfoIKT_T0_EESA_SA_SA_SA_NS7_IS8_SA_EENS7_IlSA_EE
    .private_segment_fixed_size: 0
    .sgpr_count:     100
    .sgpr_spill_count: 32
    .symbol:         _ZN2at6native12_GLOBAL__N_114gatherKthValueIN3c108BFloat16EiLi2EEEvNS_4cuda6detail10TensorInfoIKT_T0_EESA_SA_SA_SA_NS7_IS8_SA_EENS7_IlSA_EE.kd
    .uniform_work_group_size: 1
    .uses_dynamic_stack: false
    .vgpr_count:     45
    .vgpr_spill_count: 0
    .wavefront_size: 64
  - .args:
      - .offset:         0
        .size:           216
        .value_kind:     by_value
      - .offset:         216
        .size:           4
        .value_kind:     by_value
      - .offset:         220
        .size:           4
        .value_kind:     by_value
      - .offset:         224
        .size:           4
        .value_kind:     by_value
      - .offset:         228
        .size:           4
        .value_kind:     by_value
      - .offset:         232
        .size:           216
        .value_kind:     by_value
      - .offset:         448
        .size:           216
        .value_kind:     by_value
      - .offset:         664
        .size:           4
        .value_kind:     hidden_block_count_x
      - .offset:         668
        .size:           4
        .value_kind:     hidden_block_count_y
      - .offset:         672
        .size:           4
        .value_kind:     hidden_block_count_z
      - .offset:         676
        .size:           2
        .value_kind:     hidden_group_size_x
      - .offset:         678
        .size:           2
        .value_kind:     hidden_group_size_y
      - .offset:         680
        .size:           2
        .value_kind:     hidden_group_size_z
      - .offset:         682
        .size:           2
        .value_kind:     hidden_remainder_x
      - .offset:         684
        .size:           2
        .value_kind:     hidden_remainder_y
      - .offset:         686
        .size:           2
        .value_kind:     hidden_remainder_z
      - .offset:         704
        .size:           8
        .value_kind:     hidden_global_offset_x
      - .offset:         712
        .size:           8
        .value_kind:     hidden_global_offset_y
      - .offset:         720
        .size:           8
        .value_kind:     hidden_global_offset_z
      - .offset:         728
        .size:           2
        .value_kind:     hidden_grid_dims
    .group_segment_fixed_size: 4112
    .kernarg_segment_align: 8
    .kernarg_segment_size: 920
    .language:       OpenCL C
    .language_version:
      - 2
      - 0
    .max_flat_workgroup_size: 1024
    .name:           _ZN2at6native12_GLOBAL__N_114gatherKthValueIN3c108BFloat16EiLi3EEEvNS_4cuda6detail10TensorInfoIKT_T0_EESA_SA_SA_SA_NS7_IS8_SA_EENS7_IlSA_EE
    .private_segment_fixed_size: 0
    .sgpr_count:     100
    .sgpr_spill_count: 42
    .symbol:         _ZN2at6native12_GLOBAL__N_114gatherKthValueIN3c108BFloat16EiLi3EEEvNS_4cuda6detail10TensorInfoIKT_T0_EESA_SA_SA_SA_NS7_IS8_SA_EENS7_IlSA_EE.kd
    .uniform_work_group_size: 1
    .uses_dynamic_stack: false
    .vgpr_count:     45
    .vgpr_spill_count: 0
    .wavefront_size: 64
  - .args:
      - .offset:         0
        .size:           216
        .value_kind:     by_value
      - .offset:         216
        .size:           4
        .value_kind:     by_value
      - .offset:         220
        .size:           4
        .value_kind:     by_value
      - .offset:         224
        .size:           4
        .value_kind:     by_value
      - .offset:         228
        .size:           4
        .value_kind:     by_value
      - .offset:         232
        .size:           216
        .value_kind:     by_value
      - .offset:         448
        .size:           216
        .value_kind:     by_value
      - .offset:         664
        .size:           4
        .value_kind:     hidden_block_count_x
      - .offset:         668
        .size:           4
        .value_kind:     hidden_block_count_y
      - .offset:         672
        .size:           4
        .value_kind:     hidden_block_count_z
      - .offset:         676
        .size:           2
        .value_kind:     hidden_group_size_x
      - .offset:         678
        .size:           2
        .value_kind:     hidden_group_size_y
      - .offset:         680
        .size:           2
        .value_kind:     hidden_group_size_z
      - .offset:         682
        .size:           2
        .value_kind:     hidden_remainder_x
      - .offset:         684
        .size:           2
        .value_kind:     hidden_remainder_y
      - .offset:         686
        .size:           2
        .value_kind:     hidden_remainder_z
      - .offset:         704
        .size:           8
        .value_kind:     hidden_global_offset_x
      - .offset:         712
        .size:           8
        .value_kind:     hidden_global_offset_y
      - .offset:         720
        .size:           8
        .value_kind:     hidden_global_offset_z
      - .offset:         728
        .size:           2
        .value_kind:     hidden_grid_dims
    .group_segment_fixed_size: 4112
    .kernarg_segment_align: 8
    .kernarg_segment_size: 920
    .language:       OpenCL C
    .language_version:
      - 2
      - 0
    .max_flat_workgroup_size: 1024
    .name:           _ZN2at6native12_GLOBAL__N_114gatherKthValueIN3c108BFloat16EiLin1EEEvNS_4cuda6detail10TensorInfoIKT_T0_EESA_SA_SA_SA_NS7_IS8_SA_EENS7_IlSA_EE
    .private_segment_fixed_size: 0
    .sgpr_count:     100
    .sgpr_spill_count: 23
    .symbol:         _ZN2at6native12_GLOBAL__N_114gatherKthValueIN3c108BFloat16EiLin1EEEvNS_4cuda6detail10TensorInfoIKT_T0_EESA_SA_SA_SA_NS7_IS8_SA_EENS7_IlSA_EE.kd
    .uniform_work_group_size: 1
    .uses_dynamic_stack: false
    .vgpr_count:     45
    .vgpr_spill_count: 0
    .wavefront_size: 64
  - .args:
      - .offset:         0
        .size:           416
        .value_kind:     by_value
      - .offset:         416
        .size:           8
        .value_kind:     by_value
      - .offset:         424
        .size:           8
        .value_kind:     by_value
      - .offset:         432
        .size:           8
        .value_kind:     by_value
      - .offset:         440
        .size:           8
        .value_kind:     by_value
      - .offset:         448
        .size:           416
        .value_kind:     by_value
      - .offset:         864
        .size:           416
        .value_kind:     by_value
      - .offset:         1280
        .size:           4
        .value_kind:     hidden_block_count_x
      - .offset:         1284
        .size:           4
        .value_kind:     hidden_block_count_y
      - .offset:         1288
        .size:           4
        .value_kind:     hidden_block_count_z
      - .offset:         1292
        .size:           2
        .value_kind:     hidden_group_size_x
      - .offset:         1294
        .size:           2
        .value_kind:     hidden_group_size_y
      - .offset:         1296
        .size:           2
        .value_kind:     hidden_group_size_z
      - .offset:         1298
        .size:           2
        .value_kind:     hidden_remainder_x
      - .offset:         1300
        .size:           2
        .value_kind:     hidden_remainder_y
      - .offset:         1302
        .size:           2
        .value_kind:     hidden_remainder_z
      - .offset:         1320
        .size:           8
        .value_kind:     hidden_global_offset_x
      - .offset:         1328
        .size:           8
        .value_kind:     hidden_global_offset_y
      - .offset:         1336
        .size:           8
        .value_kind:     hidden_global_offset_z
      - .offset:         1344
        .size:           2
        .value_kind:     hidden_grid_dims
    .group_segment_fixed_size: 5144
    .kernarg_segment_align: 8
    .kernarg_segment_size: 1536
    .language:       OpenCL C
    .language_version:
      - 2
      - 0
    .max_flat_workgroup_size: 1024
    .name:           _ZN2at6native12_GLOBAL__N_114gatherKthValueIN3c108BFloat16ElLi1EEEvNS_4cuda6detail10TensorInfoIKT_T0_EESA_SA_SA_SA_NS7_IS8_SA_EENS7_IlSA_EE
    .private_segment_fixed_size: 0
    .sgpr_count:     100
    .sgpr_spill_count: 31
    .symbol:         _ZN2at6native12_GLOBAL__N_114gatherKthValueIN3c108BFloat16ElLi1EEEvNS_4cuda6detail10TensorInfoIKT_T0_EESA_SA_SA_SA_NS7_IS8_SA_EENS7_IlSA_EE.kd
    .uniform_work_group_size: 1
    .uses_dynamic_stack: false
    .vgpr_count:     60
    .vgpr_spill_count: 0
    .wavefront_size: 64
  - .args:
      - .offset:         0
        .size:           416
        .value_kind:     by_value
      - .offset:         416
        .size:           8
        .value_kind:     by_value
      - .offset:         424
        .size:           8
        .value_kind:     by_value
      - .offset:         432
        .size:           8
        .value_kind:     by_value
      - .offset:         440
        .size:           8
        .value_kind:     by_value
      - .offset:         448
        .size:           416
        .value_kind:     by_value
      - .offset:         864
        .size:           416
        .value_kind:     by_value
      - .offset:         1280
        .size:           4
        .value_kind:     hidden_block_count_x
      - .offset:         1284
        .size:           4
        .value_kind:     hidden_block_count_y
      - .offset:         1288
        .size:           4
        .value_kind:     hidden_block_count_z
      - .offset:         1292
        .size:           2
        .value_kind:     hidden_group_size_x
      - .offset:         1294
        .size:           2
        .value_kind:     hidden_group_size_y
      - .offset:         1296
        .size:           2
        .value_kind:     hidden_group_size_z
      - .offset:         1298
        .size:           2
        .value_kind:     hidden_remainder_x
      - .offset:         1300
        .size:           2
        .value_kind:     hidden_remainder_y
      - .offset:         1302
        .size:           2
        .value_kind:     hidden_remainder_z
      - .offset:         1320
        .size:           8
        .value_kind:     hidden_global_offset_x
      - .offset:         1328
        .size:           8
        .value_kind:     hidden_global_offset_y
      - .offset:         1336
        .size:           8
        .value_kind:     hidden_global_offset_z
      - .offset:         1344
        .size:           2
        .value_kind:     hidden_grid_dims
    .group_segment_fixed_size: 5144
    .kernarg_segment_align: 8
    .kernarg_segment_size: 1536
    .language:       OpenCL C
    .language_version:
      - 2
      - 0
    .max_flat_workgroup_size: 1024
    .name:           _ZN2at6native12_GLOBAL__N_114gatherKthValueIN3c108BFloat16ElLi2EEEvNS_4cuda6detail10TensorInfoIKT_T0_EESA_SA_SA_SA_NS7_IS8_SA_EENS7_IlSA_EE
    .private_segment_fixed_size: 0
    .sgpr_count:     100
    .sgpr_spill_count: 49
    .symbol:         _ZN2at6native12_GLOBAL__N_114gatherKthValueIN3c108BFloat16ElLi2EEEvNS_4cuda6detail10TensorInfoIKT_T0_EESA_SA_SA_SA_NS7_IS8_SA_EENS7_IlSA_EE.kd
    .uniform_work_group_size: 1
    .uses_dynamic_stack: false
    .vgpr_count:     62
    .vgpr_spill_count: 0
    .wavefront_size: 64
  - .args:
      - .offset:         0
        .size:           416
        .value_kind:     by_value
      - .offset:         416
        .size:           8
        .value_kind:     by_value
      - .offset:         424
        .size:           8
        .value_kind:     by_value
      - .offset:         432
        .size:           8
        .value_kind:     by_value
      - .offset:         440
        .size:           8
        .value_kind:     by_value
      - .offset:         448
        .size:           416
        .value_kind:     by_value
      - .offset:         864
        .size:           416
        .value_kind:     by_value
      - .offset:         1280
        .size:           4
        .value_kind:     hidden_block_count_x
      - .offset:         1284
        .size:           4
        .value_kind:     hidden_block_count_y
      - .offset:         1288
        .size:           4
        .value_kind:     hidden_block_count_z
      - .offset:         1292
        .size:           2
        .value_kind:     hidden_group_size_x
      - .offset:         1294
        .size:           2
        .value_kind:     hidden_group_size_y
      - .offset:         1296
        .size:           2
        .value_kind:     hidden_group_size_z
      - .offset:         1298
        .size:           2
        .value_kind:     hidden_remainder_x
      - .offset:         1300
        .size:           2
        .value_kind:     hidden_remainder_y
      - .offset:         1302
        .size:           2
        .value_kind:     hidden_remainder_z
      - .offset:         1320
        .size:           8
        .value_kind:     hidden_global_offset_x
      - .offset:         1328
        .size:           8
        .value_kind:     hidden_global_offset_y
      - .offset:         1336
        .size:           8
        .value_kind:     hidden_global_offset_z
      - .offset:         1344
        .size:           2
        .value_kind:     hidden_grid_dims
    .group_segment_fixed_size: 5144
    .kernarg_segment_align: 8
    .kernarg_segment_size: 1536
    .language:       OpenCL C
    .language_version:
      - 2
      - 0
    .max_flat_workgroup_size: 1024
    .name:           _ZN2at6native12_GLOBAL__N_114gatherKthValueIN3c108BFloat16ElLi3EEEvNS_4cuda6detail10TensorInfoIKT_T0_EESA_SA_SA_SA_NS7_IS8_SA_EENS7_IlSA_EE
    .private_segment_fixed_size: 0
    .sgpr_count:     100
    .sgpr_spill_count: 61
    .symbol:         _ZN2at6native12_GLOBAL__N_114gatherKthValueIN3c108BFloat16ElLi3EEEvNS_4cuda6detail10TensorInfoIKT_T0_EESA_SA_SA_SA_NS7_IS8_SA_EENS7_IlSA_EE.kd
    .uniform_work_group_size: 1
    .uses_dynamic_stack: false
    .vgpr_count:     57
    .vgpr_spill_count: 0
    .wavefront_size: 64
  - .args:
      - .offset:         0
        .size:           416
        .value_kind:     by_value
      - .offset:         416
        .size:           8
        .value_kind:     by_value
      - .offset:         424
        .size:           8
        .value_kind:     by_value
      - .offset:         432
        .size:           8
        .value_kind:     by_value
      - .offset:         440
        .size:           8
        .value_kind:     by_value
      - .offset:         448
        .size:           416
        .value_kind:     by_value
      - .offset:         864
        .size:           416
        .value_kind:     by_value
      - .offset:         1280
        .size:           4
        .value_kind:     hidden_block_count_x
      - .offset:         1284
        .size:           4
        .value_kind:     hidden_block_count_y
      - .offset:         1288
        .size:           4
        .value_kind:     hidden_block_count_z
      - .offset:         1292
        .size:           2
        .value_kind:     hidden_group_size_x
      - .offset:         1294
        .size:           2
        .value_kind:     hidden_group_size_y
      - .offset:         1296
        .size:           2
        .value_kind:     hidden_group_size_z
      - .offset:         1298
        .size:           2
        .value_kind:     hidden_remainder_x
      - .offset:         1300
        .size:           2
        .value_kind:     hidden_remainder_y
      - .offset:         1302
        .size:           2
        .value_kind:     hidden_remainder_z
      - .offset:         1320
        .size:           8
        .value_kind:     hidden_global_offset_x
      - .offset:         1328
        .size:           8
        .value_kind:     hidden_global_offset_y
      - .offset:         1336
        .size:           8
        .value_kind:     hidden_global_offset_z
      - .offset:         1344
        .size:           2
        .value_kind:     hidden_grid_dims
    .group_segment_fixed_size: 5144
    .kernarg_segment_align: 8
    .kernarg_segment_size: 1536
    .language:       OpenCL C
    .language_version:
      - 2
      - 0
    .max_flat_workgroup_size: 1024
    .name:           _ZN2at6native12_GLOBAL__N_114gatherKthValueIN3c108BFloat16ElLin1EEEvNS_4cuda6detail10TensorInfoIKT_T0_EESA_SA_SA_SA_NS7_IS8_SA_EENS7_IlSA_EE
    .private_segment_fixed_size: 0
    .sgpr_count:     100
    .sgpr_spill_count: 41
    .symbol:         _ZN2at6native12_GLOBAL__N_114gatherKthValueIN3c108BFloat16ElLin1EEEvNS_4cuda6detail10TensorInfoIKT_T0_EESA_SA_SA_SA_NS7_IS8_SA_EENS7_IlSA_EE.kd
    .uniform_work_group_size: 1
    .uses_dynamic_stack: false
    .vgpr_count:     64
    .vgpr_spill_count: 0
    .wavefront_size: 64
  - .args:
      - .offset:         0
        .size:           216
        .value_kind:     by_value
      - .offset:         216
        .size:           216
        .value_kind:     by_value
      - .offset:         432
        .size:           216
        .value_kind:     by_value
      - .offset:         648
        .size:           4
        .value_kind:     by_value
      - .offset:         652
        .size:           4
        .value_kind:     by_value
      - .offset:         656
        .size:           4
        .value_kind:     by_value
      - .offset:         660
        .size:           1
        .value_kind:     by_value
      - .offset:         664
        .size:           4
        .value_kind:     hidden_block_count_x
      - .offset:         668
        .size:           4
        .value_kind:     hidden_block_count_y
      - .offset:         672
        .size:           4
        .value_kind:     hidden_block_count_z
      - .offset:         676
        .size:           2
        .value_kind:     hidden_group_size_x
      - .offset:         678
        .size:           2
        .value_kind:     hidden_group_size_y
      - .offset:         680
        .size:           2
        .value_kind:     hidden_group_size_z
      - .offset:         682
        .size:           2
        .value_kind:     hidden_remainder_x
      - .offset:         684
        .size:           2
        .value_kind:     hidden_remainder_y
      - .offset:         686
        .size:           2
        .value_kind:     hidden_remainder_z
      - .offset:         704
        .size:           8
        .value_kind:     hidden_global_offset_x
      - .offset:         712
        .size:           8
        .value_kind:     hidden_global_offset_y
      - .offset:         720
        .size:           8
        .value_kind:     hidden_global_offset_z
      - .offset:         728
        .size:           2
        .value_kind:     hidden_grid_dims
    .group_segment_fixed_size: 4120
    .kernarg_segment_align: 8
    .kernarg_segment_size: 920
    .language:       OpenCL C
    .language_version:
      - 2
      - 0
    .max_flat_workgroup_size: 1024
    .name:           _ZN2at6native12_GLOBAL__N_112gatherMedianIhjLi1EEEvNS_4cuda6detail10TensorInfoIT_T0_EENS5_IlS7_EENS5_IKS6_S7_EES7_S7_S7_b
    .private_segment_fixed_size: 0
    .sgpr_count:     100
    .sgpr_spill_count: 26
    .symbol:         _ZN2at6native12_GLOBAL__N_112gatherMedianIhjLi1EEEvNS_4cuda6detail10TensorInfoIT_T0_EENS5_IlS7_EENS5_IKS6_S7_EES7_S7_S7_b.kd
    .uniform_work_group_size: 1
    .uses_dynamic_stack: false
    .vgpr_count:     53
    .vgpr_spill_count: 0
    .wavefront_size: 64
  - .args:
      - .offset:         0
        .size:           216
        .value_kind:     by_value
      - .offset:         216
        .size:           216
        .value_kind:     by_value
      - .offset:         432
        .size:           216
        .value_kind:     by_value
      - .offset:         648
        .size:           4
        .value_kind:     by_value
      - .offset:         652
        .size:           4
        .value_kind:     by_value
      - .offset:         656
        .size:           4
        .value_kind:     by_value
      - .offset:         660
        .size:           1
        .value_kind:     by_value
      - .offset:         664
        .size:           4
        .value_kind:     hidden_block_count_x
      - .offset:         668
        .size:           4
        .value_kind:     hidden_block_count_y
      - .offset:         672
        .size:           4
        .value_kind:     hidden_block_count_z
      - .offset:         676
        .size:           2
        .value_kind:     hidden_group_size_x
      - .offset:         678
        .size:           2
        .value_kind:     hidden_group_size_y
      - .offset:         680
        .size:           2
        .value_kind:     hidden_group_size_z
      - .offset:         682
        .size:           2
        .value_kind:     hidden_remainder_x
      - .offset:         684
        .size:           2
        .value_kind:     hidden_remainder_y
      - .offset:         686
        .size:           2
        .value_kind:     hidden_remainder_z
      - .offset:         704
        .size:           8
        .value_kind:     hidden_global_offset_x
      - .offset:         712
        .size:           8
        .value_kind:     hidden_global_offset_y
      - .offset:         720
        .size:           8
        .value_kind:     hidden_global_offset_z
      - .offset:         728
        .size:           2
        .value_kind:     hidden_grid_dims
    .group_segment_fixed_size: 4120
    .kernarg_segment_align: 8
    .kernarg_segment_size: 920
    .language:       OpenCL C
    .language_version:
      - 2
      - 0
    .max_flat_workgroup_size: 1024
    .name:           _ZN2at6native12_GLOBAL__N_112gatherMedianIhjLi2EEEvNS_4cuda6detail10TensorInfoIT_T0_EENS5_IlS7_EENS5_IKS6_S7_EES7_S7_S7_b
    .private_segment_fixed_size: 0
    .sgpr_count:     100
    .sgpr_spill_count: 32
    .symbol:         _ZN2at6native12_GLOBAL__N_112gatherMedianIhjLi2EEEvNS_4cuda6detail10TensorInfoIT_T0_EENS5_IlS7_EENS5_IKS6_S7_EES7_S7_S7_b.kd
    .uniform_work_group_size: 1
    .uses_dynamic_stack: false
    .vgpr_count:     53
    .vgpr_spill_count: 0
    .wavefront_size: 64
  - .args:
      - .offset:         0
        .size:           216
        .value_kind:     by_value
      - .offset:         216
        .size:           216
        .value_kind:     by_value
      - .offset:         432
        .size:           216
        .value_kind:     by_value
      - .offset:         648
        .size:           4
        .value_kind:     by_value
      - .offset:         652
        .size:           4
        .value_kind:     by_value
      - .offset:         656
        .size:           4
        .value_kind:     by_value
      - .offset:         660
        .size:           1
        .value_kind:     by_value
      - .offset:         664
        .size:           4
        .value_kind:     hidden_block_count_x
      - .offset:         668
        .size:           4
        .value_kind:     hidden_block_count_y
      - .offset:         672
        .size:           4
        .value_kind:     hidden_block_count_z
      - .offset:         676
        .size:           2
        .value_kind:     hidden_group_size_x
      - .offset:         678
        .size:           2
        .value_kind:     hidden_group_size_y
      - .offset:         680
        .size:           2
        .value_kind:     hidden_group_size_z
      - .offset:         682
        .size:           2
        .value_kind:     hidden_remainder_x
      - .offset:         684
        .size:           2
        .value_kind:     hidden_remainder_y
      - .offset:         686
        .size:           2
        .value_kind:     hidden_remainder_z
      - .offset:         704
        .size:           8
        .value_kind:     hidden_global_offset_x
      - .offset:         712
        .size:           8
        .value_kind:     hidden_global_offset_y
      - .offset:         720
        .size:           8
        .value_kind:     hidden_global_offset_z
      - .offset:         728
        .size:           2
        .value_kind:     hidden_grid_dims
    .group_segment_fixed_size: 4120
    .kernarg_segment_align: 8
    .kernarg_segment_size: 920
    .language:       OpenCL C
    .language_version:
      - 2
      - 0
    .max_flat_workgroup_size: 1024
    .name:           _ZN2at6native12_GLOBAL__N_112gatherMedianIhjLi3EEEvNS_4cuda6detail10TensorInfoIT_T0_EENS5_IlS7_EENS5_IKS6_S7_EES7_S7_S7_b
    .private_segment_fixed_size: 0
    .sgpr_count:     100
    .sgpr_spill_count: 40
    .symbol:         _ZN2at6native12_GLOBAL__N_112gatherMedianIhjLi3EEEvNS_4cuda6detail10TensorInfoIT_T0_EENS5_IlS7_EENS5_IKS6_S7_EES7_S7_S7_b.kd
    .uniform_work_group_size: 1
    .uses_dynamic_stack: false
    .vgpr_count:     53
    .vgpr_spill_count: 0
    .wavefront_size: 64
  - .args:
      - .offset:         0
        .size:           216
        .value_kind:     by_value
      - .offset:         216
        .size:           216
        .value_kind:     by_value
      - .offset:         432
        .size:           216
        .value_kind:     by_value
      - .offset:         648
        .size:           4
        .value_kind:     by_value
      - .offset:         652
        .size:           4
        .value_kind:     by_value
      - .offset:         656
        .size:           4
        .value_kind:     by_value
      - .offset:         660
        .size:           1
        .value_kind:     by_value
      - .offset:         664
        .size:           4
        .value_kind:     hidden_block_count_x
      - .offset:         668
        .size:           4
        .value_kind:     hidden_block_count_y
      - .offset:         672
        .size:           4
        .value_kind:     hidden_block_count_z
      - .offset:         676
        .size:           2
        .value_kind:     hidden_group_size_x
      - .offset:         678
        .size:           2
        .value_kind:     hidden_group_size_y
      - .offset:         680
        .size:           2
        .value_kind:     hidden_group_size_z
      - .offset:         682
        .size:           2
        .value_kind:     hidden_remainder_x
      - .offset:         684
        .size:           2
        .value_kind:     hidden_remainder_y
      - .offset:         686
        .size:           2
        .value_kind:     hidden_remainder_z
      - .offset:         704
        .size:           8
        .value_kind:     hidden_global_offset_x
      - .offset:         712
        .size:           8
        .value_kind:     hidden_global_offset_y
      - .offset:         720
        .size:           8
        .value_kind:     hidden_global_offset_z
      - .offset:         728
        .size:           2
        .value_kind:     hidden_grid_dims
    .group_segment_fixed_size: 4120
    .kernarg_segment_align: 8
    .kernarg_segment_size: 920
    .language:       OpenCL C
    .language_version:
      - 2
      - 0
    .max_flat_workgroup_size: 1024
    .name:           _ZN2at6native12_GLOBAL__N_112gatherMedianIhjLin1EEEvNS_4cuda6detail10TensorInfoIT_T0_EENS5_IlS7_EENS5_IKS6_S7_EES7_S7_S7_b
    .private_segment_fixed_size: 0
    .sgpr_count:     100
    .sgpr_spill_count: 29
    .symbol:         _ZN2at6native12_GLOBAL__N_112gatherMedianIhjLin1EEEvNS_4cuda6detail10TensorInfoIT_T0_EENS5_IlS7_EENS5_IKS6_S7_EES7_S7_S7_b.kd
    .uniform_work_group_size: 1
    .uses_dynamic_stack: false
    .vgpr_count:     53
    .vgpr_spill_count: 0
    .wavefront_size: 64
  - .args:
      - .offset:         0
        .size:           416
        .value_kind:     by_value
      - .offset:         416
        .size:           416
        .value_kind:     by_value
      - .offset:         832
        .size:           416
        .value_kind:     by_value
      - .offset:         1248
        .size:           8
        .value_kind:     by_value
      - .offset:         1256
        .size:           8
        .value_kind:     by_value
      - .offset:         1264
        .size:           8
        .value_kind:     by_value
      - .offset:         1272
        .size:           1
        .value_kind:     by_value
      - .offset:         1280
        .size:           4
        .value_kind:     hidden_block_count_x
      - .offset:         1284
        .size:           4
        .value_kind:     hidden_block_count_y
      - .offset:         1288
        .size:           4
        .value_kind:     hidden_block_count_z
      - .offset:         1292
        .size:           2
        .value_kind:     hidden_group_size_x
      - .offset:         1294
        .size:           2
        .value_kind:     hidden_group_size_y
      - .offset:         1296
        .size:           2
        .value_kind:     hidden_group_size_z
      - .offset:         1298
        .size:           2
        .value_kind:     hidden_remainder_x
      - .offset:         1300
        .size:           2
        .value_kind:     hidden_remainder_y
      - .offset:         1302
        .size:           2
        .value_kind:     hidden_remainder_z
      - .offset:         1320
        .size:           8
        .value_kind:     hidden_global_offset_x
      - .offset:         1328
        .size:           8
        .value_kind:     hidden_global_offset_y
      - .offset:         1336
        .size:           8
        .value_kind:     hidden_global_offset_z
      - .offset:         1344
        .size:           2
        .value_kind:     hidden_grid_dims
    .group_segment_fixed_size: 5152
    .kernarg_segment_align: 8
    .kernarg_segment_size: 1536
    .language:       OpenCL C
    .language_version:
      - 2
      - 0
    .max_flat_workgroup_size: 1024
    .name:           _ZN2at6native12_GLOBAL__N_112gatherMedianIhmLi1EEEvNS_4cuda6detail10TensorInfoIT_T0_EENS5_IlS7_EENS5_IKS6_S7_EES7_S7_S7_b
    .private_segment_fixed_size: 0
    .sgpr_count:     100
    .sgpr_spill_count: 31
    .symbol:         _ZN2at6native12_GLOBAL__N_112gatherMedianIhmLi1EEEvNS_4cuda6detail10TensorInfoIT_T0_EENS5_IlS7_EENS5_IKS6_S7_EES7_S7_S7_b.kd
    .uniform_work_group_size: 1
    .uses_dynamic_stack: false
    .vgpr_count:     62
    .vgpr_spill_count: 0
    .wavefront_size: 64
  - .args:
      - .offset:         0
        .size:           416
        .value_kind:     by_value
      - .offset:         416
        .size:           416
        .value_kind:     by_value
      - .offset:         832
        .size:           416
        .value_kind:     by_value
      - .offset:         1248
        .size:           8
        .value_kind:     by_value
      - .offset:         1256
        .size:           8
        .value_kind:     by_value
      - .offset:         1264
        .size:           8
        .value_kind:     by_value
      - .offset:         1272
        .size:           1
        .value_kind:     by_value
      - .offset:         1280
        .size:           4
        .value_kind:     hidden_block_count_x
      - .offset:         1284
        .size:           4
        .value_kind:     hidden_block_count_y
      - .offset:         1288
        .size:           4
        .value_kind:     hidden_block_count_z
      - .offset:         1292
        .size:           2
        .value_kind:     hidden_group_size_x
      - .offset:         1294
        .size:           2
        .value_kind:     hidden_group_size_y
      - .offset:         1296
        .size:           2
        .value_kind:     hidden_group_size_z
      - .offset:         1298
        .size:           2
        .value_kind:     hidden_remainder_x
      - .offset:         1300
        .size:           2
        .value_kind:     hidden_remainder_y
      - .offset:         1302
        .size:           2
        .value_kind:     hidden_remainder_z
      - .offset:         1320
        .size:           8
        .value_kind:     hidden_global_offset_x
      - .offset:         1328
        .size:           8
        .value_kind:     hidden_global_offset_y
      - .offset:         1336
        .size:           8
        .value_kind:     hidden_global_offset_z
      - .offset:         1344
        .size:           2
        .value_kind:     hidden_grid_dims
    .group_segment_fixed_size: 5152
    .kernarg_segment_align: 8
    .kernarg_segment_size: 1536
    .language:       OpenCL C
    .language_version:
      - 2
      - 0
    .max_flat_workgroup_size: 1024
    .name:           _ZN2at6native12_GLOBAL__N_112gatherMedianIhmLi2EEEvNS_4cuda6detail10TensorInfoIT_T0_EENS5_IlS7_EENS5_IKS6_S7_EES7_S7_S7_b
    .private_segment_fixed_size: 0
    .sgpr_count:     100
    .sgpr_spill_count: 41
    .symbol:         _ZN2at6native12_GLOBAL__N_112gatherMedianIhmLi2EEEvNS_4cuda6detail10TensorInfoIT_T0_EENS5_IlS7_EENS5_IKS6_S7_EES7_S7_S7_b.kd
    .uniform_work_group_size: 1
    .uses_dynamic_stack: false
    .vgpr_count:     56
    .vgpr_spill_count: 0
    .wavefront_size: 64
  - .args:
      - .offset:         0
        .size:           416
        .value_kind:     by_value
      - .offset:         416
        .size:           416
        .value_kind:     by_value
      - .offset:         832
        .size:           416
        .value_kind:     by_value
      - .offset:         1248
        .size:           8
        .value_kind:     by_value
      - .offset:         1256
        .size:           8
        .value_kind:     by_value
      - .offset:         1264
        .size:           8
        .value_kind:     by_value
      - .offset:         1272
        .size:           1
        .value_kind:     by_value
      - .offset:         1280
        .size:           4
        .value_kind:     hidden_block_count_x
      - .offset:         1284
        .size:           4
        .value_kind:     hidden_block_count_y
      - .offset:         1288
        .size:           4
        .value_kind:     hidden_block_count_z
      - .offset:         1292
        .size:           2
        .value_kind:     hidden_group_size_x
      - .offset:         1294
        .size:           2
        .value_kind:     hidden_group_size_y
      - .offset:         1296
        .size:           2
        .value_kind:     hidden_group_size_z
      - .offset:         1298
        .size:           2
        .value_kind:     hidden_remainder_x
      - .offset:         1300
        .size:           2
        .value_kind:     hidden_remainder_y
      - .offset:         1302
        .size:           2
        .value_kind:     hidden_remainder_z
      - .offset:         1320
        .size:           8
        .value_kind:     hidden_global_offset_x
      - .offset:         1328
        .size:           8
        .value_kind:     hidden_global_offset_y
      - .offset:         1336
        .size:           8
        .value_kind:     hidden_global_offset_z
      - .offset:         1344
        .size:           2
        .value_kind:     hidden_grid_dims
    .group_segment_fixed_size: 5152
    .kernarg_segment_align: 8
    .kernarg_segment_size: 1536
    .language:       OpenCL C
    .language_version:
      - 2
      - 0
    .max_flat_workgroup_size: 1024
    .name:           _ZN2at6native12_GLOBAL__N_112gatherMedianIhmLi3EEEvNS_4cuda6detail10TensorInfoIT_T0_EENS5_IlS7_EENS5_IKS6_S7_EES7_S7_S7_b
    .private_segment_fixed_size: 0
    .sgpr_count:     100
    .sgpr_spill_count: 49
    .symbol:         _ZN2at6native12_GLOBAL__N_112gatherMedianIhmLi3EEEvNS_4cuda6detail10TensorInfoIT_T0_EENS5_IlS7_EENS5_IKS6_S7_EES7_S7_S7_b.kd
    .uniform_work_group_size: 1
    .uses_dynamic_stack: false
    .vgpr_count:     47
    .vgpr_spill_count: 0
    .wavefront_size: 64
  - .args:
      - .offset:         0
        .size:           416
        .value_kind:     by_value
      - .offset:         416
        .size:           416
        .value_kind:     by_value
      - .offset:         832
        .size:           416
        .value_kind:     by_value
      - .offset:         1248
        .size:           8
        .value_kind:     by_value
      - .offset:         1256
        .size:           8
        .value_kind:     by_value
      - .offset:         1264
        .size:           8
        .value_kind:     by_value
      - .offset:         1272
        .size:           1
        .value_kind:     by_value
      - .offset:         1280
        .size:           4
        .value_kind:     hidden_block_count_x
      - .offset:         1284
        .size:           4
        .value_kind:     hidden_block_count_y
      - .offset:         1288
        .size:           4
        .value_kind:     hidden_block_count_z
      - .offset:         1292
        .size:           2
        .value_kind:     hidden_group_size_x
      - .offset:         1294
        .size:           2
        .value_kind:     hidden_group_size_y
      - .offset:         1296
        .size:           2
        .value_kind:     hidden_group_size_z
      - .offset:         1298
        .size:           2
        .value_kind:     hidden_remainder_x
      - .offset:         1300
        .size:           2
        .value_kind:     hidden_remainder_y
      - .offset:         1302
        .size:           2
        .value_kind:     hidden_remainder_z
      - .offset:         1320
        .size:           8
        .value_kind:     hidden_global_offset_x
      - .offset:         1328
        .size:           8
        .value_kind:     hidden_global_offset_y
      - .offset:         1336
        .size:           8
        .value_kind:     hidden_global_offset_z
      - .offset:         1344
        .size:           2
        .value_kind:     hidden_grid_dims
    .group_segment_fixed_size: 5152
    .kernarg_segment_align: 8
    .kernarg_segment_size: 1536
    .language:       OpenCL C
    .language_version:
      - 2
      - 0
    .max_flat_workgroup_size: 1024
    .name:           _ZN2at6native12_GLOBAL__N_112gatherMedianIhmLin1EEEvNS_4cuda6detail10TensorInfoIT_T0_EENS5_IlS7_EENS5_IKS6_S7_EES7_S7_S7_b
    .private_segment_fixed_size: 0
    .sgpr_count:     100
    .sgpr_spill_count: 40
    .symbol:         _ZN2at6native12_GLOBAL__N_112gatherMedianIhmLin1EEEvNS_4cuda6detail10TensorInfoIT_T0_EENS5_IlS7_EENS5_IKS6_S7_EES7_S7_S7_b.kd
    .uniform_work_group_size: 1
    .uses_dynamic_stack: false
    .vgpr_count:     57
    .vgpr_spill_count: 0
    .wavefront_size: 64
  - .args:
      - .offset:         0
        .size:           216
        .value_kind:     by_value
      - .offset:         216
        .size:           216
        .value_kind:     by_value
      - .offset:         432
        .size:           216
        .value_kind:     by_value
      - .offset:         648
        .size:           4
        .value_kind:     by_value
      - .offset:         652
        .size:           4
        .value_kind:     by_value
      - .offset:         656
        .size:           4
        .value_kind:     by_value
      - .offset:         660
        .size:           1
        .value_kind:     by_value
      - .offset:         664
        .size:           4
        .value_kind:     hidden_block_count_x
      - .offset:         668
        .size:           4
        .value_kind:     hidden_block_count_y
      - .offset:         672
        .size:           4
        .value_kind:     hidden_block_count_z
      - .offset:         676
        .size:           2
        .value_kind:     hidden_group_size_x
      - .offset:         678
        .size:           2
        .value_kind:     hidden_group_size_y
      - .offset:         680
        .size:           2
        .value_kind:     hidden_group_size_z
      - .offset:         682
        .size:           2
        .value_kind:     hidden_remainder_x
      - .offset:         684
        .size:           2
        .value_kind:     hidden_remainder_y
      - .offset:         686
        .size:           2
        .value_kind:     hidden_remainder_z
      - .offset:         704
        .size:           8
        .value_kind:     hidden_global_offset_x
      - .offset:         712
        .size:           8
        .value_kind:     hidden_global_offset_y
      - .offset:         720
        .size:           8
        .value_kind:     hidden_global_offset_z
      - .offset:         728
        .size:           2
        .value_kind:     hidden_grid_dims
    .group_segment_fixed_size: 4120
    .kernarg_segment_align: 8
    .kernarg_segment_size: 920
    .language:       OpenCL C
    .language_version:
      - 2
      - 0
    .max_flat_workgroup_size: 1024
    .name:           _ZN2at6native12_GLOBAL__N_112gatherMedianIajLi1EEEvNS_4cuda6detail10TensorInfoIT_T0_EENS5_IlS7_EENS5_IKS6_S7_EES7_S7_S7_b
    .private_segment_fixed_size: 0
    .sgpr_count:     100
    .sgpr_spill_count: 28
    .symbol:         _ZN2at6native12_GLOBAL__N_112gatherMedianIajLi1EEEvNS_4cuda6detail10TensorInfoIT_T0_EENS5_IlS7_EENS5_IKS6_S7_EES7_S7_S7_b.kd
    .uniform_work_group_size: 1
    .uses_dynamic_stack: false
    .vgpr_count:     53
    .vgpr_spill_count: 0
    .wavefront_size: 64
  - .args:
      - .offset:         0
        .size:           216
        .value_kind:     by_value
      - .offset:         216
        .size:           216
        .value_kind:     by_value
      - .offset:         432
        .size:           216
        .value_kind:     by_value
      - .offset:         648
        .size:           4
        .value_kind:     by_value
      - .offset:         652
        .size:           4
        .value_kind:     by_value
      - .offset:         656
        .size:           4
        .value_kind:     by_value
      - .offset:         660
        .size:           1
        .value_kind:     by_value
      - .offset:         664
        .size:           4
        .value_kind:     hidden_block_count_x
      - .offset:         668
        .size:           4
        .value_kind:     hidden_block_count_y
      - .offset:         672
        .size:           4
        .value_kind:     hidden_block_count_z
      - .offset:         676
        .size:           2
        .value_kind:     hidden_group_size_x
      - .offset:         678
        .size:           2
        .value_kind:     hidden_group_size_y
      - .offset:         680
        .size:           2
        .value_kind:     hidden_group_size_z
      - .offset:         682
        .size:           2
        .value_kind:     hidden_remainder_x
      - .offset:         684
        .size:           2
        .value_kind:     hidden_remainder_y
      - .offset:         686
        .size:           2
        .value_kind:     hidden_remainder_z
      - .offset:         704
        .size:           8
        .value_kind:     hidden_global_offset_x
      - .offset:         712
        .size:           8
        .value_kind:     hidden_global_offset_y
      - .offset:         720
        .size:           8
        .value_kind:     hidden_global_offset_z
      - .offset:         728
        .size:           2
        .value_kind:     hidden_grid_dims
    .group_segment_fixed_size: 4120
    .kernarg_segment_align: 8
    .kernarg_segment_size: 920
    .language:       OpenCL C
    .language_version:
      - 2
      - 0
    .max_flat_workgroup_size: 1024
    .name:           _ZN2at6native12_GLOBAL__N_112gatherMedianIajLi2EEEvNS_4cuda6detail10TensorInfoIT_T0_EENS5_IlS7_EENS5_IKS6_S7_EES7_S7_S7_b
    .private_segment_fixed_size: 0
    .sgpr_count:     100
    .sgpr_spill_count: 34
    .symbol:         _ZN2at6native12_GLOBAL__N_112gatherMedianIajLi2EEEvNS_4cuda6detail10TensorInfoIT_T0_EENS5_IlS7_EENS5_IKS6_S7_EES7_S7_S7_b.kd
    .uniform_work_group_size: 1
    .uses_dynamic_stack: false
    .vgpr_count:     53
    .vgpr_spill_count: 0
    .wavefront_size: 64
  - .args:
      - .offset:         0
        .size:           216
        .value_kind:     by_value
      - .offset:         216
        .size:           216
        .value_kind:     by_value
      - .offset:         432
        .size:           216
        .value_kind:     by_value
      - .offset:         648
        .size:           4
        .value_kind:     by_value
      - .offset:         652
        .size:           4
        .value_kind:     by_value
      - .offset:         656
        .size:           4
        .value_kind:     by_value
      - .offset:         660
        .size:           1
        .value_kind:     by_value
      - .offset:         664
        .size:           4
        .value_kind:     hidden_block_count_x
      - .offset:         668
        .size:           4
        .value_kind:     hidden_block_count_y
      - .offset:         672
        .size:           4
        .value_kind:     hidden_block_count_z
      - .offset:         676
        .size:           2
        .value_kind:     hidden_group_size_x
      - .offset:         678
        .size:           2
        .value_kind:     hidden_group_size_y
      - .offset:         680
        .size:           2
        .value_kind:     hidden_group_size_z
      - .offset:         682
        .size:           2
        .value_kind:     hidden_remainder_x
      - .offset:         684
        .size:           2
        .value_kind:     hidden_remainder_y
      - .offset:         686
        .size:           2
        .value_kind:     hidden_remainder_z
      - .offset:         704
        .size:           8
        .value_kind:     hidden_global_offset_x
      - .offset:         712
        .size:           8
        .value_kind:     hidden_global_offset_y
      - .offset:         720
        .size:           8
        .value_kind:     hidden_global_offset_z
      - .offset:         728
        .size:           2
        .value_kind:     hidden_grid_dims
    .group_segment_fixed_size: 4120
    .kernarg_segment_align: 8
    .kernarg_segment_size: 920
    .language:       OpenCL C
    .language_version:
      - 2
      - 0
    .max_flat_workgroup_size: 1024
    .name:           _ZN2at6native12_GLOBAL__N_112gatherMedianIajLi3EEEvNS_4cuda6detail10TensorInfoIT_T0_EENS5_IlS7_EENS5_IKS6_S7_EES7_S7_S7_b
    .private_segment_fixed_size: 0
    .sgpr_count:     100
    .sgpr_spill_count: 42
    .symbol:         _ZN2at6native12_GLOBAL__N_112gatherMedianIajLi3EEEvNS_4cuda6detail10TensorInfoIT_T0_EENS5_IlS7_EENS5_IKS6_S7_EES7_S7_S7_b.kd
    .uniform_work_group_size: 1
    .uses_dynamic_stack: false
    .vgpr_count:     53
    .vgpr_spill_count: 0
    .wavefront_size: 64
  - .args:
      - .offset:         0
        .size:           216
        .value_kind:     by_value
      - .offset:         216
        .size:           216
        .value_kind:     by_value
      - .offset:         432
        .size:           216
        .value_kind:     by_value
      - .offset:         648
        .size:           4
        .value_kind:     by_value
      - .offset:         652
        .size:           4
        .value_kind:     by_value
      - .offset:         656
        .size:           4
        .value_kind:     by_value
      - .offset:         660
        .size:           1
        .value_kind:     by_value
      - .offset:         664
        .size:           4
        .value_kind:     hidden_block_count_x
      - .offset:         668
        .size:           4
        .value_kind:     hidden_block_count_y
      - .offset:         672
        .size:           4
        .value_kind:     hidden_block_count_z
      - .offset:         676
        .size:           2
        .value_kind:     hidden_group_size_x
      - .offset:         678
        .size:           2
        .value_kind:     hidden_group_size_y
      - .offset:         680
        .size:           2
        .value_kind:     hidden_group_size_z
      - .offset:         682
        .size:           2
        .value_kind:     hidden_remainder_x
      - .offset:         684
        .size:           2
        .value_kind:     hidden_remainder_y
      - .offset:         686
        .size:           2
        .value_kind:     hidden_remainder_z
      - .offset:         704
        .size:           8
        .value_kind:     hidden_global_offset_x
      - .offset:         712
        .size:           8
        .value_kind:     hidden_global_offset_y
      - .offset:         720
        .size:           8
        .value_kind:     hidden_global_offset_z
      - .offset:         728
        .size:           2
        .value_kind:     hidden_grid_dims
    .group_segment_fixed_size: 4120
    .kernarg_segment_align: 8
    .kernarg_segment_size: 920
    .language:       OpenCL C
    .language_version:
      - 2
      - 0
    .max_flat_workgroup_size: 1024
    .name:           _ZN2at6native12_GLOBAL__N_112gatherMedianIajLin1EEEvNS_4cuda6detail10TensorInfoIT_T0_EENS5_IlS7_EENS5_IKS6_S7_EES7_S7_S7_b
    .private_segment_fixed_size: 0
    .sgpr_count:     100
    .sgpr_spill_count: 30
    .symbol:         _ZN2at6native12_GLOBAL__N_112gatherMedianIajLin1EEEvNS_4cuda6detail10TensorInfoIT_T0_EENS5_IlS7_EENS5_IKS6_S7_EES7_S7_S7_b.kd
    .uniform_work_group_size: 1
    .uses_dynamic_stack: false
    .vgpr_count:     53
    .vgpr_spill_count: 0
    .wavefront_size: 64
  - .args:
      - .offset:         0
        .size:           416
        .value_kind:     by_value
      - .offset:         416
        .size:           416
        .value_kind:     by_value
      - .offset:         832
        .size:           416
        .value_kind:     by_value
      - .offset:         1248
        .size:           8
        .value_kind:     by_value
      - .offset:         1256
        .size:           8
        .value_kind:     by_value
      - .offset:         1264
        .size:           8
        .value_kind:     by_value
      - .offset:         1272
        .size:           1
        .value_kind:     by_value
      - .offset:         1280
        .size:           4
        .value_kind:     hidden_block_count_x
      - .offset:         1284
        .size:           4
        .value_kind:     hidden_block_count_y
      - .offset:         1288
        .size:           4
        .value_kind:     hidden_block_count_z
      - .offset:         1292
        .size:           2
        .value_kind:     hidden_group_size_x
      - .offset:         1294
        .size:           2
        .value_kind:     hidden_group_size_y
      - .offset:         1296
        .size:           2
        .value_kind:     hidden_group_size_z
      - .offset:         1298
        .size:           2
        .value_kind:     hidden_remainder_x
      - .offset:         1300
        .size:           2
        .value_kind:     hidden_remainder_y
      - .offset:         1302
        .size:           2
        .value_kind:     hidden_remainder_z
      - .offset:         1320
        .size:           8
        .value_kind:     hidden_global_offset_x
      - .offset:         1328
        .size:           8
        .value_kind:     hidden_global_offset_y
      - .offset:         1336
        .size:           8
        .value_kind:     hidden_global_offset_z
      - .offset:         1344
        .size:           2
        .value_kind:     hidden_grid_dims
    .group_segment_fixed_size: 5152
    .kernarg_segment_align: 8
    .kernarg_segment_size: 1536
    .language:       OpenCL C
    .language_version:
      - 2
      - 0
    .max_flat_workgroup_size: 1024
    .name:           _ZN2at6native12_GLOBAL__N_112gatherMedianIamLi1EEEvNS_4cuda6detail10TensorInfoIT_T0_EENS5_IlS7_EENS5_IKS6_S7_EES7_S7_S7_b
    .private_segment_fixed_size: 0
    .sgpr_count:     100
    .sgpr_spill_count: 33
    .symbol:         _ZN2at6native12_GLOBAL__N_112gatherMedianIamLi1EEEvNS_4cuda6detail10TensorInfoIT_T0_EENS5_IlS7_EENS5_IKS6_S7_EES7_S7_S7_b.kd
    .uniform_work_group_size: 1
    .uses_dynamic_stack: false
    .vgpr_count:     62
    .vgpr_spill_count: 0
    .wavefront_size: 64
  - .args:
      - .offset:         0
        .size:           416
        .value_kind:     by_value
      - .offset:         416
        .size:           416
        .value_kind:     by_value
      - .offset:         832
        .size:           416
        .value_kind:     by_value
      - .offset:         1248
        .size:           8
        .value_kind:     by_value
      - .offset:         1256
        .size:           8
        .value_kind:     by_value
      - .offset:         1264
        .size:           8
        .value_kind:     by_value
      - .offset:         1272
        .size:           1
        .value_kind:     by_value
      - .offset:         1280
        .size:           4
        .value_kind:     hidden_block_count_x
      - .offset:         1284
        .size:           4
        .value_kind:     hidden_block_count_y
      - .offset:         1288
        .size:           4
        .value_kind:     hidden_block_count_z
      - .offset:         1292
        .size:           2
        .value_kind:     hidden_group_size_x
      - .offset:         1294
        .size:           2
        .value_kind:     hidden_group_size_y
      - .offset:         1296
        .size:           2
        .value_kind:     hidden_group_size_z
      - .offset:         1298
        .size:           2
        .value_kind:     hidden_remainder_x
      - .offset:         1300
        .size:           2
        .value_kind:     hidden_remainder_y
      - .offset:         1302
        .size:           2
        .value_kind:     hidden_remainder_z
      - .offset:         1320
        .size:           8
        .value_kind:     hidden_global_offset_x
      - .offset:         1328
        .size:           8
        .value_kind:     hidden_global_offset_y
      - .offset:         1336
        .size:           8
        .value_kind:     hidden_global_offset_z
      - .offset:         1344
        .size:           2
        .value_kind:     hidden_grid_dims
    .group_segment_fixed_size: 5152
    .kernarg_segment_align: 8
    .kernarg_segment_size: 1536
    .language:       OpenCL C
    .language_version:
      - 2
      - 0
    .max_flat_workgroup_size: 1024
    .name:           _ZN2at6native12_GLOBAL__N_112gatherMedianIamLi2EEEvNS_4cuda6detail10TensorInfoIT_T0_EENS5_IlS7_EENS5_IKS6_S7_EES7_S7_S7_b
    .private_segment_fixed_size: 0
    .sgpr_count:     100
    .sgpr_spill_count: 42
    .symbol:         _ZN2at6native12_GLOBAL__N_112gatherMedianIamLi2EEEvNS_4cuda6detail10TensorInfoIT_T0_EENS5_IlS7_EENS5_IKS6_S7_EES7_S7_S7_b.kd
    .uniform_work_group_size: 1
    .uses_dynamic_stack: false
    .vgpr_count:     56
    .vgpr_spill_count: 0
    .wavefront_size: 64
  - .args:
      - .offset:         0
        .size:           416
        .value_kind:     by_value
      - .offset:         416
        .size:           416
        .value_kind:     by_value
      - .offset:         832
        .size:           416
        .value_kind:     by_value
      - .offset:         1248
        .size:           8
        .value_kind:     by_value
      - .offset:         1256
        .size:           8
        .value_kind:     by_value
      - .offset:         1264
        .size:           8
        .value_kind:     by_value
      - .offset:         1272
        .size:           1
        .value_kind:     by_value
      - .offset:         1280
        .size:           4
        .value_kind:     hidden_block_count_x
      - .offset:         1284
        .size:           4
        .value_kind:     hidden_block_count_y
      - .offset:         1288
        .size:           4
        .value_kind:     hidden_block_count_z
      - .offset:         1292
        .size:           2
        .value_kind:     hidden_group_size_x
      - .offset:         1294
        .size:           2
        .value_kind:     hidden_group_size_y
      - .offset:         1296
        .size:           2
        .value_kind:     hidden_group_size_z
      - .offset:         1298
        .size:           2
        .value_kind:     hidden_remainder_x
      - .offset:         1300
        .size:           2
        .value_kind:     hidden_remainder_y
      - .offset:         1302
        .size:           2
        .value_kind:     hidden_remainder_z
      - .offset:         1320
        .size:           8
        .value_kind:     hidden_global_offset_x
      - .offset:         1328
        .size:           8
        .value_kind:     hidden_global_offset_y
      - .offset:         1336
        .size:           8
        .value_kind:     hidden_global_offset_z
      - .offset:         1344
        .size:           2
        .value_kind:     hidden_grid_dims
    .group_segment_fixed_size: 5152
    .kernarg_segment_align: 8
    .kernarg_segment_size: 1536
    .language:       OpenCL C
    .language_version:
      - 2
      - 0
    .max_flat_workgroup_size: 1024
    .name:           _ZN2at6native12_GLOBAL__N_112gatherMedianIamLi3EEEvNS_4cuda6detail10TensorInfoIT_T0_EENS5_IlS7_EENS5_IKS6_S7_EES7_S7_S7_b
    .private_segment_fixed_size: 0
    .sgpr_count:     100
    .sgpr_spill_count: 49
    .symbol:         _ZN2at6native12_GLOBAL__N_112gatherMedianIamLi3EEEvNS_4cuda6detail10TensorInfoIT_T0_EENS5_IlS7_EENS5_IKS6_S7_EES7_S7_S7_b.kd
    .uniform_work_group_size: 1
    .uses_dynamic_stack: false
    .vgpr_count:     47
    .vgpr_spill_count: 0
    .wavefront_size: 64
  - .args:
      - .offset:         0
        .size:           416
        .value_kind:     by_value
      - .offset:         416
        .size:           416
        .value_kind:     by_value
      - .offset:         832
        .size:           416
        .value_kind:     by_value
      - .offset:         1248
        .size:           8
        .value_kind:     by_value
      - .offset:         1256
        .size:           8
        .value_kind:     by_value
      - .offset:         1264
        .size:           8
        .value_kind:     by_value
      - .offset:         1272
        .size:           1
        .value_kind:     by_value
      - .offset:         1280
        .size:           4
        .value_kind:     hidden_block_count_x
      - .offset:         1284
        .size:           4
        .value_kind:     hidden_block_count_y
      - .offset:         1288
        .size:           4
        .value_kind:     hidden_block_count_z
      - .offset:         1292
        .size:           2
        .value_kind:     hidden_group_size_x
      - .offset:         1294
        .size:           2
        .value_kind:     hidden_group_size_y
      - .offset:         1296
        .size:           2
        .value_kind:     hidden_group_size_z
      - .offset:         1298
        .size:           2
        .value_kind:     hidden_remainder_x
      - .offset:         1300
        .size:           2
        .value_kind:     hidden_remainder_y
      - .offset:         1302
        .size:           2
        .value_kind:     hidden_remainder_z
      - .offset:         1320
        .size:           8
        .value_kind:     hidden_global_offset_x
      - .offset:         1328
        .size:           8
        .value_kind:     hidden_global_offset_y
      - .offset:         1336
        .size:           8
        .value_kind:     hidden_global_offset_z
      - .offset:         1344
        .size:           2
        .value_kind:     hidden_grid_dims
    .group_segment_fixed_size: 5152
    .kernarg_segment_align: 8
    .kernarg_segment_size: 1536
    .language:       OpenCL C
    .language_version:
      - 2
      - 0
    .max_flat_workgroup_size: 1024
    .name:           _ZN2at6native12_GLOBAL__N_112gatherMedianIamLin1EEEvNS_4cuda6detail10TensorInfoIT_T0_EENS5_IlS7_EENS5_IKS6_S7_EES7_S7_S7_b
    .private_segment_fixed_size: 0
    .sgpr_count:     100
    .sgpr_spill_count: 40
    .symbol:         _ZN2at6native12_GLOBAL__N_112gatherMedianIamLin1EEEvNS_4cuda6detail10TensorInfoIT_T0_EENS5_IlS7_EENS5_IKS6_S7_EES7_S7_S7_b.kd
    .uniform_work_group_size: 1
    .uses_dynamic_stack: false
    .vgpr_count:     57
    .vgpr_spill_count: 0
    .wavefront_size: 64
  - .args:
      - .offset:         0
        .size:           216
        .value_kind:     by_value
      - .offset:         216
        .size:           216
        .value_kind:     by_value
      - .offset:         432
        .size:           216
        .value_kind:     by_value
      - .offset:         648
        .size:           4
        .value_kind:     by_value
      - .offset:         652
        .size:           4
        .value_kind:     by_value
      - .offset:         656
        .size:           4
        .value_kind:     by_value
      - .offset:         660
        .size:           1
        .value_kind:     by_value
      - .offset:         664
        .size:           4
        .value_kind:     hidden_block_count_x
      - .offset:         668
        .size:           4
        .value_kind:     hidden_block_count_y
      - .offset:         672
        .size:           4
        .value_kind:     hidden_block_count_z
      - .offset:         676
        .size:           2
        .value_kind:     hidden_group_size_x
      - .offset:         678
        .size:           2
        .value_kind:     hidden_group_size_y
      - .offset:         680
        .size:           2
        .value_kind:     hidden_group_size_z
      - .offset:         682
        .size:           2
        .value_kind:     hidden_remainder_x
      - .offset:         684
        .size:           2
        .value_kind:     hidden_remainder_y
      - .offset:         686
        .size:           2
        .value_kind:     hidden_remainder_z
      - .offset:         704
        .size:           8
        .value_kind:     hidden_global_offset_x
      - .offset:         712
        .size:           8
        .value_kind:     hidden_global_offset_y
      - .offset:         720
        .size:           8
        .value_kind:     hidden_global_offset_z
      - .offset:         728
        .size:           2
        .value_kind:     hidden_grid_dims
    .group_segment_fixed_size: 4120
    .kernarg_segment_align: 8
    .kernarg_segment_size: 920
    .language:       OpenCL C
    .language_version:
      - 2
      - 0
    .max_flat_workgroup_size: 1024
    .name:           _ZN2at6native12_GLOBAL__N_112gatherMedianIijLi1EEEvNS_4cuda6detail10TensorInfoIT_T0_EENS5_IlS7_EENS5_IKS6_S7_EES7_S7_S7_b
    .private_segment_fixed_size: 0
    .sgpr_count:     100
    .sgpr_spill_count: 18
    .symbol:         _ZN2at6native12_GLOBAL__N_112gatherMedianIijLi1EEEvNS_4cuda6detail10TensorInfoIT_T0_EENS5_IlS7_EENS5_IKS6_S7_EES7_S7_S7_b.kd
    .uniform_work_group_size: 1
    .uses_dynamic_stack: false
    .vgpr_count:     49
    .vgpr_spill_count: 0
    .wavefront_size: 64
  - .args:
      - .offset:         0
        .size:           216
        .value_kind:     by_value
      - .offset:         216
        .size:           216
        .value_kind:     by_value
      - .offset:         432
        .size:           216
        .value_kind:     by_value
      - .offset:         648
        .size:           4
        .value_kind:     by_value
      - .offset:         652
        .size:           4
        .value_kind:     by_value
      - .offset:         656
        .size:           4
        .value_kind:     by_value
      - .offset:         660
        .size:           1
        .value_kind:     by_value
      - .offset:         664
        .size:           4
        .value_kind:     hidden_block_count_x
      - .offset:         668
        .size:           4
        .value_kind:     hidden_block_count_y
      - .offset:         672
        .size:           4
        .value_kind:     hidden_block_count_z
      - .offset:         676
        .size:           2
        .value_kind:     hidden_group_size_x
      - .offset:         678
        .size:           2
        .value_kind:     hidden_group_size_y
      - .offset:         680
        .size:           2
        .value_kind:     hidden_group_size_z
      - .offset:         682
        .size:           2
        .value_kind:     hidden_remainder_x
      - .offset:         684
        .size:           2
        .value_kind:     hidden_remainder_y
      - .offset:         686
        .size:           2
        .value_kind:     hidden_remainder_z
      - .offset:         704
        .size:           8
        .value_kind:     hidden_global_offset_x
      - .offset:         712
        .size:           8
        .value_kind:     hidden_global_offset_y
      - .offset:         720
        .size:           8
        .value_kind:     hidden_global_offset_z
      - .offset:         728
        .size:           2
        .value_kind:     hidden_grid_dims
    .group_segment_fixed_size: 4120
    .kernarg_segment_align: 8
    .kernarg_segment_size: 920
    .language:       OpenCL C
    .language_version:
      - 2
      - 0
    .max_flat_workgroup_size: 1024
    .name:           _ZN2at6native12_GLOBAL__N_112gatherMedianIijLi2EEEvNS_4cuda6detail10TensorInfoIT_T0_EENS5_IlS7_EENS5_IKS6_S7_EES7_S7_S7_b
    .private_segment_fixed_size: 0
    .sgpr_count:     100
    .sgpr_spill_count: 24
    .symbol:         _ZN2at6native12_GLOBAL__N_112gatherMedianIijLi2EEEvNS_4cuda6detail10TensorInfoIT_T0_EENS5_IlS7_EENS5_IKS6_S7_EES7_S7_S7_b.kd
    .uniform_work_group_size: 1
    .uses_dynamic_stack: false
    .vgpr_count:     49
    .vgpr_spill_count: 0
    .wavefront_size: 64
  - .args:
      - .offset:         0
        .size:           216
        .value_kind:     by_value
      - .offset:         216
        .size:           216
        .value_kind:     by_value
      - .offset:         432
        .size:           216
        .value_kind:     by_value
      - .offset:         648
        .size:           4
        .value_kind:     by_value
      - .offset:         652
        .size:           4
        .value_kind:     by_value
      - .offset:         656
        .size:           4
        .value_kind:     by_value
      - .offset:         660
        .size:           1
        .value_kind:     by_value
      - .offset:         664
        .size:           4
        .value_kind:     hidden_block_count_x
      - .offset:         668
        .size:           4
        .value_kind:     hidden_block_count_y
      - .offset:         672
        .size:           4
        .value_kind:     hidden_block_count_z
      - .offset:         676
        .size:           2
        .value_kind:     hidden_group_size_x
      - .offset:         678
        .size:           2
        .value_kind:     hidden_group_size_y
      - .offset:         680
        .size:           2
        .value_kind:     hidden_group_size_z
      - .offset:         682
        .size:           2
        .value_kind:     hidden_remainder_x
      - .offset:         684
        .size:           2
        .value_kind:     hidden_remainder_y
      - .offset:         686
        .size:           2
        .value_kind:     hidden_remainder_z
      - .offset:         704
        .size:           8
        .value_kind:     hidden_global_offset_x
      - .offset:         712
        .size:           8
        .value_kind:     hidden_global_offset_y
      - .offset:         720
        .size:           8
        .value_kind:     hidden_global_offset_z
      - .offset:         728
        .size:           2
        .value_kind:     hidden_grid_dims
    .group_segment_fixed_size: 4120
    .kernarg_segment_align: 8
    .kernarg_segment_size: 920
    .language:       OpenCL C
    .language_version:
      - 2
      - 0
    .max_flat_workgroup_size: 1024
    .name:           _ZN2at6native12_GLOBAL__N_112gatherMedianIijLi3EEEvNS_4cuda6detail10TensorInfoIT_T0_EENS5_IlS7_EENS5_IKS6_S7_EES7_S7_S7_b
    .private_segment_fixed_size: 0
    .sgpr_count:     100
    .sgpr_spill_count: 32
    .symbol:         _ZN2at6native12_GLOBAL__N_112gatherMedianIijLi3EEEvNS_4cuda6detail10TensorInfoIT_T0_EENS5_IlS7_EENS5_IKS6_S7_EES7_S7_S7_b.kd
    .uniform_work_group_size: 1
    .uses_dynamic_stack: false
    .vgpr_count:     49
    .vgpr_spill_count: 0
    .wavefront_size: 64
  - .args:
      - .offset:         0
        .size:           216
        .value_kind:     by_value
      - .offset:         216
        .size:           216
        .value_kind:     by_value
      - .offset:         432
        .size:           216
        .value_kind:     by_value
      - .offset:         648
        .size:           4
        .value_kind:     by_value
      - .offset:         652
        .size:           4
        .value_kind:     by_value
      - .offset:         656
        .size:           4
        .value_kind:     by_value
      - .offset:         660
        .size:           1
        .value_kind:     by_value
      - .offset:         664
        .size:           4
        .value_kind:     hidden_block_count_x
      - .offset:         668
        .size:           4
        .value_kind:     hidden_block_count_y
      - .offset:         672
        .size:           4
        .value_kind:     hidden_block_count_z
      - .offset:         676
        .size:           2
        .value_kind:     hidden_group_size_x
      - .offset:         678
        .size:           2
        .value_kind:     hidden_group_size_y
      - .offset:         680
        .size:           2
        .value_kind:     hidden_group_size_z
      - .offset:         682
        .size:           2
        .value_kind:     hidden_remainder_x
      - .offset:         684
        .size:           2
        .value_kind:     hidden_remainder_y
      - .offset:         686
        .size:           2
        .value_kind:     hidden_remainder_z
      - .offset:         704
        .size:           8
        .value_kind:     hidden_global_offset_x
      - .offset:         712
        .size:           8
        .value_kind:     hidden_global_offset_y
      - .offset:         720
        .size:           8
        .value_kind:     hidden_global_offset_z
      - .offset:         728
        .size:           2
        .value_kind:     hidden_grid_dims
    .group_segment_fixed_size: 4120
    .kernarg_segment_align: 8
    .kernarg_segment_size: 920
    .language:       OpenCL C
    .language_version:
      - 2
      - 0
    .max_flat_workgroup_size: 1024
    .name:           _ZN2at6native12_GLOBAL__N_112gatherMedianIijLin1EEEvNS_4cuda6detail10TensorInfoIT_T0_EENS5_IlS7_EENS5_IKS6_S7_EES7_S7_S7_b
    .private_segment_fixed_size: 0
    .sgpr_count:     100
    .sgpr_spill_count: 21
    .symbol:         _ZN2at6native12_GLOBAL__N_112gatherMedianIijLin1EEEvNS_4cuda6detail10TensorInfoIT_T0_EENS5_IlS7_EENS5_IKS6_S7_EES7_S7_S7_b.kd
    .uniform_work_group_size: 1
    .uses_dynamic_stack: false
    .vgpr_count:     49
    .vgpr_spill_count: 0
    .wavefront_size: 64
  - .args:
      - .offset:         0
        .size:           416
        .value_kind:     by_value
      - .offset:         416
        .size:           416
        .value_kind:     by_value
      - .offset:         832
        .size:           416
        .value_kind:     by_value
      - .offset:         1248
        .size:           8
        .value_kind:     by_value
      - .offset:         1256
        .size:           8
        .value_kind:     by_value
      - .offset:         1264
        .size:           8
        .value_kind:     by_value
      - .offset:         1272
        .size:           1
        .value_kind:     by_value
      - .offset:         1280
        .size:           4
        .value_kind:     hidden_block_count_x
      - .offset:         1284
        .size:           4
        .value_kind:     hidden_block_count_y
      - .offset:         1288
        .size:           4
        .value_kind:     hidden_block_count_z
      - .offset:         1292
        .size:           2
        .value_kind:     hidden_group_size_x
      - .offset:         1294
        .size:           2
        .value_kind:     hidden_group_size_y
      - .offset:         1296
        .size:           2
        .value_kind:     hidden_group_size_z
      - .offset:         1298
        .size:           2
        .value_kind:     hidden_remainder_x
      - .offset:         1300
        .size:           2
        .value_kind:     hidden_remainder_y
      - .offset:         1302
        .size:           2
        .value_kind:     hidden_remainder_z
      - .offset:         1320
        .size:           8
        .value_kind:     hidden_global_offset_x
      - .offset:         1328
        .size:           8
        .value_kind:     hidden_global_offset_y
      - .offset:         1336
        .size:           8
        .value_kind:     hidden_global_offset_z
      - .offset:         1344
        .size:           2
        .value_kind:     hidden_grid_dims
    .group_segment_fixed_size: 5152
    .kernarg_segment_align: 8
    .kernarg_segment_size: 1536
    .language:       OpenCL C
    .language_version:
      - 2
      - 0
    .max_flat_workgroup_size: 1024
    .name:           _ZN2at6native12_GLOBAL__N_112gatherMedianIimLi1EEEvNS_4cuda6detail10TensorInfoIT_T0_EENS5_IlS7_EENS5_IKS6_S7_EES7_S7_S7_b
    .private_segment_fixed_size: 0
    .sgpr_count:     100
    .sgpr_spill_count: 33
    .symbol:         _ZN2at6native12_GLOBAL__N_112gatherMedianIimLi1EEEvNS_4cuda6detail10TensorInfoIT_T0_EENS5_IlS7_EENS5_IKS6_S7_EES7_S7_S7_b.kd
    .uniform_work_group_size: 1
    .uses_dynamic_stack: false
    .vgpr_count:     56
    .vgpr_spill_count: 0
    .wavefront_size: 64
  - .args:
      - .offset:         0
        .size:           416
        .value_kind:     by_value
      - .offset:         416
        .size:           416
        .value_kind:     by_value
      - .offset:         832
        .size:           416
        .value_kind:     by_value
      - .offset:         1248
        .size:           8
        .value_kind:     by_value
      - .offset:         1256
        .size:           8
        .value_kind:     by_value
      - .offset:         1264
        .size:           8
        .value_kind:     by_value
      - .offset:         1272
        .size:           1
        .value_kind:     by_value
      - .offset:         1280
        .size:           4
        .value_kind:     hidden_block_count_x
      - .offset:         1284
        .size:           4
        .value_kind:     hidden_block_count_y
      - .offset:         1288
        .size:           4
        .value_kind:     hidden_block_count_z
      - .offset:         1292
        .size:           2
        .value_kind:     hidden_group_size_x
      - .offset:         1294
        .size:           2
        .value_kind:     hidden_group_size_y
      - .offset:         1296
        .size:           2
        .value_kind:     hidden_group_size_z
      - .offset:         1298
        .size:           2
        .value_kind:     hidden_remainder_x
      - .offset:         1300
        .size:           2
        .value_kind:     hidden_remainder_y
      - .offset:         1302
        .size:           2
        .value_kind:     hidden_remainder_z
      - .offset:         1320
        .size:           8
        .value_kind:     hidden_global_offset_x
      - .offset:         1328
        .size:           8
        .value_kind:     hidden_global_offset_y
      - .offset:         1336
        .size:           8
        .value_kind:     hidden_global_offset_z
      - .offset:         1344
        .size:           2
        .value_kind:     hidden_grid_dims
    .group_segment_fixed_size: 5152
    .kernarg_segment_align: 8
    .kernarg_segment_size: 1536
    .language:       OpenCL C
    .language_version:
      - 2
      - 0
    .max_flat_workgroup_size: 1024
    .name:           _ZN2at6native12_GLOBAL__N_112gatherMedianIimLi2EEEvNS_4cuda6detail10TensorInfoIT_T0_EENS5_IlS7_EENS5_IKS6_S7_EES7_S7_S7_b
    .private_segment_fixed_size: 0
    .sgpr_count:     100
    .sgpr_spill_count: 39
    .symbol:         _ZN2at6native12_GLOBAL__N_112gatherMedianIimLi2EEEvNS_4cuda6detail10TensorInfoIT_T0_EENS5_IlS7_EENS5_IKS6_S7_EES7_S7_S7_b.kd
    .uniform_work_group_size: 1
    .uses_dynamic_stack: false
    .vgpr_count:     48
    .vgpr_spill_count: 0
    .wavefront_size: 64
  - .args:
      - .offset:         0
        .size:           416
        .value_kind:     by_value
      - .offset:         416
        .size:           416
        .value_kind:     by_value
      - .offset:         832
        .size:           416
        .value_kind:     by_value
      - .offset:         1248
        .size:           8
        .value_kind:     by_value
      - .offset:         1256
        .size:           8
        .value_kind:     by_value
      - .offset:         1264
        .size:           8
        .value_kind:     by_value
      - .offset:         1272
        .size:           1
        .value_kind:     by_value
      - .offset:         1280
        .size:           4
        .value_kind:     hidden_block_count_x
      - .offset:         1284
        .size:           4
        .value_kind:     hidden_block_count_y
      - .offset:         1288
        .size:           4
        .value_kind:     hidden_block_count_z
      - .offset:         1292
        .size:           2
        .value_kind:     hidden_group_size_x
      - .offset:         1294
        .size:           2
        .value_kind:     hidden_group_size_y
      - .offset:         1296
        .size:           2
        .value_kind:     hidden_group_size_z
      - .offset:         1298
        .size:           2
        .value_kind:     hidden_remainder_x
      - .offset:         1300
        .size:           2
        .value_kind:     hidden_remainder_y
      - .offset:         1302
        .size:           2
        .value_kind:     hidden_remainder_z
      - .offset:         1320
        .size:           8
        .value_kind:     hidden_global_offset_x
      - .offset:         1328
        .size:           8
        .value_kind:     hidden_global_offset_y
      - .offset:         1336
        .size:           8
        .value_kind:     hidden_global_offset_z
      - .offset:         1344
        .size:           2
        .value_kind:     hidden_grid_dims
    .group_segment_fixed_size: 5152
    .kernarg_segment_align: 8
    .kernarg_segment_size: 1536
    .language:       OpenCL C
    .language_version:
      - 2
      - 0
    .max_flat_workgroup_size: 1024
    .name:           _ZN2at6native12_GLOBAL__N_112gatherMedianIimLi3EEEvNS_4cuda6detail10TensorInfoIT_T0_EENS5_IlS7_EENS5_IKS6_S7_EES7_S7_S7_b
    .private_segment_fixed_size: 0
    .sgpr_count:     100
    .sgpr_spill_count: 49
    .symbol:         _ZN2at6native12_GLOBAL__N_112gatherMedianIimLi3EEEvNS_4cuda6detail10TensorInfoIT_T0_EENS5_IlS7_EENS5_IKS6_S7_EES7_S7_S7_b.kd
    .uniform_work_group_size: 1
    .uses_dynamic_stack: false
    .vgpr_count:     48
    .vgpr_spill_count: 0
    .wavefront_size: 64
  - .args:
      - .offset:         0
        .size:           416
        .value_kind:     by_value
      - .offset:         416
        .size:           416
        .value_kind:     by_value
      - .offset:         832
        .size:           416
        .value_kind:     by_value
      - .offset:         1248
        .size:           8
        .value_kind:     by_value
      - .offset:         1256
        .size:           8
        .value_kind:     by_value
      - .offset:         1264
        .size:           8
        .value_kind:     by_value
      - .offset:         1272
        .size:           1
        .value_kind:     by_value
      - .offset:         1280
        .size:           4
        .value_kind:     hidden_block_count_x
      - .offset:         1284
        .size:           4
        .value_kind:     hidden_block_count_y
      - .offset:         1288
        .size:           4
        .value_kind:     hidden_block_count_z
      - .offset:         1292
        .size:           2
        .value_kind:     hidden_group_size_x
      - .offset:         1294
        .size:           2
        .value_kind:     hidden_group_size_y
      - .offset:         1296
        .size:           2
        .value_kind:     hidden_group_size_z
      - .offset:         1298
        .size:           2
        .value_kind:     hidden_remainder_x
      - .offset:         1300
        .size:           2
        .value_kind:     hidden_remainder_y
      - .offset:         1302
        .size:           2
        .value_kind:     hidden_remainder_z
      - .offset:         1320
        .size:           8
        .value_kind:     hidden_global_offset_x
      - .offset:         1328
        .size:           8
        .value_kind:     hidden_global_offset_y
      - .offset:         1336
        .size:           8
        .value_kind:     hidden_global_offset_z
      - .offset:         1344
        .size:           2
        .value_kind:     hidden_grid_dims
    .group_segment_fixed_size: 5152
    .kernarg_segment_align: 8
    .kernarg_segment_size: 1536
    .language:       OpenCL C
    .language_version:
      - 2
      - 0
    .max_flat_workgroup_size: 1024
    .name:           _ZN2at6native12_GLOBAL__N_112gatherMedianIimLin1EEEvNS_4cuda6detail10TensorInfoIT_T0_EENS5_IlS7_EENS5_IKS6_S7_EES7_S7_S7_b
    .private_segment_fixed_size: 0
    .sgpr_count:     100
    .sgpr_spill_count: 43
    .symbol:         _ZN2at6native12_GLOBAL__N_112gatherMedianIimLin1EEEvNS_4cuda6detail10TensorInfoIT_T0_EENS5_IlS7_EENS5_IKS6_S7_EES7_S7_S7_b.kd
    .uniform_work_group_size: 1
    .uses_dynamic_stack: false
    .vgpr_count:     57
    .vgpr_spill_count: 0
    .wavefront_size: 64
  - .args:
      - .offset:         0
        .size:           216
        .value_kind:     by_value
      - .offset:         216
        .size:           216
        .value_kind:     by_value
      - .offset:         432
        .size:           216
        .value_kind:     by_value
      - .offset:         648
        .size:           4
        .value_kind:     by_value
      - .offset:         652
        .size:           4
        .value_kind:     by_value
      - .offset:         656
        .size:           4
        .value_kind:     by_value
      - .offset:         660
        .size:           1
        .value_kind:     by_value
      - .offset:         664
        .size:           4
        .value_kind:     hidden_block_count_x
      - .offset:         668
        .size:           4
        .value_kind:     hidden_block_count_y
      - .offset:         672
        .size:           4
        .value_kind:     hidden_block_count_z
      - .offset:         676
        .size:           2
        .value_kind:     hidden_group_size_x
      - .offset:         678
        .size:           2
        .value_kind:     hidden_group_size_y
      - .offset:         680
        .size:           2
        .value_kind:     hidden_group_size_z
      - .offset:         682
        .size:           2
        .value_kind:     hidden_remainder_x
      - .offset:         684
        .size:           2
        .value_kind:     hidden_remainder_y
      - .offset:         686
        .size:           2
        .value_kind:     hidden_remainder_z
      - .offset:         704
        .size:           8
        .value_kind:     hidden_global_offset_x
      - .offset:         712
        .size:           8
        .value_kind:     hidden_global_offset_y
      - .offset:         720
        .size:           8
        .value_kind:     hidden_global_offset_z
      - .offset:         728
        .size:           2
        .value_kind:     hidden_grid_dims
    .group_segment_fixed_size: 4120
    .kernarg_segment_align: 8
    .kernarg_segment_size: 920
    .language:       OpenCL C
    .language_version:
      - 2
      - 0
    .max_flat_workgroup_size: 1024
    .name:           _ZN2at6native12_GLOBAL__N_112gatherMedianIljLi1EEEvNS_4cuda6detail10TensorInfoIT_T0_EENS5_IlS7_EENS5_IKS6_S7_EES7_S7_S7_b
    .private_segment_fixed_size: 0
    .sgpr_count:     100
    .sgpr_spill_count: 18
    .symbol:         _ZN2at6native12_GLOBAL__N_112gatherMedianIljLi1EEEvNS_4cuda6detail10TensorInfoIT_T0_EENS5_IlS7_EENS5_IKS6_S7_EES7_S7_S7_b.kd
    .uniform_work_group_size: 1
    .uses_dynamic_stack: false
    .vgpr_count:     47
    .vgpr_spill_count: 0
    .wavefront_size: 64
  - .args:
      - .offset:         0
        .size:           216
        .value_kind:     by_value
      - .offset:         216
        .size:           216
        .value_kind:     by_value
      - .offset:         432
        .size:           216
        .value_kind:     by_value
      - .offset:         648
        .size:           4
        .value_kind:     by_value
      - .offset:         652
        .size:           4
        .value_kind:     by_value
      - .offset:         656
        .size:           4
        .value_kind:     by_value
      - .offset:         660
        .size:           1
        .value_kind:     by_value
      - .offset:         664
        .size:           4
        .value_kind:     hidden_block_count_x
      - .offset:         668
        .size:           4
        .value_kind:     hidden_block_count_y
      - .offset:         672
        .size:           4
        .value_kind:     hidden_block_count_z
      - .offset:         676
        .size:           2
        .value_kind:     hidden_group_size_x
      - .offset:         678
        .size:           2
        .value_kind:     hidden_group_size_y
      - .offset:         680
        .size:           2
        .value_kind:     hidden_group_size_z
      - .offset:         682
        .size:           2
        .value_kind:     hidden_remainder_x
      - .offset:         684
        .size:           2
        .value_kind:     hidden_remainder_y
      - .offset:         686
        .size:           2
        .value_kind:     hidden_remainder_z
      - .offset:         704
        .size:           8
        .value_kind:     hidden_global_offset_x
      - .offset:         712
        .size:           8
        .value_kind:     hidden_global_offset_y
      - .offset:         720
        .size:           8
        .value_kind:     hidden_global_offset_z
      - .offset:         728
        .size:           2
        .value_kind:     hidden_grid_dims
    .group_segment_fixed_size: 4120
    .kernarg_segment_align: 8
    .kernarg_segment_size: 920
    .language:       OpenCL C
    .language_version:
      - 2
      - 0
    .max_flat_workgroup_size: 1024
    .name:           _ZN2at6native12_GLOBAL__N_112gatherMedianIljLi2EEEvNS_4cuda6detail10TensorInfoIT_T0_EENS5_IlS7_EENS5_IKS6_S7_EES7_S7_S7_b
    .private_segment_fixed_size: 0
    .sgpr_count:     100
    .sgpr_spill_count: 24
    .symbol:         _ZN2at6native12_GLOBAL__N_112gatherMedianIljLi2EEEvNS_4cuda6detail10TensorInfoIT_T0_EENS5_IlS7_EENS5_IKS6_S7_EES7_S7_S7_b.kd
    .uniform_work_group_size: 1
    .uses_dynamic_stack: false
    .vgpr_count:     47
    .vgpr_spill_count: 0
    .wavefront_size: 64
  - .args:
      - .offset:         0
        .size:           216
        .value_kind:     by_value
      - .offset:         216
        .size:           216
        .value_kind:     by_value
      - .offset:         432
        .size:           216
        .value_kind:     by_value
      - .offset:         648
        .size:           4
        .value_kind:     by_value
      - .offset:         652
        .size:           4
        .value_kind:     by_value
      - .offset:         656
        .size:           4
        .value_kind:     by_value
      - .offset:         660
        .size:           1
        .value_kind:     by_value
      - .offset:         664
        .size:           4
        .value_kind:     hidden_block_count_x
      - .offset:         668
        .size:           4
        .value_kind:     hidden_block_count_y
      - .offset:         672
        .size:           4
        .value_kind:     hidden_block_count_z
      - .offset:         676
        .size:           2
        .value_kind:     hidden_group_size_x
      - .offset:         678
        .size:           2
        .value_kind:     hidden_group_size_y
      - .offset:         680
        .size:           2
        .value_kind:     hidden_group_size_z
      - .offset:         682
        .size:           2
        .value_kind:     hidden_remainder_x
      - .offset:         684
        .size:           2
        .value_kind:     hidden_remainder_y
      - .offset:         686
        .size:           2
        .value_kind:     hidden_remainder_z
      - .offset:         704
        .size:           8
        .value_kind:     hidden_global_offset_x
      - .offset:         712
        .size:           8
        .value_kind:     hidden_global_offset_y
      - .offset:         720
        .size:           8
        .value_kind:     hidden_global_offset_z
      - .offset:         728
        .size:           2
        .value_kind:     hidden_grid_dims
    .group_segment_fixed_size: 4120
    .kernarg_segment_align: 8
    .kernarg_segment_size: 920
    .language:       OpenCL C
    .language_version:
      - 2
      - 0
    .max_flat_workgroup_size: 1024
    .name:           _ZN2at6native12_GLOBAL__N_112gatherMedianIljLi3EEEvNS_4cuda6detail10TensorInfoIT_T0_EENS5_IlS7_EENS5_IKS6_S7_EES7_S7_S7_b
    .private_segment_fixed_size: 0
    .sgpr_count:     100
    .sgpr_spill_count: 32
    .symbol:         _ZN2at6native12_GLOBAL__N_112gatherMedianIljLi3EEEvNS_4cuda6detail10TensorInfoIT_T0_EENS5_IlS7_EENS5_IKS6_S7_EES7_S7_S7_b.kd
    .uniform_work_group_size: 1
    .uses_dynamic_stack: false
    .vgpr_count:     47
    .vgpr_spill_count: 0
    .wavefront_size: 64
  - .args:
      - .offset:         0
        .size:           216
        .value_kind:     by_value
      - .offset:         216
        .size:           216
        .value_kind:     by_value
      - .offset:         432
        .size:           216
        .value_kind:     by_value
      - .offset:         648
        .size:           4
        .value_kind:     by_value
      - .offset:         652
        .size:           4
        .value_kind:     by_value
      - .offset:         656
        .size:           4
        .value_kind:     by_value
      - .offset:         660
        .size:           1
        .value_kind:     by_value
      - .offset:         664
        .size:           4
        .value_kind:     hidden_block_count_x
      - .offset:         668
        .size:           4
        .value_kind:     hidden_block_count_y
      - .offset:         672
        .size:           4
        .value_kind:     hidden_block_count_z
      - .offset:         676
        .size:           2
        .value_kind:     hidden_group_size_x
      - .offset:         678
        .size:           2
        .value_kind:     hidden_group_size_y
      - .offset:         680
        .size:           2
        .value_kind:     hidden_group_size_z
      - .offset:         682
        .size:           2
        .value_kind:     hidden_remainder_x
      - .offset:         684
        .size:           2
        .value_kind:     hidden_remainder_y
      - .offset:         686
        .size:           2
        .value_kind:     hidden_remainder_z
      - .offset:         704
        .size:           8
        .value_kind:     hidden_global_offset_x
      - .offset:         712
        .size:           8
        .value_kind:     hidden_global_offset_y
      - .offset:         720
        .size:           8
        .value_kind:     hidden_global_offset_z
      - .offset:         728
        .size:           2
        .value_kind:     hidden_grid_dims
    .group_segment_fixed_size: 4120
    .kernarg_segment_align: 8
    .kernarg_segment_size: 920
    .language:       OpenCL C
    .language_version:
      - 2
      - 0
    .max_flat_workgroup_size: 1024
    .name:           _ZN2at6native12_GLOBAL__N_112gatherMedianIljLin1EEEvNS_4cuda6detail10TensorInfoIT_T0_EENS5_IlS7_EENS5_IKS6_S7_EES7_S7_S7_b
    .private_segment_fixed_size: 0
    .sgpr_count:     100
    .sgpr_spill_count: 21
    .symbol:         _ZN2at6native12_GLOBAL__N_112gatherMedianIljLin1EEEvNS_4cuda6detail10TensorInfoIT_T0_EENS5_IlS7_EENS5_IKS6_S7_EES7_S7_S7_b.kd
    .uniform_work_group_size: 1
    .uses_dynamic_stack: false
    .vgpr_count:     47
    .vgpr_spill_count: 0
    .wavefront_size: 64
  - .args:
      - .offset:         0
        .size:           416
        .value_kind:     by_value
      - .offset:         416
        .size:           416
        .value_kind:     by_value
      - .offset:         832
        .size:           416
        .value_kind:     by_value
      - .offset:         1248
        .size:           8
        .value_kind:     by_value
      - .offset:         1256
        .size:           8
        .value_kind:     by_value
      - .offset:         1264
        .size:           8
        .value_kind:     by_value
      - .offset:         1272
        .size:           1
        .value_kind:     by_value
      - .offset:         1280
        .size:           4
        .value_kind:     hidden_block_count_x
      - .offset:         1284
        .size:           4
        .value_kind:     hidden_block_count_y
      - .offset:         1288
        .size:           4
        .value_kind:     hidden_block_count_z
      - .offset:         1292
        .size:           2
        .value_kind:     hidden_group_size_x
      - .offset:         1294
        .size:           2
        .value_kind:     hidden_group_size_y
      - .offset:         1296
        .size:           2
        .value_kind:     hidden_group_size_z
      - .offset:         1298
        .size:           2
        .value_kind:     hidden_remainder_x
      - .offset:         1300
        .size:           2
        .value_kind:     hidden_remainder_y
      - .offset:         1302
        .size:           2
        .value_kind:     hidden_remainder_z
      - .offset:         1320
        .size:           8
        .value_kind:     hidden_global_offset_x
      - .offset:         1328
        .size:           8
        .value_kind:     hidden_global_offset_y
      - .offset:         1336
        .size:           8
        .value_kind:     hidden_global_offset_z
      - .offset:         1344
        .size:           2
        .value_kind:     hidden_grid_dims
    .group_segment_fixed_size: 5152
    .kernarg_segment_align: 8
    .kernarg_segment_size: 1536
    .language:       OpenCL C
    .language_version:
      - 2
      - 0
    .max_flat_workgroup_size: 1024
    .name:           _ZN2at6native12_GLOBAL__N_112gatherMedianIlmLi1EEEvNS_4cuda6detail10TensorInfoIT_T0_EENS5_IlS7_EENS5_IKS6_S7_EES7_S7_S7_b
    .private_segment_fixed_size: 0
    .sgpr_count:     100
    .sgpr_spill_count: 24
    .symbol:         _ZN2at6native12_GLOBAL__N_112gatherMedianIlmLi1EEEvNS_4cuda6detail10TensorInfoIT_T0_EENS5_IlS7_EENS5_IKS6_S7_EES7_S7_S7_b.kd
    .uniform_work_group_size: 1
    .uses_dynamic_stack: false
    .vgpr_count:     58
    .vgpr_spill_count: 0
    .wavefront_size: 64
  - .args:
      - .offset:         0
        .size:           416
        .value_kind:     by_value
      - .offset:         416
        .size:           416
        .value_kind:     by_value
      - .offset:         832
        .size:           416
        .value_kind:     by_value
      - .offset:         1248
        .size:           8
        .value_kind:     by_value
      - .offset:         1256
        .size:           8
        .value_kind:     by_value
      - .offset:         1264
        .size:           8
        .value_kind:     by_value
      - .offset:         1272
        .size:           1
        .value_kind:     by_value
      - .offset:         1280
        .size:           4
        .value_kind:     hidden_block_count_x
      - .offset:         1284
        .size:           4
        .value_kind:     hidden_block_count_y
      - .offset:         1288
        .size:           4
        .value_kind:     hidden_block_count_z
      - .offset:         1292
        .size:           2
        .value_kind:     hidden_group_size_x
      - .offset:         1294
        .size:           2
        .value_kind:     hidden_group_size_y
      - .offset:         1296
        .size:           2
        .value_kind:     hidden_group_size_z
      - .offset:         1298
        .size:           2
        .value_kind:     hidden_remainder_x
      - .offset:         1300
        .size:           2
        .value_kind:     hidden_remainder_y
      - .offset:         1302
        .size:           2
        .value_kind:     hidden_remainder_z
      - .offset:         1320
        .size:           8
        .value_kind:     hidden_global_offset_x
      - .offset:         1328
        .size:           8
        .value_kind:     hidden_global_offset_y
      - .offset:         1336
        .size:           8
        .value_kind:     hidden_global_offset_z
      - .offset:         1344
        .size:           2
        .value_kind:     hidden_grid_dims
    .group_segment_fixed_size: 5152
    .kernarg_segment_align: 8
    .kernarg_segment_size: 1536
    .language:       OpenCL C
    .language_version:
      - 2
      - 0
    .max_flat_workgroup_size: 1024
    .name:           _ZN2at6native12_GLOBAL__N_112gatherMedianIlmLi2EEEvNS_4cuda6detail10TensorInfoIT_T0_EENS5_IlS7_EENS5_IKS6_S7_EES7_S7_S7_b
    .private_segment_fixed_size: 0
    .sgpr_count:     100
    .sgpr_spill_count: 31
    .symbol:         _ZN2at6native12_GLOBAL__N_112gatherMedianIlmLi2EEEvNS_4cuda6detail10TensorInfoIT_T0_EENS5_IlS7_EENS5_IKS6_S7_EES7_S7_S7_b.kd
    .uniform_work_group_size: 1
    .uses_dynamic_stack: false
    .vgpr_count:     47
    .vgpr_spill_count: 0
    .wavefront_size: 64
  - .args:
      - .offset:         0
        .size:           416
        .value_kind:     by_value
      - .offset:         416
        .size:           416
        .value_kind:     by_value
      - .offset:         832
        .size:           416
        .value_kind:     by_value
      - .offset:         1248
        .size:           8
        .value_kind:     by_value
      - .offset:         1256
        .size:           8
        .value_kind:     by_value
      - .offset:         1264
        .size:           8
        .value_kind:     by_value
      - .offset:         1272
        .size:           1
        .value_kind:     by_value
      - .offset:         1280
        .size:           4
        .value_kind:     hidden_block_count_x
      - .offset:         1284
        .size:           4
        .value_kind:     hidden_block_count_y
      - .offset:         1288
        .size:           4
        .value_kind:     hidden_block_count_z
      - .offset:         1292
        .size:           2
        .value_kind:     hidden_group_size_x
      - .offset:         1294
        .size:           2
        .value_kind:     hidden_group_size_y
      - .offset:         1296
        .size:           2
        .value_kind:     hidden_group_size_z
      - .offset:         1298
        .size:           2
        .value_kind:     hidden_remainder_x
      - .offset:         1300
        .size:           2
        .value_kind:     hidden_remainder_y
      - .offset:         1302
        .size:           2
        .value_kind:     hidden_remainder_z
      - .offset:         1320
        .size:           8
        .value_kind:     hidden_global_offset_x
      - .offset:         1328
        .size:           8
        .value_kind:     hidden_global_offset_y
      - .offset:         1336
        .size:           8
        .value_kind:     hidden_global_offset_z
      - .offset:         1344
        .size:           2
        .value_kind:     hidden_grid_dims
    .group_segment_fixed_size: 5152
    .kernarg_segment_align: 8
    .kernarg_segment_size: 1536
    .language:       OpenCL C
    .language_version:
      - 2
      - 0
    .max_flat_workgroup_size: 1024
    .name:           _ZN2at6native12_GLOBAL__N_112gatherMedianIlmLi3EEEvNS_4cuda6detail10TensorInfoIT_T0_EENS5_IlS7_EENS5_IKS6_S7_EES7_S7_S7_b
    .private_segment_fixed_size: 0
    .sgpr_count:     100
    .sgpr_spill_count: 43
    .symbol:         _ZN2at6native12_GLOBAL__N_112gatherMedianIlmLi3EEEvNS_4cuda6detail10TensorInfoIT_T0_EENS5_IlS7_EENS5_IKS6_S7_EES7_S7_S7_b.kd
    .uniform_work_group_size: 1
    .uses_dynamic_stack: false
    .vgpr_count:     47
    .vgpr_spill_count: 0
    .wavefront_size: 64
  - .args:
      - .offset:         0
        .size:           416
        .value_kind:     by_value
      - .offset:         416
        .size:           416
        .value_kind:     by_value
      - .offset:         832
        .size:           416
        .value_kind:     by_value
      - .offset:         1248
        .size:           8
        .value_kind:     by_value
      - .offset:         1256
        .size:           8
        .value_kind:     by_value
      - .offset:         1264
        .size:           8
        .value_kind:     by_value
      - .offset:         1272
        .size:           1
        .value_kind:     by_value
      - .offset:         1280
        .size:           4
        .value_kind:     hidden_block_count_x
      - .offset:         1284
        .size:           4
        .value_kind:     hidden_block_count_y
      - .offset:         1288
        .size:           4
        .value_kind:     hidden_block_count_z
      - .offset:         1292
        .size:           2
        .value_kind:     hidden_group_size_x
      - .offset:         1294
        .size:           2
        .value_kind:     hidden_group_size_y
      - .offset:         1296
        .size:           2
        .value_kind:     hidden_group_size_z
      - .offset:         1298
        .size:           2
        .value_kind:     hidden_remainder_x
      - .offset:         1300
        .size:           2
        .value_kind:     hidden_remainder_y
      - .offset:         1302
        .size:           2
        .value_kind:     hidden_remainder_z
      - .offset:         1320
        .size:           8
        .value_kind:     hidden_global_offset_x
      - .offset:         1328
        .size:           8
        .value_kind:     hidden_global_offset_y
      - .offset:         1336
        .size:           8
        .value_kind:     hidden_global_offset_z
      - .offset:         1344
        .size:           2
        .value_kind:     hidden_grid_dims
    .group_segment_fixed_size: 5152
    .kernarg_segment_align: 8
    .kernarg_segment_size: 1536
    .language:       OpenCL C
    .language_version:
      - 2
      - 0
    .max_flat_workgroup_size: 1024
    .name:           _ZN2at6native12_GLOBAL__N_112gatherMedianIlmLin1EEEvNS_4cuda6detail10TensorInfoIT_T0_EENS5_IlS7_EENS5_IKS6_S7_EES7_S7_S7_b
    .private_segment_fixed_size: 0
    .sgpr_count:     100
    .sgpr_spill_count: 35
    .symbol:         _ZN2at6native12_GLOBAL__N_112gatherMedianIlmLin1EEEvNS_4cuda6detail10TensorInfoIT_T0_EENS5_IlS7_EENS5_IKS6_S7_EES7_S7_S7_b.kd
    .uniform_work_group_size: 1
    .uses_dynamic_stack: false
    .vgpr_count:     58
    .vgpr_spill_count: 0
    .wavefront_size: 64
  - .args:
      - .offset:         0
        .size:           216
        .value_kind:     by_value
      - .offset:         216
        .size:           216
        .value_kind:     by_value
      - .offset:         432
        .size:           216
        .value_kind:     by_value
      - .offset:         648
        .size:           4
        .value_kind:     by_value
      - .offset:         652
        .size:           4
        .value_kind:     by_value
      - .offset:         656
        .size:           4
        .value_kind:     by_value
      - .offset:         660
        .size:           1
        .value_kind:     by_value
      - .offset:         664
        .size:           4
        .value_kind:     hidden_block_count_x
      - .offset:         668
        .size:           4
        .value_kind:     hidden_block_count_y
      - .offset:         672
        .size:           4
        .value_kind:     hidden_block_count_z
      - .offset:         676
        .size:           2
        .value_kind:     hidden_group_size_x
      - .offset:         678
        .size:           2
        .value_kind:     hidden_group_size_y
      - .offset:         680
        .size:           2
        .value_kind:     hidden_group_size_z
      - .offset:         682
        .size:           2
        .value_kind:     hidden_remainder_x
      - .offset:         684
        .size:           2
        .value_kind:     hidden_remainder_y
      - .offset:         686
        .size:           2
        .value_kind:     hidden_remainder_z
      - .offset:         704
        .size:           8
        .value_kind:     hidden_global_offset_x
      - .offset:         712
        .size:           8
        .value_kind:     hidden_global_offset_y
      - .offset:         720
        .size:           8
        .value_kind:     hidden_global_offset_z
      - .offset:         728
        .size:           2
        .value_kind:     hidden_grid_dims
    .group_segment_fixed_size: 4120
    .kernarg_segment_align: 8
    .kernarg_segment_size: 920
    .language:       OpenCL C
    .language_version:
      - 2
      - 0
    .max_flat_workgroup_size: 1024
    .name:           _ZN2at6native12_GLOBAL__N_112gatherMedianIsjLi1EEEvNS_4cuda6detail10TensorInfoIT_T0_EENS5_IlS7_EENS5_IKS6_S7_EES7_S7_S7_b
    .private_segment_fixed_size: 0
    .sgpr_count:     100
    .sgpr_spill_count: 26
    .symbol:         _ZN2at6native12_GLOBAL__N_112gatherMedianIsjLi1EEEvNS_4cuda6detail10TensorInfoIT_T0_EENS5_IlS7_EENS5_IKS6_S7_EES7_S7_S7_b.kd
    .uniform_work_group_size: 1
    .uses_dynamic_stack: false
    .vgpr_count:     51
    .vgpr_spill_count: 0
    .wavefront_size: 64
  - .args:
      - .offset:         0
        .size:           216
        .value_kind:     by_value
      - .offset:         216
        .size:           216
        .value_kind:     by_value
      - .offset:         432
        .size:           216
        .value_kind:     by_value
      - .offset:         648
        .size:           4
        .value_kind:     by_value
      - .offset:         652
        .size:           4
        .value_kind:     by_value
      - .offset:         656
        .size:           4
        .value_kind:     by_value
      - .offset:         660
        .size:           1
        .value_kind:     by_value
      - .offset:         664
        .size:           4
        .value_kind:     hidden_block_count_x
      - .offset:         668
        .size:           4
        .value_kind:     hidden_block_count_y
      - .offset:         672
        .size:           4
        .value_kind:     hidden_block_count_z
      - .offset:         676
        .size:           2
        .value_kind:     hidden_group_size_x
      - .offset:         678
        .size:           2
        .value_kind:     hidden_group_size_y
      - .offset:         680
        .size:           2
        .value_kind:     hidden_group_size_z
      - .offset:         682
        .size:           2
        .value_kind:     hidden_remainder_x
      - .offset:         684
        .size:           2
        .value_kind:     hidden_remainder_y
      - .offset:         686
        .size:           2
        .value_kind:     hidden_remainder_z
      - .offset:         704
        .size:           8
        .value_kind:     hidden_global_offset_x
      - .offset:         712
        .size:           8
        .value_kind:     hidden_global_offset_y
      - .offset:         720
        .size:           8
        .value_kind:     hidden_global_offset_z
      - .offset:         728
        .size:           2
        .value_kind:     hidden_grid_dims
    .group_segment_fixed_size: 4120
    .kernarg_segment_align: 8
    .kernarg_segment_size: 920
    .language:       OpenCL C
    .language_version:
      - 2
      - 0
    .max_flat_workgroup_size: 1024
    .name:           _ZN2at6native12_GLOBAL__N_112gatherMedianIsjLi2EEEvNS_4cuda6detail10TensorInfoIT_T0_EENS5_IlS7_EENS5_IKS6_S7_EES7_S7_S7_b
    .private_segment_fixed_size: 0
    .sgpr_count:     100
    .sgpr_spill_count: 32
    .symbol:         _ZN2at6native12_GLOBAL__N_112gatherMedianIsjLi2EEEvNS_4cuda6detail10TensorInfoIT_T0_EENS5_IlS7_EENS5_IKS6_S7_EES7_S7_S7_b.kd
    .uniform_work_group_size: 1
    .uses_dynamic_stack: false
    .vgpr_count:     51
    .vgpr_spill_count: 0
    .wavefront_size: 64
  - .args:
      - .offset:         0
        .size:           216
        .value_kind:     by_value
      - .offset:         216
        .size:           216
        .value_kind:     by_value
      - .offset:         432
        .size:           216
        .value_kind:     by_value
      - .offset:         648
        .size:           4
        .value_kind:     by_value
      - .offset:         652
        .size:           4
        .value_kind:     by_value
      - .offset:         656
        .size:           4
        .value_kind:     by_value
      - .offset:         660
        .size:           1
        .value_kind:     by_value
      - .offset:         664
        .size:           4
        .value_kind:     hidden_block_count_x
      - .offset:         668
        .size:           4
        .value_kind:     hidden_block_count_y
      - .offset:         672
        .size:           4
        .value_kind:     hidden_block_count_z
      - .offset:         676
        .size:           2
        .value_kind:     hidden_group_size_x
      - .offset:         678
        .size:           2
        .value_kind:     hidden_group_size_y
      - .offset:         680
        .size:           2
        .value_kind:     hidden_group_size_z
      - .offset:         682
        .size:           2
        .value_kind:     hidden_remainder_x
      - .offset:         684
        .size:           2
        .value_kind:     hidden_remainder_y
      - .offset:         686
        .size:           2
        .value_kind:     hidden_remainder_z
      - .offset:         704
        .size:           8
        .value_kind:     hidden_global_offset_x
      - .offset:         712
        .size:           8
        .value_kind:     hidden_global_offset_y
      - .offset:         720
        .size:           8
        .value_kind:     hidden_global_offset_z
      - .offset:         728
        .size:           2
        .value_kind:     hidden_grid_dims
    .group_segment_fixed_size: 4120
    .kernarg_segment_align: 8
    .kernarg_segment_size: 920
    .language:       OpenCL C
    .language_version:
      - 2
      - 0
    .max_flat_workgroup_size: 1024
    .name:           _ZN2at6native12_GLOBAL__N_112gatherMedianIsjLi3EEEvNS_4cuda6detail10TensorInfoIT_T0_EENS5_IlS7_EENS5_IKS6_S7_EES7_S7_S7_b
    .private_segment_fixed_size: 0
    .sgpr_count:     100
    .sgpr_spill_count: 40
    .symbol:         _ZN2at6native12_GLOBAL__N_112gatherMedianIsjLi3EEEvNS_4cuda6detail10TensorInfoIT_T0_EENS5_IlS7_EENS5_IKS6_S7_EES7_S7_S7_b.kd
    .uniform_work_group_size: 1
    .uses_dynamic_stack: false
    .vgpr_count:     51
    .vgpr_spill_count: 0
    .wavefront_size: 64
  - .args:
      - .offset:         0
        .size:           216
        .value_kind:     by_value
      - .offset:         216
        .size:           216
        .value_kind:     by_value
      - .offset:         432
        .size:           216
        .value_kind:     by_value
      - .offset:         648
        .size:           4
        .value_kind:     by_value
      - .offset:         652
        .size:           4
        .value_kind:     by_value
      - .offset:         656
        .size:           4
        .value_kind:     by_value
      - .offset:         660
        .size:           1
        .value_kind:     by_value
      - .offset:         664
        .size:           4
        .value_kind:     hidden_block_count_x
      - .offset:         668
        .size:           4
        .value_kind:     hidden_block_count_y
      - .offset:         672
        .size:           4
        .value_kind:     hidden_block_count_z
      - .offset:         676
        .size:           2
        .value_kind:     hidden_group_size_x
      - .offset:         678
        .size:           2
        .value_kind:     hidden_group_size_y
      - .offset:         680
        .size:           2
        .value_kind:     hidden_group_size_z
      - .offset:         682
        .size:           2
        .value_kind:     hidden_remainder_x
      - .offset:         684
        .size:           2
        .value_kind:     hidden_remainder_y
      - .offset:         686
        .size:           2
        .value_kind:     hidden_remainder_z
      - .offset:         704
        .size:           8
        .value_kind:     hidden_global_offset_x
      - .offset:         712
        .size:           8
        .value_kind:     hidden_global_offset_y
      - .offset:         720
        .size:           8
        .value_kind:     hidden_global_offset_z
      - .offset:         728
        .size:           2
        .value_kind:     hidden_grid_dims
    .group_segment_fixed_size: 4120
    .kernarg_segment_align: 8
    .kernarg_segment_size: 920
    .language:       OpenCL C
    .language_version:
      - 2
      - 0
    .max_flat_workgroup_size: 1024
    .name:           _ZN2at6native12_GLOBAL__N_112gatherMedianIsjLin1EEEvNS_4cuda6detail10TensorInfoIT_T0_EENS5_IlS7_EENS5_IKS6_S7_EES7_S7_S7_b
    .private_segment_fixed_size: 0
    .sgpr_count:     100
    .sgpr_spill_count: 29
    .symbol:         _ZN2at6native12_GLOBAL__N_112gatherMedianIsjLin1EEEvNS_4cuda6detail10TensorInfoIT_T0_EENS5_IlS7_EENS5_IKS6_S7_EES7_S7_S7_b.kd
    .uniform_work_group_size: 1
    .uses_dynamic_stack: false
    .vgpr_count:     51
    .vgpr_spill_count: 0
    .wavefront_size: 64
  - .args:
      - .offset:         0
        .size:           416
        .value_kind:     by_value
      - .offset:         416
        .size:           416
        .value_kind:     by_value
      - .offset:         832
        .size:           416
        .value_kind:     by_value
      - .offset:         1248
        .size:           8
        .value_kind:     by_value
      - .offset:         1256
        .size:           8
        .value_kind:     by_value
      - .offset:         1264
        .size:           8
        .value_kind:     by_value
      - .offset:         1272
        .size:           1
        .value_kind:     by_value
      - .offset:         1280
        .size:           4
        .value_kind:     hidden_block_count_x
      - .offset:         1284
        .size:           4
        .value_kind:     hidden_block_count_y
      - .offset:         1288
        .size:           4
        .value_kind:     hidden_block_count_z
      - .offset:         1292
        .size:           2
        .value_kind:     hidden_group_size_x
      - .offset:         1294
        .size:           2
        .value_kind:     hidden_group_size_y
      - .offset:         1296
        .size:           2
        .value_kind:     hidden_group_size_z
      - .offset:         1298
        .size:           2
        .value_kind:     hidden_remainder_x
      - .offset:         1300
        .size:           2
        .value_kind:     hidden_remainder_y
      - .offset:         1302
        .size:           2
        .value_kind:     hidden_remainder_z
      - .offset:         1320
        .size:           8
        .value_kind:     hidden_global_offset_x
      - .offset:         1328
        .size:           8
        .value_kind:     hidden_global_offset_y
      - .offset:         1336
        .size:           8
        .value_kind:     hidden_global_offset_z
      - .offset:         1344
        .size:           2
        .value_kind:     hidden_grid_dims
    .group_segment_fixed_size: 5152
    .kernarg_segment_align: 8
    .kernarg_segment_size: 1536
    .language:       OpenCL C
    .language_version:
      - 2
      - 0
    .max_flat_workgroup_size: 1024
    .name:           _ZN2at6native12_GLOBAL__N_112gatherMedianIsmLi1EEEvNS_4cuda6detail10TensorInfoIT_T0_EENS5_IlS7_EENS5_IKS6_S7_EES7_S7_S7_b
    .private_segment_fixed_size: 0
    .sgpr_count:     100
    .sgpr_spill_count: 31
    .symbol:         _ZN2at6native12_GLOBAL__N_112gatherMedianIsmLi1EEEvNS_4cuda6detail10TensorInfoIT_T0_EENS5_IlS7_EENS5_IKS6_S7_EES7_S7_S7_b.kd
    .uniform_work_group_size: 1
    .uses_dynamic_stack: false
    .vgpr_count:     58
    .vgpr_spill_count: 0
    .wavefront_size: 64
  - .args:
      - .offset:         0
        .size:           416
        .value_kind:     by_value
      - .offset:         416
        .size:           416
        .value_kind:     by_value
      - .offset:         832
        .size:           416
        .value_kind:     by_value
      - .offset:         1248
        .size:           8
        .value_kind:     by_value
      - .offset:         1256
        .size:           8
        .value_kind:     by_value
      - .offset:         1264
        .size:           8
        .value_kind:     by_value
      - .offset:         1272
        .size:           1
        .value_kind:     by_value
      - .offset:         1280
        .size:           4
        .value_kind:     hidden_block_count_x
      - .offset:         1284
        .size:           4
        .value_kind:     hidden_block_count_y
      - .offset:         1288
        .size:           4
        .value_kind:     hidden_block_count_z
      - .offset:         1292
        .size:           2
        .value_kind:     hidden_group_size_x
      - .offset:         1294
        .size:           2
        .value_kind:     hidden_group_size_y
      - .offset:         1296
        .size:           2
        .value_kind:     hidden_group_size_z
      - .offset:         1298
        .size:           2
        .value_kind:     hidden_remainder_x
      - .offset:         1300
        .size:           2
        .value_kind:     hidden_remainder_y
      - .offset:         1302
        .size:           2
        .value_kind:     hidden_remainder_z
      - .offset:         1320
        .size:           8
        .value_kind:     hidden_global_offset_x
      - .offset:         1328
        .size:           8
        .value_kind:     hidden_global_offset_y
      - .offset:         1336
        .size:           8
        .value_kind:     hidden_global_offset_z
      - .offset:         1344
        .size:           2
        .value_kind:     hidden_grid_dims
    .group_segment_fixed_size: 5152
    .kernarg_segment_align: 8
    .kernarg_segment_size: 1536
    .language:       OpenCL C
    .language_version:
      - 2
      - 0
    .max_flat_workgroup_size: 1024
    .name:           _ZN2at6native12_GLOBAL__N_112gatherMedianIsmLi2EEEvNS_4cuda6detail10TensorInfoIT_T0_EENS5_IlS7_EENS5_IKS6_S7_EES7_S7_S7_b
    .private_segment_fixed_size: 0
    .sgpr_count:     100
    .sgpr_spill_count: 47
    .symbol:         _ZN2at6native12_GLOBAL__N_112gatherMedianIsmLi2EEEvNS_4cuda6detail10TensorInfoIT_T0_EENS5_IlS7_EENS5_IKS6_S7_EES7_S7_S7_b.kd
    .uniform_work_group_size: 1
    .uses_dynamic_stack: false
    .vgpr_count:     50
    .vgpr_spill_count: 0
    .wavefront_size: 64
  - .args:
      - .offset:         0
        .size:           416
        .value_kind:     by_value
      - .offset:         416
        .size:           416
        .value_kind:     by_value
      - .offset:         832
        .size:           416
        .value_kind:     by_value
      - .offset:         1248
        .size:           8
        .value_kind:     by_value
      - .offset:         1256
        .size:           8
        .value_kind:     by_value
      - .offset:         1264
        .size:           8
        .value_kind:     by_value
      - .offset:         1272
        .size:           1
        .value_kind:     by_value
      - .offset:         1280
        .size:           4
        .value_kind:     hidden_block_count_x
      - .offset:         1284
        .size:           4
        .value_kind:     hidden_block_count_y
      - .offset:         1288
        .size:           4
        .value_kind:     hidden_block_count_z
      - .offset:         1292
        .size:           2
        .value_kind:     hidden_group_size_x
      - .offset:         1294
        .size:           2
        .value_kind:     hidden_group_size_y
      - .offset:         1296
        .size:           2
        .value_kind:     hidden_group_size_z
      - .offset:         1298
        .size:           2
        .value_kind:     hidden_remainder_x
      - .offset:         1300
        .size:           2
        .value_kind:     hidden_remainder_y
      - .offset:         1302
        .size:           2
        .value_kind:     hidden_remainder_z
      - .offset:         1320
        .size:           8
        .value_kind:     hidden_global_offset_x
      - .offset:         1328
        .size:           8
        .value_kind:     hidden_global_offset_y
      - .offset:         1336
        .size:           8
        .value_kind:     hidden_global_offset_z
      - .offset:         1344
        .size:           2
        .value_kind:     hidden_grid_dims
    .group_segment_fixed_size: 5152
    .kernarg_segment_align: 8
    .kernarg_segment_size: 1536
    .language:       OpenCL C
    .language_version:
      - 2
      - 0
    .max_flat_workgroup_size: 1024
    .name:           _ZN2at6native12_GLOBAL__N_112gatherMedianIsmLi3EEEvNS_4cuda6detail10TensorInfoIT_T0_EENS5_IlS7_EENS5_IKS6_S7_EES7_S7_S7_b
    .private_segment_fixed_size: 0
    .sgpr_count:     100
    .sgpr_spill_count: 57
    .symbol:         _ZN2at6native12_GLOBAL__N_112gatherMedianIsmLi3EEEvNS_4cuda6detail10TensorInfoIT_T0_EENS5_IlS7_EENS5_IKS6_S7_EES7_S7_S7_b.kd
    .uniform_work_group_size: 1
    .uses_dynamic_stack: false
    .vgpr_count:     50
    .vgpr_spill_count: 0
    .wavefront_size: 64
  - .args:
      - .offset:         0
        .size:           416
        .value_kind:     by_value
      - .offset:         416
        .size:           416
        .value_kind:     by_value
      - .offset:         832
        .size:           416
        .value_kind:     by_value
      - .offset:         1248
        .size:           8
        .value_kind:     by_value
      - .offset:         1256
        .size:           8
        .value_kind:     by_value
      - .offset:         1264
        .size:           8
        .value_kind:     by_value
      - .offset:         1272
        .size:           1
        .value_kind:     by_value
      - .offset:         1280
        .size:           4
        .value_kind:     hidden_block_count_x
      - .offset:         1284
        .size:           4
        .value_kind:     hidden_block_count_y
      - .offset:         1288
        .size:           4
        .value_kind:     hidden_block_count_z
      - .offset:         1292
        .size:           2
        .value_kind:     hidden_group_size_x
      - .offset:         1294
        .size:           2
        .value_kind:     hidden_group_size_y
      - .offset:         1296
        .size:           2
        .value_kind:     hidden_group_size_z
      - .offset:         1298
        .size:           2
        .value_kind:     hidden_remainder_x
      - .offset:         1300
        .size:           2
        .value_kind:     hidden_remainder_y
      - .offset:         1302
        .size:           2
        .value_kind:     hidden_remainder_z
      - .offset:         1320
        .size:           8
        .value_kind:     hidden_global_offset_x
      - .offset:         1328
        .size:           8
        .value_kind:     hidden_global_offset_y
      - .offset:         1336
        .size:           8
        .value_kind:     hidden_global_offset_z
      - .offset:         1344
        .size:           2
        .value_kind:     hidden_grid_dims
    .group_segment_fixed_size: 5152
    .kernarg_segment_align: 8
    .kernarg_segment_size: 1536
    .language:       OpenCL C
    .language_version:
      - 2
      - 0
    .max_flat_workgroup_size: 1024
    .name:           _ZN2at6native12_GLOBAL__N_112gatherMedianIsmLin1EEEvNS_4cuda6detail10TensorInfoIT_T0_EENS5_IlS7_EENS5_IKS6_S7_EES7_S7_S7_b
    .private_segment_fixed_size: 0
    .sgpr_count:     100
    .sgpr_spill_count: 39
    .symbol:         _ZN2at6native12_GLOBAL__N_112gatherMedianIsmLin1EEEvNS_4cuda6detail10TensorInfoIT_T0_EENS5_IlS7_EENS5_IKS6_S7_EES7_S7_S7_b.kd
    .uniform_work_group_size: 1
    .uses_dynamic_stack: false
    .vgpr_count:     60
    .vgpr_spill_count: 0
    .wavefront_size: 64
  - .args:
      - .offset:         0
        .size:           216
        .value_kind:     by_value
      - .offset:         216
        .size:           216
        .value_kind:     by_value
      - .offset:         432
        .size:           216
        .value_kind:     by_value
      - .offset:         648
        .size:           4
        .value_kind:     by_value
      - .offset:         652
        .size:           4
        .value_kind:     by_value
      - .offset:         656
        .size:           4
        .value_kind:     by_value
      - .offset:         660
        .size:           1
        .value_kind:     by_value
      - .offset:         664
        .size:           4
        .value_kind:     hidden_block_count_x
      - .offset:         668
        .size:           4
        .value_kind:     hidden_block_count_y
      - .offset:         672
        .size:           4
        .value_kind:     hidden_block_count_z
      - .offset:         676
        .size:           2
        .value_kind:     hidden_group_size_x
      - .offset:         678
        .size:           2
        .value_kind:     hidden_group_size_y
      - .offset:         680
        .size:           2
        .value_kind:     hidden_group_size_z
      - .offset:         682
        .size:           2
        .value_kind:     hidden_remainder_x
      - .offset:         684
        .size:           2
        .value_kind:     hidden_remainder_y
      - .offset:         686
        .size:           2
        .value_kind:     hidden_remainder_z
      - .offset:         704
        .size:           8
        .value_kind:     hidden_global_offset_x
      - .offset:         712
        .size:           8
        .value_kind:     hidden_global_offset_y
      - .offset:         720
        .size:           8
        .value_kind:     hidden_global_offset_z
      - .offset:         728
        .size:           2
        .value_kind:     hidden_grid_dims
    .group_segment_fixed_size: 4120
    .kernarg_segment_align: 8
    .kernarg_segment_size: 920
    .language:       OpenCL C
    .language_version:
      - 2
      - 0
    .max_flat_workgroup_size: 1024
    .name:           _ZN2at6native12_GLOBAL__N_112gatherMedianIdjLi1EEEvNS_4cuda6detail10TensorInfoIT_T0_EENS5_IlS7_EENS5_IKS6_S7_EES7_S7_S7_b
    .private_segment_fixed_size: 0
    .sgpr_count:     100
    .sgpr_spill_count: 18
    .symbol:         _ZN2at6native12_GLOBAL__N_112gatherMedianIdjLi1EEEvNS_4cuda6detail10TensorInfoIT_T0_EENS5_IlS7_EENS5_IKS6_S7_EES7_S7_S7_b.kd
    .uniform_work_group_size: 1
    .uses_dynamic_stack: false
    .vgpr_count:     48
    .vgpr_spill_count: 0
    .wavefront_size: 64
  - .args:
      - .offset:         0
        .size:           216
        .value_kind:     by_value
      - .offset:         216
        .size:           216
        .value_kind:     by_value
      - .offset:         432
        .size:           216
        .value_kind:     by_value
      - .offset:         648
        .size:           4
        .value_kind:     by_value
      - .offset:         652
        .size:           4
        .value_kind:     by_value
      - .offset:         656
        .size:           4
        .value_kind:     by_value
      - .offset:         660
        .size:           1
        .value_kind:     by_value
      - .offset:         664
        .size:           4
        .value_kind:     hidden_block_count_x
      - .offset:         668
        .size:           4
        .value_kind:     hidden_block_count_y
      - .offset:         672
        .size:           4
        .value_kind:     hidden_block_count_z
      - .offset:         676
        .size:           2
        .value_kind:     hidden_group_size_x
      - .offset:         678
        .size:           2
        .value_kind:     hidden_group_size_y
      - .offset:         680
        .size:           2
        .value_kind:     hidden_group_size_z
      - .offset:         682
        .size:           2
        .value_kind:     hidden_remainder_x
      - .offset:         684
        .size:           2
        .value_kind:     hidden_remainder_y
      - .offset:         686
        .size:           2
        .value_kind:     hidden_remainder_z
      - .offset:         704
        .size:           8
        .value_kind:     hidden_global_offset_x
      - .offset:         712
        .size:           8
        .value_kind:     hidden_global_offset_y
      - .offset:         720
        .size:           8
        .value_kind:     hidden_global_offset_z
      - .offset:         728
        .size:           2
        .value_kind:     hidden_grid_dims
    .group_segment_fixed_size: 4120
    .kernarg_segment_align: 8
    .kernarg_segment_size: 920
    .language:       OpenCL C
    .language_version:
      - 2
      - 0
    .max_flat_workgroup_size: 1024
    .name:           _ZN2at6native12_GLOBAL__N_112gatherMedianIdjLi2EEEvNS_4cuda6detail10TensorInfoIT_T0_EENS5_IlS7_EENS5_IKS6_S7_EES7_S7_S7_b
    .private_segment_fixed_size: 0
    .sgpr_count:     100
    .sgpr_spill_count: 22
    .symbol:         _ZN2at6native12_GLOBAL__N_112gatherMedianIdjLi2EEEvNS_4cuda6detail10TensorInfoIT_T0_EENS5_IlS7_EENS5_IKS6_S7_EES7_S7_S7_b.kd
    .uniform_work_group_size: 1
    .uses_dynamic_stack: false
    .vgpr_count:     48
    .vgpr_spill_count: 0
    .wavefront_size: 64
  - .args:
      - .offset:         0
        .size:           216
        .value_kind:     by_value
      - .offset:         216
        .size:           216
        .value_kind:     by_value
      - .offset:         432
        .size:           216
        .value_kind:     by_value
      - .offset:         648
        .size:           4
        .value_kind:     by_value
      - .offset:         652
        .size:           4
        .value_kind:     by_value
      - .offset:         656
        .size:           4
        .value_kind:     by_value
      - .offset:         660
        .size:           1
        .value_kind:     by_value
      - .offset:         664
        .size:           4
        .value_kind:     hidden_block_count_x
      - .offset:         668
        .size:           4
        .value_kind:     hidden_block_count_y
      - .offset:         672
        .size:           4
        .value_kind:     hidden_block_count_z
      - .offset:         676
        .size:           2
        .value_kind:     hidden_group_size_x
      - .offset:         678
        .size:           2
        .value_kind:     hidden_group_size_y
      - .offset:         680
        .size:           2
        .value_kind:     hidden_group_size_z
      - .offset:         682
        .size:           2
        .value_kind:     hidden_remainder_x
      - .offset:         684
        .size:           2
        .value_kind:     hidden_remainder_y
      - .offset:         686
        .size:           2
        .value_kind:     hidden_remainder_z
      - .offset:         704
        .size:           8
        .value_kind:     hidden_global_offset_x
      - .offset:         712
        .size:           8
        .value_kind:     hidden_global_offset_y
      - .offset:         720
        .size:           8
        .value_kind:     hidden_global_offset_z
      - .offset:         728
        .size:           2
        .value_kind:     hidden_grid_dims
    .group_segment_fixed_size: 4120
    .kernarg_segment_align: 8
    .kernarg_segment_size: 920
    .language:       OpenCL C
    .language_version:
      - 2
      - 0
    .max_flat_workgroup_size: 1024
    .name:           _ZN2at6native12_GLOBAL__N_112gatherMedianIdjLi3EEEvNS_4cuda6detail10TensorInfoIT_T0_EENS5_IlS7_EENS5_IKS6_S7_EES7_S7_S7_b
    .private_segment_fixed_size: 0
    .sgpr_count:     100
    .sgpr_spill_count: 30
    .symbol:         _ZN2at6native12_GLOBAL__N_112gatherMedianIdjLi3EEEvNS_4cuda6detail10TensorInfoIT_T0_EENS5_IlS7_EENS5_IKS6_S7_EES7_S7_S7_b.kd
    .uniform_work_group_size: 1
    .uses_dynamic_stack: false
    .vgpr_count:     48
    .vgpr_spill_count: 0
    .wavefront_size: 64
  - .args:
      - .offset:         0
        .size:           216
        .value_kind:     by_value
      - .offset:         216
        .size:           216
        .value_kind:     by_value
      - .offset:         432
        .size:           216
        .value_kind:     by_value
      - .offset:         648
        .size:           4
        .value_kind:     by_value
      - .offset:         652
        .size:           4
        .value_kind:     by_value
      - .offset:         656
        .size:           4
        .value_kind:     by_value
      - .offset:         660
        .size:           1
        .value_kind:     by_value
      - .offset:         664
        .size:           4
        .value_kind:     hidden_block_count_x
      - .offset:         668
        .size:           4
        .value_kind:     hidden_block_count_y
      - .offset:         672
        .size:           4
        .value_kind:     hidden_block_count_z
      - .offset:         676
        .size:           2
        .value_kind:     hidden_group_size_x
      - .offset:         678
        .size:           2
        .value_kind:     hidden_group_size_y
      - .offset:         680
        .size:           2
        .value_kind:     hidden_group_size_z
      - .offset:         682
        .size:           2
        .value_kind:     hidden_remainder_x
      - .offset:         684
        .size:           2
        .value_kind:     hidden_remainder_y
      - .offset:         686
        .size:           2
        .value_kind:     hidden_remainder_z
      - .offset:         704
        .size:           8
        .value_kind:     hidden_global_offset_x
      - .offset:         712
        .size:           8
        .value_kind:     hidden_global_offset_y
      - .offset:         720
        .size:           8
        .value_kind:     hidden_global_offset_z
      - .offset:         728
        .size:           2
        .value_kind:     hidden_grid_dims
    .group_segment_fixed_size: 4120
    .kernarg_segment_align: 8
    .kernarg_segment_size: 920
    .language:       OpenCL C
    .language_version:
      - 2
      - 0
    .max_flat_workgroup_size: 1024
    .name:           _ZN2at6native12_GLOBAL__N_112gatherMedianIdjLin1EEEvNS_4cuda6detail10TensorInfoIT_T0_EENS5_IlS7_EENS5_IKS6_S7_EES7_S7_S7_b
    .private_segment_fixed_size: 0
    .sgpr_count:     100
    .sgpr_spill_count: 19
    .symbol:         _ZN2at6native12_GLOBAL__N_112gatherMedianIdjLin1EEEvNS_4cuda6detail10TensorInfoIT_T0_EENS5_IlS7_EENS5_IKS6_S7_EES7_S7_S7_b.kd
    .uniform_work_group_size: 1
    .uses_dynamic_stack: false
    .vgpr_count:     48
    .vgpr_spill_count: 0
    .wavefront_size: 64
  - .args:
      - .offset:         0
        .size:           416
        .value_kind:     by_value
      - .offset:         416
        .size:           416
        .value_kind:     by_value
      - .offset:         832
        .size:           416
        .value_kind:     by_value
      - .offset:         1248
        .size:           8
        .value_kind:     by_value
      - .offset:         1256
        .size:           8
        .value_kind:     by_value
      - .offset:         1264
        .size:           8
        .value_kind:     by_value
      - .offset:         1272
        .size:           1
        .value_kind:     by_value
      - .offset:         1280
        .size:           4
        .value_kind:     hidden_block_count_x
      - .offset:         1284
        .size:           4
        .value_kind:     hidden_block_count_y
      - .offset:         1288
        .size:           4
        .value_kind:     hidden_block_count_z
      - .offset:         1292
        .size:           2
        .value_kind:     hidden_group_size_x
      - .offset:         1294
        .size:           2
        .value_kind:     hidden_group_size_y
      - .offset:         1296
        .size:           2
        .value_kind:     hidden_group_size_z
      - .offset:         1298
        .size:           2
        .value_kind:     hidden_remainder_x
      - .offset:         1300
        .size:           2
        .value_kind:     hidden_remainder_y
      - .offset:         1302
        .size:           2
        .value_kind:     hidden_remainder_z
      - .offset:         1320
        .size:           8
        .value_kind:     hidden_global_offset_x
      - .offset:         1328
        .size:           8
        .value_kind:     hidden_global_offset_y
      - .offset:         1336
        .size:           8
        .value_kind:     hidden_global_offset_z
      - .offset:         1344
        .size:           2
        .value_kind:     hidden_grid_dims
    .group_segment_fixed_size: 5152
    .kernarg_segment_align: 8
    .kernarg_segment_size: 1536
    .language:       OpenCL C
    .language_version:
      - 2
      - 0
    .max_flat_workgroup_size: 1024
    .name:           _ZN2at6native12_GLOBAL__N_112gatherMedianIdmLi1EEEvNS_4cuda6detail10TensorInfoIT_T0_EENS5_IlS7_EENS5_IKS6_S7_EES7_S7_S7_b
    .private_segment_fixed_size: 0
    .sgpr_count:     100
    .sgpr_spill_count: 22
    .symbol:         _ZN2at6native12_GLOBAL__N_112gatherMedianIdmLi1EEEvNS_4cuda6detail10TensorInfoIT_T0_EENS5_IlS7_EENS5_IKS6_S7_EES7_S7_S7_b.kd
    .uniform_work_group_size: 1
    .uses_dynamic_stack: false
    .vgpr_count:     55
    .vgpr_spill_count: 0
    .wavefront_size: 64
  - .args:
      - .offset:         0
        .size:           416
        .value_kind:     by_value
      - .offset:         416
        .size:           416
        .value_kind:     by_value
      - .offset:         832
        .size:           416
        .value_kind:     by_value
      - .offset:         1248
        .size:           8
        .value_kind:     by_value
      - .offset:         1256
        .size:           8
        .value_kind:     by_value
      - .offset:         1264
        .size:           8
        .value_kind:     by_value
      - .offset:         1272
        .size:           1
        .value_kind:     by_value
      - .offset:         1280
        .size:           4
        .value_kind:     hidden_block_count_x
      - .offset:         1284
        .size:           4
        .value_kind:     hidden_block_count_y
      - .offset:         1288
        .size:           4
        .value_kind:     hidden_block_count_z
      - .offset:         1292
        .size:           2
        .value_kind:     hidden_group_size_x
      - .offset:         1294
        .size:           2
        .value_kind:     hidden_group_size_y
      - .offset:         1296
        .size:           2
        .value_kind:     hidden_group_size_z
      - .offset:         1298
        .size:           2
        .value_kind:     hidden_remainder_x
      - .offset:         1300
        .size:           2
        .value_kind:     hidden_remainder_y
      - .offset:         1302
        .size:           2
        .value_kind:     hidden_remainder_z
      - .offset:         1320
        .size:           8
        .value_kind:     hidden_global_offset_x
      - .offset:         1328
        .size:           8
        .value_kind:     hidden_global_offset_y
      - .offset:         1336
        .size:           8
        .value_kind:     hidden_global_offset_z
      - .offset:         1344
        .size:           2
        .value_kind:     hidden_grid_dims
    .group_segment_fixed_size: 5152
    .kernarg_segment_align: 8
    .kernarg_segment_size: 1536
    .language:       OpenCL C
    .language_version:
      - 2
      - 0
    .max_flat_workgroup_size: 1024
    .name:           _ZN2at6native12_GLOBAL__N_112gatherMedianIdmLi2EEEvNS_4cuda6detail10TensorInfoIT_T0_EENS5_IlS7_EENS5_IKS6_S7_EES7_S7_S7_b
    .private_segment_fixed_size: 0
    .sgpr_count:     100
    .sgpr_spill_count: 29
    .symbol:         _ZN2at6native12_GLOBAL__N_112gatherMedianIdmLi2EEEvNS_4cuda6detail10TensorInfoIT_T0_EENS5_IlS7_EENS5_IKS6_S7_EES7_S7_S7_b.kd
    .uniform_work_group_size: 1
    .uses_dynamic_stack: false
    .vgpr_count:     48
    .vgpr_spill_count: 0
    .wavefront_size: 64
  - .args:
      - .offset:         0
        .size:           416
        .value_kind:     by_value
      - .offset:         416
        .size:           416
        .value_kind:     by_value
      - .offset:         832
        .size:           416
        .value_kind:     by_value
      - .offset:         1248
        .size:           8
        .value_kind:     by_value
      - .offset:         1256
        .size:           8
        .value_kind:     by_value
      - .offset:         1264
        .size:           8
        .value_kind:     by_value
      - .offset:         1272
        .size:           1
        .value_kind:     by_value
      - .offset:         1280
        .size:           4
        .value_kind:     hidden_block_count_x
      - .offset:         1284
        .size:           4
        .value_kind:     hidden_block_count_y
      - .offset:         1288
        .size:           4
        .value_kind:     hidden_block_count_z
      - .offset:         1292
        .size:           2
        .value_kind:     hidden_group_size_x
      - .offset:         1294
        .size:           2
        .value_kind:     hidden_group_size_y
      - .offset:         1296
        .size:           2
        .value_kind:     hidden_group_size_z
      - .offset:         1298
        .size:           2
        .value_kind:     hidden_remainder_x
      - .offset:         1300
        .size:           2
        .value_kind:     hidden_remainder_y
      - .offset:         1302
        .size:           2
        .value_kind:     hidden_remainder_z
      - .offset:         1320
        .size:           8
        .value_kind:     hidden_global_offset_x
      - .offset:         1328
        .size:           8
        .value_kind:     hidden_global_offset_y
      - .offset:         1336
        .size:           8
        .value_kind:     hidden_global_offset_z
      - .offset:         1344
        .size:           2
        .value_kind:     hidden_grid_dims
    .group_segment_fixed_size: 5152
    .kernarg_segment_align: 8
    .kernarg_segment_size: 1536
    .language:       OpenCL C
    .language_version:
      - 2
      - 0
    .max_flat_workgroup_size: 1024
    .name:           _ZN2at6native12_GLOBAL__N_112gatherMedianIdmLi3EEEvNS_4cuda6detail10TensorInfoIT_T0_EENS5_IlS7_EENS5_IKS6_S7_EES7_S7_S7_b
    .private_segment_fixed_size: 0
    .sgpr_count:     100
    .sgpr_spill_count: 41
    .symbol:         _ZN2at6native12_GLOBAL__N_112gatherMedianIdmLi3EEEvNS_4cuda6detail10TensorInfoIT_T0_EENS5_IlS7_EENS5_IKS6_S7_EES7_S7_S7_b.kd
    .uniform_work_group_size: 1
    .uses_dynamic_stack: false
    .vgpr_count:     48
    .vgpr_spill_count: 0
    .wavefront_size: 64
  - .args:
      - .offset:         0
        .size:           416
        .value_kind:     by_value
      - .offset:         416
        .size:           416
        .value_kind:     by_value
      - .offset:         832
        .size:           416
        .value_kind:     by_value
      - .offset:         1248
        .size:           8
        .value_kind:     by_value
      - .offset:         1256
        .size:           8
        .value_kind:     by_value
      - .offset:         1264
        .size:           8
        .value_kind:     by_value
      - .offset:         1272
        .size:           1
        .value_kind:     by_value
      - .offset:         1280
        .size:           4
        .value_kind:     hidden_block_count_x
      - .offset:         1284
        .size:           4
        .value_kind:     hidden_block_count_y
      - .offset:         1288
        .size:           4
        .value_kind:     hidden_block_count_z
      - .offset:         1292
        .size:           2
        .value_kind:     hidden_group_size_x
      - .offset:         1294
        .size:           2
        .value_kind:     hidden_group_size_y
      - .offset:         1296
        .size:           2
        .value_kind:     hidden_group_size_z
      - .offset:         1298
        .size:           2
        .value_kind:     hidden_remainder_x
      - .offset:         1300
        .size:           2
        .value_kind:     hidden_remainder_y
      - .offset:         1302
        .size:           2
        .value_kind:     hidden_remainder_z
      - .offset:         1320
        .size:           8
        .value_kind:     hidden_global_offset_x
      - .offset:         1328
        .size:           8
        .value_kind:     hidden_global_offset_y
      - .offset:         1336
        .size:           8
        .value_kind:     hidden_global_offset_z
      - .offset:         1344
        .size:           2
        .value_kind:     hidden_grid_dims
    .group_segment_fixed_size: 5152
    .kernarg_segment_align: 8
    .kernarg_segment_size: 1536
    .language:       OpenCL C
    .language_version:
      - 2
      - 0
    .max_flat_workgroup_size: 1024
    .name:           _ZN2at6native12_GLOBAL__N_112gatherMedianIdmLin1EEEvNS_4cuda6detail10TensorInfoIT_T0_EENS5_IlS7_EENS5_IKS6_S7_EES7_S7_S7_b
    .private_segment_fixed_size: 0
    .sgpr_count:     100
    .sgpr_spill_count: 32
    .symbol:         _ZN2at6native12_GLOBAL__N_112gatherMedianIdmLin1EEEvNS_4cuda6detail10TensorInfoIT_T0_EENS5_IlS7_EENS5_IKS6_S7_EES7_S7_S7_b.kd
    .uniform_work_group_size: 1
    .uses_dynamic_stack: false
    .vgpr_count:     59
    .vgpr_spill_count: 0
    .wavefront_size: 64
  - .args:
      - .offset:         0
        .size:           216
        .value_kind:     by_value
      - .offset:         216
        .size:           216
        .value_kind:     by_value
      - .offset:         432
        .size:           216
        .value_kind:     by_value
      - .offset:         648
        .size:           4
        .value_kind:     by_value
      - .offset:         652
        .size:           4
        .value_kind:     by_value
      - .offset:         656
        .size:           4
        .value_kind:     by_value
      - .offset:         660
        .size:           1
        .value_kind:     by_value
      - .offset:         664
        .size:           4
        .value_kind:     hidden_block_count_x
      - .offset:         668
        .size:           4
        .value_kind:     hidden_block_count_y
      - .offset:         672
        .size:           4
        .value_kind:     hidden_block_count_z
      - .offset:         676
        .size:           2
        .value_kind:     hidden_group_size_x
      - .offset:         678
        .size:           2
        .value_kind:     hidden_group_size_y
      - .offset:         680
        .size:           2
        .value_kind:     hidden_group_size_z
      - .offset:         682
        .size:           2
        .value_kind:     hidden_remainder_x
      - .offset:         684
        .size:           2
        .value_kind:     hidden_remainder_y
      - .offset:         686
        .size:           2
        .value_kind:     hidden_remainder_z
      - .offset:         704
        .size:           8
        .value_kind:     hidden_global_offset_x
      - .offset:         712
        .size:           8
        .value_kind:     hidden_global_offset_y
      - .offset:         720
        .size:           8
        .value_kind:     hidden_global_offset_z
      - .offset:         728
        .size:           2
        .value_kind:     hidden_grid_dims
    .group_segment_fixed_size: 4120
    .kernarg_segment_align: 8
    .kernarg_segment_size: 920
    .language:       OpenCL C
    .language_version:
      - 2
      - 0
    .max_flat_workgroup_size: 1024
    .name:           _ZN2at6native12_GLOBAL__N_112gatherMedianIfjLi1EEEvNS_4cuda6detail10TensorInfoIT_T0_EENS5_IlS7_EENS5_IKS6_S7_EES7_S7_S7_b
    .private_segment_fixed_size: 0
    .sgpr_count:     100
    .sgpr_spill_count: 19
    .symbol:         _ZN2at6native12_GLOBAL__N_112gatherMedianIfjLi1EEEvNS_4cuda6detail10TensorInfoIT_T0_EENS5_IlS7_EENS5_IKS6_S7_EES7_S7_S7_b.kd
    .uniform_work_group_size: 1
    .uses_dynamic_stack: false
    .vgpr_count:     49
    .vgpr_spill_count: 0
    .wavefront_size: 64
  - .args:
      - .offset:         0
        .size:           216
        .value_kind:     by_value
      - .offset:         216
        .size:           216
        .value_kind:     by_value
      - .offset:         432
        .size:           216
        .value_kind:     by_value
      - .offset:         648
        .size:           4
        .value_kind:     by_value
      - .offset:         652
        .size:           4
        .value_kind:     by_value
      - .offset:         656
        .size:           4
        .value_kind:     by_value
      - .offset:         660
        .size:           1
        .value_kind:     by_value
      - .offset:         664
        .size:           4
        .value_kind:     hidden_block_count_x
      - .offset:         668
        .size:           4
        .value_kind:     hidden_block_count_y
      - .offset:         672
        .size:           4
        .value_kind:     hidden_block_count_z
      - .offset:         676
        .size:           2
        .value_kind:     hidden_group_size_x
      - .offset:         678
        .size:           2
        .value_kind:     hidden_group_size_y
      - .offset:         680
        .size:           2
        .value_kind:     hidden_group_size_z
      - .offset:         682
        .size:           2
        .value_kind:     hidden_remainder_x
      - .offset:         684
        .size:           2
        .value_kind:     hidden_remainder_y
      - .offset:         686
        .size:           2
        .value_kind:     hidden_remainder_z
      - .offset:         704
        .size:           8
        .value_kind:     hidden_global_offset_x
      - .offset:         712
        .size:           8
        .value_kind:     hidden_global_offset_y
      - .offset:         720
        .size:           8
        .value_kind:     hidden_global_offset_z
      - .offset:         728
        .size:           2
        .value_kind:     hidden_grid_dims
    .group_segment_fixed_size: 4120
    .kernarg_segment_align: 8
    .kernarg_segment_size: 920
    .language:       OpenCL C
    .language_version:
      - 2
      - 0
    .max_flat_workgroup_size: 1024
    .name:           _ZN2at6native12_GLOBAL__N_112gatherMedianIfjLi2EEEvNS_4cuda6detail10TensorInfoIT_T0_EENS5_IlS7_EENS5_IKS6_S7_EES7_S7_S7_b
    .private_segment_fixed_size: 0
    .sgpr_count:     100
    .sgpr_spill_count: 25
    .symbol:         _ZN2at6native12_GLOBAL__N_112gatherMedianIfjLi2EEEvNS_4cuda6detail10TensorInfoIT_T0_EENS5_IlS7_EENS5_IKS6_S7_EES7_S7_S7_b.kd
    .uniform_work_group_size: 1
    .uses_dynamic_stack: false
    .vgpr_count:     49
    .vgpr_spill_count: 0
    .wavefront_size: 64
  - .args:
      - .offset:         0
        .size:           216
        .value_kind:     by_value
      - .offset:         216
        .size:           216
        .value_kind:     by_value
      - .offset:         432
        .size:           216
        .value_kind:     by_value
      - .offset:         648
        .size:           4
        .value_kind:     by_value
      - .offset:         652
        .size:           4
        .value_kind:     by_value
      - .offset:         656
        .size:           4
        .value_kind:     by_value
      - .offset:         660
        .size:           1
        .value_kind:     by_value
      - .offset:         664
        .size:           4
        .value_kind:     hidden_block_count_x
      - .offset:         668
        .size:           4
        .value_kind:     hidden_block_count_y
      - .offset:         672
        .size:           4
        .value_kind:     hidden_block_count_z
      - .offset:         676
        .size:           2
        .value_kind:     hidden_group_size_x
      - .offset:         678
        .size:           2
        .value_kind:     hidden_group_size_y
      - .offset:         680
        .size:           2
        .value_kind:     hidden_group_size_z
      - .offset:         682
        .size:           2
        .value_kind:     hidden_remainder_x
      - .offset:         684
        .size:           2
        .value_kind:     hidden_remainder_y
      - .offset:         686
        .size:           2
        .value_kind:     hidden_remainder_z
      - .offset:         704
        .size:           8
        .value_kind:     hidden_global_offset_x
      - .offset:         712
        .size:           8
        .value_kind:     hidden_global_offset_y
      - .offset:         720
        .size:           8
        .value_kind:     hidden_global_offset_z
      - .offset:         728
        .size:           2
        .value_kind:     hidden_grid_dims
    .group_segment_fixed_size: 4120
    .kernarg_segment_align: 8
    .kernarg_segment_size: 920
    .language:       OpenCL C
    .language_version:
      - 2
      - 0
    .max_flat_workgroup_size: 1024
    .name:           _ZN2at6native12_GLOBAL__N_112gatherMedianIfjLi3EEEvNS_4cuda6detail10TensorInfoIT_T0_EENS5_IlS7_EENS5_IKS6_S7_EES7_S7_S7_b
    .private_segment_fixed_size: 0
    .sgpr_count:     100
    .sgpr_spill_count: 33
    .symbol:         _ZN2at6native12_GLOBAL__N_112gatherMedianIfjLi3EEEvNS_4cuda6detail10TensorInfoIT_T0_EENS5_IlS7_EENS5_IKS6_S7_EES7_S7_S7_b.kd
    .uniform_work_group_size: 1
    .uses_dynamic_stack: false
    .vgpr_count:     49
    .vgpr_spill_count: 0
    .wavefront_size: 64
  - .args:
      - .offset:         0
        .size:           216
        .value_kind:     by_value
      - .offset:         216
        .size:           216
        .value_kind:     by_value
      - .offset:         432
        .size:           216
        .value_kind:     by_value
      - .offset:         648
        .size:           4
        .value_kind:     by_value
      - .offset:         652
        .size:           4
        .value_kind:     by_value
      - .offset:         656
        .size:           4
        .value_kind:     by_value
      - .offset:         660
        .size:           1
        .value_kind:     by_value
      - .offset:         664
        .size:           4
        .value_kind:     hidden_block_count_x
      - .offset:         668
        .size:           4
        .value_kind:     hidden_block_count_y
      - .offset:         672
        .size:           4
        .value_kind:     hidden_block_count_z
      - .offset:         676
        .size:           2
        .value_kind:     hidden_group_size_x
      - .offset:         678
        .size:           2
        .value_kind:     hidden_group_size_y
      - .offset:         680
        .size:           2
        .value_kind:     hidden_group_size_z
      - .offset:         682
        .size:           2
        .value_kind:     hidden_remainder_x
      - .offset:         684
        .size:           2
        .value_kind:     hidden_remainder_y
      - .offset:         686
        .size:           2
        .value_kind:     hidden_remainder_z
      - .offset:         704
        .size:           8
        .value_kind:     hidden_global_offset_x
      - .offset:         712
        .size:           8
        .value_kind:     hidden_global_offset_y
      - .offset:         720
        .size:           8
        .value_kind:     hidden_global_offset_z
      - .offset:         728
        .size:           2
        .value_kind:     hidden_grid_dims
    .group_segment_fixed_size: 4120
    .kernarg_segment_align: 8
    .kernarg_segment_size: 920
    .language:       OpenCL C
    .language_version:
      - 2
      - 0
    .max_flat_workgroup_size: 1024
    .name:           _ZN2at6native12_GLOBAL__N_112gatherMedianIfjLin1EEEvNS_4cuda6detail10TensorInfoIT_T0_EENS5_IlS7_EENS5_IKS6_S7_EES7_S7_S7_b
    .private_segment_fixed_size: 0
    .sgpr_count:     100
    .sgpr_spill_count: 22
    .symbol:         _ZN2at6native12_GLOBAL__N_112gatherMedianIfjLin1EEEvNS_4cuda6detail10TensorInfoIT_T0_EENS5_IlS7_EENS5_IKS6_S7_EES7_S7_S7_b.kd
    .uniform_work_group_size: 1
    .uses_dynamic_stack: false
    .vgpr_count:     49
    .vgpr_spill_count: 0
    .wavefront_size: 64
  - .args:
      - .offset:         0
        .size:           416
        .value_kind:     by_value
      - .offset:         416
        .size:           416
        .value_kind:     by_value
      - .offset:         832
        .size:           416
        .value_kind:     by_value
      - .offset:         1248
        .size:           8
        .value_kind:     by_value
      - .offset:         1256
        .size:           8
        .value_kind:     by_value
      - .offset:         1264
        .size:           8
        .value_kind:     by_value
      - .offset:         1272
        .size:           1
        .value_kind:     by_value
      - .offset:         1280
        .size:           4
        .value_kind:     hidden_block_count_x
      - .offset:         1284
        .size:           4
        .value_kind:     hidden_block_count_y
      - .offset:         1288
        .size:           4
        .value_kind:     hidden_block_count_z
      - .offset:         1292
        .size:           2
        .value_kind:     hidden_group_size_x
      - .offset:         1294
        .size:           2
        .value_kind:     hidden_group_size_y
      - .offset:         1296
        .size:           2
        .value_kind:     hidden_group_size_z
      - .offset:         1298
        .size:           2
        .value_kind:     hidden_remainder_x
      - .offset:         1300
        .size:           2
        .value_kind:     hidden_remainder_y
      - .offset:         1302
        .size:           2
        .value_kind:     hidden_remainder_z
      - .offset:         1320
        .size:           8
        .value_kind:     hidden_global_offset_x
      - .offset:         1328
        .size:           8
        .value_kind:     hidden_global_offset_y
      - .offset:         1336
        .size:           8
        .value_kind:     hidden_global_offset_z
      - .offset:         1344
        .size:           2
        .value_kind:     hidden_grid_dims
    .group_segment_fixed_size: 5152
    .kernarg_segment_align: 8
    .kernarg_segment_size: 1536
    .language:       OpenCL C
    .language_version:
      - 2
      - 0
    .max_flat_workgroup_size: 1024
    .name:           _ZN2at6native12_GLOBAL__N_112gatherMedianIfmLi1EEEvNS_4cuda6detail10TensorInfoIT_T0_EENS5_IlS7_EENS5_IKS6_S7_EES7_S7_S7_b
    .private_segment_fixed_size: 0
    .sgpr_count:     100
    .sgpr_spill_count: 33
    .symbol:         _ZN2at6native12_GLOBAL__N_112gatherMedianIfmLi1EEEvNS_4cuda6detail10TensorInfoIT_T0_EENS5_IlS7_EENS5_IKS6_S7_EES7_S7_S7_b.kd
    .uniform_work_group_size: 1
    .uses_dynamic_stack: false
    .vgpr_count:     56
    .vgpr_spill_count: 0
    .wavefront_size: 64
  - .args:
      - .offset:         0
        .size:           416
        .value_kind:     by_value
      - .offset:         416
        .size:           416
        .value_kind:     by_value
      - .offset:         832
        .size:           416
        .value_kind:     by_value
      - .offset:         1248
        .size:           8
        .value_kind:     by_value
      - .offset:         1256
        .size:           8
        .value_kind:     by_value
      - .offset:         1264
        .size:           8
        .value_kind:     by_value
      - .offset:         1272
        .size:           1
        .value_kind:     by_value
      - .offset:         1280
        .size:           4
        .value_kind:     hidden_block_count_x
      - .offset:         1284
        .size:           4
        .value_kind:     hidden_block_count_y
      - .offset:         1288
        .size:           4
        .value_kind:     hidden_block_count_z
      - .offset:         1292
        .size:           2
        .value_kind:     hidden_group_size_x
      - .offset:         1294
        .size:           2
        .value_kind:     hidden_group_size_y
      - .offset:         1296
        .size:           2
        .value_kind:     hidden_group_size_z
      - .offset:         1298
        .size:           2
        .value_kind:     hidden_remainder_x
      - .offset:         1300
        .size:           2
        .value_kind:     hidden_remainder_y
      - .offset:         1302
        .size:           2
        .value_kind:     hidden_remainder_z
      - .offset:         1320
        .size:           8
        .value_kind:     hidden_global_offset_x
      - .offset:         1328
        .size:           8
        .value_kind:     hidden_global_offset_y
      - .offset:         1336
        .size:           8
        .value_kind:     hidden_global_offset_z
      - .offset:         1344
        .size:           2
        .value_kind:     hidden_grid_dims
    .group_segment_fixed_size: 5152
    .kernarg_segment_align: 8
    .kernarg_segment_size: 1536
    .language:       OpenCL C
    .language_version:
      - 2
      - 0
    .max_flat_workgroup_size: 1024
    .name:           _ZN2at6native12_GLOBAL__N_112gatherMedianIfmLi2EEEvNS_4cuda6detail10TensorInfoIT_T0_EENS5_IlS7_EENS5_IKS6_S7_EES7_S7_S7_b
    .private_segment_fixed_size: 0
    .sgpr_count:     100
    .sgpr_spill_count: 41
    .symbol:         _ZN2at6native12_GLOBAL__N_112gatherMedianIfmLi2EEEvNS_4cuda6detail10TensorInfoIT_T0_EENS5_IlS7_EENS5_IKS6_S7_EES7_S7_S7_b.kd
    .uniform_work_group_size: 1
    .uses_dynamic_stack: false
    .vgpr_count:     49
    .vgpr_spill_count: 0
    .wavefront_size: 64
  - .args:
      - .offset:         0
        .size:           416
        .value_kind:     by_value
      - .offset:         416
        .size:           416
        .value_kind:     by_value
      - .offset:         832
        .size:           416
        .value_kind:     by_value
      - .offset:         1248
        .size:           8
        .value_kind:     by_value
      - .offset:         1256
        .size:           8
        .value_kind:     by_value
      - .offset:         1264
        .size:           8
        .value_kind:     by_value
      - .offset:         1272
        .size:           1
        .value_kind:     by_value
      - .offset:         1280
        .size:           4
        .value_kind:     hidden_block_count_x
      - .offset:         1284
        .size:           4
        .value_kind:     hidden_block_count_y
      - .offset:         1288
        .size:           4
        .value_kind:     hidden_block_count_z
      - .offset:         1292
        .size:           2
        .value_kind:     hidden_group_size_x
      - .offset:         1294
        .size:           2
        .value_kind:     hidden_group_size_y
      - .offset:         1296
        .size:           2
        .value_kind:     hidden_group_size_z
      - .offset:         1298
        .size:           2
        .value_kind:     hidden_remainder_x
      - .offset:         1300
        .size:           2
        .value_kind:     hidden_remainder_y
      - .offset:         1302
        .size:           2
        .value_kind:     hidden_remainder_z
      - .offset:         1320
        .size:           8
        .value_kind:     hidden_global_offset_x
      - .offset:         1328
        .size:           8
        .value_kind:     hidden_global_offset_y
      - .offset:         1336
        .size:           8
        .value_kind:     hidden_global_offset_z
      - .offset:         1344
        .size:           2
        .value_kind:     hidden_grid_dims
    .group_segment_fixed_size: 5152
    .kernarg_segment_align: 8
    .kernarg_segment_size: 1536
    .language:       OpenCL C
    .language_version:
      - 2
      - 0
    .max_flat_workgroup_size: 1024
    .name:           _ZN2at6native12_GLOBAL__N_112gatherMedianIfmLi3EEEvNS_4cuda6detail10TensorInfoIT_T0_EENS5_IlS7_EENS5_IKS6_S7_EES7_S7_S7_b
    .private_segment_fixed_size: 0
    .sgpr_count:     100
    .sgpr_spill_count: 53
    .symbol:         _ZN2at6native12_GLOBAL__N_112gatherMedianIfmLi3EEEvNS_4cuda6detail10TensorInfoIT_T0_EENS5_IlS7_EENS5_IKS6_S7_EES7_S7_S7_b.kd
    .uniform_work_group_size: 1
    .uses_dynamic_stack: false
    .vgpr_count:     49
    .vgpr_spill_count: 0
    .wavefront_size: 64
  - .args:
      - .offset:         0
        .size:           416
        .value_kind:     by_value
      - .offset:         416
        .size:           416
        .value_kind:     by_value
      - .offset:         832
        .size:           416
        .value_kind:     by_value
      - .offset:         1248
        .size:           8
        .value_kind:     by_value
      - .offset:         1256
        .size:           8
        .value_kind:     by_value
      - .offset:         1264
        .size:           8
        .value_kind:     by_value
      - .offset:         1272
        .size:           1
        .value_kind:     by_value
      - .offset:         1280
        .size:           4
        .value_kind:     hidden_block_count_x
      - .offset:         1284
        .size:           4
        .value_kind:     hidden_block_count_y
      - .offset:         1288
        .size:           4
        .value_kind:     hidden_block_count_z
      - .offset:         1292
        .size:           2
        .value_kind:     hidden_group_size_x
      - .offset:         1294
        .size:           2
        .value_kind:     hidden_group_size_y
      - .offset:         1296
        .size:           2
        .value_kind:     hidden_group_size_z
      - .offset:         1298
        .size:           2
        .value_kind:     hidden_remainder_x
      - .offset:         1300
        .size:           2
        .value_kind:     hidden_remainder_y
      - .offset:         1302
        .size:           2
        .value_kind:     hidden_remainder_z
      - .offset:         1320
        .size:           8
        .value_kind:     hidden_global_offset_x
      - .offset:         1328
        .size:           8
        .value_kind:     hidden_global_offset_y
      - .offset:         1336
        .size:           8
        .value_kind:     hidden_global_offset_z
      - .offset:         1344
        .size:           2
        .value_kind:     hidden_grid_dims
    .group_segment_fixed_size: 5152
    .kernarg_segment_align: 8
    .kernarg_segment_size: 1536
    .language:       OpenCL C
    .language_version:
      - 2
      - 0
    .max_flat_workgroup_size: 1024
    .name:           _ZN2at6native12_GLOBAL__N_112gatherMedianIfmLin1EEEvNS_4cuda6detail10TensorInfoIT_T0_EENS5_IlS7_EENS5_IKS6_S7_EES7_S7_S7_b
    .private_segment_fixed_size: 0
    .sgpr_count:     100
    .sgpr_spill_count: 41
    .symbol:         _ZN2at6native12_GLOBAL__N_112gatherMedianIfmLin1EEEvNS_4cuda6detail10TensorInfoIT_T0_EENS5_IlS7_EENS5_IKS6_S7_EES7_S7_S7_b.kd
    .uniform_work_group_size: 1
    .uses_dynamic_stack: false
    .vgpr_count:     58
    .vgpr_spill_count: 0
    .wavefront_size: 64
  - .args:
      - .offset:         0
        .size:           216
        .value_kind:     by_value
      - .offset:         216
        .size:           216
        .value_kind:     by_value
      - .offset:         432
        .size:           216
        .value_kind:     by_value
      - .offset:         648
        .size:           4
        .value_kind:     by_value
      - .offset:         652
        .size:           4
        .value_kind:     by_value
      - .offset:         656
        .size:           4
        .value_kind:     by_value
      - .offset:         660
        .size:           1
        .value_kind:     by_value
      - .offset:         664
        .size:           4
        .value_kind:     hidden_block_count_x
      - .offset:         668
        .size:           4
        .value_kind:     hidden_block_count_y
      - .offset:         672
        .size:           4
        .value_kind:     hidden_block_count_z
      - .offset:         676
        .size:           2
        .value_kind:     hidden_group_size_x
      - .offset:         678
        .size:           2
        .value_kind:     hidden_group_size_y
      - .offset:         680
        .size:           2
        .value_kind:     hidden_group_size_z
      - .offset:         682
        .size:           2
        .value_kind:     hidden_remainder_x
      - .offset:         684
        .size:           2
        .value_kind:     hidden_remainder_y
      - .offset:         686
        .size:           2
        .value_kind:     hidden_remainder_z
      - .offset:         704
        .size:           8
        .value_kind:     hidden_global_offset_x
      - .offset:         712
        .size:           8
        .value_kind:     hidden_global_offset_y
      - .offset:         720
        .size:           8
        .value_kind:     hidden_global_offset_z
      - .offset:         728
        .size:           2
        .value_kind:     hidden_grid_dims
    .group_segment_fixed_size: 4120
    .kernarg_segment_align: 8
    .kernarg_segment_size: 920
    .language:       OpenCL C
    .language_version:
      - 2
      - 0
    .max_flat_workgroup_size: 1024
    .name:           _ZN2at6native12_GLOBAL__N_112gatherMedianIN3c104HalfEjLi1EEEvNS_4cuda6detail10TensorInfoIT_T0_EENS7_IlS9_EENS7_IKS8_S9_EES9_S9_S9_b
    .private_segment_fixed_size: 0
    .sgpr_count:     100
    .sgpr_spill_count: 24
    .symbol:         _ZN2at6native12_GLOBAL__N_112gatherMedianIN3c104HalfEjLi1EEEvNS_4cuda6detail10TensorInfoIT_T0_EENS7_IlS9_EENS7_IKS8_S9_EES9_S9_S9_b.kd
    .uniform_work_group_size: 1
    .uses_dynamic_stack: false
    .vgpr_count:     54
    .vgpr_spill_count: 0
    .wavefront_size: 64
  - .args:
      - .offset:         0
        .size:           216
        .value_kind:     by_value
      - .offset:         216
        .size:           216
        .value_kind:     by_value
      - .offset:         432
        .size:           216
        .value_kind:     by_value
      - .offset:         648
        .size:           4
        .value_kind:     by_value
      - .offset:         652
        .size:           4
        .value_kind:     by_value
      - .offset:         656
        .size:           4
        .value_kind:     by_value
      - .offset:         660
        .size:           1
        .value_kind:     by_value
      - .offset:         664
        .size:           4
        .value_kind:     hidden_block_count_x
      - .offset:         668
        .size:           4
        .value_kind:     hidden_block_count_y
      - .offset:         672
        .size:           4
        .value_kind:     hidden_block_count_z
      - .offset:         676
        .size:           2
        .value_kind:     hidden_group_size_x
      - .offset:         678
        .size:           2
        .value_kind:     hidden_group_size_y
      - .offset:         680
        .size:           2
        .value_kind:     hidden_group_size_z
      - .offset:         682
        .size:           2
        .value_kind:     hidden_remainder_x
      - .offset:         684
        .size:           2
        .value_kind:     hidden_remainder_y
      - .offset:         686
        .size:           2
        .value_kind:     hidden_remainder_z
      - .offset:         704
        .size:           8
        .value_kind:     hidden_global_offset_x
      - .offset:         712
        .size:           8
        .value_kind:     hidden_global_offset_y
      - .offset:         720
        .size:           8
        .value_kind:     hidden_global_offset_z
      - .offset:         728
        .size:           2
        .value_kind:     hidden_grid_dims
    .group_segment_fixed_size: 4120
    .kernarg_segment_align: 8
    .kernarg_segment_size: 920
    .language:       OpenCL C
    .language_version:
      - 2
      - 0
    .max_flat_workgroup_size: 1024
    .name:           _ZN2at6native12_GLOBAL__N_112gatherMedianIN3c104HalfEjLi2EEEvNS_4cuda6detail10TensorInfoIT_T0_EENS7_IlS9_EENS7_IKS8_S9_EES9_S9_S9_b
    .private_segment_fixed_size: 0
    .sgpr_count:     100
    .sgpr_spill_count: 30
    .symbol:         _ZN2at6native12_GLOBAL__N_112gatherMedianIN3c104HalfEjLi2EEEvNS_4cuda6detail10TensorInfoIT_T0_EENS7_IlS9_EENS7_IKS8_S9_EES9_S9_S9_b.kd
    .uniform_work_group_size: 1
    .uses_dynamic_stack: false
    .vgpr_count:     54
    .vgpr_spill_count: 0
    .wavefront_size: 64
  - .args:
      - .offset:         0
        .size:           216
        .value_kind:     by_value
      - .offset:         216
        .size:           216
        .value_kind:     by_value
      - .offset:         432
        .size:           216
        .value_kind:     by_value
      - .offset:         648
        .size:           4
        .value_kind:     by_value
      - .offset:         652
        .size:           4
        .value_kind:     by_value
      - .offset:         656
        .size:           4
        .value_kind:     by_value
      - .offset:         660
        .size:           1
        .value_kind:     by_value
      - .offset:         664
        .size:           4
        .value_kind:     hidden_block_count_x
      - .offset:         668
        .size:           4
        .value_kind:     hidden_block_count_y
      - .offset:         672
        .size:           4
        .value_kind:     hidden_block_count_z
      - .offset:         676
        .size:           2
        .value_kind:     hidden_group_size_x
      - .offset:         678
        .size:           2
        .value_kind:     hidden_group_size_y
      - .offset:         680
        .size:           2
        .value_kind:     hidden_group_size_z
      - .offset:         682
        .size:           2
        .value_kind:     hidden_remainder_x
      - .offset:         684
        .size:           2
        .value_kind:     hidden_remainder_y
      - .offset:         686
        .size:           2
        .value_kind:     hidden_remainder_z
      - .offset:         704
        .size:           8
        .value_kind:     hidden_global_offset_x
      - .offset:         712
        .size:           8
        .value_kind:     hidden_global_offset_y
      - .offset:         720
        .size:           8
        .value_kind:     hidden_global_offset_z
      - .offset:         728
        .size:           2
        .value_kind:     hidden_grid_dims
    .group_segment_fixed_size: 4120
    .kernarg_segment_align: 8
    .kernarg_segment_size: 920
    .language:       OpenCL C
    .language_version:
      - 2
      - 0
    .max_flat_workgroup_size: 1024
    .name:           _ZN2at6native12_GLOBAL__N_112gatherMedianIN3c104HalfEjLi3EEEvNS_4cuda6detail10TensorInfoIT_T0_EENS7_IlS9_EENS7_IKS8_S9_EES9_S9_S9_b
    .private_segment_fixed_size: 0
    .sgpr_count:     100
    .sgpr_spill_count: 38
    .symbol:         _ZN2at6native12_GLOBAL__N_112gatherMedianIN3c104HalfEjLi3EEEvNS_4cuda6detail10TensorInfoIT_T0_EENS7_IlS9_EENS7_IKS8_S9_EES9_S9_S9_b.kd
    .uniform_work_group_size: 1
    .uses_dynamic_stack: false
    .vgpr_count:     54
    .vgpr_spill_count: 0
    .wavefront_size: 64
  - .args:
      - .offset:         0
        .size:           216
        .value_kind:     by_value
      - .offset:         216
        .size:           216
        .value_kind:     by_value
      - .offset:         432
        .size:           216
        .value_kind:     by_value
      - .offset:         648
        .size:           4
        .value_kind:     by_value
      - .offset:         652
        .size:           4
        .value_kind:     by_value
      - .offset:         656
        .size:           4
        .value_kind:     by_value
      - .offset:         660
        .size:           1
        .value_kind:     by_value
      - .offset:         664
        .size:           4
        .value_kind:     hidden_block_count_x
      - .offset:         668
        .size:           4
        .value_kind:     hidden_block_count_y
      - .offset:         672
        .size:           4
        .value_kind:     hidden_block_count_z
      - .offset:         676
        .size:           2
        .value_kind:     hidden_group_size_x
      - .offset:         678
        .size:           2
        .value_kind:     hidden_group_size_y
      - .offset:         680
        .size:           2
        .value_kind:     hidden_group_size_z
      - .offset:         682
        .size:           2
        .value_kind:     hidden_remainder_x
      - .offset:         684
        .size:           2
        .value_kind:     hidden_remainder_y
      - .offset:         686
        .size:           2
        .value_kind:     hidden_remainder_z
      - .offset:         704
        .size:           8
        .value_kind:     hidden_global_offset_x
      - .offset:         712
        .size:           8
        .value_kind:     hidden_global_offset_y
      - .offset:         720
        .size:           8
        .value_kind:     hidden_global_offset_z
      - .offset:         728
        .size:           2
        .value_kind:     hidden_grid_dims
    .group_segment_fixed_size: 4120
    .kernarg_segment_align: 8
    .kernarg_segment_size: 920
    .language:       OpenCL C
    .language_version:
      - 2
      - 0
    .max_flat_workgroup_size: 1024
    .name:           _ZN2at6native12_GLOBAL__N_112gatherMedianIN3c104HalfEjLin1EEEvNS_4cuda6detail10TensorInfoIT_T0_EENS7_IlS9_EENS7_IKS8_S9_EES9_S9_S9_b
    .private_segment_fixed_size: 0
    .sgpr_count:     100
    .sgpr_spill_count: 27
    .symbol:         _ZN2at6native12_GLOBAL__N_112gatherMedianIN3c104HalfEjLin1EEEvNS_4cuda6detail10TensorInfoIT_T0_EENS7_IlS9_EENS7_IKS8_S9_EES9_S9_S9_b.kd
    .uniform_work_group_size: 1
    .uses_dynamic_stack: false
    .vgpr_count:     54
    .vgpr_spill_count: 0
    .wavefront_size: 64
  - .args:
      - .offset:         0
        .size:           416
        .value_kind:     by_value
      - .offset:         416
        .size:           416
        .value_kind:     by_value
      - .offset:         832
        .size:           416
        .value_kind:     by_value
      - .offset:         1248
        .size:           8
        .value_kind:     by_value
      - .offset:         1256
        .size:           8
        .value_kind:     by_value
      - .offset:         1264
        .size:           8
        .value_kind:     by_value
      - .offset:         1272
        .size:           1
        .value_kind:     by_value
      - .offset:         1280
        .size:           4
        .value_kind:     hidden_block_count_x
      - .offset:         1284
        .size:           4
        .value_kind:     hidden_block_count_y
      - .offset:         1288
        .size:           4
        .value_kind:     hidden_block_count_z
      - .offset:         1292
        .size:           2
        .value_kind:     hidden_group_size_x
      - .offset:         1294
        .size:           2
        .value_kind:     hidden_group_size_y
      - .offset:         1296
        .size:           2
        .value_kind:     hidden_group_size_z
      - .offset:         1298
        .size:           2
        .value_kind:     hidden_remainder_x
      - .offset:         1300
        .size:           2
        .value_kind:     hidden_remainder_y
      - .offset:         1302
        .size:           2
        .value_kind:     hidden_remainder_z
      - .offset:         1320
        .size:           8
        .value_kind:     hidden_global_offset_x
      - .offset:         1328
        .size:           8
        .value_kind:     hidden_global_offset_y
      - .offset:         1336
        .size:           8
        .value_kind:     hidden_global_offset_z
      - .offset:         1344
        .size:           2
        .value_kind:     hidden_grid_dims
    .group_segment_fixed_size: 5152
    .kernarg_segment_align: 8
    .kernarg_segment_size: 1536
    .language:       OpenCL C
    .language_version:
      - 2
      - 0
    .max_flat_workgroup_size: 1024
    .name:           _ZN2at6native12_GLOBAL__N_112gatherMedianIN3c104HalfEmLi1EEEvNS_4cuda6detail10TensorInfoIT_T0_EENS7_IlS9_EENS7_IKS8_S9_EES9_S9_S9_b
    .private_segment_fixed_size: 0
    .sgpr_count:     100
    .sgpr_spill_count: 29
    .symbol:         _ZN2at6native12_GLOBAL__N_112gatherMedianIN3c104HalfEmLi1EEEvNS_4cuda6detail10TensorInfoIT_T0_EENS7_IlS9_EENS7_IKS8_S9_EES9_S9_S9_b.kd
    .uniform_work_group_size: 1
    .uses_dynamic_stack: false
    .vgpr_count:     61
    .vgpr_spill_count: 0
    .wavefront_size: 64
  - .args:
      - .offset:         0
        .size:           416
        .value_kind:     by_value
      - .offset:         416
        .size:           416
        .value_kind:     by_value
      - .offset:         832
        .size:           416
        .value_kind:     by_value
      - .offset:         1248
        .size:           8
        .value_kind:     by_value
      - .offset:         1256
        .size:           8
        .value_kind:     by_value
      - .offset:         1264
        .size:           8
        .value_kind:     by_value
      - .offset:         1272
        .size:           1
        .value_kind:     by_value
      - .offset:         1280
        .size:           4
        .value_kind:     hidden_block_count_x
      - .offset:         1284
        .size:           4
        .value_kind:     hidden_block_count_y
      - .offset:         1288
        .size:           4
        .value_kind:     hidden_block_count_z
      - .offset:         1292
        .size:           2
        .value_kind:     hidden_group_size_x
      - .offset:         1294
        .size:           2
        .value_kind:     hidden_group_size_y
      - .offset:         1296
        .size:           2
        .value_kind:     hidden_group_size_z
      - .offset:         1298
        .size:           2
        .value_kind:     hidden_remainder_x
      - .offset:         1300
        .size:           2
        .value_kind:     hidden_remainder_y
      - .offset:         1302
        .size:           2
        .value_kind:     hidden_remainder_z
      - .offset:         1320
        .size:           8
        .value_kind:     hidden_global_offset_x
      - .offset:         1328
        .size:           8
        .value_kind:     hidden_global_offset_y
      - .offset:         1336
        .size:           8
        .value_kind:     hidden_global_offset_z
      - .offset:         1344
        .size:           2
        .value_kind:     hidden_grid_dims
    .group_segment_fixed_size: 5152
    .kernarg_segment_align: 8
    .kernarg_segment_size: 1536
    .language:       OpenCL C
    .language_version:
      - 2
      - 0
    .max_flat_workgroup_size: 1024
    .name:           _ZN2at6native12_GLOBAL__N_112gatherMedianIN3c104HalfEmLi2EEEvNS_4cuda6detail10TensorInfoIT_T0_EENS7_IlS9_EENS7_IKS8_S9_EES9_S9_S9_b
    .private_segment_fixed_size: 0
    .sgpr_count:     100
    .sgpr_spill_count: 47
    .symbol:         _ZN2at6native12_GLOBAL__N_112gatherMedianIN3c104HalfEmLi2EEEvNS_4cuda6detail10TensorInfoIT_T0_EENS7_IlS9_EENS7_IKS8_S9_EES9_S9_S9_b.kd
    .uniform_work_group_size: 1
    .uses_dynamic_stack: false
    .vgpr_count:     53
    .vgpr_spill_count: 0
    .wavefront_size: 64
  - .args:
      - .offset:         0
        .size:           416
        .value_kind:     by_value
      - .offset:         416
        .size:           416
        .value_kind:     by_value
      - .offset:         832
        .size:           416
        .value_kind:     by_value
      - .offset:         1248
        .size:           8
        .value_kind:     by_value
      - .offset:         1256
        .size:           8
        .value_kind:     by_value
      - .offset:         1264
        .size:           8
        .value_kind:     by_value
      - .offset:         1272
        .size:           1
        .value_kind:     by_value
      - .offset:         1280
        .size:           4
        .value_kind:     hidden_block_count_x
      - .offset:         1284
        .size:           4
        .value_kind:     hidden_block_count_y
      - .offset:         1288
        .size:           4
        .value_kind:     hidden_block_count_z
      - .offset:         1292
        .size:           2
        .value_kind:     hidden_group_size_x
      - .offset:         1294
        .size:           2
        .value_kind:     hidden_group_size_y
      - .offset:         1296
        .size:           2
        .value_kind:     hidden_group_size_z
      - .offset:         1298
        .size:           2
        .value_kind:     hidden_remainder_x
      - .offset:         1300
        .size:           2
        .value_kind:     hidden_remainder_y
      - .offset:         1302
        .size:           2
        .value_kind:     hidden_remainder_z
      - .offset:         1320
        .size:           8
        .value_kind:     hidden_global_offset_x
      - .offset:         1328
        .size:           8
        .value_kind:     hidden_global_offset_y
      - .offset:         1336
        .size:           8
        .value_kind:     hidden_global_offset_z
      - .offset:         1344
        .size:           2
        .value_kind:     hidden_grid_dims
    .group_segment_fixed_size: 5152
    .kernarg_segment_align: 8
    .kernarg_segment_size: 1536
    .language:       OpenCL C
    .language_version:
      - 2
      - 0
    .max_flat_workgroup_size: 1024
    .name:           _ZN2at6native12_GLOBAL__N_112gatherMedianIN3c104HalfEmLi3EEEvNS_4cuda6detail10TensorInfoIT_T0_EENS7_IlS9_EENS7_IKS8_S9_EES9_S9_S9_b
    .private_segment_fixed_size: 0
    .sgpr_count:     100
    .sgpr_spill_count: 59
    .symbol:         _ZN2at6native12_GLOBAL__N_112gatherMedianIN3c104HalfEmLi3EEEvNS_4cuda6detail10TensorInfoIT_T0_EENS7_IlS9_EENS7_IKS8_S9_EES9_S9_S9_b.kd
    .uniform_work_group_size: 1
    .uses_dynamic_stack: false
    .vgpr_count:     53
    .vgpr_spill_count: 0
    .wavefront_size: 64
  - .args:
      - .offset:         0
        .size:           416
        .value_kind:     by_value
      - .offset:         416
        .size:           416
        .value_kind:     by_value
      - .offset:         832
        .size:           416
        .value_kind:     by_value
      - .offset:         1248
        .size:           8
        .value_kind:     by_value
      - .offset:         1256
        .size:           8
        .value_kind:     by_value
      - .offset:         1264
        .size:           8
        .value_kind:     by_value
      - .offset:         1272
        .size:           1
        .value_kind:     by_value
      - .offset:         1280
        .size:           4
        .value_kind:     hidden_block_count_x
      - .offset:         1284
        .size:           4
        .value_kind:     hidden_block_count_y
      - .offset:         1288
        .size:           4
        .value_kind:     hidden_block_count_z
      - .offset:         1292
        .size:           2
        .value_kind:     hidden_group_size_x
      - .offset:         1294
        .size:           2
        .value_kind:     hidden_group_size_y
      - .offset:         1296
        .size:           2
        .value_kind:     hidden_group_size_z
      - .offset:         1298
        .size:           2
        .value_kind:     hidden_remainder_x
      - .offset:         1300
        .size:           2
        .value_kind:     hidden_remainder_y
      - .offset:         1302
        .size:           2
        .value_kind:     hidden_remainder_z
      - .offset:         1320
        .size:           8
        .value_kind:     hidden_global_offset_x
      - .offset:         1328
        .size:           8
        .value_kind:     hidden_global_offset_y
      - .offset:         1336
        .size:           8
        .value_kind:     hidden_global_offset_z
      - .offset:         1344
        .size:           2
        .value_kind:     hidden_grid_dims
    .group_segment_fixed_size: 5152
    .kernarg_segment_align: 8
    .kernarg_segment_size: 1536
    .language:       OpenCL C
    .language_version:
      - 2
      - 0
    .max_flat_workgroup_size: 1024
    .name:           _ZN2at6native12_GLOBAL__N_112gatherMedianIN3c104HalfEmLin1EEEvNS_4cuda6detail10TensorInfoIT_T0_EENS7_IlS9_EENS7_IKS8_S9_EES9_S9_S9_b
    .private_segment_fixed_size: 0
    .sgpr_count:     100
    .sgpr_spill_count: 38
    .symbol:         _ZN2at6native12_GLOBAL__N_112gatherMedianIN3c104HalfEmLin1EEEvNS_4cuda6detail10TensorInfoIT_T0_EENS7_IlS9_EENS7_IKS8_S9_EES9_S9_S9_b.kd
    .uniform_work_group_size: 1
    .uses_dynamic_stack: false
    .vgpr_count:     63
    .vgpr_spill_count: 0
    .wavefront_size: 64
  - .args:
      - .offset:         0
        .size:           216
        .value_kind:     by_value
      - .offset:         216
        .size:           216
        .value_kind:     by_value
      - .offset:         432
        .size:           216
        .value_kind:     by_value
      - .offset:         648
        .size:           4
        .value_kind:     by_value
      - .offset:         652
        .size:           4
        .value_kind:     by_value
      - .offset:         656
        .size:           4
        .value_kind:     by_value
      - .offset:         660
        .size:           1
        .value_kind:     by_value
      - .offset:         664
        .size:           4
        .value_kind:     hidden_block_count_x
      - .offset:         668
        .size:           4
        .value_kind:     hidden_block_count_y
      - .offset:         672
        .size:           4
        .value_kind:     hidden_block_count_z
      - .offset:         676
        .size:           2
        .value_kind:     hidden_group_size_x
      - .offset:         678
        .size:           2
        .value_kind:     hidden_group_size_y
      - .offset:         680
        .size:           2
        .value_kind:     hidden_group_size_z
      - .offset:         682
        .size:           2
        .value_kind:     hidden_remainder_x
      - .offset:         684
        .size:           2
        .value_kind:     hidden_remainder_y
      - .offset:         686
        .size:           2
        .value_kind:     hidden_remainder_z
      - .offset:         704
        .size:           8
        .value_kind:     hidden_global_offset_x
      - .offset:         712
        .size:           8
        .value_kind:     hidden_global_offset_y
      - .offset:         720
        .size:           8
        .value_kind:     hidden_global_offset_z
      - .offset:         728
        .size:           2
        .value_kind:     hidden_grid_dims
    .group_segment_fixed_size: 4120
    .kernarg_segment_align: 8
    .kernarg_segment_size: 920
    .language:       OpenCL C
    .language_version:
      - 2
      - 0
    .max_flat_workgroup_size: 1024
    .name:           _ZN2at6native12_GLOBAL__N_112gatherMedianIN3c108BFloat16EjLi1EEEvNS_4cuda6detail10TensorInfoIT_T0_EENS7_IlS9_EENS7_IKS8_S9_EES9_S9_S9_b
    .private_segment_fixed_size: 0
    .sgpr_count:     100
    .sgpr_spill_count: 26
    .symbol:         _ZN2at6native12_GLOBAL__N_112gatherMedianIN3c108BFloat16EjLi1EEEvNS_4cuda6detail10TensorInfoIT_T0_EENS7_IlS9_EENS7_IKS8_S9_EES9_S9_S9_b.kd
    .uniform_work_group_size: 1
    .uses_dynamic_stack: false
    .vgpr_count:     54
    .vgpr_spill_count: 0
    .wavefront_size: 64
  - .args:
      - .offset:         0
        .size:           216
        .value_kind:     by_value
      - .offset:         216
        .size:           216
        .value_kind:     by_value
      - .offset:         432
        .size:           216
        .value_kind:     by_value
      - .offset:         648
        .size:           4
        .value_kind:     by_value
      - .offset:         652
        .size:           4
        .value_kind:     by_value
      - .offset:         656
        .size:           4
        .value_kind:     by_value
      - .offset:         660
        .size:           1
        .value_kind:     by_value
      - .offset:         664
        .size:           4
        .value_kind:     hidden_block_count_x
      - .offset:         668
        .size:           4
        .value_kind:     hidden_block_count_y
      - .offset:         672
        .size:           4
        .value_kind:     hidden_block_count_z
      - .offset:         676
        .size:           2
        .value_kind:     hidden_group_size_x
      - .offset:         678
        .size:           2
        .value_kind:     hidden_group_size_y
      - .offset:         680
        .size:           2
        .value_kind:     hidden_group_size_z
      - .offset:         682
        .size:           2
        .value_kind:     hidden_remainder_x
      - .offset:         684
        .size:           2
        .value_kind:     hidden_remainder_y
      - .offset:         686
        .size:           2
        .value_kind:     hidden_remainder_z
      - .offset:         704
        .size:           8
        .value_kind:     hidden_global_offset_x
      - .offset:         712
        .size:           8
        .value_kind:     hidden_global_offset_y
      - .offset:         720
        .size:           8
        .value_kind:     hidden_global_offset_z
      - .offset:         728
        .size:           2
        .value_kind:     hidden_grid_dims
    .group_segment_fixed_size: 4120
    .kernarg_segment_align: 8
    .kernarg_segment_size: 920
    .language:       OpenCL C
    .language_version:
      - 2
      - 0
    .max_flat_workgroup_size: 1024
    .name:           _ZN2at6native12_GLOBAL__N_112gatherMedianIN3c108BFloat16EjLi2EEEvNS_4cuda6detail10TensorInfoIT_T0_EENS7_IlS9_EENS7_IKS8_S9_EES9_S9_S9_b
    .private_segment_fixed_size: 0
    .sgpr_count:     100
    .sgpr_spill_count: 32
    .symbol:         _ZN2at6native12_GLOBAL__N_112gatherMedianIN3c108BFloat16EjLi2EEEvNS_4cuda6detail10TensorInfoIT_T0_EENS7_IlS9_EENS7_IKS8_S9_EES9_S9_S9_b.kd
    .uniform_work_group_size: 1
    .uses_dynamic_stack: false
    .vgpr_count:     54
    .vgpr_spill_count: 0
    .wavefront_size: 64
  - .args:
      - .offset:         0
        .size:           216
        .value_kind:     by_value
      - .offset:         216
        .size:           216
        .value_kind:     by_value
      - .offset:         432
        .size:           216
        .value_kind:     by_value
      - .offset:         648
        .size:           4
        .value_kind:     by_value
      - .offset:         652
        .size:           4
        .value_kind:     by_value
      - .offset:         656
        .size:           4
        .value_kind:     by_value
      - .offset:         660
        .size:           1
        .value_kind:     by_value
      - .offset:         664
        .size:           4
        .value_kind:     hidden_block_count_x
      - .offset:         668
        .size:           4
        .value_kind:     hidden_block_count_y
      - .offset:         672
        .size:           4
        .value_kind:     hidden_block_count_z
      - .offset:         676
        .size:           2
        .value_kind:     hidden_group_size_x
      - .offset:         678
        .size:           2
        .value_kind:     hidden_group_size_y
      - .offset:         680
        .size:           2
        .value_kind:     hidden_group_size_z
      - .offset:         682
        .size:           2
        .value_kind:     hidden_remainder_x
      - .offset:         684
        .size:           2
        .value_kind:     hidden_remainder_y
      - .offset:         686
        .size:           2
        .value_kind:     hidden_remainder_z
      - .offset:         704
        .size:           8
        .value_kind:     hidden_global_offset_x
      - .offset:         712
        .size:           8
        .value_kind:     hidden_global_offset_y
      - .offset:         720
        .size:           8
        .value_kind:     hidden_global_offset_z
      - .offset:         728
        .size:           2
        .value_kind:     hidden_grid_dims
    .group_segment_fixed_size: 4120
    .kernarg_segment_align: 8
    .kernarg_segment_size: 920
    .language:       OpenCL C
    .language_version:
      - 2
      - 0
    .max_flat_workgroup_size: 1024
    .name:           _ZN2at6native12_GLOBAL__N_112gatherMedianIN3c108BFloat16EjLi3EEEvNS_4cuda6detail10TensorInfoIT_T0_EENS7_IlS9_EENS7_IKS8_S9_EES9_S9_S9_b
    .private_segment_fixed_size: 0
    .sgpr_count:     100
    .sgpr_spill_count: 40
    .symbol:         _ZN2at6native12_GLOBAL__N_112gatherMedianIN3c108BFloat16EjLi3EEEvNS_4cuda6detail10TensorInfoIT_T0_EENS7_IlS9_EENS7_IKS8_S9_EES9_S9_S9_b.kd
    .uniform_work_group_size: 1
    .uses_dynamic_stack: false
    .vgpr_count:     54
    .vgpr_spill_count: 0
    .wavefront_size: 64
  - .args:
      - .offset:         0
        .size:           216
        .value_kind:     by_value
      - .offset:         216
        .size:           216
        .value_kind:     by_value
      - .offset:         432
        .size:           216
        .value_kind:     by_value
      - .offset:         648
        .size:           4
        .value_kind:     by_value
      - .offset:         652
        .size:           4
        .value_kind:     by_value
      - .offset:         656
        .size:           4
        .value_kind:     by_value
      - .offset:         660
        .size:           1
        .value_kind:     by_value
      - .offset:         664
        .size:           4
        .value_kind:     hidden_block_count_x
      - .offset:         668
        .size:           4
        .value_kind:     hidden_block_count_y
      - .offset:         672
        .size:           4
        .value_kind:     hidden_block_count_z
      - .offset:         676
        .size:           2
        .value_kind:     hidden_group_size_x
      - .offset:         678
        .size:           2
        .value_kind:     hidden_group_size_y
      - .offset:         680
        .size:           2
        .value_kind:     hidden_group_size_z
      - .offset:         682
        .size:           2
        .value_kind:     hidden_remainder_x
      - .offset:         684
        .size:           2
        .value_kind:     hidden_remainder_y
      - .offset:         686
        .size:           2
        .value_kind:     hidden_remainder_z
      - .offset:         704
        .size:           8
        .value_kind:     hidden_global_offset_x
      - .offset:         712
        .size:           8
        .value_kind:     hidden_global_offset_y
      - .offset:         720
        .size:           8
        .value_kind:     hidden_global_offset_z
      - .offset:         728
        .size:           2
        .value_kind:     hidden_grid_dims
    .group_segment_fixed_size: 4120
    .kernarg_segment_align: 8
    .kernarg_segment_size: 920
    .language:       OpenCL C
    .language_version:
      - 2
      - 0
    .max_flat_workgroup_size: 1024
    .name:           _ZN2at6native12_GLOBAL__N_112gatherMedianIN3c108BFloat16EjLin1EEEvNS_4cuda6detail10TensorInfoIT_T0_EENS7_IlS9_EENS7_IKS8_S9_EES9_S9_S9_b
    .private_segment_fixed_size: 0
    .sgpr_count:     100
    .sgpr_spill_count: 29
    .symbol:         _ZN2at6native12_GLOBAL__N_112gatherMedianIN3c108BFloat16EjLin1EEEvNS_4cuda6detail10TensorInfoIT_T0_EENS7_IlS9_EENS7_IKS8_S9_EES9_S9_S9_b.kd
    .uniform_work_group_size: 1
    .uses_dynamic_stack: false
    .vgpr_count:     54
    .vgpr_spill_count: 0
    .wavefront_size: 64
  - .args:
      - .offset:         0
        .size:           416
        .value_kind:     by_value
      - .offset:         416
        .size:           416
        .value_kind:     by_value
      - .offset:         832
        .size:           416
        .value_kind:     by_value
      - .offset:         1248
        .size:           8
        .value_kind:     by_value
      - .offset:         1256
        .size:           8
        .value_kind:     by_value
      - .offset:         1264
        .size:           8
        .value_kind:     by_value
      - .offset:         1272
        .size:           1
        .value_kind:     by_value
      - .offset:         1280
        .size:           4
        .value_kind:     hidden_block_count_x
      - .offset:         1284
        .size:           4
        .value_kind:     hidden_block_count_y
      - .offset:         1288
        .size:           4
        .value_kind:     hidden_block_count_z
      - .offset:         1292
        .size:           2
        .value_kind:     hidden_group_size_x
      - .offset:         1294
        .size:           2
        .value_kind:     hidden_group_size_y
      - .offset:         1296
        .size:           2
        .value_kind:     hidden_group_size_z
      - .offset:         1298
        .size:           2
        .value_kind:     hidden_remainder_x
      - .offset:         1300
        .size:           2
        .value_kind:     hidden_remainder_y
      - .offset:         1302
        .size:           2
        .value_kind:     hidden_remainder_z
      - .offset:         1320
        .size:           8
        .value_kind:     hidden_global_offset_x
      - .offset:         1328
        .size:           8
        .value_kind:     hidden_global_offset_y
      - .offset:         1336
        .size:           8
        .value_kind:     hidden_global_offset_z
      - .offset:         1344
        .size:           2
        .value_kind:     hidden_grid_dims
    .group_segment_fixed_size: 5152
    .kernarg_segment_align: 8
    .kernarg_segment_size: 1536
    .language:       OpenCL C
    .language_version:
      - 2
      - 0
    .max_flat_workgroup_size: 1024
    .name:           _ZN2at6native12_GLOBAL__N_112gatherMedianIN3c108BFloat16EmLi1EEEvNS_4cuda6detail10TensorInfoIT_T0_EENS7_IlS9_EENS7_IKS8_S9_EES9_S9_S9_b
    .private_segment_fixed_size: 0
    .sgpr_count:     100
    .sgpr_spill_count: 29
    .symbol:         _ZN2at6native12_GLOBAL__N_112gatherMedianIN3c108BFloat16EmLi1EEEvNS_4cuda6detail10TensorInfoIT_T0_EENS7_IlS9_EENS7_IKS8_S9_EES9_S9_S9_b.kd
    .uniform_work_group_size: 1
    .uses_dynamic_stack: false
    .vgpr_count:     61
    .vgpr_spill_count: 0
    .wavefront_size: 64
  - .args:
      - .offset:         0
        .size:           416
        .value_kind:     by_value
      - .offset:         416
        .size:           416
        .value_kind:     by_value
      - .offset:         832
        .size:           416
        .value_kind:     by_value
      - .offset:         1248
        .size:           8
        .value_kind:     by_value
      - .offset:         1256
        .size:           8
        .value_kind:     by_value
      - .offset:         1264
        .size:           8
        .value_kind:     by_value
      - .offset:         1272
        .size:           1
        .value_kind:     by_value
      - .offset:         1280
        .size:           4
        .value_kind:     hidden_block_count_x
      - .offset:         1284
        .size:           4
        .value_kind:     hidden_block_count_y
      - .offset:         1288
        .size:           4
        .value_kind:     hidden_block_count_z
      - .offset:         1292
        .size:           2
        .value_kind:     hidden_group_size_x
      - .offset:         1294
        .size:           2
        .value_kind:     hidden_group_size_y
      - .offset:         1296
        .size:           2
        .value_kind:     hidden_group_size_z
      - .offset:         1298
        .size:           2
        .value_kind:     hidden_remainder_x
      - .offset:         1300
        .size:           2
        .value_kind:     hidden_remainder_y
      - .offset:         1302
        .size:           2
        .value_kind:     hidden_remainder_z
      - .offset:         1320
        .size:           8
        .value_kind:     hidden_global_offset_x
      - .offset:         1328
        .size:           8
        .value_kind:     hidden_global_offset_y
      - .offset:         1336
        .size:           8
        .value_kind:     hidden_global_offset_z
      - .offset:         1344
        .size:           2
        .value_kind:     hidden_grid_dims
    .group_segment_fixed_size: 5152
    .kernarg_segment_align: 8
    .kernarg_segment_size: 1536
    .language:       OpenCL C
    .language_version:
      - 2
      - 0
    .max_flat_workgroup_size: 1024
    .name:           _ZN2at6native12_GLOBAL__N_112gatherMedianIN3c108BFloat16EmLi2EEEvNS_4cuda6detail10TensorInfoIT_T0_EENS7_IlS9_EENS7_IKS8_S9_EES9_S9_S9_b
    .private_segment_fixed_size: 0
    .sgpr_count:     100
    .sgpr_spill_count: 47
    .symbol:         _ZN2at6native12_GLOBAL__N_112gatherMedianIN3c108BFloat16EmLi2EEEvNS_4cuda6detail10TensorInfoIT_T0_EENS7_IlS9_EENS7_IKS8_S9_EES9_S9_S9_b.kd
    .uniform_work_group_size: 1
    .uses_dynamic_stack: false
    .vgpr_count:     53
    .vgpr_spill_count: 0
    .wavefront_size: 64
  - .args:
      - .offset:         0
        .size:           416
        .value_kind:     by_value
      - .offset:         416
        .size:           416
        .value_kind:     by_value
      - .offset:         832
        .size:           416
        .value_kind:     by_value
      - .offset:         1248
        .size:           8
        .value_kind:     by_value
      - .offset:         1256
        .size:           8
        .value_kind:     by_value
      - .offset:         1264
        .size:           8
        .value_kind:     by_value
      - .offset:         1272
        .size:           1
        .value_kind:     by_value
      - .offset:         1280
        .size:           4
        .value_kind:     hidden_block_count_x
      - .offset:         1284
        .size:           4
        .value_kind:     hidden_block_count_y
      - .offset:         1288
        .size:           4
        .value_kind:     hidden_block_count_z
      - .offset:         1292
        .size:           2
        .value_kind:     hidden_group_size_x
      - .offset:         1294
        .size:           2
        .value_kind:     hidden_group_size_y
      - .offset:         1296
        .size:           2
        .value_kind:     hidden_group_size_z
      - .offset:         1298
        .size:           2
        .value_kind:     hidden_remainder_x
      - .offset:         1300
        .size:           2
        .value_kind:     hidden_remainder_y
      - .offset:         1302
        .size:           2
        .value_kind:     hidden_remainder_z
      - .offset:         1320
        .size:           8
        .value_kind:     hidden_global_offset_x
      - .offset:         1328
        .size:           8
        .value_kind:     hidden_global_offset_y
      - .offset:         1336
        .size:           8
        .value_kind:     hidden_global_offset_z
      - .offset:         1344
        .size:           2
        .value_kind:     hidden_grid_dims
    .group_segment_fixed_size: 5152
    .kernarg_segment_align: 8
    .kernarg_segment_size: 1536
    .language:       OpenCL C
    .language_version:
      - 2
      - 0
    .max_flat_workgroup_size: 1024
    .name:           _ZN2at6native12_GLOBAL__N_112gatherMedianIN3c108BFloat16EmLi3EEEvNS_4cuda6detail10TensorInfoIT_T0_EENS7_IlS9_EENS7_IKS8_S9_EES9_S9_S9_b
    .private_segment_fixed_size: 0
    .sgpr_count:     100
    .sgpr_spill_count: 59
    .symbol:         _ZN2at6native12_GLOBAL__N_112gatherMedianIN3c108BFloat16EmLi3EEEvNS_4cuda6detail10TensorInfoIT_T0_EENS7_IlS9_EENS7_IKS8_S9_EES9_S9_S9_b.kd
    .uniform_work_group_size: 1
    .uses_dynamic_stack: false
    .vgpr_count:     53
    .vgpr_spill_count: 0
    .wavefront_size: 64
  - .args:
      - .offset:         0
        .size:           416
        .value_kind:     by_value
      - .offset:         416
        .size:           416
        .value_kind:     by_value
      - .offset:         832
        .size:           416
        .value_kind:     by_value
      - .offset:         1248
        .size:           8
        .value_kind:     by_value
      - .offset:         1256
        .size:           8
        .value_kind:     by_value
      - .offset:         1264
        .size:           8
        .value_kind:     by_value
      - .offset:         1272
        .size:           1
        .value_kind:     by_value
      - .offset:         1280
        .size:           4
        .value_kind:     hidden_block_count_x
      - .offset:         1284
        .size:           4
        .value_kind:     hidden_block_count_y
      - .offset:         1288
        .size:           4
        .value_kind:     hidden_block_count_z
      - .offset:         1292
        .size:           2
        .value_kind:     hidden_group_size_x
      - .offset:         1294
        .size:           2
        .value_kind:     hidden_group_size_y
      - .offset:         1296
        .size:           2
        .value_kind:     hidden_group_size_z
      - .offset:         1298
        .size:           2
        .value_kind:     hidden_remainder_x
      - .offset:         1300
        .size:           2
        .value_kind:     hidden_remainder_y
      - .offset:         1302
        .size:           2
        .value_kind:     hidden_remainder_z
      - .offset:         1320
        .size:           8
        .value_kind:     hidden_global_offset_x
      - .offset:         1328
        .size:           8
        .value_kind:     hidden_global_offset_y
      - .offset:         1336
        .size:           8
        .value_kind:     hidden_global_offset_z
      - .offset:         1344
        .size:           2
        .value_kind:     hidden_grid_dims
    .group_segment_fixed_size: 5152
    .kernarg_segment_align: 8
    .kernarg_segment_size: 1536
    .language:       OpenCL C
    .language_version:
      - 2
      - 0
    .max_flat_workgroup_size: 1024
    .name:           _ZN2at6native12_GLOBAL__N_112gatherMedianIN3c108BFloat16EmLin1EEEvNS_4cuda6detail10TensorInfoIT_T0_EENS7_IlS9_EENS7_IKS8_S9_EES9_S9_S9_b
    .private_segment_fixed_size: 0
    .sgpr_count:     100
    .sgpr_spill_count: 39
    .symbol:         _ZN2at6native12_GLOBAL__N_112gatherMedianIN3c108BFloat16EmLin1EEEvNS_4cuda6detail10TensorInfoIT_T0_EENS7_IlS9_EENS7_IKS8_S9_EES9_S9_S9_b.kd
    .uniform_work_group_size: 1
    .uses_dynamic_stack: false
    .vgpr_count:     63
    .vgpr_spill_count: 0
    .wavefront_size: 64
amdhsa.target:   amdgcn-amd-amdhsa--gfx906
amdhsa.version:
  - 1
  - 2
...

	.end_amdgpu_metadata
